;; amdgpu-corpus repo=pytorch/pytorch kind=compiled arch=gfx906 opt=O3
	.amdgcn_target "amdgcn-amd-amdhsa--gfx906"
	.amdhsa_code_object_version 6
	.text
	.p2align	2                               ; -- Begin function _ZN2at6native25elementwise_kernel_helperILb0EZZZNS0_19digamma_kernel_cudaERNS_18TensorIteratorBaseEENKUlvE_clEvENKUlvE_clEvEUldE_NS0_6memory8policies11unroll_baseILi256ESt5arrayIPcLm2EE23TrivialOffsetCalculatorILi1EjESE_NS7_15LoadWithoutCastENS7_16StoreWithoutCastELi4ELi1EEEEEvT0_T1_
	.type	_ZN2at6native25elementwise_kernel_helperILb0EZZZNS0_19digamma_kernel_cudaERNS_18TensorIteratorBaseEENKUlvE_clEvENKUlvE_clEvEUldE_NS0_6memory8policies11unroll_baseILi256ESt5arrayIPcLm2EE23TrivialOffsetCalculatorILi1EjESE_NS7_15LoadWithoutCastENS7_16StoreWithoutCastELi4ELi1EEEEEvT0_T1_,@function
_ZN2at6native25elementwise_kernel_helperILb0EZZZNS0_19digamma_kernel_cudaERNS_18TensorIteratorBaseEENKUlvE_clEvENKUlvE_clEvEUldE_NS0_6memory8policies11unroll_baseILi256ESt5arrayIPcLm2EE23TrivialOffsetCalculatorILi1EjESE_NS7_15LoadWithoutCastENS7_16StoreWithoutCastELi4ELi1EEEEEvT0_T1_: ; @_ZN2at6native25elementwise_kernel_helperILb0EZZZNS0_19digamma_kernel_cudaERNS_18TensorIteratorBaseEENKUlvE_clEvENKUlvE_clEvEUldE_NS0_6memory8policies11unroll_baseILi256ESt5arrayIPcLm2EE23TrivialOffsetCalculatorILi1EjESE_NS7_15LoadWithoutCastENS7_16StoreWithoutCastELi4ELi1EEEEEvT0_T1_
; %bb.0:
	s_waitcnt vmcnt(0) expcnt(0) lgkmcnt(0)
	v_and_b32_e32 v22, 0x3ff, v31
	s_lshl_b32 s20, s12, 10
	v_mov_b32_e32 v16, 0
	v_mov_b32_e32 v18, 0
	v_cmp_lt_i32_e64 s[4:5], v22, v4
	v_mov_b32_e32 v17, 0
	v_or_b32_e32 v5, s20, v22
	v_mov_b32_e32 v19, 0
	v_mov_b32_e32 v10, v22
	s_and_saveexec_b64 s[6:7], s[4:5]
	s_cbranch_execz .LBB0_2
; %bb.1:
	v_mov_b32_e32 v6, 0
	v_lshlrev_b64 v[6:7], 3, v[5:6]
	v_add_u32_e32 v10, 0x100, v22
	v_add_co_u32_e32 v6, vcc, v2, v6
	v_addc_co_u32_e32 v7, vcc, v3, v7, vcc
	flat_load_dwordx2 v[18:19], v[6:7]
.LBB0_2:
	s_or_b64 exec, exec, s[6:7]
	v_cmp_lt_i32_e32 vcc, v10, v4
	s_and_saveexec_b64 s[6:7], vcc
	s_cbranch_execz .LBB0_4
; %bb.3:
	v_add_u32_e32 v6, s20, v10
	v_mov_b32_e32 v7, 0
	v_lshlrev_b64 v[6:7], 3, v[6:7]
	v_add_u32_e32 v10, 0x100, v10
	v_add_co_u32_e32 v6, vcc, v2, v6
	v_addc_co_u32_e32 v7, vcc, v3, v7, vcc
	flat_load_dwordx2 v[16:17], v[6:7]
.LBB0_4:
	s_or_b64 exec, exec, s[6:7]
	v_mov_b32_e32 v6, 0
	v_mov_b32_e32 v8, 0
	;; [unrolled: 1-line block ×4, first 2 shown]
	v_cmp_lt_i32_e32 vcc, v10, v4
	s_and_saveexec_b64 s[6:7], vcc
	s_cbranch_execz .LBB0_6
; %bb.5:
	v_add_u32_e32 v8, s20, v10
	v_mov_b32_e32 v9, 0
	v_lshlrev_b64 v[8:9], 3, v[8:9]
	v_add_u32_e32 v10, 0x100, v10
	v_add_co_u32_e32 v8, vcc, v2, v8
	v_addc_co_u32_e32 v9, vcc, v3, v9, vcc
	flat_load_dwordx2 v[8:9], v[8:9]
.LBB0_6:
	s_or_b64 exec, exec, s[6:7]
	v_cmp_lt_i32_e32 vcc, v10, v4
	s_and_saveexec_b64 s[6:7], vcc
	s_cbranch_execz .LBB0_8
; %bb.7:
	v_add_u32_e32 v6, s20, v10
	v_mov_b32_e32 v7, 0
	v_lshlrev_b64 v[6:7], 3, v[6:7]
	v_add_co_u32_e32 v2, vcc, v2, v6
	v_addc_co_u32_e32 v3, vcc, v3, v7, vcc
	flat_load_dwordx2 v[6:7], v[2:3]
.LBB0_8:
	s_or_b64 exec, exec, s[6:7]
	v_mov_b32_e32 v2, 0
	v_mov_b32_e32 v3, v2
	;; [unrolled: 1-line block ×8, first 2 shown]
	s_and_saveexec_b64 s[8:9], s[4:5]
	s_cbranch_execz .LBB0_34
; %bb.9:
	s_waitcnt vmcnt(0) lgkmcnt(0)
	v_cmp_neq_f64_e32 vcc, 0, v[18:19]
                                        ; implicit-def: $vgpr2_vgpr3
	s_and_saveexec_b64 s[6:7], vcc
	s_xor_b64 s[10:11], exec, s[6:7]
	s_cbranch_execz .LBB0_31
; %bb.10:
	v_cmp_gt_f64_e32 vcc, 0, v[18:19]
	v_mov_b32_e32 v10, 0
	v_mov_b32_e32 v11, 0
	s_mov_b64 s[14:15], -1
	s_and_saveexec_b64 s[12:13], vcc
	s_cbranch_execz .LBB0_18
; %bb.11:
	v_trunc_f64_e32 v[2:3], v[18:19]
	v_mov_b32_e32 v10, 0
	v_mov_b32_e32 v11, 0
	s_mov_b64 s[16:17], 0
	v_cmp_neq_f64_e32 vcc, v[18:19], v[2:3]
	s_and_saveexec_b64 s[14:15], vcc
	s_cbranch_execz .LBB0_17
; %bb.12:
	v_add_f64 v[2:3], v[18:19], -v[2:3]
	s_mov_b32 s6, 0
	s_mov_b32 s17, 0xc00921fb
	;; [unrolled: 1-line block ×4, first 2 shown]
	v_cmp_neq_f64_e64 vcc, |v[18:19]|, s[6:7]
	v_bfrev_b32_e32 v10, 1
	s_mov_b32 s18, 0
	v_mul_f64 v[2:3], |v[2:3]|, s[16:17]
	s_mov_b32 s19, 0x41d00000
                                        ; implicit-def: $vgpr14
                                        ; implicit-def: $vgpr12_vgpr13
	v_cndmask_b32_e32 v3, v10, v3, vcc
	v_cndmask_b32_e32 v2, 0, v2, vcc
	v_cmp_nlt_f64_e64 s[18:19], |v[2:3]|, s[18:19]
                                        ; implicit-def: $vgpr10_vgpr11
	s_and_saveexec_b64 s[22:23], s[18:19]
	s_xor_b64 s[18:19], exec, s[22:23]
	s_cbranch_execz .LBB0_14
; %bb.13:
	v_trig_preop_f64 v[10:11], |v[2:3]|, 0
	s_mov_b32 s22, 0
	s_mov_b32 s23, 0x7b000000
	s_movk_i32 s17, 0xff80
	v_ldexp_f64 v[14:15], |v[2:3]|, s17
	v_cmp_ge_f64_e64 vcc, |v[2:3]|, s[22:23]
	v_trig_preop_f64 v[12:13], |v[2:3]|, 1
	v_and_b32_e32 v20, 0x7fffffff, v3
	v_trig_preop_f64 v[27:28], |v[2:3]|, 2
	v_mov_b32_e32 v38, 0x40100000
	v_mov_b32_e32 v37, 0
	s_mov_b32 s17, 0x3ff921fb
	v_cndmask_b32_e32 v15, v20, v15, vcc
	v_cndmask_b32_e32 v14, v2, v14, vcc
	v_mul_f64 v[20:21], v[10:11], v[14:15]
	v_mul_f64 v[23:24], v[12:13], v[14:15]
	;; [unrolled: 1-line block ×3, first 2 shown]
	v_fma_f64 v[10:11], v[10:11], v[14:15], -v[20:21]
	v_fma_f64 v[12:13], v[12:13], v[14:15], -v[23:24]
	;; [unrolled: 1-line block ×3, first 2 shown]
	v_add_f64 v[25:26], v[23:24], v[10:11]
	v_add_f64 v[29:30], v[25:26], -v[23:24]
	v_add_f64 v[35:36], v[20:21], v[25:26]
	v_add_f64 v[31:32], v[25:26], -v[29:30]
	v_add_f64 v[10:11], v[10:11], -v[29:30]
	v_add_f64 v[29:30], v[33:34], v[12:13]
	v_add_f64 v[20:21], v[35:36], -v[20:21]
	v_add_f64 v[23:24], v[23:24], -v[31:32]
	v_ldexp_f64 v[31:32], v[35:36], -2
	v_add_f64 v[48:49], v[29:30], -v[33:34]
	v_add_f64 v[20:21], v[25:26], -v[20:21]
	v_add_f64 v[10:11], v[10:11], v[23:24]
	v_fract_f64_e32 v[23:24], v[31:32]
	v_cmp_neq_f64_e64 vcc, |v[31:32]|, s[6:7]
	v_add_f64 v[12:13], v[12:13], -v[48:49]
	v_add_f64 v[25:26], v[29:30], v[10:11]
	v_ldexp_f64 v[23:24], v[23:24], 2
	v_add_f64 v[31:32], v[20:21], v[25:26]
	v_cndmask_b32_e32 v24, 0, v24, vcc
	v_cndmask_b32_e32 v23, 0, v23, vcc
	v_add_f64 v[50:51], v[25:26], -v[29:30]
	v_add_f64 v[35:36], v[31:32], v[23:24]
	v_add_f64 v[20:21], v[31:32], -v[20:21]
	v_add_f64 v[10:11], v[10:11], -v[50:51]
	v_cmp_gt_f64_e32 vcc, 0, v[35:36]
	v_add_f64 v[35:36], v[29:30], -v[48:49]
	v_add_f64 v[20:21], v[25:26], -v[20:21]
	v_cndmask_b32_e32 v38, 0, v38, vcc
	v_add_f64 v[23:24], v[23:24], v[37:38]
	v_add_f64 v[38:39], v[25:26], -v[50:51]
	v_add_f64 v[35:36], v[33:34], -v[35:36]
	v_add_f64 v[52:53], v[31:32], v[23:24]
	v_add_f64 v[29:30], v[29:30], -v[38:39]
	v_add_f64 v[12:13], v[12:13], v[35:36]
	v_cvt_i32_f64_e32 v48, v[52:53]
	v_add_f64 v[10:11], v[10:11], v[29:30]
	v_cvt_f64_i32_e32 v[38:39], v48
	v_add_f64 v[23:24], v[23:24], -v[38:39]
	v_add_f64 v[10:11], v[12:13], v[10:11]
	v_add_f64 v[12:13], v[31:32], v[23:24]
	;; [unrolled: 1-line block ×3, first 2 shown]
	v_add_f64 v[14:15], v[12:13], -v[23:24]
	v_cmp_le_f64_e32 vcc, 0.5, v[12:13]
	v_add_f64 v[10:11], v[20:21], v[10:11]
	v_add_f64 v[20:21], v[31:32], -v[14:15]
	v_mov_b32_e32 v15, 0x3ff00000
	v_cndmask_b32_e32 v38, 0, v15, vcc
	v_add_f64 v[12:13], v[12:13], -v[37:38]
	v_addc_co_u32_e64 v14, s[6:7], 0, v48, vcc
	s_mov_b32 s6, 0x33145c07
	s_mov_b32 s7, 0x3c91a626
	v_add_f64 v[10:11], v[10:11], v[20:21]
	v_add_f64 v[20:21], v[12:13], v[10:11]
	v_mul_f64 v[23:24], v[20:21], s[16:17]
	v_add_f64 v[12:13], v[20:21], -v[12:13]
	v_fma_f64 v[25:26], v[20:21], s[16:17], -v[23:24]
	v_add_f64 v[10:11], v[10:11], -v[12:13]
	v_fma_f64 v[12:13], v[20:21], s[6:7], v[25:26]
	v_fma_f64 v[12:13], v[10:11], s[16:17], v[12:13]
	v_add_f64 v[10:11], v[23:24], v[12:13]
	v_add_f64 v[20:21], v[10:11], -v[23:24]
	v_add_f64 v[12:13], v[12:13], -v[20:21]
.LBB0_14:
	s_andn2_saveexec_b64 s[6:7], s[18:19]
	s_cbranch_execz .LBB0_16
; %bb.15:
	s_mov_b32 s16, 0x6dc9c883
	s_mov_b32 s17, 0x3fe45f30
	v_mul_f64 v[10:11], |v[2:3]|, s[16:17]
	s_mov_b32 s16, 0x54442d18
	s_mov_b32 s17, 0xbff921fb
	;; [unrolled: 1-line block ×4, first 2 shown]
	v_rndne_f64_e32 v[14:15], v[10:11]
	v_fma_f64 v[10:11], v[14:15], s[16:17], |v[2:3]|
	v_mul_f64 v[12:13], v[14:15], s[18:19]
	s_mov_b32 s16, 0x252049c0
	s_mov_b32 s17, 0xb97b839a
	v_fma_f64 v[25:26], v[14:15], s[18:19], v[10:11]
	v_add_f64 v[20:21], v[10:11], v[12:13]
	s_mov_b32 s19, 0x3c91a626
	v_add_f64 v[23:24], v[10:11], -v[20:21]
	v_add_f64 v[20:21], v[20:21], -v[25:26]
	v_add_f64 v[10:11], v[23:24], v[12:13]
	v_fma_f64 v[12:13], v[14:15], s[18:19], v[12:13]
	v_add_f64 v[10:11], v[20:21], v[10:11]
	v_add_f64 v[10:11], v[10:11], -v[12:13]
	v_fma_f64 v[12:13], v[14:15], s[16:17], v[10:11]
	v_cvt_i32_f64_e32 v14, v[14:15]
	v_add_f64 v[10:11], v[25:26], v[12:13]
	v_add_f64 v[20:21], v[10:11], -v[25:26]
	v_add_f64 v[12:13], v[12:13], -v[20:21]
.LBB0_16:
	s_or_b64 exec, exec, s[6:7]
	v_mul_f64 v[20:21], v[10:11], v[10:11]
	v_add_f64 v[23:24], v[12:13], v[12:13]
	s_mov_b32 s6, 0xc751c08c
	s_mov_b32 s7, 0x3ef5e089
	v_and_b32_e32 v14, 1, v14
	v_cmp_eq_u32_e32 vcc, 0, v14
	v_and_b32_e32 v15, 0x80000000, v3
	s_mov_b32 s18, 0x54442d18
	v_fma_f64 v[25:26], v[10:11], v[10:11], -v[20:21]
	s_mov_b32 s19, 0xc00921fb
	v_add_f64 v[18:19], -v[18:19], 1.0
	s_mov_b64 s[16:17], exec
	v_fma_f64 v[23:24], v[10:11], v[23:24], v[25:26]
	v_add_f64 v[20:21], v[20:21], v[23:24]
	v_mov_b32_e32 v23, 0xa9a29f71
	v_mov_b32_e32 v24, 0xbf078809
	v_fma_f64 v[23:24], v[20:21], s[6:7], v[23:24]
	s_mov_b32 s6, 0x90a8aae0
	s_mov_b32 s7, 0x3f17746f
	v_fma_f64 v[23:24], v[20:21], v[23:24], s[6:7]
	s_mov_b32 s6, 0xa6fbf144
	s_mov_b32 s7, 0xbefbb44d
	;; [unrolled: 3-line block ×12, first 2 shown]
	v_fma_f64 v[23:24], v[20:21], v[23:24], s[6:7]
	s_movk_i32 s6, 0x1f8
	v_cmp_class_f64_e64 s[6:7], v[2:3], s6
	v_mov_b32_e32 v3, 0x7ff80000
	v_mul_f64 v[20:21], v[20:21], v[23:24]
	v_mul_f64 v[23:24], v[10:11], v[20:21]
	v_add_f64 v[25:26], v[10:11], v[23:24]
	v_fma_f64 v[20:21], v[10:11], v[20:21], -v[23:24]
	v_add_f64 v[10:11], v[25:26], -v[10:11]
	v_add_f64 v[12:13], v[12:13], v[20:21]
	v_add_f64 v[10:11], v[23:24], -v[10:11]
	v_add_f64 v[10:11], v[12:13], v[10:11]
	v_add_f64 v[12:13], v[25:26], v[10:11]
	v_rcp_f64_e32 v[20:21], v[12:13]
	v_fma_f64 v[23:24], -v[12:13], v[20:21], 1.0
	v_fma_f64 v[20:21], v[23:24], v[20:21], v[20:21]
	v_fma_f64 v[23:24], -v[12:13], v[20:21], 1.0
	v_fma_f64 v[20:21], v[23:24], v[20:21], v[20:21]
	v_add_f64 v[23:24], v[12:13], -v[25:26]
	v_mul_f64 v[25:26], v[12:13], v[20:21]
	v_add_f64 v[10:11], v[10:11], -v[23:24]
	v_fma_f64 v[23:24], v[20:21], v[12:13], -v[25:26]
	v_fma_f64 v[10:11], v[20:21], v[10:11], v[23:24]
	v_add_f64 v[23:24], v[25:26], v[10:11]
	v_add_f64 v[27:28], -v[23:24], 1.0
	v_add_f64 v[25:26], v[23:24], -v[25:26]
	v_add_f64 v[29:30], -v[27:28], 1.0
	v_add_f64 v[10:11], v[25:26], -v[10:11]
	v_add_f64 v[23:24], v[29:30], -v[23:24]
	v_add_f64 v[10:11], v[10:11], v[23:24]
	v_add_f64 v[10:11], v[27:28], v[10:11]
	v_mul_f64 v[10:11], v[20:21], v[10:11]
	v_add_f64 v[10:11], v[20:21], v[10:11]
	v_xor_b32_e32 v2, 0x80000000, v11
	v_cndmask_b32_e32 v10, v10, v12, vcc
	v_cndmask_b32_e32 v11, v2, v13, vcc
	v_cndmask_b32_e64 v2, 0, v10, s[6:7]
	v_xor_b32_e32 v10, v11, v15
	v_cndmask_b32_e64 v3, v3, v10, s[6:7]
	v_div_scale_f64 v[10:11], s[6:7], v[2:3], v[2:3], s[18:19]
	v_rcp_f64_e32 v[12:13], v[10:11]
	v_fma_f64 v[14:15], -v[10:11], v[12:13], 1.0
	v_fma_f64 v[12:13], v[12:13], v[14:15], v[12:13]
	v_div_scale_f64 v[14:15], vcc, s[18:19], v[2:3], s[18:19]
	v_fma_f64 v[20:21], -v[10:11], v[12:13], 1.0
	v_fma_f64 v[12:13], v[12:13], v[20:21], v[12:13]
	v_mul_f64 v[20:21], v[14:15], v[12:13]
	v_fma_f64 v[10:11], -v[10:11], v[20:21], v[14:15]
	v_div_fmas_f64 v[10:11], v[10:11], v[12:13], v[20:21]
	v_div_fixup_f64 v[10:11], v[10:11], v[2:3], s[18:19]
.LBB0_17:
	s_or_b64 exec, exec, s[14:15]
	s_orn2_b64 s[14:15], s[16:17], exec
.LBB0_18:
	s_or_b64 exec, exec, s[12:13]
	v_mov_b32_e32 v2, 0
	v_mov_b32_e32 v3, 0x7ff80000
	s_and_saveexec_b64 s[6:7], s[14:15]
	s_cbranch_execz .LBB0_30
; %bb.19:
	s_mov_b32 s14, 0
	s_mov_b32 s15, 0x40240000
	v_cmp_gt_f64_e32 vcc, s[14:15], v[18:19]
	s_and_saveexec_b64 s[12:13], vcc
	s_cbranch_execz .LBB0_23
; %bb.20:
	s_mov_b64 s[16:17], 0
.LBB0_21:                               ; =>This Inner Loop Header: Depth=1
	v_div_scale_f64 v[2:3], s[18:19], v[18:19], v[18:19], 1.0
	v_rcp_f64_e32 v[12:13], v[2:3]
	v_fma_f64 v[14:15], -v[2:3], v[12:13], 1.0
	v_fma_f64 v[12:13], v[12:13], v[14:15], v[12:13]
	v_div_scale_f64 v[14:15], vcc, 1.0, v[18:19], 1.0
	v_fma_f64 v[20:21], -v[2:3], v[12:13], 1.0
	v_fma_f64 v[12:13], v[12:13], v[20:21], v[12:13]
	v_mul_f64 v[20:21], v[14:15], v[12:13]
	v_fma_f64 v[2:3], -v[2:3], v[20:21], v[14:15]
	v_div_fmas_f64 v[2:3], v[2:3], v[12:13], v[20:21]
	v_div_fixup_f64 v[2:3], v[2:3], v[18:19], 1.0
	v_add_f64 v[18:19], v[18:19], 1.0
	v_add_f64 v[10:11], v[10:11], -v[2:3]
	v_cmp_ngt_f64_e32 vcc, s[14:15], v[18:19]
	s_or_b64 s[16:17], vcc, s[16:17]
	s_andn2_b64 exec, exec, s[16:17]
	s_cbranch_execnz .LBB0_21
; %bb.22:
	s_or_b64 exec, exec, s[16:17]
.LBB0_23:
	s_or_b64 exec, exec, s[12:13]
	s_mov_b32 s12, 0
	s_mov_b32 s13, 0x40240000
	v_cmp_neq_f64_e32 vcc, s[12:13], v[18:19]
                                        ; implicit-def: $vgpr2_vgpr3
	s_and_saveexec_b64 s[12:13], vcc
	s_xor_b64 s[12:13], exec, s[12:13]
	s_cbranch_execz .LBB0_27
; %bb.24:
	s_mov_b32 s14, 0x85d8a000
	s_mov_b32 s15, 0x43763457
	v_cmp_gt_f64_e32 vcc, s[14:15], v[18:19]
	v_mov_b32_e32 v2, 0
	v_mov_b32_e32 v3, 0
	s_and_saveexec_b64 s[14:15], vcc
	s_cbranch_execz .LBB0_26
; %bb.25:
	v_mul_f64 v[2:3], v[18:19], v[18:19]
	s_mov_b32 s18, 0x95995996
	s_mov_b32 s19, 0xbf959959
	;; [unrolled: 1-line block ×4, first 2 shown]
	v_div_scale_f64 v[12:13], s[16:17], v[2:3], v[2:3], 1.0
	v_div_scale_f64 v[23:24], vcc, 1.0, v[2:3], 1.0
	s_mov_b32 s16, 0x55555555
	s_mov_b32 s17, 0x3fb55555
	v_rcp_f64_e32 v[14:15], v[12:13]
	v_fma_f64 v[20:21], -v[12:13], v[14:15], 1.0
	v_fma_f64 v[14:15], v[14:15], v[20:21], v[14:15]
	v_fma_f64 v[20:21], -v[12:13], v[14:15], 1.0
	v_fma_f64 v[14:15], v[14:15], v[20:21], v[14:15]
	v_mul_f64 v[20:21], v[23:24], v[14:15]
	v_fma_f64 v[12:13], -v[12:13], v[20:21], v[23:24]
	v_div_fmas_f64 v[12:13], v[12:13], v[14:15], v[20:21]
	v_div_fixup_f64 v[2:3], v[12:13], v[2:3], 1.0
	v_fma_f64 v[12:13], v[2:3], 0, s[16:17]
	v_fma_f64 v[12:13], v[2:3], v[12:13], s[18:19]
	s_mov_b32 s18, 0xf07c1f08
	s_mov_b32 s19, 0x3f7f07c1
	v_fma_f64 v[12:13], v[2:3], v[12:13], s[18:19]
	s_mov_b32 s19, 0xbf711111
	s_mov_b32 s18, 0x11111111
	v_fma_f64 v[12:13], v[2:3], v[12:13], s[18:19]
	s_mov_b32 s19, 0xbf811111
	v_fma_f64 v[12:13], v[2:3], v[12:13], s[22:23]
	v_fma_f64 v[12:13], v[2:3], v[12:13], s[18:19]
	;; [unrolled: 1-line block ×3, first 2 shown]
	v_mul_f64 v[2:3], v[2:3], v[12:13]
.LBB0_26:
	s_or_b64 exec, exec, s[14:15]
	v_frexp_mant_f64_e32 v[12:13], v[18:19]
	s_mov_b32 s15, 0x3fe55555
	s_mov_b32 s14, 0x55555555
	v_frexp_exp_i32_f64_e32 v14, v[18:19]
	s_mov_b32 s16, 0xbf559e2b
	s_mov_b32 s17, 0x3fc3ab76
	v_cmp_gt_f64_e32 vcc, s[14:15], v[12:13]
	s_mov_b32 s14, 0x55555780
	v_cndmask_b32_e64 v15, 0, 1, vcc
	v_ldexp_f64 v[12:13], v[12:13], v15
	v_subbrev_co_u32_e32 v31, vcc, 0, v14, vcc
	v_add_f64 v[20:21], v[12:13], 1.0
	v_add_f64 v[14:15], v[12:13], -1.0
	v_add_f64 v[23:24], v[20:21], -1.0
	v_add_f64 v[12:13], v[12:13], -v[23:24]
	v_rcp_f64_e32 v[23:24], v[20:21]
	v_fma_f64 v[25:26], -v[20:21], v[23:24], 1.0
	v_fma_f64 v[23:24], v[25:26], v[23:24], v[23:24]
	v_fma_f64 v[25:26], -v[20:21], v[23:24], 1.0
	v_fma_f64 v[23:24], v[25:26], v[23:24], v[23:24]
	v_mul_f64 v[25:26], v[14:15], v[23:24]
	v_mul_f64 v[27:28], v[20:21], v[25:26]
	v_fma_f64 v[20:21], v[25:26], v[20:21], -v[27:28]
	v_fma_f64 v[12:13], v[25:26], v[12:13], v[20:21]
	v_add_f64 v[20:21], v[27:28], v[12:13]
	v_add_f64 v[29:30], v[14:15], -v[20:21]
	v_add_f64 v[27:28], v[20:21], -v[27:28]
	;; [unrolled: 1-line block ×5, first 2 shown]
	v_add_f64 v[12:13], v[12:13], v[14:15]
	v_add_f64 v[12:13], v[29:30], v[12:13]
	v_mul_f64 v[12:13], v[23:24], v[12:13]
	v_mov_b32_e32 v23, 0x6b47b09a
	v_mov_b32_e32 v24, 0x3fc38538
	v_add_f64 v[14:15], v[25:26], v[12:13]
	v_add_f64 v[20:21], v[14:15], -v[25:26]
	v_ldexp_f64 v[25:26], v[14:15], 1
	v_add_f64 v[12:13], v[12:13], -v[20:21]
	v_mul_f64 v[20:21], v[14:15], v[14:15]
	v_ldexp_f64 v[12:13], v[12:13], 1
	v_fma_f64 v[23:24], v[20:21], s[16:17], v[23:24]
	s_mov_b32 s16, 0xd7f4df2e
	s_mov_b32 s17, 0x3fc7474d
	v_mul_f64 v[14:15], v[14:15], v[20:21]
	v_fma_f64 v[23:24], v[20:21], v[23:24], s[16:17]
	s_mov_b32 s16, 0x16291751
	s_mov_b32 s17, 0x3fcc71c0
	v_fma_f64 v[23:24], v[20:21], v[23:24], s[16:17]
	s_mov_b32 s16, 0x9b27acf1
	s_mov_b32 s17, 0x3fd24924
	;; [unrolled: 3-line block ×3, first 2 shown]
	v_fma_f64 v[23:24], v[20:21], v[23:24], s[16:17]
	v_fma_f64 v[23:24], v[20:21], v[23:24], s[14:15]
	s_mov_b32 s14, 0xfefa39ef
	s_mov_b32 s15, 0x3fe62e42
	v_mul_f64 v[14:15], v[14:15], v[23:24]
	v_add_f64 v[20:21], v[25:26], v[14:15]
	v_add_f64 v[23:24], v[20:21], -v[25:26]
	v_add_f64 v[14:15], v[14:15], -v[23:24]
	v_add_f64 v[12:13], v[12:13], v[14:15]
	v_add_f64 v[14:15], v[20:21], v[12:13]
	v_add_f64 v[20:21], v[14:15], -v[20:21]
	v_add_f64 v[12:13], v[12:13], -v[20:21]
	v_cvt_f64_i32_e32 v[20:21], v31
	v_mul_f64 v[23:24], v[20:21], s[14:15]
	v_fma_f64 v[25:26], v[20:21], s[14:15], -v[23:24]
	s_mov_b32 s14, 0x3b39803f
	s_mov_b32 s15, 0x3c7abc9e
	v_fma_f64 v[20:21], v[20:21], s[14:15], v[25:26]
	s_movk_i32 s14, 0x204
	v_cmp_class_f64_e64 vcc, v[18:19], s14
	v_add_f64 v[25:26], v[23:24], v[20:21]
	v_add_f64 v[23:24], v[25:26], -v[23:24]
	v_add_f64 v[20:21], v[20:21], -v[23:24]
	v_add_f64 v[23:24], v[25:26], v[14:15]
	v_add_f64 v[27:28], v[23:24], -v[25:26]
	v_add_f64 v[29:30], v[23:24], -v[27:28]
	;; [unrolled: 1-line block ×4, first 2 shown]
	v_add_f64 v[14:15], v[14:15], v[25:26]
	v_add_f64 v[25:26], v[20:21], v[12:13]
	v_add_f64 v[27:28], v[25:26], -v[20:21]
	v_add_f64 v[14:15], v[25:26], v[14:15]
	v_add_f64 v[29:30], v[25:26], -v[27:28]
	v_add_f64 v[12:13], v[12:13], -v[27:28]
	;; [unrolled: 1-line block ×3, first 2 shown]
	v_add_f64 v[12:13], v[12:13], v[20:21]
	v_add_f64 v[20:21], v[23:24], v[14:15]
	v_add_f64 v[23:24], v[20:21], -v[23:24]
	v_add_f64 v[14:15], v[14:15], -v[23:24]
	v_add_f64 v[12:13], v[12:13], v[14:15]
	v_div_scale_f64 v[14:15], s[14:15], v[18:19], v[18:19], -0.5
	v_add_f64 v[12:13], v[20:21], v[12:13]
	v_cndmask_b32_e32 v13, v13, v19, vcc
	v_rcp_f64_e32 v[20:21], v[14:15]
	v_cndmask_b32_e32 v12, v12, v18, vcc
	v_fma_f64 v[23:24], -v[14:15], v[20:21], 1.0
	v_fma_f64 v[20:21], v[20:21], v[23:24], v[20:21]
	v_fma_f64 v[23:24], -v[14:15], v[20:21], 1.0
	v_fma_f64 v[20:21], v[20:21], v[23:24], v[20:21]
	v_div_scale_f64 v[23:24], vcc, -0.5, v[18:19], -0.5
	v_mul_f64 v[25:26], v[23:24], v[20:21]
	v_fma_f64 v[14:15], -v[14:15], v[25:26], v[23:24]
	s_nop 1
	v_div_fmas_f64 v[14:15], v[14:15], v[20:21], v[25:26]
	v_div_fixup_f64 v[14:15], v[14:15], v[18:19], -0.5
	v_add_f64 v[12:13], v[12:13], v[14:15]
	v_add_f64 v[2:3], v[12:13], -v[2:3]
	v_add_f64 v[2:3], v[10:11], v[2:3]
                                        ; implicit-def: $vgpr10_vgpr11
.LBB0_27:
	s_andn2_saveexec_b64 s[12:13], s[12:13]
	s_cbranch_execz .LBB0_29
; %bb.28:
	s_mov_b32 s14, 0xdc85cc95
	s_mov_b32 s15, 0x40020396
	v_add_f64 v[2:3], v[10:11], s[14:15]
.LBB0_29:
	s_or_b64 exec, exec, s[12:13]
.LBB0_30:
	s_or_b64 exec, exec, s[6:7]
                                        ; implicit-def: $vgpr18_vgpr19
.LBB0_31:
	s_andn2_saveexec_b64 s[6:7], s[10:11]
; %bb.32:
	v_xor_b32_e32 v2, 0x80000000, v19
	s_brev_b32 s10, -2
	v_mov_b32_e32 v3, 0x7ff00000
	v_bfi_b32 v3, s10, v3, v2
	v_mov_b32_e32 v2, 0
; %bb.33:
	s_or_b64 exec, exec, s[6:7]
	v_mov_b32_e32 v14, 0
	v_mov_b32_e32 v15, v14
	v_mov_b32_e32 v12, v14
	v_mov_b32_e32 v13, v14
	v_mov_b32_e32 v10, v14
	v_mov_b32_e32 v11, v14
.LBB0_34:
	s_or_b64 exec, exec, s[8:9]
	v_add_u32_e32 v23, 0x100, v22
	v_cmp_lt_i32_e32 vcc, v23, v4
	s_and_saveexec_b64 s[8:9], vcc
	s_cbranch_execz .LBB0_60
; %bb.35:
	s_waitcnt vmcnt(0) lgkmcnt(0)
	v_cmp_neq_f64_e32 vcc, 0, v[16:17]
	s_and_saveexec_b64 s[6:7], vcc
	s_xor_b64 s[10:11], exec, s[6:7]
                                        ; implicit-def: $vgpr14_vgpr15
	s_cbranch_execz .LBB0_57
; %bb.36:
	v_cmp_gt_f64_e32 vcc, 0, v[16:17]
	v_mov_b32_e32 v18, 0
	v_mov_b32_e32 v19, 0
	s_mov_b64 s[14:15], -1
	s_and_saveexec_b64 s[12:13], vcc
	s_cbranch_execz .LBB0_44
; %bb.37:
	v_trunc_f64_e32 v[14:15], v[16:17]
	v_mov_b32_e32 v18, 0
	v_mov_b32_e32 v19, 0
	s_mov_b64 s[16:17], 0
	v_cmp_neq_f64_e32 vcc, v[16:17], v[14:15]
	s_and_saveexec_b64 s[14:15], vcc
	s_cbranch_execz .LBB0_43
; %bb.38:
	v_add_f64 v[14:15], v[16:17], -v[14:15]
	s_mov_b32 s18, 0
	s_mov_b32 s7, 0xc00921fb
	;; [unrolled: 1-line block ×4, first 2 shown]
	v_cmp_neq_f64_e64 vcc, |v[16:17]|, s[18:19]
	v_bfrev_b32_e32 v18, 1
	s_mov_b32 s16, 0
	v_mul_f64 v[14:15], |v[14:15]|, s[6:7]
	s_mov_b32 s17, 0x41d00000
                                        ; implicit-def: $vgpr24
                                        ; implicit-def: $vgpr20_vgpr21
	v_cndmask_b32_e32 v15, v18, v15, vcc
	v_cndmask_b32_e32 v14, 0, v14, vcc
	v_cmp_nlt_f64_e64 s[16:17], |v[14:15]|, s[16:17]
                                        ; implicit-def: $vgpr18_vgpr19
	s_and_saveexec_b64 s[22:23], s[16:17]
	s_xor_b64 s[16:17], exec, s[22:23]
	s_cbranch_execz .LBB0_40
; %bb.39:
	v_trig_preop_f64 v[18:19], |v[14:15]|, 0
	s_mov_b32 s22, 0
	s_mov_b32 s23, 0x7b000000
	s_movk_i32 s7, 0xff80
	v_cmp_ge_f64_e64 vcc, |v[14:15]|, s[22:23]
	v_ldexp_f64 v[20:21], |v[14:15]|, s7
	v_trig_preop_f64 v[24:25], |v[14:15]|, 1
	v_and_b32_e32 v26, 0x7fffffff, v15
	v_trig_preop_f64 v[32:33], |v[14:15]|, 2
	s_mov_b32 s7, 0x3ff921fb
	v_cndmask_b32_e32 v21, v26, v21, vcc
	v_cndmask_b32_e32 v20, v14, v20, vcc
	v_mul_f64 v[26:27], v[18:19], v[20:21]
	v_mul_f64 v[28:29], v[24:25], v[20:21]
	;; [unrolled: 1-line block ×3, first 2 shown]
	v_fma_f64 v[18:19], v[18:19], v[20:21], -v[26:27]
	v_fma_f64 v[24:25], v[24:25], v[20:21], -v[28:29]
	;; [unrolled: 1-line block ×3, first 2 shown]
	v_add_f64 v[30:31], v[28:29], v[18:19]
	v_add_f64 v[34:35], v[30:31], -v[28:29]
	v_add_f64 v[48:49], v[26:27], v[30:31]
	v_add_f64 v[36:37], v[30:31], -v[34:35]
	v_add_f64 v[18:19], v[18:19], -v[34:35]
	v_add_f64 v[34:35], v[38:39], v[24:25]
	v_add_f64 v[26:27], v[48:49], -v[26:27]
	v_add_f64 v[28:29], v[28:29], -v[36:37]
	v_ldexp_f64 v[36:37], v[48:49], -2
	v_add_f64 v[52:53], v[34:35], -v[38:39]
	v_add_f64 v[26:27], v[30:31], -v[26:27]
	v_add_f64 v[18:19], v[18:19], v[28:29]
	v_fract_f64_e32 v[28:29], v[36:37]
	v_cmp_neq_f64_e64 vcc, |v[36:37]|, s[18:19]
	v_add_f64 v[24:25], v[24:25], -v[52:53]
	v_add_f64 v[52:53], v[34:35], -v[52:53]
	s_mov_b32 s18, 0x33145c07
	s_mov_b32 s19, 0x3c91a626
	v_add_f64 v[30:31], v[34:35], v[18:19]
	v_ldexp_f64 v[28:29], v[28:29], 2
	v_add_f64 v[36:37], v[26:27], v[30:31]
	v_cndmask_b32_e32 v29, 0, v29, vcc
	v_cndmask_b32_e32 v28, 0, v28, vcc
	v_add_f64 v[50:51], v[30:31], -v[34:35]
	v_add_f64 v[48:49], v[36:37], v[28:29]
	v_add_f64 v[26:27], v[36:37], -v[26:27]
	v_add_f64 v[18:19], v[18:19], -v[50:51]
	;; [unrolled: 1-line block ×3, first 2 shown]
	v_cmp_gt_f64_e32 vcc, 0, v[48:49]
	v_mov_b32_e32 v49, 0x40100000
	v_mov_b32_e32 v48, 0
	v_add_f64 v[26:27], v[30:31], -v[26:27]
	v_add_f64 v[34:35], v[34:35], -v[50:51]
	;; [unrolled: 1-line block ×3, first 2 shown]
	v_cndmask_b32_e32 v49, 0, v49, vcc
	v_add_f64 v[28:29], v[28:29], v[48:49]
	v_add_f64 v[18:19], v[18:19], v[34:35]
	;; [unrolled: 1-line block ×5, first 2 shown]
	v_cvt_i32_f64_e32 v53, v[49:50]
	v_add_f64 v[18:19], v[20:21], v[18:19]
	v_cvt_f64_i32_e32 v[49:50], v53
	v_add_f64 v[28:29], v[28:29], -v[49:50]
	v_add_f64 v[18:19], v[26:27], v[18:19]
	v_mov_b32_e32 v26, 0x3ff00000
	v_add_f64 v[24:25], v[36:37], v[28:29]
	v_add_f64 v[20:21], v[24:25], -v[28:29]
	v_cmp_le_f64_e32 vcc, 0.5, v[24:25]
	v_add_f64 v[20:21], v[36:37], -v[20:21]
	v_cndmask_b32_e32 v49, 0, v26, vcc
	v_add_f64 v[18:19], v[18:19], v[20:21]
	v_add_f64 v[20:21], v[24:25], -v[48:49]
	v_add_f64 v[24:25], v[20:21], v[18:19]
	v_mul_f64 v[26:27], v[24:25], s[6:7]
	v_add_f64 v[20:21], v[24:25], -v[20:21]
	v_fma_f64 v[28:29], v[24:25], s[6:7], -v[26:27]
	v_add_f64 v[18:19], v[18:19], -v[20:21]
	v_fma_f64 v[20:21], v[24:25], s[18:19], v[28:29]
	v_fma_f64 v[20:21], v[18:19], s[6:7], v[20:21]
	v_add_f64 v[18:19], v[26:27], v[20:21]
	v_add_f64 v[24:25], v[18:19], -v[26:27]
	v_add_f64 v[20:21], v[20:21], -v[24:25]
	v_addc_co_u32_e32 v24, vcc, 0, v53, vcc
.LBB0_40:
	s_andn2_saveexec_b64 s[6:7], s[16:17]
	s_cbranch_execz .LBB0_42
; %bb.41:
	s_mov_b32 s16, 0x6dc9c883
	s_mov_b32 s17, 0x3fe45f30
	v_mul_f64 v[18:19], |v[14:15]|, s[16:17]
	s_mov_b32 s16, 0x54442d18
	s_mov_b32 s17, 0xbff921fb
	;; [unrolled: 1-line block ×4, first 2 shown]
	v_rndne_f64_e32 v[24:25], v[18:19]
	v_fma_f64 v[18:19], v[24:25], s[16:17], |v[14:15]|
	v_mul_f64 v[20:21], v[24:25], s[18:19]
	s_mov_b32 s16, 0x252049c0
	s_mov_b32 s17, 0xb97b839a
	v_fma_f64 v[30:31], v[24:25], s[18:19], v[18:19]
	v_add_f64 v[26:27], v[18:19], v[20:21]
	s_mov_b32 s19, 0x3c91a626
	v_add_f64 v[28:29], v[18:19], -v[26:27]
	v_add_f64 v[26:27], v[26:27], -v[30:31]
	v_add_f64 v[18:19], v[28:29], v[20:21]
	v_fma_f64 v[20:21], v[24:25], s[18:19], v[20:21]
	v_add_f64 v[18:19], v[26:27], v[18:19]
	v_add_f64 v[18:19], v[18:19], -v[20:21]
	v_fma_f64 v[20:21], v[24:25], s[16:17], v[18:19]
	v_cvt_i32_f64_e32 v24, v[24:25]
	v_add_f64 v[18:19], v[30:31], v[20:21]
	v_add_f64 v[26:27], v[18:19], -v[30:31]
	v_add_f64 v[20:21], v[20:21], -v[26:27]
.LBB0_42:
	s_or_b64 exec, exec, s[6:7]
	v_mul_f64 v[25:26], v[18:19], v[18:19]
	v_add_f64 v[27:28], v[20:21], v[20:21]
	s_mov_b32 s6, 0xc751c08c
	s_mov_b32 s7, 0x3ef5e089
	v_and_b32_e32 v24, 1, v24
	v_cmp_eq_u32_e32 vcc, 0, v24
	s_mov_b32 s18, 0x54442d18
	s_mov_b32 s19, 0xc00921fb
	v_fma_f64 v[29:30], v[18:19], v[18:19], -v[25:26]
	v_add_f64 v[16:17], -v[16:17], 1.0
	s_mov_b64 s[16:17], exec
	v_fma_f64 v[27:28], v[18:19], v[27:28], v[29:30]
	v_add_f64 v[25:26], v[25:26], v[27:28]
	v_mov_b32_e32 v27, 0xa9a29f71
	v_mov_b32_e32 v28, 0xbf078809
	v_fma_f64 v[27:28], v[25:26], s[6:7], v[27:28]
	s_mov_b32 s6, 0x90a8aae0
	s_mov_b32 s7, 0x3f17746f
	v_fma_f64 v[27:28], v[25:26], v[27:28], s[6:7]
	s_mov_b32 s6, 0xa6fbf144
	s_mov_b32 s7, 0xbefbb44d
	;; [unrolled: 3-line block ×12, first 2 shown]
	v_fma_f64 v[27:28], v[25:26], v[27:28], s[6:7]
	s_movk_i32 s6, 0x1f8
	v_cmp_class_f64_e64 s[6:7], v[14:15], s6
	v_mul_f64 v[25:26], v[25:26], v[27:28]
	v_mul_f64 v[27:28], v[18:19], v[25:26]
	v_add_f64 v[29:30], v[18:19], v[27:28]
	v_fma_f64 v[25:26], v[18:19], v[25:26], -v[27:28]
	v_add_f64 v[18:19], v[29:30], -v[18:19]
	v_add_f64 v[20:21], v[20:21], v[25:26]
	v_add_f64 v[18:19], v[27:28], -v[18:19]
	v_add_f64 v[18:19], v[20:21], v[18:19]
	v_add_f64 v[20:21], v[29:30], v[18:19]
	v_rcp_f64_e32 v[25:26], v[20:21]
	v_fma_f64 v[27:28], -v[20:21], v[25:26], 1.0
	v_fma_f64 v[25:26], v[27:28], v[25:26], v[25:26]
	v_fma_f64 v[27:28], -v[20:21], v[25:26], 1.0
	v_fma_f64 v[25:26], v[27:28], v[25:26], v[25:26]
	v_add_f64 v[27:28], v[20:21], -v[29:30]
	v_mul_f64 v[29:30], v[20:21], v[25:26]
	v_add_f64 v[18:19], v[18:19], -v[27:28]
	v_fma_f64 v[27:28], v[25:26], v[20:21], -v[29:30]
	v_fma_f64 v[18:19], v[25:26], v[18:19], v[27:28]
	v_add_f64 v[27:28], v[29:30], v[18:19]
	v_add_f64 v[31:32], -v[27:28], 1.0
	v_add_f64 v[29:30], v[27:28], -v[29:30]
	v_add_f64 v[33:34], -v[31:32], 1.0
	v_add_f64 v[18:19], v[29:30], -v[18:19]
	v_add_f64 v[27:28], v[33:34], -v[27:28]
	v_add_f64 v[18:19], v[18:19], v[27:28]
	v_add_f64 v[18:19], v[31:32], v[18:19]
	v_mul_f64 v[18:19], v[25:26], v[18:19]
	v_add_f64 v[18:19], v[25:26], v[18:19]
	v_and_b32_e32 v25, 0x80000000, v15
	v_mov_b32_e32 v15, 0x7ff80000
	v_xor_b32_e32 v14, 0x80000000, v19
	v_cndmask_b32_e32 v18, v18, v20, vcc
	v_cndmask_b32_e32 v19, v14, v21, vcc
	v_cndmask_b32_e64 v14, 0, v18, s[6:7]
	v_xor_b32_e32 v18, v19, v25
	v_cndmask_b32_e64 v15, v15, v18, s[6:7]
	v_div_scale_f64 v[18:19], s[6:7], v[14:15], v[14:15], s[18:19]
	v_rcp_f64_e32 v[20:21], v[18:19]
	v_fma_f64 v[24:25], -v[18:19], v[20:21], 1.0
	v_fma_f64 v[20:21], v[20:21], v[24:25], v[20:21]
	v_div_scale_f64 v[24:25], vcc, s[18:19], v[14:15], s[18:19]
	v_fma_f64 v[26:27], -v[18:19], v[20:21], 1.0
	v_fma_f64 v[20:21], v[20:21], v[26:27], v[20:21]
	v_mul_f64 v[26:27], v[24:25], v[20:21]
	v_fma_f64 v[18:19], -v[18:19], v[26:27], v[24:25]
	v_div_fmas_f64 v[18:19], v[18:19], v[20:21], v[26:27]
	v_div_fixup_f64 v[18:19], v[18:19], v[14:15], s[18:19]
.LBB0_43:
	s_or_b64 exec, exec, s[14:15]
	s_orn2_b64 s[14:15], s[16:17], exec
.LBB0_44:
	s_or_b64 exec, exec, s[12:13]
	v_mov_b32_e32 v14, 0
	v_mov_b32_e32 v15, 0x7ff80000
	s_and_saveexec_b64 s[6:7], s[14:15]
	s_cbranch_execz .LBB0_56
; %bb.45:
	s_mov_b32 s14, 0
	s_mov_b32 s15, 0x40240000
	v_cmp_gt_f64_e32 vcc, s[14:15], v[16:17]
	s_and_saveexec_b64 s[12:13], vcc
	s_cbranch_execz .LBB0_49
; %bb.46:
	s_mov_b64 s[16:17], 0
.LBB0_47:                               ; =>This Inner Loop Header: Depth=1
	v_div_scale_f64 v[14:15], s[18:19], v[16:17], v[16:17], 1.0
	v_rcp_f64_e32 v[20:21], v[14:15]
	v_fma_f64 v[24:25], -v[14:15], v[20:21], 1.0
	v_fma_f64 v[20:21], v[20:21], v[24:25], v[20:21]
	v_div_scale_f64 v[24:25], vcc, 1.0, v[16:17], 1.0
	v_fma_f64 v[26:27], -v[14:15], v[20:21], 1.0
	v_fma_f64 v[20:21], v[20:21], v[26:27], v[20:21]
	v_mul_f64 v[26:27], v[24:25], v[20:21]
	v_fma_f64 v[14:15], -v[14:15], v[26:27], v[24:25]
	v_div_fmas_f64 v[14:15], v[14:15], v[20:21], v[26:27]
	v_div_fixup_f64 v[14:15], v[14:15], v[16:17], 1.0
	v_add_f64 v[16:17], v[16:17], 1.0
	v_add_f64 v[18:19], v[18:19], -v[14:15]
	v_cmp_ngt_f64_e32 vcc, s[14:15], v[16:17]
	s_or_b64 s[16:17], vcc, s[16:17]
	s_andn2_b64 exec, exec, s[16:17]
	s_cbranch_execnz .LBB0_47
; %bb.48:
	s_or_b64 exec, exec, s[16:17]
.LBB0_49:
	s_or_b64 exec, exec, s[12:13]
	s_mov_b32 s12, 0
	s_mov_b32 s13, 0x40240000
	v_cmp_neq_f64_e32 vcc, s[12:13], v[16:17]
	s_and_saveexec_b64 s[12:13], vcc
	s_xor_b64 s[12:13], exec, s[12:13]
                                        ; implicit-def: $vgpr14_vgpr15
	s_cbranch_execz .LBB0_53
; %bb.50:
	s_mov_b32 s14, 0x85d8a000
	s_mov_b32 s15, 0x43763457
	v_cmp_gt_f64_e32 vcc, s[14:15], v[16:17]
	v_mov_b32_e32 v14, 0
	v_mov_b32_e32 v15, 0
	s_and_saveexec_b64 s[14:15], vcc
	s_cbranch_execz .LBB0_52
; %bb.51:
	v_mul_f64 v[14:15], v[16:17], v[16:17]
	s_mov_b32 s18, 0x95995996
	s_mov_b32 s19, 0xbf959959
	;; [unrolled: 1-line block ×4, first 2 shown]
	v_div_scale_f64 v[20:21], s[16:17], v[14:15], v[14:15], 1.0
	v_div_scale_f64 v[28:29], vcc, 1.0, v[14:15], 1.0
	s_mov_b32 s16, 0x55555555
	s_mov_b32 s17, 0x3fb55555
	v_rcp_f64_e32 v[24:25], v[20:21]
	v_fma_f64 v[26:27], -v[20:21], v[24:25], 1.0
	v_fma_f64 v[24:25], v[24:25], v[26:27], v[24:25]
	v_fma_f64 v[26:27], -v[20:21], v[24:25], 1.0
	v_fma_f64 v[24:25], v[24:25], v[26:27], v[24:25]
	v_mul_f64 v[26:27], v[28:29], v[24:25]
	v_fma_f64 v[20:21], -v[20:21], v[26:27], v[28:29]
	v_div_fmas_f64 v[20:21], v[20:21], v[24:25], v[26:27]
	v_div_fixup_f64 v[14:15], v[20:21], v[14:15], 1.0
	v_fma_f64 v[20:21], v[14:15], 0, s[16:17]
	v_fma_f64 v[20:21], v[14:15], v[20:21], s[18:19]
	s_mov_b32 s18, 0xf07c1f08
	s_mov_b32 s19, 0x3f7f07c1
	v_fma_f64 v[20:21], v[14:15], v[20:21], s[18:19]
	s_mov_b32 s19, 0xbf711111
	s_mov_b32 s18, 0x11111111
	v_fma_f64 v[20:21], v[14:15], v[20:21], s[18:19]
	s_mov_b32 s19, 0xbf811111
	v_fma_f64 v[20:21], v[14:15], v[20:21], s[22:23]
	v_fma_f64 v[20:21], v[14:15], v[20:21], s[18:19]
	;; [unrolled: 1-line block ×3, first 2 shown]
	v_mul_f64 v[14:15], v[14:15], v[20:21]
.LBB0_52:
	s_or_b64 exec, exec, s[14:15]
	v_frexp_mant_f64_e32 v[20:21], v[16:17]
	s_mov_b32 s15, 0x3fe55555
	s_mov_b32 s14, 0x55555555
	;; [unrolled: 1-line block ×4, first 2 shown]
	v_cmp_gt_f64_e32 vcc, s[14:15], v[20:21]
	s_mov_b32 s14, 0x55555780
	v_cndmask_b32_e64 v24, 0, 1, vcc
	v_ldexp_f64 v[20:21], v[20:21], v24
	v_add_f64 v[24:25], v[20:21], 1.0
	v_add_f64 v[30:31], v[20:21], -1.0
	v_rcp_f64_e32 v[26:27], v[24:25]
	v_add_f64 v[32:33], v[24:25], -1.0
	v_add_f64 v[20:21], v[20:21], -v[32:33]
	v_fma_f64 v[28:29], -v[24:25], v[26:27], 1.0
	v_fma_f64 v[26:27], v[28:29], v[26:27], v[26:27]
	v_fma_f64 v[28:29], -v[24:25], v[26:27], 1.0
	v_fma_f64 v[26:27], v[28:29], v[26:27], v[26:27]
	v_mul_f64 v[28:29], v[30:31], v[26:27]
	v_mul_f64 v[34:35], v[24:25], v[28:29]
	v_fma_f64 v[24:25], v[28:29], v[24:25], -v[34:35]
	v_fma_f64 v[20:21], v[28:29], v[20:21], v[24:25]
	v_add_f64 v[24:25], v[34:35], v[20:21]
	v_add_f64 v[32:33], v[30:31], -v[24:25]
	v_add_f64 v[34:35], v[24:25], -v[34:35]
	;; [unrolled: 1-line block ×5, first 2 shown]
	v_mov_b32_e32 v30, 0x6b47b09a
	v_mov_b32_e32 v31, 0x3fc38538
	v_add_f64 v[20:21], v[20:21], v[24:25]
	v_add_f64 v[20:21], v[32:33], v[20:21]
	v_mul_f64 v[20:21], v[26:27], v[20:21]
	v_add_f64 v[24:25], v[28:29], v[20:21]
	v_mul_f64 v[26:27], v[24:25], v[24:25]
	v_fma_f64 v[30:31], v[26:27], s[16:17], v[30:31]
	s_mov_b32 s16, 0xd7f4df2e
	s_mov_b32 s17, 0x3fc7474d
	v_mul_f64 v[32:33], v[24:25], v[26:27]
	v_fma_f64 v[30:31], v[26:27], v[30:31], s[16:17]
	s_mov_b32 s16, 0x16291751
	s_mov_b32 s17, 0x3fcc71c0
	v_fma_f64 v[30:31], v[26:27], v[30:31], s[16:17]
	s_mov_b32 s16, 0x9b27acf1
	s_mov_b32 s17, 0x3fd24924
	;; [unrolled: 3-line block ×3, first 2 shown]
	v_fma_f64 v[30:31], v[26:27], v[30:31], s[16:17]
	v_fma_f64 v[26:27], v[26:27], v[30:31], s[14:15]
	v_ldexp_f64 v[30:31], v[24:25], 1
	v_add_f64 v[24:25], v[24:25], -v[28:29]
	s_mov_b32 s14, 0xfefa39ef
	s_mov_b32 s15, 0x3fe62e42
	v_mul_f64 v[26:27], v[32:33], v[26:27]
	v_frexp_exp_i32_f64_e32 v32, v[16:17]
	v_add_f64 v[20:21], v[20:21], -v[24:25]
	v_add_f64 v[28:29], v[30:31], v[26:27]
	v_subbrev_co_u32_e32 v32, vcc, 0, v32, vcc
	v_cvt_f64_i32_e32 v[32:33], v32
	v_ldexp_f64 v[20:21], v[20:21], 1
	v_mul_f64 v[34:35], v[32:33], s[14:15]
	v_add_f64 v[24:25], v[28:29], -v[30:31]
	v_fma_f64 v[30:31], v[32:33], s[14:15], -v[34:35]
	v_add_f64 v[24:25], v[26:27], -v[24:25]
	s_mov_b32 s14, 0x3b39803f
	s_mov_b32 s15, 0x3c7abc9e
	v_fma_f64 v[26:27], v[32:33], s[14:15], v[30:31]
	v_add_f64 v[20:21], v[20:21], v[24:25]
	v_div_scale_f64 v[24:25], s[14:15], v[16:17], v[16:17], -0.5
	s_movk_i32 s14, 0x204
	v_add_f64 v[30:31], v[34:35], v[26:27]
	v_add_f64 v[32:33], v[28:29], v[20:21]
	v_add_f64 v[34:35], v[30:31], -v[34:35]
	v_add_f64 v[36:37], v[30:31], v[32:33]
	v_rcp_f64_e32 v[38:39], v[24:25]
	v_add_f64 v[28:29], v[32:33], -v[28:29]
	v_add_f64 v[26:27], v[26:27], -v[34:35]
	;; [unrolled: 1-line block ×5, first 2 shown]
	v_fma_f64 v[52:53], -v[24:25], v[38:39], 1.0
	v_add_f64 v[28:29], v[32:33], -v[48:49]
	v_add_f64 v[34:35], v[26:27], v[20:21]
	v_add_f64 v[30:31], v[30:31], -v[50:51]
	v_fma_f64 v[32:33], v[38:39], v[52:53], v[38:39]
	v_add_f64 v[48:49], v[34:35], -v[26:27]
	v_add_f64 v[28:29], v[28:29], v[30:31]
	v_div_scale_f64 v[30:31], vcc, -0.5, v[16:17], -0.5
	v_fma_f64 v[38:39], -v[24:25], v[32:33], 1.0
	v_add_f64 v[20:21], v[20:21], -v[48:49]
	v_add_f64 v[28:29], v[34:35], v[28:29]
	v_add_f64 v[34:35], v[34:35], -v[48:49]
	v_fma_f64 v[32:33], v[32:33], v[38:39], v[32:33]
	v_add_f64 v[38:39], v[36:37], v[28:29]
	v_add_f64 v[26:27], v[26:27], -v[34:35]
	v_mul_f64 v[50:51], v[30:31], v[32:33]
	v_add_f64 v[34:35], v[38:39], -v[36:37]
	v_add_f64 v[20:21], v[20:21], v[26:27]
	v_fma_f64 v[24:25], -v[24:25], v[50:51], v[30:31]
	v_add_f64 v[26:27], v[28:29], -v[34:35]
	v_div_fmas_f64 v[24:25], v[24:25], v[32:33], v[50:51]
	v_cmp_class_f64_e64 vcc, v[16:17], s14
	v_add_f64 v[20:21], v[20:21], v[26:27]
	v_add_f64 v[20:21], v[38:39], v[20:21]
	v_div_fixup_f64 v[24:25], v[24:25], v[16:17], -0.5
	v_cndmask_b32_e32 v17, v21, v17, vcc
	v_cndmask_b32_e32 v16, v20, v16, vcc
	v_add_f64 v[16:17], v[16:17], v[24:25]
	v_add_f64 v[14:15], v[16:17], -v[14:15]
	v_add_f64 v[14:15], v[18:19], v[14:15]
                                        ; implicit-def: $vgpr18_vgpr19
.LBB0_53:
	s_andn2_saveexec_b64 s[12:13], s[12:13]
	s_cbranch_execz .LBB0_55
; %bb.54:
	s_mov_b32 s14, 0xdc85cc95
	s_mov_b32 s15, 0x40020396
	v_add_f64 v[14:15], v[18:19], s[14:15]
.LBB0_55:
	s_or_b64 exec, exec, s[12:13]
.LBB0_56:
	s_or_b64 exec, exec, s[6:7]
                                        ; implicit-def: $vgpr16_vgpr17
.LBB0_57:
	s_andn2_saveexec_b64 s[6:7], s[10:11]
; %bb.58:
	v_xor_b32_e32 v14, 0x80000000, v17
	s_brev_b32 s10, -2
	v_mov_b32_e32 v15, 0x7ff00000
	v_bfi_b32 v15, s10, v15, v14
	v_mov_b32_e32 v14, 0
; %bb.59:
	s_or_b64 exec, exec, s[6:7]
.LBB0_60:
	s_or_b64 exec, exec, s[8:9]
	s_waitcnt vmcnt(0) lgkmcnt(0)
	v_add_u32_e32 v16, 0x200, v22
	v_cmp_lt_i32_e32 vcc, v16, v4
	s_and_saveexec_b64 s[8:9], vcc
	s_cbranch_execz .LBB0_86
; %bb.61:
	v_cmp_neq_f64_e32 vcc, 0, v[8:9]
	s_and_saveexec_b64 s[6:7], vcc
	s_xor_b64 s[10:11], exec, s[6:7]
                                        ; implicit-def: $vgpr12_vgpr13
	s_cbranch_execz .LBB0_83
; %bb.62:
	v_cmp_gt_f64_e32 vcc, 0, v[8:9]
	v_mov_b32_e32 v16, 0
	v_mov_b32_e32 v17, 0
	s_mov_b64 s[14:15], -1
	s_and_saveexec_b64 s[12:13], vcc
	s_cbranch_execz .LBB0_70
; %bb.63:
	v_trunc_f64_e32 v[12:13], v[8:9]
	v_mov_b32_e32 v16, 0
	v_mov_b32_e32 v17, 0
	s_mov_b64 s[16:17], 0
	v_cmp_neq_f64_e32 vcc, v[8:9], v[12:13]
	s_and_saveexec_b64 s[14:15], vcc
	s_cbranch_execz .LBB0_69
; %bb.64:
	v_add_f64 v[12:13], v[8:9], -v[12:13]
	s_mov_b32 s6, 0
	s_mov_b32 s17, 0xc00921fb
	;; [unrolled: 1-line block ×4, first 2 shown]
	v_cmp_neq_f64_e64 vcc, |v[8:9]|, s[6:7]
	v_bfrev_b32_e32 v16, 1
	s_mov_b32 s18, 0
	v_mul_f64 v[12:13], |v[12:13]|, s[16:17]
	s_mov_b32 s19, 0x41d00000
                                        ; implicit-def: $vgpr20
                                        ; implicit-def: $vgpr18_vgpr19
	v_cndmask_b32_e32 v13, v16, v13, vcc
	v_cndmask_b32_e32 v12, 0, v12, vcc
	v_cmp_nlt_f64_e64 s[18:19], |v[12:13]|, s[18:19]
                                        ; implicit-def: $vgpr16_vgpr17
	s_and_saveexec_b64 s[22:23], s[18:19]
	s_xor_b64 s[18:19], exec, s[22:23]
	s_cbranch_execz .LBB0_66
; %bb.65:
	v_trig_preop_f64 v[16:17], |v[12:13]|, 0
	s_mov_b32 s22, 0
	s_mov_b32 s23, 0x7b000000
	s_movk_i32 s17, 0xff80
	v_cmp_ge_f64_e64 vcc, |v[12:13]|, s[22:23]
	v_ldexp_f64 v[20:21], |v[12:13]|, s17
	v_trig_preop_f64 v[18:19], |v[12:13]|, 1
	v_and_b32_e32 v24, 0x7fffffff, v13
	s_mov_b32 s17, 0x3ff921fb
	v_cndmask_b32_e32 v21, v24, v21, vcc
	v_cndmask_b32_e32 v20, v12, v20, vcc
	v_mul_f64 v[26:27], v[16:17], v[20:21]
	v_mul_f64 v[24:25], v[18:19], v[20:21]
	v_fma_f64 v[16:17], v[16:17], v[20:21], -v[26:27]
	v_fma_f64 v[18:19], v[18:19], v[20:21], -v[24:25]
	v_add_f64 v[28:29], v[24:25], v[16:17]
	v_add_f64 v[36:37], v[28:29], -v[24:25]
	v_add_f64 v[30:31], v[26:27], v[28:29]
	v_add_f64 v[16:17], v[16:17], -v[36:37]
	v_add_f64 v[36:37], v[28:29], -v[36:37]
	v_ldexp_f64 v[32:33], v[30:31], -2
	v_add_f64 v[26:27], v[30:31], -v[26:27]
	v_add_f64 v[36:37], v[24:25], -v[36:37]
	v_trig_preop_f64 v[24:25], |v[12:13]|, 2
	v_fract_f64_e32 v[34:35], v[32:33]
	v_add_f64 v[26:27], v[28:29], -v[26:27]
	v_cmp_neq_f64_e64 vcc, |v[32:33]|, s[6:7]
	v_add_f64 v[16:17], v[16:17], v[36:37]
	v_mul_f64 v[36:37], v[24:25], v[20:21]
	v_add_f64 v[38:39], v[36:37], v[18:19]
	v_add_f64 v[48:49], v[38:39], v[16:17]
	v_add_f64 v[30:31], v[48:49], -v[38:39]
	v_add_f64 v[28:29], v[26:27], v[48:49]
	v_add_f64 v[16:17], v[16:17], -v[30:31]
	v_add_f64 v[30:31], v[48:49], -v[30:31]
	;; [unrolled: 1-line block ×5, first 2 shown]
	v_add_f64 v[16:17], v[16:17], v[30:31]
	v_add_f64 v[30:31], v[38:39], -v[36:37]
	v_add_f64 v[18:19], v[18:19], -v[30:31]
	;; [unrolled: 1-line block ×4, first 2 shown]
	v_add_f64 v[18:19], v[18:19], v[30:31]
	v_add_f64 v[16:17], v[18:19], v[16:17]
	v_fma_f64 v[18:19], v[24:25], v[20:21], -v[36:37]
	v_mov_b32_e32 v24, 0
	v_add_f64 v[16:17], v[18:19], v[16:17]
	v_ldexp_f64 v[18:19], v[34:35], 2
	v_add_f64 v[16:17], v[26:27], v[16:17]
	v_cndmask_b32_e32 v19, 0, v19, vcc
	v_cndmask_b32_e32 v18, 0, v18, vcc
	v_add_f64 v[20:21], v[28:29], v[18:19]
	v_cmp_gt_f64_e32 vcc, 0, v[20:21]
	v_mov_b32_e32 v20, 0x40100000
	v_cndmask_b32_e32 v25, 0, v20, vcc
	v_add_f64 v[18:19], v[18:19], v[24:25]
	v_add_f64 v[20:21], v[28:29], v[18:19]
	v_cvt_i32_f64_e32 v25, v[20:21]
	v_cvt_f64_i32_e32 v[20:21], v25
	v_add_f64 v[18:19], v[18:19], -v[20:21]
	v_add_f64 v[26:27], v[28:29], v[18:19]
	v_add_f64 v[18:19], v[26:27], -v[18:19]
	v_cmp_le_f64_e32 vcc, 0.5, v[26:27]
	v_add_f64 v[18:19], v[28:29], -v[18:19]
	v_addc_co_u32_e64 v20, s[6:7], 0, v25, vcc
	s_mov_b32 s6, 0x33145c07
	s_mov_b32 s7, 0x3c91a626
	v_add_f64 v[16:17], v[16:17], v[18:19]
	v_mov_b32_e32 v18, 0x3ff00000
	v_cndmask_b32_e32 v25, 0, v18, vcc
	v_add_f64 v[18:19], v[26:27], -v[24:25]
	v_add_f64 v[24:25], v[18:19], v[16:17]
	v_add_f64 v[18:19], v[24:25], -v[18:19]
	v_add_f64 v[16:17], v[16:17], -v[18:19]
	v_mul_f64 v[18:19], v[24:25], s[16:17]
	v_fma_f64 v[26:27], v[24:25], s[16:17], -v[18:19]
	v_fma_f64 v[24:25], v[24:25], s[6:7], v[26:27]
	v_fma_f64 v[24:25], v[16:17], s[16:17], v[24:25]
	v_add_f64 v[16:17], v[18:19], v[24:25]
	v_add_f64 v[18:19], v[16:17], -v[18:19]
	v_add_f64 v[18:19], v[24:25], -v[18:19]
.LBB0_66:
	s_andn2_saveexec_b64 s[6:7], s[18:19]
	s_cbranch_execz .LBB0_68
; %bb.67:
	s_mov_b32 s16, 0x6dc9c883
	s_mov_b32 s17, 0x3fe45f30
	v_mul_f64 v[16:17], |v[12:13]|, s[16:17]
	s_mov_b32 s16, 0x54442d18
	s_mov_b32 s17, 0xbff921fb
	;; [unrolled: 1-line block ×4, first 2 shown]
	v_rndne_f64_e32 v[20:21], v[16:17]
	v_fma_f64 v[16:17], v[20:21], s[16:17], |v[12:13]|
	v_mul_f64 v[18:19], v[20:21], s[18:19]
	s_mov_b32 s16, 0x252049c0
	s_mov_b32 s17, 0xb97b839a
	v_fma_f64 v[28:29], v[20:21], s[18:19], v[16:17]
	v_add_f64 v[24:25], v[16:17], v[18:19]
	s_mov_b32 s19, 0x3c91a626
	v_add_f64 v[26:27], v[16:17], -v[24:25]
	v_add_f64 v[24:25], v[24:25], -v[28:29]
	v_add_f64 v[16:17], v[26:27], v[18:19]
	v_fma_f64 v[18:19], v[20:21], s[18:19], v[18:19]
	v_add_f64 v[16:17], v[24:25], v[16:17]
	v_add_f64 v[16:17], v[16:17], -v[18:19]
	v_fma_f64 v[18:19], v[20:21], s[16:17], v[16:17]
	v_cvt_i32_f64_e32 v20, v[20:21]
	v_add_f64 v[16:17], v[28:29], v[18:19]
	v_add_f64 v[24:25], v[16:17], -v[28:29]
	v_add_f64 v[18:19], v[18:19], -v[24:25]
.LBB0_68:
	s_or_b64 exec, exec, s[6:7]
	v_mul_f64 v[24:25], v[16:17], v[16:17]
	v_add_f64 v[26:27], v[18:19], v[18:19]
	s_mov_b32 s6, 0xc751c08c
	s_mov_b32 s7, 0x3ef5e089
	v_and_b32_e32 v20, 1, v20
	v_cmp_eq_u32_e32 vcc, 0, v20
	v_and_b32_e32 v21, 0x80000000, v13
	s_mov_b32 s18, 0x54442d18
	v_fma_f64 v[28:29], v[16:17], v[16:17], -v[24:25]
	s_mov_b32 s19, 0xc00921fb
	v_add_f64 v[8:9], -v[8:9], 1.0
	s_mov_b64 s[16:17], exec
	v_fma_f64 v[26:27], v[16:17], v[26:27], v[28:29]
	v_add_f64 v[24:25], v[24:25], v[26:27]
	v_mov_b32_e32 v26, 0xa9a29f71
	v_mov_b32_e32 v27, 0xbf078809
	v_fma_f64 v[26:27], v[24:25], s[6:7], v[26:27]
	s_mov_b32 s6, 0x90a8aae0
	s_mov_b32 s7, 0x3f17746f
	v_fma_f64 v[26:27], v[24:25], v[26:27], s[6:7]
	s_mov_b32 s6, 0xa6fbf144
	s_mov_b32 s7, 0xbefbb44d
	;; [unrolled: 3-line block ×12, first 2 shown]
	v_fma_f64 v[26:27], v[24:25], v[26:27], s[6:7]
	s_movk_i32 s6, 0x1f8
	v_cmp_class_f64_e64 s[6:7], v[12:13], s6
	v_mov_b32_e32 v13, 0x7ff80000
	v_mul_f64 v[24:25], v[24:25], v[26:27]
	v_mul_f64 v[26:27], v[16:17], v[24:25]
	v_add_f64 v[28:29], v[16:17], v[26:27]
	v_fma_f64 v[24:25], v[16:17], v[24:25], -v[26:27]
	v_add_f64 v[16:17], v[28:29], -v[16:17]
	v_add_f64 v[18:19], v[18:19], v[24:25]
	v_add_f64 v[16:17], v[26:27], -v[16:17]
	v_add_f64 v[16:17], v[18:19], v[16:17]
	v_add_f64 v[18:19], v[28:29], v[16:17]
	v_rcp_f64_e32 v[24:25], v[18:19]
	v_fma_f64 v[26:27], -v[18:19], v[24:25], 1.0
	v_fma_f64 v[24:25], v[26:27], v[24:25], v[24:25]
	v_fma_f64 v[26:27], -v[18:19], v[24:25], 1.0
	v_fma_f64 v[24:25], v[26:27], v[24:25], v[24:25]
	v_add_f64 v[26:27], v[18:19], -v[28:29]
	v_mul_f64 v[28:29], v[18:19], v[24:25]
	v_add_f64 v[16:17], v[16:17], -v[26:27]
	v_fma_f64 v[26:27], v[24:25], v[18:19], -v[28:29]
	v_fma_f64 v[16:17], v[24:25], v[16:17], v[26:27]
	v_add_f64 v[26:27], v[28:29], v[16:17]
	v_add_f64 v[30:31], -v[26:27], 1.0
	v_add_f64 v[28:29], v[26:27], -v[28:29]
	v_add_f64 v[32:33], -v[30:31], 1.0
	v_add_f64 v[16:17], v[28:29], -v[16:17]
	v_add_f64 v[26:27], v[32:33], -v[26:27]
	v_add_f64 v[16:17], v[16:17], v[26:27]
	v_add_f64 v[16:17], v[30:31], v[16:17]
	v_mul_f64 v[16:17], v[24:25], v[16:17]
	v_add_f64 v[16:17], v[24:25], v[16:17]
	v_xor_b32_e32 v12, 0x80000000, v17
	v_cndmask_b32_e32 v16, v16, v18, vcc
	v_cndmask_b32_e32 v17, v12, v19, vcc
	v_cndmask_b32_e64 v12, 0, v16, s[6:7]
	v_xor_b32_e32 v16, v17, v21
	v_cndmask_b32_e64 v13, v13, v16, s[6:7]
	v_div_scale_f64 v[16:17], s[6:7], v[12:13], v[12:13], s[18:19]
	v_rcp_f64_e32 v[18:19], v[16:17]
	v_fma_f64 v[20:21], -v[16:17], v[18:19], 1.0
	v_fma_f64 v[18:19], v[18:19], v[20:21], v[18:19]
	v_div_scale_f64 v[20:21], vcc, s[18:19], v[12:13], s[18:19]
	v_fma_f64 v[24:25], -v[16:17], v[18:19], 1.0
	v_fma_f64 v[18:19], v[18:19], v[24:25], v[18:19]
	v_mul_f64 v[24:25], v[20:21], v[18:19]
	v_fma_f64 v[16:17], -v[16:17], v[24:25], v[20:21]
	v_div_fmas_f64 v[16:17], v[16:17], v[18:19], v[24:25]
	v_div_fixup_f64 v[16:17], v[16:17], v[12:13], s[18:19]
.LBB0_69:
	s_or_b64 exec, exec, s[14:15]
	s_orn2_b64 s[14:15], s[16:17], exec
.LBB0_70:
	s_or_b64 exec, exec, s[12:13]
	v_mov_b32_e32 v12, 0
	v_mov_b32_e32 v13, 0x7ff80000
	s_and_saveexec_b64 s[6:7], s[14:15]
	s_cbranch_execz .LBB0_82
; %bb.71:
	s_mov_b32 s14, 0
	s_mov_b32 s15, 0x40240000
	v_cmp_gt_f64_e32 vcc, s[14:15], v[8:9]
	s_and_saveexec_b64 s[12:13], vcc
	s_cbranch_execz .LBB0_75
; %bb.72:
	s_mov_b64 s[16:17], 0
.LBB0_73:                               ; =>This Inner Loop Header: Depth=1
	v_div_scale_f64 v[12:13], s[18:19], v[8:9], v[8:9], 1.0
	v_rcp_f64_e32 v[18:19], v[12:13]
	v_fma_f64 v[20:21], -v[12:13], v[18:19], 1.0
	v_fma_f64 v[18:19], v[18:19], v[20:21], v[18:19]
	v_div_scale_f64 v[20:21], vcc, 1.0, v[8:9], 1.0
	v_fma_f64 v[24:25], -v[12:13], v[18:19], 1.0
	v_fma_f64 v[18:19], v[18:19], v[24:25], v[18:19]
	v_mul_f64 v[24:25], v[20:21], v[18:19]
	v_fma_f64 v[12:13], -v[12:13], v[24:25], v[20:21]
	v_div_fmas_f64 v[12:13], v[12:13], v[18:19], v[24:25]
	v_div_fixup_f64 v[12:13], v[12:13], v[8:9], 1.0
	v_add_f64 v[8:9], v[8:9], 1.0
	v_add_f64 v[16:17], v[16:17], -v[12:13]
	v_cmp_ngt_f64_e32 vcc, s[14:15], v[8:9]
	s_or_b64 s[16:17], vcc, s[16:17]
	s_andn2_b64 exec, exec, s[16:17]
	s_cbranch_execnz .LBB0_73
; %bb.74:
	s_or_b64 exec, exec, s[16:17]
.LBB0_75:
	s_or_b64 exec, exec, s[12:13]
	s_mov_b32 s12, 0
	s_mov_b32 s13, 0x40240000
	v_cmp_neq_f64_e32 vcc, s[12:13], v[8:9]
	s_and_saveexec_b64 s[12:13], vcc
	s_xor_b64 s[12:13], exec, s[12:13]
                                        ; implicit-def: $vgpr12_vgpr13
	s_cbranch_execz .LBB0_79
; %bb.76:
	s_mov_b32 s14, 0x85d8a000
	s_mov_b32 s15, 0x43763457
	v_cmp_gt_f64_e32 vcc, s[14:15], v[8:9]
	v_mov_b32_e32 v12, 0
	v_mov_b32_e32 v13, 0
	s_and_saveexec_b64 s[14:15], vcc
	s_cbranch_execz .LBB0_78
; %bb.77:
	v_mul_f64 v[12:13], v[8:9], v[8:9]
	s_mov_b32 s18, 0x95995996
	s_mov_b32 s19, 0xbf959959
	;; [unrolled: 1-line block ×4, first 2 shown]
	v_div_scale_f64 v[18:19], s[16:17], v[12:13], v[12:13], 1.0
	v_div_scale_f64 v[26:27], vcc, 1.0, v[12:13], 1.0
	s_mov_b32 s16, 0x55555555
	s_mov_b32 s17, 0x3fb55555
	v_rcp_f64_e32 v[20:21], v[18:19]
	v_fma_f64 v[24:25], -v[18:19], v[20:21], 1.0
	v_fma_f64 v[20:21], v[20:21], v[24:25], v[20:21]
	v_fma_f64 v[24:25], -v[18:19], v[20:21], 1.0
	v_fma_f64 v[20:21], v[20:21], v[24:25], v[20:21]
	v_mul_f64 v[24:25], v[26:27], v[20:21]
	v_fma_f64 v[18:19], -v[18:19], v[24:25], v[26:27]
	v_div_fmas_f64 v[18:19], v[18:19], v[20:21], v[24:25]
	v_div_fixup_f64 v[12:13], v[18:19], v[12:13], 1.0
	v_fma_f64 v[18:19], v[12:13], 0, s[16:17]
	v_fma_f64 v[18:19], v[12:13], v[18:19], s[18:19]
	s_mov_b32 s18, 0xf07c1f08
	s_mov_b32 s19, 0x3f7f07c1
	v_fma_f64 v[18:19], v[12:13], v[18:19], s[18:19]
	s_mov_b32 s19, 0xbf711111
	s_mov_b32 s18, 0x11111111
	v_fma_f64 v[18:19], v[12:13], v[18:19], s[18:19]
	s_mov_b32 s19, 0xbf811111
	v_fma_f64 v[18:19], v[12:13], v[18:19], s[22:23]
	v_fma_f64 v[18:19], v[12:13], v[18:19], s[18:19]
	v_fma_f64 v[18:19], v[12:13], v[18:19], s[16:17]
	v_mul_f64 v[12:13], v[12:13], v[18:19]
.LBB0_78:
	s_or_b64 exec, exec, s[14:15]
	v_frexp_mant_f64_e32 v[18:19], v[8:9]
	s_mov_b32 s15, 0x3fe55555
	s_mov_b32 s14, 0x55555555
	;; [unrolled: 1-line block ×4, first 2 shown]
	v_cmp_gt_f64_e32 vcc, s[14:15], v[18:19]
	s_mov_b32 s14, 0x55555780
	v_cndmask_b32_e64 v20, 0, 1, vcc
	v_ldexp_f64 v[18:19], v[18:19], v20
	v_add_f64 v[20:21], v[18:19], 1.0
	v_add_f64 v[28:29], v[18:19], -1.0
	v_rcp_f64_e32 v[24:25], v[20:21]
	v_add_f64 v[30:31], v[20:21], -1.0
	v_add_f64 v[18:19], v[18:19], -v[30:31]
	v_fma_f64 v[26:27], -v[20:21], v[24:25], 1.0
	v_fma_f64 v[24:25], v[26:27], v[24:25], v[24:25]
	v_fma_f64 v[26:27], -v[20:21], v[24:25], 1.0
	v_fma_f64 v[24:25], v[26:27], v[24:25], v[24:25]
	v_mul_f64 v[26:27], v[28:29], v[24:25]
	v_mul_f64 v[32:33], v[20:21], v[26:27]
	v_fma_f64 v[20:21], v[26:27], v[20:21], -v[32:33]
	v_fma_f64 v[18:19], v[26:27], v[18:19], v[20:21]
	v_add_f64 v[20:21], v[32:33], v[18:19]
	v_add_f64 v[30:31], v[28:29], -v[20:21]
	v_add_f64 v[32:33], v[20:21], -v[32:33]
	;; [unrolled: 1-line block ×5, first 2 shown]
	v_mov_b32_e32 v28, 0x6b47b09a
	v_mov_b32_e32 v29, 0x3fc38538
	v_add_f64 v[18:19], v[18:19], v[20:21]
	v_add_f64 v[18:19], v[30:31], v[18:19]
	v_mul_f64 v[18:19], v[24:25], v[18:19]
	v_add_f64 v[20:21], v[26:27], v[18:19]
	v_mul_f64 v[24:25], v[20:21], v[20:21]
	v_fma_f64 v[28:29], v[24:25], s[16:17], v[28:29]
	s_mov_b32 s16, 0xd7f4df2e
	s_mov_b32 s17, 0x3fc7474d
	v_mul_f64 v[30:31], v[20:21], v[24:25]
	v_fma_f64 v[28:29], v[24:25], v[28:29], s[16:17]
	s_mov_b32 s16, 0x16291751
	s_mov_b32 s17, 0x3fcc71c0
	v_fma_f64 v[28:29], v[24:25], v[28:29], s[16:17]
	s_mov_b32 s16, 0x9b27acf1
	s_mov_b32 s17, 0x3fd24924
	;; [unrolled: 3-line block ×3, first 2 shown]
	v_fma_f64 v[28:29], v[24:25], v[28:29], s[16:17]
	v_fma_f64 v[24:25], v[24:25], v[28:29], s[14:15]
	v_ldexp_f64 v[28:29], v[20:21], 1
	v_add_f64 v[20:21], v[20:21], -v[26:27]
	s_mov_b32 s14, 0xfefa39ef
	s_mov_b32 s15, 0x3fe62e42
	v_mul_f64 v[24:25], v[30:31], v[24:25]
	v_frexp_exp_i32_f64_e32 v30, v[8:9]
	v_add_f64 v[18:19], v[18:19], -v[20:21]
	v_add_f64 v[26:27], v[28:29], v[24:25]
	v_subbrev_co_u32_e32 v30, vcc, 0, v30, vcc
	v_cvt_f64_i32_e32 v[30:31], v30
	v_ldexp_f64 v[18:19], v[18:19], 1
	v_mul_f64 v[32:33], v[30:31], s[14:15]
	v_add_f64 v[20:21], v[26:27], -v[28:29]
	v_fma_f64 v[28:29], v[30:31], s[14:15], -v[32:33]
	v_add_f64 v[20:21], v[24:25], -v[20:21]
	s_mov_b32 s14, 0x3b39803f
	s_mov_b32 s15, 0x3c7abc9e
	v_fma_f64 v[24:25], v[30:31], s[14:15], v[28:29]
	v_add_f64 v[18:19], v[18:19], v[20:21]
	v_div_scale_f64 v[20:21], s[14:15], v[8:9], v[8:9], -0.5
	s_movk_i32 s14, 0x204
	v_add_f64 v[28:29], v[32:33], v[24:25]
	v_add_f64 v[30:31], v[26:27], v[18:19]
	v_add_f64 v[32:33], v[28:29], -v[32:33]
	v_add_f64 v[34:35], v[28:29], v[30:31]
	v_rcp_f64_e32 v[36:37], v[20:21]
	v_add_f64 v[26:27], v[30:31], -v[26:27]
	v_add_f64 v[24:25], v[24:25], -v[32:33]
	;; [unrolled: 1-line block ×5, first 2 shown]
	v_fma_f64 v[50:51], -v[20:21], v[36:37], 1.0
	v_add_f64 v[26:27], v[30:31], -v[38:39]
	v_add_f64 v[32:33], v[24:25], v[18:19]
	v_add_f64 v[28:29], v[28:29], -v[48:49]
	v_fma_f64 v[30:31], v[36:37], v[50:51], v[36:37]
	v_add_f64 v[38:39], v[32:33], -v[24:25]
	v_add_f64 v[26:27], v[26:27], v[28:29]
	v_div_scale_f64 v[28:29], vcc, -0.5, v[8:9], -0.5
	v_fma_f64 v[36:37], -v[20:21], v[30:31], 1.0
	v_add_f64 v[18:19], v[18:19], -v[38:39]
	v_add_f64 v[26:27], v[32:33], v[26:27]
	v_add_f64 v[32:33], v[32:33], -v[38:39]
	v_fma_f64 v[30:31], v[30:31], v[36:37], v[30:31]
	v_add_f64 v[36:37], v[34:35], v[26:27]
	v_add_f64 v[24:25], v[24:25], -v[32:33]
	v_mul_f64 v[48:49], v[28:29], v[30:31]
	v_add_f64 v[32:33], v[36:37], -v[34:35]
	v_add_f64 v[18:19], v[18:19], v[24:25]
	v_fma_f64 v[20:21], -v[20:21], v[48:49], v[28:29]
	v_add_f64 v[24:25], v[26:27], -v[32:33]
	v_div_fmas_f64 v[20:21], v[20:21], v[30:31], v[48:49]
	v_cmp_class_f64_e64 vcc, v[8:9], s14
	v_add_f64 v[18:19], v[18:19], v[24:25]
	v_add_f64 v[18:19], v[36:37], v[18:19]
	v_div_fixup_f64 v[20:21], v[20:21], v[8:9], -0.5
	v_cndmask_b32_e32 v9, v19, v9, vcc
	v_cndmask_b32_e32 v8, v18, v8, vcc
	v_add_f64 v[8:9], v[8:9], v[20:21]
	v_add_f64 v[8:9], v[8:9], -v[12:13]
	v_add_f64 v[12:13], v[16:17], v[8:9]
                                        ; implicit-def: $vgpr16_vgpr17
.LBB0_79:
	s_andn2_saveexec_b64 s[12:13], s[12:13]
	s_cbranch_execz .LBB0_81
; %bb.80:
	s_mov_b32 s14, 0xdc85cc95
	s_mov_b32 s15, 0x40020396
	v_add_f64 v[12:13], v[16:17], s[14:15]
.LBB0_81:
	s_or_b64 exec, exec, s[12:13]
.LBB0_82:
	s_or_b64 exec, exec, s[6:7]
                                        ; implicit-def: $vgpr8_vgpr9
.LBB0_83:
	s_andn2_saveexec_b64 s[6:7], s[10:11]
; %bb.84:
	v_xor_b32_e32 v8, 0x80000000, v9
	s_brev_b32 s10, -2
	v_mov_b32_e32 v9, 0x7ff00000
	v_bfi_b32 v13, s10, v9, v8
	v_mov_b32_e32 v12, 0
; %bb.85:
	s_or_b64 exec, exec, s[6:7]
.LBB0_86:
	s_or_b64 exec, exec, s[8:9]
	v_add_u32_e32 v8, 0x300, v22
	v_cmp_lt_i32_e32 vcc, v8, v4
	s_and_saveexec_b64 s[8:9], vcc
	s_cbranch_execnz .LBB0_92
; %bb.87:
	s_or_b64 exec, exec, s[8:9]
	s_and_saveexec_b64 s[6:7], s[4:5]
	s_xor_b64 s[4:5], exec, s[6:7]
	s_cbranch_execnz .LBB0_117
.LBB0_88:
	s_or_b64 exec, exec, s[4:5]
	v_cmp_lt_i32_e32 vcc, v22, v4
	s_and_saveexec_b64 s[4:5], vcc
	s_cbranch_execnz .LBB0_118
.LBB0_89:
	s_or_b64 exec, exec, s[4:5]
	v_cmp_lt_i32_e32 vcc, v22, v4
	s_and_saveexec_b64 s[4:5], vcc
	s_cbranch_execnz .LBB0_119
.LBB0_90:
	s_or_b64 exec, exec, s[4:5]
	v_cmp_lt_i32_e32 vcc, v22, v4
	s_and_saveexec_b64 s[4:5], vcc
	s_cbranch_execnz .LBB0_120
.LBB0_91:
	s_or_b64 exec, exec, s[4:5]
	s_waitcnt vmcnt(0) lgkmcnt(0)
	s_setpc_b64 s[30:31]
.LBB0_92:
	v_cmp_neq_f64_e32 vcc, 0, v[6:7]
	s_and_saveexec_b64 s[6:7], vcc
	s_xor_b64 s[10:11], exec, s[6:7]
                                        ; implicit-def: $vgpr10_vgpr11
	s_cbranch_execz .LBB0_114
; %bb.93:
	v_cmp_gt_f64_e32 vcc, 0, v[6:7]
	v_mov_b32_e32 v8, 0
	v_mov_b32_e32 v9, 0
	s_mov_b64 s[14:15], -1
	s_and_saveexec_b64 s[12:13], vcc
	s_cbranch_execz .LBB0_101
; %bb.94:
	v_trunc_f64_e32 v[10:11], v[6:7]
	v_mov_b32_e32 v8, 0
	v_mov_b32_e32 v9, 0
	s_mov_b64 s[16:17], 0
	v_cmp_neq_f64_e32 vcc, v[6:7], v[10:11]
	s_and_saveexec_b64 s[14:15], vcc
	s_cbranch_execz .LBB0_100
; %bb.95:
	v_add_f64 v[8:9], v[6:7], -v[10:11]
	s_mov_b32 s6, 0
	s_mov_b32 s17, 0xc00921fb
	s_mov_b32 s16, 0x54442d18
	s_mov_b32 s7, 0x7ff00000
	v_cmp_neq_f64_e64 vcc, |v[6:7]|, s[6:7]
	v_bfrev_b32_e32 v10, 1
	s_mov_b32 s18, 0
	v_mul_f64 v[8:9], |v[8:9]|, s[16:17]
	s_mov_b32 s19, 0x41d00000
                                        ; implicit-def: $vgpr18
                                        ; implicit-def: $vgpr16_vgpr17
	v_cndmask_b32_e32 v9, v10, v9, vcc
	v_cndmask_b32_e32 v8, 0, v8, vcc
	v_cmp_nlt_f64_e64 s[18:19], |v[8:9]|, s[18:19]
                                        ; implicit-def: $vgpr10_vgpr11
	s_and_saveexec_b64 s[22:23], s[18:19]
	s_xor_b64 s[18:19], exec, s[22:23]
	s_cbranch_execz .LBB0_97
; %bb.96:
	v_trig_preop_f64 v[10:11], |v[8:9]|, 0
	s_mov_b32 s22, 0
	s_mov_b32 s23, 0x7b000000
	s_movk_i32 s17, 0xff80
	v_cmp_ge_f64_e64 vcc, |v[8:9]|, s[22:23]
	v_ldexp_f64 v[18:19], |v[8:9]|, s17
	v_trig_preop_f64 v[16:17], |v[8:9]|, 1
	v_and_b32_e32 v20, 0x7fffffff, v9
	s_mov_b32 s17, 0x3ff921fb
	v_cndmask_b32_e32 v19, v20, v19, vcc
	v_cndmask_b32_e32 v18, v8, v18, vcc
	v_mul_f64 v[24:25], v[10:11], v[18:19]
	v_mul_f64 v[20:21], v[16:17], v[18:19]
	v_fma_f64 v[10:11], v[10:11], v[18:19], -v[24:25]
	v_fma_f64 v[16:17], v[16:17], v[18:19], -v[20:21]
	v_add_f64 v[26:27], v[20:21], v[10:11]
	v_add_f64 v[34:35], v[26:27], -v[20:21]
	v_add_f64 v[28:29], v[24:25], v[26:27]
	v_add_f64 v[10:11], v[10:11], -v[34:35]
	v_add_f64 v[34:35], v[26:27], -v[34:35]
	v_ldexp_f64 v[30:31], v[28:29], -2
	v_add_f64 v[24:25], v[28:29], -v[24:25]
	v_add_f64 v[34:35], v[20:21], -v[34:35]
	v_trig_preop_f64 v[20:21], |v[8:9]|, 2
	v_fract_f64_e32 v[32:33], v[30:31]
	v_add_f64 v[24:25], v[26:27], -v[24:25]
	v_cmp_neq_f64_e64 vcc, |v[30:31]|, s[6:7]
	v_add_f64 v[10:11], v[10:11], v[34:35]
	v_mul_f64 v[34:35], v[20:21], v[18:19]
	v_add_f64 v[36:37], v[34:35], v[16:17]
	v_add_f64 v[38:39], v[36:37], v[10:11]
	v_add_f64 v[28:29], v[38:39], -v[36:37]
	v_add_f64 v[26:27], v[24:25], v[38:39]
	v_add_f64 v[10:11], v[10:11], -v[28:29]
	v_add_f64 v[28:29], v[38:39], -v[28:29]
	;; [unrolled: 1-line block ×5, first 2 shown]
	v_add_f64 v[10:11], v[10:11], v[28:29]
	v_add_f64 v[28:29], v[36:37], -v[34:35]
	v_add_f64 v[16:17], v[16:17], -v[28:29]
	;; [unrolled: 1-line block ×4, first 2 shown]
	v_add_f64 v[16:17], v[16:17], v[28:29]
	v_add_f64 v[10:11], v[16:17], v[10:11]
	v_fma_f64 v[16:17], v[20:21], v[18:19], -v[34:35]
	v_add_f64 v[10:11], v[16:17], v[10:11]
	v_ldexp_f64 v[16:17], v[32:33], 2
	v_add_f64 v[10:11], v[24:25], v[10:11]
	v_cndmask_b32_e32 v17, 0, v17, vcc
	v_cndmask_b32_e32 v16, 0, v16, vcc
	v_add_f64 v[18:19], v[26:27], v[16:17]
	v_cmp_gt_f64_e32 vcc, 0, v[18:19]
	v_mov_b32_e32 v18, 0x40100000
	v_mov_b32_e32 v19, 0
	v_cndmask_b32_e32 v20, 0, v18, vcc
	v_add_f64 v[16:17], v[16:17], v[19:20]
	v_add_f64 v[20:21], v[26:27], v[16:17]
	v_cvt_i32_f64_e32 v18, v[20:21]
	v_cvt_f64_i32_e32 v[20:21], v18
	v_add_f64 v[16:17], v[16:17], -v[20:21]
	v_add_f64 v[24:25], v[26:27], v[16:17]
	v_add_f64 v[16:17], v[24:25], -v[16:17]
	v_cmp_le_f64_e32 vcc, 0.5, v[24:25]
	v_add_f64 v[16:17], v[26:27], -v[16:17]
	v_addc_co_u32_e64 v18, s[6:7], 0, v18, vcc
	s_mov_b32 s6, 0x33145c07
	s_mov_b32 s7, 0x3c91a626
	v_add_f64 v[10:11], v[10:11], v[16:17]
	v_mov_b32_e32 v16, 0x3ff00000
	v_cndmask_b32_e32 v20, 0, v16, vcc
	v_add_f64 v[16:17], v[24:25], -v[19:20]
	v_add_f64 v[19:20], v[16:17], v[10:11]
	v_add_f64 v[16:17], v[19:20], -v[16:17]
	v_add_f64 v[10:11], v[10:11], -v[16:17]
	v_mul_f64 v[16:17], v[19:20], s[16:17]
	v_fma_f64 v[24:25], v[19:20], s[16:17], -v[16:17]
	v_fma_f64 v[19:20], v[19:20], s[6:7], v[24:25]
	v_fma_f64 v[19:20], v[10:11], s[16:17], v[19:20]
	v_add_f64 v[10:11], v[16:17], v[19:20]
	v_add_f64 v[16:17], v[10:11], -v[16:17]
	v_add_f64 v[16:17], v[19:20], -v[16:17]
.LBB0_97:
	s_andn2_saveexec_b64 s[6:7], s[18:19]
	s_cbranch_execz .LBB0_99
; %bb.98:
	s_mov_b32 s16, 0x6dc9c883
	s_mov_b32 s17, 0x3fe45f30
	v_mul_f64 v[10:11], |v[8:9]|, s[16:17]
	s_mov_b32 s16, 0x54442d18
	s_mov_b32 s17, 0xbff921fb
	;; [unrolled: 1-line block ×4, first 2 shown]
	v_rndne_f64_e32 v[18:19], v[10:11]
	v_fma_f64 v[10:11], v[18:19], s[16:17], |v[8:9]|
	v_mul_f64 v[16:17], v[18:19], s[18:19]
	s_mov_b32 s16, 0x252049c0
	s_mov_b32 s17, 0xb97b839a
	v_fma_f64 v[26:27], v[18:19], s[18:19], v[10:11]
	v_add_f64 v[20:21], v[10:11], v[16:17]
	s_mov_b32 s19, 0x3c91a626
	v_add_f64 v[24:25], v[10:11], -v[20:21]
	v_add_f64 v[20:21], v[20:21], -v[26:27]
	v_add_f64 v[10:11], v[24:25], v[16:17]
	v_fma_f64 v[16:17], v[18:19], s[18:19], v[16:17]
	v_add_f64 v[10:11], v[20:21], v[10:11]
	v_add_f64 v[10:11], v[10:11], -v[16:17]
	v_fma_f64 v[16:17], v[18:19], s[16:17], v[10:11]
	v_cvt_i32_f64_e32 v18, v[18:19]
	v_add_f64 v[10:11], v[26:27], v[16:17]
	v_add_f64 v[20:21], v[10:11], -v[26:27]
	v_add_f64 v[16:17], v[16:17], -v[20:21]
.LBB0_99:
	s_or_b64 exec, exec, s[6:7]
	v_mul_f64 v[19:20], v[10:11], v[10:11]
	v_add_f64 v[24:25], v[16:17], v[16:17]
	s_mov_b32 s6, 0xc751c08c
	s_mov_b32 s7, 0x3ef5e089
	v_and_b32_e32 v18, 1, v18
	v_cmp_eq_u32_e32 vcc, 0, v18
	s_mov_b32 s18, 0x54442d18
	s_mov_b32 s19, 0xc00921fb
	v_fma_f64 v[26:27], v[10:11], v[10:11], -v[19:20]
	v_add_f64 v[6:7], -v[6:7], 1.0
	s_mov_b64 s[16:17], exec
	v_fma_f64 v[24:25], v[10:11], v[24:25], v[26:27]
	v_add_f64 v[19:20], v[19:20], v[24:25]
	v_mov_b32_e32 v24, 0xa9a29f71
	v_mov_b32_e32 v25, 0xbf078809
	v_fma_f64 v[24:25], v[19:20], s[6:7], v[24:25]
	s_mov_b32 s6, 0x90a8aae0
	s_mov_b32 s7, 0x3f17746f
	v_fma_f64 v[24:25], v[19:20], v[24:25], s[6:7]
	s_mov_b32 s6, 0xa6fbf144
	s_mov_b32 s7, 0xbefbb44d
	;; [unrolled: 3-line block ×12, first 2 shown]
	v_fma_f64 v[24:25], v[19:20], v[24:25], s[6:7]
	s_movk_i32 s6, 0x1f8
	v_cmp_class_f64_e64 s[6:7], v[8:9], s6
	v_mul_f64 v[19:20], v[19:20], v[24:25]
	v_mul_f64 v[24:25], v[10:11], v[19:20]
	v_add_f64 v[26:27], v[10:11], v[24:25]
	v_fma_f64 v[19:20], v[10:11], v[19:20], -v[24:25]
	v_add_f64 v[10:11], v[26:27], -v[10:11]
	v_add_f64 v[16:17], v[16:17], v[19:20]
	v_add_f64 v[10:11], v[24:25], -v[10:11]
	v_add_f64 v[10:11], v[16:17], v[10:11]
	v_add_f64 v[16:17], v[26:27], v[10:11]
	v_rcp_f64_e32 v[19:20], v[16:17]
	v_fma_f64 v[24:25], -v[16:17], v[19:20], 1.0
	v_fma_f64 v[19:20], v[24:25], v[19:20], v[19:20]
	v_fma_f64 v[24:25], -v[16:17], v[19:20], 1.0
	v_fma_f64 v[19:20], v[24:25], v[19:20], v[19:20]
	v_add_f64 v[24:25], v[16:17], -v[26:27]
	v_mul_f64 v[26:27], v[16:17], v[19:20]
	v_add_f64 v[10:11], v[10:11], -v[24:25]
	v_fma_f64 v[24:25], v[19:20], v[16:17], -v[26:27]
	v_fma_f64 v[10:11], v[19:20], v[10:11], v[24:25]
	v_add_f64 v[24:25], v[26:27], v[10:11]
	v_add_f64 v[28:29], -v[24:25], 1.0
	v_add_f64 v[26:27], v[24:25], -v[26:27]
	v_add_f64 v[30:31], -v[28:29], 1.0
	v_add_f64 v[10:11], v[26:27], -v[10:11]
	v_add_f64 v[24:25], v[30:31], -v[24:25]
	v_add_f64 v[10:11], v[10:11], v[24:25]
	v_add_f64 v[10:11], v[28:29], v[10:11]
	v_mul_f64 v[10:11], v[19:20], v[10:11]
	v_add_f64 v[10:11], v[19:20], v[10:11]
	v_and_b32_e32 v19, 0x80000000, v9
	v_mov_b32_e32 v9, 0x7ff80000
	v_xor_b32_e32 v8, 0x80000000, v11
	v_cndmask_b32_e32 v10, v10, v16, vcc
	v_cndmask_b32_e32 v11, v8, v17, vcc
	v_cndmask_b32_e64 v8, 0, v10, s[6:7]
	v_xor_b32_e32 v10, v11, v19
	v_cndmask_b32_e64 v9, v9, v10, s[6:7]
	v_div_scale_f64 v[10:11], s[6:7], v[8:9], v[8:9], s[18:19]
	v_rcp_f64_e32 v[16:17], v[10:11]
	v_fma_f64 v[18:19], -v[10:11], v[16:17], 1.0
	v_fma_f64 v[16:17], v[16:17], v[18:19], v[16:17]
	v_div_scale_f64 v[18:19], vcc, s[18:19], v[8:9], s[18:19]
	v_fma_f64 v[20:21], -v[10:11], v[16:17], 1.0
	v_fma_f64 v[16:17], v[16:17], v[20:21], v[16:17]
	v_mul_f64 v[20:21], v[18:19], v[16:17]
	v_fma_f64 v[10:11], -v[10:11], v[20:21], v[18:19]
	v_div_fmas_f64 v[10:11], v[10:11], v[16:17], v[20:21]
	v_div_fixup_f64 v[8:9], v[10:11], v[8:9], s[18:19]
.LBB0_100:
	s_or_b64 exec, exec, s[14:15]
	s_orn2_b64 s[14:15], s[16:17], exec
.LBB0_101:
	s_or_b64 exec, exec, s[12:13]
	v_mov_b32_e32 v10, 0
	v_mov_b32_e32 v11, 0x7ff80000
	s_and_saveexec_b64 s[6:7], s[14:15]
	s_cbranch_execz .LBB0_113
; %bb.102:
	s_mov_b32 s14, 0
	s_mov_b32 s15, 0x40240000
	v_cmp_gt_f64_e32 vcc, s[14:15], v[6:7]
	s_and_saveexec_b64 s[12:13], vcc
	s_cbranch_execz .LBB0_106
; %bb.103:
	s_mov_b64 s[16:17], 0
.LBB0_104:                              ; =>This Inner Loop Header: Depth=1
	v_div_scale_f64 v[10:11], s[18:19], v[6:7], v[6:7], 1.0
	v_rcp_f64_e32 v[16:17], v[10:11]
	v_fma_f64 v[18:19], -v[10:11], v[16:17], 1.0
	v_fma_f64 v[16:17], v[16:17], v[18:19], v[16:17]
	v_div_scale_f64 v[18:19], vcc, 1.0, v[6:7], 1.0
	v_fma_f64 v[20:21], -v[10:11], v[16:17], 1.0
	v_fma_f64 v[16:17], v[16:17], v[20:21], v[16:17]
	v_mul_f64 v[20:21], v[18:19], v[16:17]
	v_fma_f64 v[10:11], -v[10:11], v[20:21], v[18:19]
	v_div_fmas_f64 v[10:11], v[10:11], v[16:17], v[20:21]
	v_div_fixup_f64 v[10:11], v[10:11], v[6:7], 1.0
	v_add_f64 v[6:7], v[6:7], 1.0
	v_add_f64 v[8:9], v[8:9], -v[10:11]
	v_cmp_ngt_f64_e32 vcc, s[14:15], v[6:7]
	s_or_b64 s[16:17], vcc, s[16:17]
	s_andn2_b64 exec, exec, s[16:17]
	s_cbranch_execnz .LBB0_104
; %bb.105:
	s_or_b64 exec, exec, s[16:17]
.LBB0_106:
	s_or_b64 exec, exec, s[12:13]
	s_mov_b32 s12, 0
	s_mov_b32 s13, 0x40240000
	v_cmp_neq_f64_e32 vcc, s[12:13], v[6:7]
	s_and_saveexec_b64 s[12:13], vcc
	s_xor_b64 s[12:13], exec, s[12:13]
                                        ; implicit-def: $vgpr10_vgpr11
	s_cbranch_execz .LBB0_110
; %bb.107:
	s_mov_b32 s14, 0x85d8a000
	s_mov_b32 s15, 0x43763457
	v_cmp_gt_f64_e32 vcc, s[14:15], v[6:7]
	v_mov_b32_e32 v10, 0
	v_mov_b32_e32 v11, 0
	s_and_saveexec_b64 s[14:15], vcc
	s_cbranch_execz .LBB0_109
; %bb.108:
	v_mul_f64 v[10:11], v[6:7], v[6:7]
	s_mov_b32 s18, 0x95995996
	s_mov_b32 s19, 0xbf959959
	;; [unrolled: 1-line block ×4, first 2 shown]
	v_div_scale_f64 v[16:17], s[16:17], v[10:11], v[10:11], 1.0
	v_div_scale_f64 v[24:25], vcc, 1.0, v[10:11], 1.0
	s_mov_b32 s16, 0x55555555
	s_mov_b32 s17, 0x3fb55555
	v_rcp_f64_e32 v[18:19], v[16:17]
	v_fma_f64 v[20:21], -v[16:17], v[18:19], 1.0
	v_fma_f64 v[18:19], v[18:19], v[20:21], v[18:19]
	v_fma_f64 v[20:21], -v[16:17], v[18:19], 1.0
	v_fma_f64 v[18:19], v[18:19], v[20:21], v[18:19]
	v_mul_f64 v[20:21], v[24:25], v[18:19]
	v_fma_f64 v[16:17], -v[16:17], v[20:21], v[24:25]
	v_div_fmas_f64 v[16:17], v[16:17], v[18:19], v[20:21]
	v_div_fixup_f64 v[10:11], v[16:17], v[10:11], 1.0
	v_fma_f64 v[16:17], v[10:11], 0, s[16:17]
	v_fma_f64 v[16:17], v[10:11], v[16:17], s[18:19]
	s_mov_b32 s18, 0xf07c1f08
	s_mov_b32 s19, 0x3f7f07c1
	v_fma_f64 v[16:17], v[10:11], v[16:17], s[18:19]
	s_mov_b32 s19, 0xbf711111
	s_mov_b32 s18, 0x11111111
	v_fma_f64 v[16:17], v[10:11], v[16:17], s[18:19]
	s_mov_b32 s19, 0xbf811111
	v_fma_f64 v[16:17], v[10:11], v[16:17], s[22:23]
	v_fma_f64 v[16:17], v[10:11], v[16:17], s[18:19]
	v_fma_f64 v[16:17], v[10:11], v[16:17], s[16:17]
	v_mul_f64 v[10:11], v[10:11], v[16:17]
.LBB0_109:
	s_or_b64 exec, exec, s[14:15]
	v_frexp_mant_f64_e32 v[16:17], v[6:7]
	s_mov_b32 s15, 0x3fe55555
	s_mov_b32 s14, 0x55555555
	;; [unrolled: 1-line block ×4, first 2 shown]
	v_cmp_gt_f64_e32 vcc, s[14:15], v[16:17]
	s_mov_b32 s14, 0x55555780
	v_cndmask_b32_e64 v18, 0, 1, vcc
	v_ldexp_f64 v[16:17], v[16:17], v18
	v_add_f64 v[18:19], v[16:17], 1.0
	v_add_f64 v[26:27], v[16:17], -1.0
	v_rcp_f64_e32 v[20:21], v[18:19]
	v_add_f64 v[28:29], v[18:19], -1.0
	v_add_f64 v[16:17], v[16:17], -v[28:29]
	v_fma_f64 v[24:25], -v[18:19], v[20:21], 1.0
	v_fma_f64 v[20:21], v[24:25], v[20:21], v[20:21]
	v_fma_f64 v[24:25], -v[18:19], v[20:21], 1.0
	v_fma_f64 v[20:21], v[24:25], v[20:21], v[20:21]
	v_mul_f64 v[24:25], v[26:27], v[20:21]
	v_mul_f64 v[30:31], v[18:19], v[24:25]
	v_fma_f64 v[18:19], v[24:25], v[18:19], -v[30:31]
	v_fma_f64 v[16:17], v[24:25], v[16:17], v[18:19]
	v_add_f64 v[18:19], v[30:31], v[16:17]
	v_add_f64 v[28:29], v[26:27], -v[18:19]
	v_add_f64 v[30:31], v[18:19], -v[30:31]
	;; [unrolled: 1-line block ×5, first 2 shown]
	v_mov_b32_e32 v26, 0x6b47b09a
	v_mov_b32_e32 v27, 0x3fc38538
	v_add_f64 v[16:17], v[16:17], v[18:19]
	v_add_f64 v[16:17], v[28:29], v[16:17]
	v_mul_f64 v[16:17], v[20:21], v[16:17]
	v_add_f64 v[18:19], v[24:25], v[16:17]
	v_mul_f64 v[20:21], v[18:19], v[18:19]
	v_fma_f64 v[26:27], v[20:21], s[16:17], v[26:27]
	s_mov_b32 s16, 0xd7f4df2e
	s_mov_b32 s17, 0x3fc7474d
	v_mul_f64 v[28:29], v[18:19], v[20:21]
	v_fma_f64 v[26:27], v[20:21], v[26:27], s[16:17]
	s_mov_b32 s16, 0x16291751
	s_mov_b32 s17, 0x3fcc71c0
	v_fma_f64 v[26:27], v[20:21], v[26:27], s[16:17]
	s_mov_b32 s16, 0x9b27acf1
	s_mov_b32 s17, 0x3fd24924
	v_fma_f64 v[26:27], v[20:21], v[26:27], s[16:17]
	s_mov_b32 s16, 0x998ef7b6
	s_mov_b32 s17, 0x3fd99999
	v_fma_f64 v[26:27], v[20:21], v[26:27], s[16:17]
	v_fma_f64 v[20:21], v[20:21], v[26:27], s[14:15]
	v_ldexp_f64 v[26:27], v[18:19], 1
	v_add_f64 v[18:19], v[18:19], -v[24:25]
	s_mov_b32 s14, 0xfefa39ef
	s_mov_b32 s15, 0x3fe62e42
	v_mul_f64 v[20:21], v[28:29], v[20:21]
	v_frexp_exp_i32_f64_e32 v28, v[6:7]
	v_add_f64 v[16:17], v[16:17], -v[18:19]
	v_add_f64 v[24:25], v[26:27], v[20:21]
	v_subbrev_co_u32_e32 v28, vcc, 0, v28, vcc
	v_cvt_f64_i32_e32 v[28:29], v28
	v_ldexp_f64 v[16:17], v[16:17], 1
	v_mul_f64 v[30:31], v[28:29], s[14:15]
	v_add_f64 v[18:19], v[24:25], -v[26:27]
	v_fma_f64 v[26:27], v[28:29], s[14:15], -v[30:31]
	v_add_f64 v[18:19], v[20:21], -v[18:19]
	s_mov_b32 s14, 0x3b39803f
	s_mov_b32 s15, 0x3c7abc9e
	v_fma_f64 v[20:21], v[28:29], s[14:15], v[26:27]
	v_add_f64 v[16:17], v[16:17], v[18:19]
	v_div_scale_f64 v[18:19], s[14:15], v[6:7], v[6:7], -0.5
	s_movk_i32 s14, 0x204
	v_add_f64 v[26:27], v[30:31], v[20:21]
	v_add_f64 v[28:29], v[24:25], v[16:17]
	v_add_f64 v[30:31], v[26:27], -v[30:31]
	v_add_f64 v[32:33], v[26:27], v[28:29]
	v_rcp_f64_e32 v[34:35], v[18:19]
	v_add_f64 v[24:25], v[28:29], -v[24:25]
	v_add_f64 v[20:21], v[20:21], -v[30:31]
	;; [unrolled: 1-line block ×5, first 2 shown]
	v_fma_f64 v[48:49], -v[18:19], v[34:35], 1.0
	v_add_f64 v[24:25], v[28:29], -v[36:37]
	v_add_f64 v[30:31], v[20:21], v[16:17]
	v_add_f64 v[26:27], v[26:27], -v[38:39]
	v_fma_f64 v[28:29], v[34:35], v[48:49], v[34:35]
	v_add_f64 v[36:37], v[30:31], -v[20:21]
	v_add_f64 v[24:25], v[24:25], v[26:27]
	v_div_scale_f64 v[26:27], vcc, -0.5, v[6:7], -0.5
	v_fma_f64 v[34:35], -v[18:19], v[28:29], 1.0
	v_add_f64 v[16:17], v[16:17], -v[36:37]
	v_add_f64 v[24:25], v[30:31], v[24:25]
	v_add_f64 v[30:31], v[30:31], -v[36:37]
	v_fma_f64 v[28:29], v[28:29], v[34:35], v[28:29]
	v_add_f64 v[34:35], v[32:33], v[24:25]
	v_add_f64 v[20:21], v[20:21], -v[30:31]
	v_mul_f64 v[38:39], v[26:27], v[28:29]
	v_add_f64 v[30:31], v[34:35], -v[32:33]
	v_add_f64 v[16:17], v[16:17], v[20:21]
	v_fma_f64 v[18:19], -v[18:19], v[38:39], v[26:27]
	v_add_f64 v[20:21], v[24:25], -v[30:31]
	v_div_fmas_f64 v[18:19], v[18:19], v[28:29], v[38:39]
	v_cmp_class_f64_e64 vcc, v[6:7], s14
	v_add_f64 v[16:17], v[16:17], v[20:21]
	v_add_f64 v[16:17], v[34:35], v[16:17]
	v_div_fixup_f64 v[18:19], v[18:19], v[6:7], -0.5
	v_cndmask_b32_e32 v7, v17, v7, vcc
	v_cndmask_b32_e32 v6, v16, v6, vcc
	v_add_f64 v[6:7], v[6:7], v[18:19]
	v_add_f64 v[6:7], v[6:7], -v[10:11]
	v_add_f64 v[10:11], v[8:9], v[6:7]
                                        ; implicit-def: $vgpr8_vgpr9
.LBB0_110:
	s_andn2_saveexec_b64 s[12:13], s[12:13]
	s_cbranch_execz .LBB0_112
; %bb.111:
	s_mov_b32 s14, 0xdc85cc95
	s_mov_b32 s15, 0x40020396
	v_add_f64 v[10:11], v[8:9], s[14:15]
.LBB0_112:
	s_or_b64 exec, exec, s[12:13]
.LBB0_113:
	s_or_b64 exec, exec, s[6:7]
                                        ; implicit-def: $vgpr6_vgpr7
.LBB0_114:
	s_andn2_saveexec_b64 s[6:7], s[10:11]
; %bb.115:
	v_xor_b32_e32 v6, 0x80000000, v7
	s_brev_b32 s10, -2
	v_mov_b32_e32 v7, 0x7ff00000
	v_bfi_b32 v11, s10, v7, v6
	v_mov_b32_e32 v10, 0
; %bb.116:
	s_or_b64 exec, exec, s[6:7]
	s_or_b64 exec, exec, s[8:9]
	s_and_saveexec_b64 s[6:7], s[4:5]
	s_xor_b64 s[4:5], exec, s[6:7]
	s_cbranch_execz .LBB0_88
.LBB0_117:
	v_mov_b32_e32 v6, 0
	v_lshlrev_b64 v[5:6], 3, v[5:6]
	v_mov_b32_e32 v22, v23
	v_add_co_u32_e32 v5, vcc, v0, v5
	v_addc_co_u32_e32 v6, vcc, v1, v6, vcc
	flat_store_dwordx2 v[5:6], v[2:3]
	s_or_b64 exec, exec, s[4:5]
	v_cmp_lt_i32_e32 vcc, v22, v4
	s_and_saveexec_b64 s[4:5], vcc
	s_cbranch_execz .LBB0_89
.LBB0_118:
	v_add_u32_e32 v2, s20, v22
	v_mov_b32_e32 v3, 0
	v_lshlrev_b64 v[2:3], 3, v[2:3]
	v_add_u32_e32 v22, 0x100, v22
	v_add_co_u32_e32 v2, vcc, v0, v2
	v_addc_co_u32_e32 v3, vcc, v1, v3, vcc
	flat_store_dwordx2 v[2:3], v[14:15]
	s_or_b64 exec, exec, s[4:5]
	v_cmp_lt_i32_e32 vcc, v22, v4
	s_and_saveexec_b64 s[4:5], vcc
	s_cbranch_execz .LBB0_90
.LBB0_119:
	v_add_u32_e32 v2, s20, v22
	v_mov_b32_e32 v3, 0
	v_lshlrev_b64 v[2:3], 3, v[2:3]
	v_add_u32_e32 v22, 0x100, v22
	v_add_co_u32_e32 v2, vcc, v0, v2
	v_addc_co_u32_e32 v3, vcc, v1, v3, vcc
	flat_store_dwordx2 v[2:3], v[12:13]
	s_or_b64 exec, exec, s[4:5]
	v_cmp_lt_i32_e32 vcc, v22, v4
	s_and_saveexec_b64 s[4:5], vcc
	s_cbranch_execz .LBB0_91
.LBB0_120:
	v_add_u32_e32 v2, s20, v22
	v_mov_b32_e32 v3, 0
	v_lshlrev_b64 v[2:3], 3, v[2:3]
	v_add_co_u32_e32 v0, vcc, v0, v2
	v_addc_co_u32_e32 v1, vcc, v1, v3, vcc
	flat_store_dwordx2 v[0:1], v[10:11]
	s_or_b64 exec, exec, s[4:5]
	s_waitcnt vmcnt(0) lgkmcnt(0)
	s_setpc_b64 s[30:31]
.Lfunc_end0:
	.size	_ZN2at6native25elementwise_kernel_helperILb0EZZZNS0_19digamma_kernel_cudaERNS_18TensorIteratorBaseEENKUlvE_clEvENKUlvE_clEvEUldE_NS0_6memory8policies11unroll_baseILi256ESt5arrayIPcLm2EE23TrivialOffsetCalculatorILi1EjESE_NS7_15LoadWithoutCastENS7_16StoreWithoutCastELi4ELi1EEEEEvT0_T1_, .Lfunc_end0-_ZN2at6native25elementwise_kernel_helperILb0EZZZNS0_19digamma_kernel_cudaERNS_18TensorIteratorBaseEENKUlvE_clEvENKUlvE_clEvEUldE_NS0_6memory8policies11unroll_baseILi256ESt5arrayIPcLm2EE23TrivialOffsetCalculatorILi1EjESE_NS7_15LoadWithoutCastENS7_16StoreWithoutCastELi4ELi1EEEEEvT0_T1_
                                        ; -- End function
	.set .L_ZN2at6native25elementwise_kernel_helperILb0EZZZNS0_19digamma_kernel_cudaERNS_18TensorIteratorBaseEENKUlvE_clEvENKUlvE_clEvEUldE_NS0_6memory8policies11unroll_baseILi256ESt5arrayIPcLm2EE23TrivialOffsetCalculatorILi1EjESE_NS7_15LoadWithoutCastENS7_16StoreWithoutCastELi4ELi1EEEEEvT0_T1_.num_vgpr, 54
	.set .L_ZN2at6native25elementwise_kernel_helperILb0EZZZNS0_19digamma_kernel_cudaERNS_18TensorIteratorBaseEENKUlvE_clEvENKUlvE_clEvEUldE_NS0_6memory8policies11unroll_baseILi256ESt5arrayIPcLm2EE23TrivialOffsetCalculatorILi1EjESE_NS7_15LoadWithoutCastENS7_16StoreWithoutCastELi4ELi1EEEEEvT0_T1_.num_agpr, 0
	.set .L_ZN2at6native25elementwise_kernel_helperILb0EZZZNS0_19digamma_kernel_cudaERNS_18TensorIteratorBaseEENKUlvE_clEvENKUlvE_clEvEUldE_NS0_6memory8policies11unroll_baseILi256ESt5arrayIPcLm2EE23TrivialOffsetCalculatorILi1EjESE_NS7_15LoadWithoutCastENS7_16StoreWithoutCastELi4ELi1EEEEEvT0_T1_.numbered_sgpr, 32
	.set .L_ZN2at6native25elementwise_kernel_helperILb0EZZZNS0_19digamma_kernel_cudaERNS_18TensorIteratorBaseEENKUlvE_clEvENKUlvE_clEvEUldE_NS0_6memory8policies11unroll_baseILi256ESt5arrayIPcLm2EE23TrivialOffsetCalculatorILi1EjESE_NS7_15LoadWithoutCastENS7_16StoreWithoutCastELi4ELi1EEEEEvT0_T1_.num_named_barrier, 0
	.set .L_ZN2at6native25elementwise_kernel_helperILb0EZZZNS0_19digamma_kernel_cudaERNS_18TensorIteratorBaseEENKUlvE_clEvENKUlvE_clEvEUldE_NS0_6memory8policies11unroll_baseILi256ESt5arrayIPcLm2EE23TrivialOffsetCalculatorILi1EjESE_NS7_15LoadWithoutCastENS7_16StoreWithoutCastELi4ELi1EEEEEvT0_T1_.private_seg_size, 0
	.set .L_ZN2at6native25elementwise_kernel_helperILb0EZZZNS0_19digamma_kernel_cudaERNS_18TensorIteratorBaseEENKUlvE_clEvENKUlvE_clEvEUldE_NS0_6memory8policies11unroll_baseILi256ESt5arrayIPcLm2EE23TrivialOffsetCalculatorILi1EjESE_NS7_15LoadWithoutCastENS7_16StoreWithoutCastELi4ELi1EEEEEvT0_T1_.uses_vcc, 1
	.set .L_ZN2at6native25elementwise_kernel_helperILb0EZZZNS0_19digamma_kernel_cudaERNS_18TensorIteratorBaseEENKUlvE_clEvENKUlvE_clEvEUldE_NS0_6memory8policies11unroll_baseILi256ESt5arrayIPcLm2EE23TrivialOffsetCalculatorILi1EjESE_NS7_15LoadWithoutCastENS7_16StoreWithoutCastELi4ELi1EEEEEvT0_T1_.uses_flat_scratch, 0
	.set .L_ZN2at6native25elementwise_kernel_helperILb0EZZZNS0_19digamma_kernel_cudaERNS_18TensorIteratorBaseEENKUlvE_clEvENKUlvE_clEvEUldE_NS0_6memory8policies11unroll_baseILi256ESt5arrayIPcLm2EE23TrivialOffsetCalculatorILi1EjESE_NS7_15LoadWithoutCastENS7_16StoreWithoutCastELi4ELi1EEEEEvT0_T1_.has_dyn_sized_stack, 0
	.set .L_ZN2at6native25elementwise_kernel_helperILb0EZZZNS0_19digamma_kernel_cudaERNS_18TensorIteratorBaseEENKUlvE_clEvENKUlvE_clEvEUldE_NS0_6memory8policies11unroll_baseILi256ESt5arrayIPcLm2EE23TrivialOffsetCalculatorILi1EjESE_NS7_15LoadWithoutCastENS7_16StoreWithoutCastELi4ELi1EEEEEvT0_T1_.has_recursion, 0
	.set .L_ZN2at6native25elementwise_kernel_helperILb0EZZZNS0_19digamma_kernel_cudaERNS_18TensorIteratorBaseEENKUlvE_clEvENKUlvE_clEvEUldE_NS0_6memory8policies11unroll_baseILi256ESt5arrayIPcLm2EE23TrivialOffsetCalculatorILi1EjESE_NS7_15LoadWithoutCastENS7_16StoreWithoutCastELi4ELi1EEEEEvT0_T1_.has_indirect_call, 0
	.section	.AMDGPU.csdata,"",@progbits
; Function info:
; codeLenInByte = 13436
; TotalNumSgprs: 36
; NumVgprs: 54
; ScratchSize: 0
; MemoryBound: 0
	.text
	.p2align	2                               ; -- Begin function _ZN2at6native25elementwise_kernel_helperILb0EZZZNS0_19digamma_kernel_cudaERNS_18TensorIteratorBaseEENKUlvE_clEvENKUlvE_clEvEUldE_NS0_6memory8policies10vectorizedILi4ESt5arrayIPcLm2EELi4EEEEEvT0_T1_
	.type	_ZN2at6native25elementwise_kernel_helperILb0EZZZNS0_19digamma_kernel_cudaERNS_18TensorIteratorBaseEENKUlvE_clEvENKUlvE_clEvEUldE_NS0_6memory8policies10vectorizedILi4ESt5arrayIPcLm2EELi4EEEEEvT0_T1_,@function
_ZN2at6native25elementwise_kernel_helperILb0EZZZNS0_19digamma_kernel_cudaERNS_18TensorIteratorBaseEENKUlvE_clEvENKUlvE_clEvEUldE_NS0_6memory8policies10vectorizedILi4ESt5arrayIPcLm2EELi4EEEEEvT0_T1_: ; @_ZN2at6native25elementwise_kernel_helperILb0EZZZNS0_19digamma_kernel_cudaERNS_18TensorIteratorBaseEENKUlvE_clEvENKUlvE_clEvEUldE_NS0_6memory8policies10vectorizedILi4ESt5arrayIPcLm2EELi4EEEEEvT0_T1_
; %bb.0:
	s_waitcnt vmcnt(0) expcnt(0) lgkmcnt(0)
	s_lshl_b32 s4, s12, 10
	s_ashr_i32 s5, s4, 31
	s_lshl_b64 s[6:7], s[4:5], 3
	v_mov_b32_e32 v4, s7
	v_add_co_u32_e32 v2, vcc, s6, v2
	v_addc_co_u32_e32 v3, vcc, v3, v4, vcc
	v_and_b32_e32 v4, 0x3ff, v31
	v_lshlrev_b32_e32 v16, 5, v4
	v_add_co_u32_e32 v6, vcc, v2, v16
	v_addc_co_u32_e32 v7, vcc, 0, v3, vcc
	flat_load_dwordx4 v[8:11], v[6:7]
	flat_load_dwordx4 v[2:5], v[6:7] offset:16
                                        ; implicit-def: $vgpr6_vgpr7
	s_waitcnt vmcnt(0) lgkmcnt(0)
	v_cmp_neq_f64_e32 vcc, 0, v[8:9]
	s_and_saveexec_b64 s[4:5], vcc
	s_xor_b64 s[8:9], exec, s[4:5]
	s_cbranch_execz .LBB1_22
; %bb.1:
	v_cmp_gt_f64_e32 vcc, 0, v[8:9]
	v_mov_b32_e32 v12, 0
	v_mov_b32_e32 v13, 0
	s_mov_b64 s[12:13], -1
	s_and_saveexec_b64 s[10:11], vcc
	s_cbranch_execz .LBB1_9
; %bb.2:
	v_trunc_f64_e32 v[6:7], v[8:9]
	v_mov_b32_e32 v12, 0
	v_mov_b32_e32 v13, 0
	s_mov_b64 s[14:15], 0
	v_cmp_neq_f64_e32 vcc, v[8:9], v[6:7]
	s_and_saveexec_b64 s[12:13], vcc
	s_cbranch_execz .LBB1_8
; %bb.3:
	v_add_f64 v[6:7], v[8:9], -v[6:7]
	s_mov_b32 s16, 0
	s_mov_b32 s5, 0xc00921fb
	;; [unrolled: 1-line block ×4, first 2 shown]
	v_cmp_neq_f64_e64 vcc, |v[8:9]|, s[16:17]
	v_bfrev_b32_e32 v12, 1
	s_mov_b32 s14, 0
	v_mul_f64 v[6:7], |v[6:7]|, s[4:5]
	s_mov_b32 s15, 0x41d00000
                                        ; implicit-def: $vgpr17
                                        ; implicit-def: $vgpr14_vgpr15
	v_cndmask_b32_e32 v7, v12, v7, vcc
	v_cndmask_b32_e32 v6, 0, v6, vcc
	v_cmp_nlt_f64_e64 s[14:15], |v[6:7]|, s[14:15]
                                        ; implicit-def: $vgpr12_vgpr13
	s_and_saveexec_b64 s[18:19], s[14:15]
	s_xor_b64 s[14:15], exec, s[18:19]
	s_cbranch_execz .LBB1_5
; %bb.4:
	v_trig_preop_f64 v[12:13], |v[6:7]|, 0
	s_mov_b32 s18, 0
	s_mov_b32 s19, 0x7b000000
	s_movk_i32 s5, 0xff80
	v_ldexp_f64 v[14:15], |v[6:7]|, s5
	v_cmp_ge_f64_e64 vcc, |v[6:7]|, s[18:19]
	v_trig_preop_f64 v[17:18], |v[6:7]|, 1
	v_and_b32_e32 v19, 0x7fffffff, v7
	v_trig_preop_f64 v[23:24], |v[6:7]|, 2
	v_mov_b32_e32 v35, 0x40100000
	s_mov_b32 s5, 0x3ff921fb
	v_cndmask_b32_e32 v15, v19, v15, vcc
	v_cndmask_b32_e32 v14, v6, v14, vcc
	v_mul_f64 v[19:20], v[12:13], v[14:15]
	v_mul_f64 v[21:22], v[17:18], v[14:15]
	;; [unrolled: 1-line block ×3, first 2 shown]
	v_fma_f64 v[12:13], v[12:13], v[14:15], -v[19:20]
	v_fma_f64 v[17:18], v[17:18], v[14:15], -v[21:22]
	;; [unrolled: 1-line block ×3, first 2 shown]
	v_add_f64 v[25:26], v[21:22], v[12:13]
	v_add_f64 v[33:34], v[29:30], v[17:18]
	v_add_f64 v[27:28], v[25:26], -v[21:22]
	v_add_f64 v[31:32], v[25:26], -v[27:28]
	;; [unrolled: 1-line block ×3, first 2 shown]
	v_add_f64 v[27:28], v[19:20], v[25:26]
	v_add_f64 v[21:22], v[21:22], -v[31:32]
	v_add_f64 v[31:32], v[33:34], -v[29:30]
	;; [unrolled: 1-line block ×3, first 2 shown]
	v_ldexp_f64 v[27:28], v[27:28], -2
	v_add_f64 v[12:13], v[12:13], v[21:22]
	v_add_f64 v[21:22], v[33:34], -v[31:32]
	v_add_f64 v[17:18], v[17:18], -v[31:32]
	v_fract_f64_e32 v[31:32], v[27:28]
	v_add_f64 v[19:20], v[25:26], -v[19:20]
	v_cmp_neq_f64_e64 vcc, |v[27:28]|, s[16:17]
	s_mov_b32 s16, 0x33145c07
	s_mov_b32 s17, 0x3c91a626
	v_add_f64 v[25:26], v[33:34], v[12:13]
	v_add_f64 v[21:22], v[29:30], -v[21:22]
	v_ldexp_f64 v[27:28], v[31:32], 2
	v_add_f64 v[31:32], v[19:20], v[25:26]
	v_add_f64 v[17:18], v[17:18], v[21:22]
	v_cndmask_b32_e32 v22, 0, v28, vcc
	v_cndmask_b32_e32 v21, 0, v27, vcc
	v_add_f64 v[27:28], v[31:32], v[21:22]
	v_add_f64 v[19:20], v[31:32], -v[19:20]
	v_cmp_gt_f64_e32 vcc, 0, v[27:28]
	v_add_f64 v[27:28], v[25:26], -v[33:34]
	v_add_f64 v[19:20], v[25:26], -v[19:20]
	v_add_f64 v[12:13], v[12:13], -v[27:28]
	v_add_f64 v[27:28], v[25:26], -v[27:28]
	v_add_f64 v[27:28], v[33:34], -v[27:28]
	v_mov_b32_e32 v33, 0
	v_cndmask_b32_e32 v34, 0, v35, vcc
	v_add_f64 v[21:22], v[21:22], v[33:34]
	v_add_f64 v[12:13], v[12:13], v[27:28]
	;; [unrolled: 1-line block ×4, first 2 shown]
	v_cvt_i32_f64_e32 v35, v[34:35]
	v_cvt_f64_i32_e32 v[27:28], v35
	v_add_f64 v[12:13], v[14:15], v[12:13]
	v_add_f64 v[21:22], v[21:22], -v[27:28]
	v_add_f64 v[12:13], v[19:20], v[12:13]
	v_mov_b32_e32 v19, 0x3ff00000
	v_add_f64 v[17:18], v[31:32], v[21:22]
	v_add_f64 v[14:15], v[17:18], -v[21:22]
	v_cmp_le_f64_e32 vcc, 0.5, v[17:18]
	v_add_f64 v[14:15], v[31:32], -v[14:15]
	v_cndmask_b32_e32 v34, 0, v19, vcc
	v_add_f64 v[12:13], v[12:13], v[14:15]
	v_add_f64 v[14:15], v[17:18], -v[33:34]
	v_add_f64 v[17:18], v[14:15], v[12:13]
	v_mul_f64 v[19:20], v[17:18], s[4:5]
	v_add_f64 v[14:15], v[17:18], -v[14:15]
	v_fma_f64 v[21:22], v[17:18], s[4:5], -v[19:20]
	v_add_f64 v[12:13], v[12:13], -v[14:15]
	v_fma_f64 v[14:15], v[17:18], s[16:17], v[21:22]
	v_fma_f64 v[14:15], v[12:13], s[4:5], v[14:15]
	v_add_f64 v[12:13], v[19:20], v[14:15]
	v_add_f64 v[17:18], v[12:13], -v[19:20]
	v_add_f64 v[14:15], v[14:15], -v[17:18]
	v_addc_co_u32_e32 v17, vcc, 0, v35, vcc
.LBB1_5:
	s_andn2_saveexec_b64 s[4:5], s[14:15]
	s_cbranch_execz .LBB1_7
; %bb.6:
	s_mov_b32 s14, 0x6dc9c883
	s_mov_b32 s15, 0x3fe45f30
	v_mul_f64 v[12:13], |v[6:7]|, s[14:15]
	s_mov_b32 s14, 0x54442d18
	s_mov_b32 s15, 0xbff921fb
	;; [unrolled: 1-line block ×4, first 2 shown]
	v_rndne_f64_e32 v[17:18], v[12:13]
	v_fma_f64 v[12:13], v[17:18], s[14:15], |v[6:7]|
	v_mul_f64 v[14:15], v[17:18], s[16:17]
	s_mov_b32 s14, 0x252049c0
	s_mov_b32 s15, 0xb97b839a
	v_fma_f64 v[23:24], v[17:18], s[16:17], v[12:13]
	v_add_f64 v[19:20], v[12:13], v[14:15]
	s_mov_b32 s17, 0x3c91a626
	v_add_f64 v[21:22], v[12:13], -v[19:20]
	v_add_f64 v[19:20], v[19:20], -v[23:24]
	v_add_f64 v[12:13], v[21:22], v[14:15]
	v_fma_f64 v[14:15], v[17:18], s[16:17], v[14:15]
	v_add_f64 v[12:13], v[19:20], v[12:13]
	v_add_f64 v[12:13], v[12:13], -v[14:15]
	v_fma_f64 v[14:15], v[17:18], s[14:15], v[12:13]
	v_cvt_i32_f64_e32 v17, v[17:18]
	v_add_f64 v[12:13], v[23:24], v[14:15]
	v_add_f64 v[19:20], v[12:13], -v[23:24]
	v_add_f64 v[14:15], v[14:15], -v[19:20]
.LBB1_7:
	s_or_b64 exec, exec, s[4:5]
	v_mul_f64 v[18:19], v[12:13], v[12:13]
	v_add_f64 v[20:21], v[14:15], v[14:15]
	s_mov_b32 s4, 0xc751c08c
	s_mov_b32 s5, 0x3ef5e089
	v_and_b32_e32 v17, 1, v17
	v_cmp_eq_u32_e32 vcc, 0, v17
	s_mov_b32 s16, 0x54442d18
	s_mov_b32 s17, 0xc00921fb
	v_fma_f64 v[22:23], v[12:13], v[12:13], -v[18:19]
	v_add_f64 v[8:9], -v[8:9], 1.0
	s_mov_b64 s[14:15], exec
	v_fma_f64 v[20:21], v[12:13], v[20:21], v[22:23]
	v_add_f64 v[18:19], v[18:19], v[20:21]
	v_mov_b32_e32 v20, 0xa9a29f71
	v_mov_b32_e32 v21, 0xbf078809
	v_fma_f64 v[20:21], v[18:19], s[4:5], v[20:21]
	s_mov_b32 s4, 0x90a8aae0
	s_mov_b32 s5, 0x3f17746f
	v_fma_f64 v[20:21], v[18:19], v[20:21], s[4:5]
	s_mov_b32 s4, 0xa6fbf144
	s_mov_b32 s5, 0xbefbb44d
	;; [unrolled: 3-line block ×12, first 2 shown]
	v_fma_f64 v[20:21], v[18:19], v[20:21], s[4:5]
	s_movk_i32 s4, 0x1f8
	v_cmp_class_f64_e64 s[4:5], v[6:7], s4
	v_mul_f64 v[18:19], v[18:19], v[20:21]
	v_mul_f64 v[20:21], v[12:13], v[18:19]
	v_add_f64 v[22:23], v[12:13], v[20:21]
	v_fma_f64 v[18:19], v[12:13], v[18:19], -v[20:21]
	v_add_f64 v[12:13], v[22:23], -v[12:13]
	v_add_f64 v[14:15], v[14:15], v[18:19]
	v_add_f64 v[12:13], v[20:21], -v[12:13]
	v_add_f64 v[12:13], v[14:15], v[12:13]
	v_add_f64 v[14:15], v[22:23], v[12:13]
	v_rcp_f64_e32 v[18:19], v[14:15]
	v_fma_f64 v[20:21], -v[14:15], v[18:19], 1.0
	v_fma_f64 v[18:19], v[20:21], v[18:19], v[18:19]
	v_fma_f64 v[20:21], -v[14:15], v[18:19], 1.0
	v_fma_f64 v[18:19], v[20:21], v[18:19], v[18:19]
	v_add_f64 v[20:21], v[14:15], -v[22:23]
	v_mul_f64 v[22:23], v[14:15], v[18:19]
	v_add_f64 v[12:13], v[12:13], -v[20:21]
	v_fma_f64 v[20:21], v[18:19], v[14:15], -v[22:23]
	v_fma_f64 v[12:13], v[18:19], v[12:13], v[20:21]
	v_add_f64 v[20:21], v[22:23], v[12:13]
	v_add_f64 v[24:25], -v[20:21], 1.0
	v_add_f64 v[22:23], v[20:21], -v[22:23]
	v_add_f64 v[26:27], -v[24:25], 1.0
	v_add_f64 v[12:13], v[22:23], -v[12:13]
	v_add_f64 v[20:21], v[26:27], -v[20:21]
	v_add_f64 v[12:13], v[12:13], v[20:21]
	v_add_f64 v[12:13], v[24:25], v[12:13]
	v_mul_f64 v[12:13], v[18:19], v[12:13]
	v_add_f64 v[12:13], v[18:19], v[12:13]
	v_and_b32_e32 v18, 0x80000000, v7
	v_mov_b32_e32 v7, 0x7ff80000
	v_xor_b32_e32 v6, 0x80000000, v13
	v_cndmask_b32_e32 v12, v12, v14, vcc
	v_cndmask_b32_e32 v13, v6, v15, vcc
	v_cndmask_b32_e64 v6, 0, v12, s[4:5]
	v_xor_b32_e32 v12, v13, v18
	v_cndmask_b32_e64 v7, v7, v12, s[4:5]
	v_div_scale_f64 v[12:13], s[4:5], v[6:7], v[6:7], s[16:17]
	v_rcp_f64_e32 v[14:15], v[12:13]
	v_fma_f64 v[17:18], -v[12:13], v[14:15], 1.0
	v_fma_f64 v[14:15], v[14:15], v[17:18], v[14:15]
	v_div_scale_f64 v[17:18], vcc, s[16:17], v[6:7], s[16:17]
	v_fma_f64 v[19:20], -v[12:13], v[14:15], 1.0
	v_fma_f64 v[14:15], v[14:15], v[19:20], v[14:15]
	v_mul_f64 v[19:20], v[17:18], v[14:15]
	v_fma_f64 v[12:13], -v[12:13], v[19:20], v[17:18]
	v_div_fmas_f64 v[12:13], v[12:13], v[14:15], v[19:20]
	v_div_fixup_f64 v[12:13], v[12:13], v[6:7], s[16:17]
.LBB1_8:
	s_or_b64 exec, exec, s[12:13]
	s_orn2_b64 s[12:13], s[14:15], exec
.LBB1_9:
	s_or_b64 exec, exec, s[10:11]
	v_mov_b32_e32 v6, 0
	v_mov_b32_e32 v7, 0x7ff80000
	s_and_saveexec_b64 s[4:5], s[12:13]
	s_cbranch_execz .LBB1_21
; %bb.10:
	s_mov_b32 s12, 0
	s_mov_b32 s13, 0x40240000
	v_cmp_gt_f64_e32 vcc, s[12:13], v[8:9]
	s_and_saveexec_b64 s[10:11], vcc
	s_cbranch_execz .LBB1_14
; %bb.11:
	s_mov_b64 s[14:15], 0
.LBB1_12:                               ; =>This Inner Loop Header: Depth=1
	v_div_scale_f64 v[6:7], s[16:17], v[8:9], v[8:9], 1.0
	v_rcp_f64_e32 v[14:15], v[6:7]
	v_fma_f64 v[17:18], -v[6:7], v[14:15], 1.0
	v_fma_f64 v[14:15], v[14:15], v[17:18], v[14:15]
	v_div_scale_f64 v[17:18], vcc, 1.0, v[8:9], 1.0
	v_fma_f64 v[19:20], -v[6:7], v[14:15], 1.0
	v_fma_f64 v[14:15], v[14:15], v[19:20], v[14:15]
	v_mul_f64 v[19:20], v[17:18], v[14:15]
	v_fma_f64 v[6:7], -v[6:7], v[19:20], v[17:18]
	v_div_fmas_f64 v[6:7], v[6:7], v[14:15], v[19:20]
	v_div_fixup_f64 v[6:7], v[6:7], v[8:9], 1.0
	v_add_f64 v[8:9], v[8:9], 1.0
	v_add_f64 v[12:13], v[12:13], -v[6:7]
	v_cmp_ngt_f64_e32 vcc, s[12:13], v[8:9]
	s_or_b64 s[14:15], vcc, s[14:15]
	s_andn2_b64 exec, exec, s[14:15]
	s_cbranch_execnz .LBB1_12
; %bb.13:
	s_or_b64 exec, exec, s[14:15]
.LBB1_14:
	s_or_b64 exec, exec, s[10:11]
	s_mov_b32 s10, 0
	s_mov_b32 s11, 0x40240000
	v_cmp_neq_f64_e32 vcc, s[10:11], v[8:9]
                                        ; implicit-def: $vgpr6_vgpr7
	s_and_saveexec_b64 s[10:11], vcc
	s_xor_b64 s[10:11], exec, s[10:11]
	s_cbranch_execz .LBB1_18
; %bb.15:
	s_mov_b32 s12, 0x85d8a000
	s_mov_b32 s13, 0x43763457
	v_cmp_gt_f64_e32 vcc, s[12:13], v[8:9]
	v_mov_b32_e32 v6, 0
	v_mov_b32_e32 v7, 0
	s_and_saveexec_b64 s[12:13], vcc
	s_cbranch_execz .LBB1_17
; %bb.16:
	v_mul_f64 v[6:7], v[8:9], v[8:9]
	s_mov_b32 s16, 0x95995996
	s_mov_b32 s17, 0xbf959959
	;; [unrolled: 1-line block ×4, first 2 shown]
	v_div_scale_f64 v[14:15], s[14:15], v[6:7], v[6:7], 1.0
	v_div_scale_f64 v[21:22], vcc, 1.0, v[6:7], 1.0
	s_mov_b32 s14, 0x55555555
	s_mov_b32 s15, 0x3fb55555
	v_rcp_f64_e32 v[17:18], v[14:15]
	v_fma_f64 v[19:20], -v[14:15], v[17:18], 1.0
	v_fma_f64 v[17:18], v[17:18], v[19:20], v[17:18]
	v_fma_f64 v[19:20], -v[14:15], v[17:18], 1.0
	v_fma_f64 v[17:18], v[17:18], v[19:20], v[17:18]
	v_mul_f64 v[19:20], v[21:22], v[17:18]
	v_fma_f64 v[14:15], -v[14:15], v[19:20], v[21:22]
	v_div_fmas_f64 v[14:15], v[14:15], v[17:18], v[19:20]
	v_div_fixup_f64 v[6:7], v[14:15], v[6:7], 1.0
	v_fma_f64 v[14:15], v[6:7], 0, s[14:15]
	v_fma_f64 v[14:15], v[6:7], v[14:15], s[16:17]
	s_mov_b32 s16, 0xf07c1f08
	s_mov_b32 s17, 0x3f7f07c1
	v_fma_f64 v[14:15], v[6:7], v[14:15], s[16:17]
	s_mov_b32 s17, 0xbf711111
	s_mov_b32 s16, 0x11111111
	v_fma_f64 v[14:15], v[6:7], v[14:15], s[16:17]
	s_mov_b32 s17, 0xbf811111
	v_fma_f64 v[14:15], v[6:7], v[14:15], s[18:19]
	v_fma_f64 v[14:15], v[6:7], v[14:15], s[16:17]
	;; [unrolled: 1-line block ×3, first 2 shown]
	v_mul_f64 v[6:7], v[6:7], v[14:15]
.LBB1_17:
	s_or_b64 exec, exec, s[12:13]
	v_frexp_mant_f64_e32 v[14:15], v[8:9]
	s_mov_b32 s13, 0x3fe55555
	s_mov_b32 s12, 0x55555555
	v_frexp_exp_i32_f64_e32 v17, v[8:9]
	s_mov_b32 s14, 0xbf559e2b
	s_mov_b32 s15, 0x3fc3ab76
	v_cmp_gt_f64_e32 vcc, s[12:13], v[14:15]
	s_mov_b32 s12, 0x55555780
	v_cndmask_b32_e64 v18, 0, 1, vcc
	v_ldexp_f64 v[14:15], v[14:15], v18
	v_subbrev_co_u32_e32 v29, vcc, 0, v17, vcc
	v_add_f64 v[19:20], v[14:15], 1.0
	v_add_f64 v[17:18], v[14:15], -1.0
	v_add_f64 v[21:22], v[19:20], -1.0
	v_add_f64 v[14:15], v[14:15], -v[21:22]
	v_rcp_f64_e32 v[21:22], v[19:20]
	v_fma_f64 v[23:24], -v[19:20], v[21:22], 1.0
	v_fma_f64 v[21:22], v[23:24], v[21:22], v[21:22]
	v_fma_f64 v[23:24], -v[19:20], v[21:22], 1.0
	v_fma_f64 v[21:22], v[23:24], v[21:22], v[21:22]
	v_mul_f64 v[23:24], v[17:18], v[21:22]
	v_mul_f64 v[25:26], v[19:20], v[23:24]
	v_fma_f64 v[19:20], v[23:24], v[19:20], -v[25:26]
	v_fma_f64 v[14:15], v[23:24], v[14:15], v[19:20]
	v_add_f64 v[19:20], v[25:26], v[14:15]
	v_add_f64 v[27:28], v[17:18], -v[19:20]
	v_add_f64 v[25:26], v[19:20], -v[25:26]
	;; [unrolled: 1-line block ×5, first 2 shown]
	v_add_f64 v[14:15], v[14:15], v[17:18]
	v_add_f64 v[14:15], v[27:28], v[14:15]
	v_mul_f64 v[14:15], v[21:22], v[14:15]
	v_mov_b32_e32 v21, 0x6b47b09a
	v_mov_b32_e32 v22, 0x3fc38538
	v_add_f64 v[17:18], v[23:24], v[14:15]
	v_add_f64 v[19:20], v[17:18], -v[23:24]
	v_ldexp_f64 v[23:24], v[17:18], 1
	v_add_f64 v[14:15], v[14:15], -v[19:20]
	v_mul_f64 v[19:20], v[17:18], v[17:18]
	v_ldexp_f64 v[14:15], v[14:15], 1
	v_fma_f64 v[21:22], v[19:20], s[14:15], v[21:22]
	s_mov_b32 s14, 0xd7f4df2e
	s_mov_b32 s15, 0x3fc7474d
	v_mul_f64 v[17:18], v[17:18], v[19:20]
	v_fma_f64 v[21:22], v[19:20], v[21:22], s[14:15]
	s_mov_b32 s14, 0x16291751
	s_mov_b32 s15, 0x3fcc71c0
	v_fma_f64 v[21:22], v[19:20], v[21:22], s[14:15]
	s_mov_b32 s14, 0x9b27acf1
	s_mov_b32 s15, 0x3fd24924
	;; [unrolled: 3-line block ×3, first 2 shown]
	v_fma_f64 v[21:22], v[19:20], v[21:22], s[14:15]
	v_fma_f64 v[21:22], v[19:20], v[21:22], s[12:13]
	s_mov_b32 s12, 0xfefa39ef
	s_mov_b32 s13, 0x3fe62e42
	v_mul_f64 v[17:18], v[17:18], v[21:22]
	v_add_f64 v[19:20], v[23:24], v[17:18]
	v_add_f64 v[21:22], v[19:20], -v[23:24]
	v_add_f64 v[17:18], v[17:18], -v[21:22]
	v_add_f64 v[14:15], v[14:15], v[17:18]
	v_add_f64 v[17:18], v[19:20], v[14:15]
	v_add_f64 v[19:20], v[17:18], -v[19:20]
	v_add_f64 v[14:15], v[14:15], -v[19:20]
	v_cvt_f64_i32_e32 v[19:20], v29
	v_mul_f64 v[21:22], v[19:20], s[12:13]
	v_fma_f64 v[23:24], v[19:20], s[12:13], -v[21:22]
	s_mov_b32 s12, 0x3b39803f
	s_mov_b32 s13, 0x3c7abc9e
	v_fma_f64 v[19:20], v[19:20], s[12:13], v[23:24]
	s_movk_i32 s12, 0x204
	v_cmp_class_f64_e64 vcc, v[8:9], s12
	v_add_f64 v[23:24], v[21:22], v[19:20]
	v_add_f64 v[21:22], v[23:24], -v[21:22]
	v_add_f64 v[19:20], v[19:20], -v[21:22]
	v_add_f64 v[21:22], v[23:24], v[17:18]
	v_add_f64 v[25:26], v[21:22], -v[23:24]
	v_add_f64 v[27:28], v[21:22], -v[25:26]
	v_add_f64 v[17:18], v[17:18], -v[25:26]
	v_add_f64 v[23:24], v[23:24], -v[27:28]
	v_add_f64 v[17:18], v[17:18], v[23:24]
	v_add_f64 v[23:24], v[19:20], v[14:15]
	v_add_f64 v[25:26], v[23:24], -v[19:20]
	v_add_f64 v[17:18], v[23:24], v[17:18]
	v_add_f64 v[27:28], v[23:24], -v[25:26]
	v_add_f64 v[14:15], v[14:15], -v[25:26]
	;; [unrolled: 1-line block ×3, first 2 shown]
	v_add_f64 v[14:15], v[14:15], v[19:20]
	v_add_f64 v[19:20], v[21:22], v[17:18]
	v_add_f64 v[21:22], v[19:20], -v[21:22]
	v_add_f64 v[17:18], v[17:18], -v[21:22]
	v_add_f64 v[14:15], v[14:15], v[17:18]
	v_div_scale_f64 v[17:18], s[12:13], v[8:9], v[8:9], -0.5
	v_add_f64 v[14:15], v[19:20], v[14:15]
	v_cndmask_b32_e32 v15, v15, v9, vcc
	v_rcp_f64_e32 v[19:20], v[17:18]
	v_cndmask_b32_e32 v14, v14, v8, vcc
	v_fma_f64 v[21:22], -v[17:18], v[19:20], 1.0
	v_fma_f64 v[19:20], v[19:20], v[21:22], v[19:20]
	v_fma_f64 v[21:22], -v[17:18], v[19:20], 1.0
	v_fma_f64 v[19:20], v[19:20], v[21:22], v[19:20]
	v_div_scale_f64 v[21:22], vcc, -0.5, v[8:9], -0.5
	v_mul_f64 v[23:24], v[21:22], v[19:20]
	v_fma_f64 v[17:18], -v[17:18], v[23:24], v[21:22]
	s_nop 1
	v_div_fmas_f64 v[17:18], v[17:18], v[19:20], v[23:24]
	v_div_fixup_f64 v[17:18], v[17:18], v[8:9], -0.5
	v_add_f64 v[14:15], v[14:15], v[17:18]
	v_add_f64 v[6:7], v[14:15], -v[6:7]
	v_add_f64 v[6:7], v[12:13], v[6:7]
                                        ; implicit-def: $vgpr12_vgpr13
.LBB1_18:
	s_andn2_saveexec_b64 s[10:11], s[10:11]
	s_cbranch_execz .LBB1_20
; %bb.19:
	s_mov_b32 s12, 0xdc85cc95
	s_mov_b32 s13, 0x40020396
	v_add_f64 v[6:7], v[12:13], s[12:13]
.LBB1_20:
	s_or_b64 exec, exec, s[10:11]
.LBB1_21:
	s_or_b64 exec, exec, s[4:5]
.LBB1_22:
	s_andn2_saveexec_b64 s[4:5], s[8:9]
; %bb.23:
	v_xor_b32_e32 v6, 0x80000000, v9
	s_brev_b32 s8, -2
	v_mov_b32_e32 v7, 0x7ff00000
	v_bfi_b32 v7, s8, v7, v6
	v_mov_b32_e32 v6, 0
; %bb.24:
	s_or_b64 exec, exec, s[4:5]
	v_cmp_neq_f64_e32 vcc, 0, v[10:11]
	s_and_saveexec_b64 s[4:5], vcc
	s_xor_b64 s[8:9], exec, s[4:5]
	s_cbranch_execz .LBB1_46
; %bb.25:
	v_cmp_gt_f64_e32 vcc, 0, v[10:11]
	v_mov_b32_e32 v12, 0
	v_mov_b32_e32 v13, 0
	s_mov_b64 s[12:13], -1
	s_and_saveexec_b64 s[10:11], vcc
	s_cbranch_execz .LBB1_33
; %bb.26:
	v_trunc_f64_e32 v[8:9], v[10:11]
	v_mov_b32_e32 v12, 0
	v_mov_b32_e32 v13, 0
	s_mov_b64 s[14:15], 0
	v_cmp_neq_f64_e32 vcc, v[10:11], v[8:9]
	s_and_saveexec_b64 s[12:13], vcc
	s_cbranch_execz .LBB1_32
; %bb.27:
	v_add_f64 v[8:9], v[10:11], -v[8:9]
	s_mov_b32 s4, 0
	s_mov_b32 s15, 0xc00921fb
	;; [unrolled: 1-line block ×4, first 2 shown]
	v_cmp_neq_f64_e64 vcc, |v[10:11]|, s[4:5]
	v_bfrev_b32_e32 v12, 1
	s_mov_b32 s16, 0
	v_mul_f64 v[8:9], |v[8:9]|, s[14:15]
	s_mov_b32 s17, 0x41d00000
                                        ; implicit-def: $vgpr17
                                        ; implicit-def: $vgpr14_vgpr15
	v_cndmask_b32_e32 v9, v12, v9, vcc
	v_cndmask_b32_e32 v8, 0, v8, vcc
	v_cmp_nlt_f64_e64 s[16:17], |v[8:9]|, s[16:17]
                                        ; implicit-def: $vgpr12_vgpr13
	s_and_saveexec_b64 s[18:19], s[16:17]
	s_xor_b64 s[16:17], exec, s[18:19]
	s_cbranch_execz .LBB1_29
; %bb.28:
	v_trig_preop_f64 v[12:13], |v[8:9]|, 0
	s_mov_b32 s18, 0
	s_mov_b32 s19, 0x7b000000
	s_movk_i32 s15, 0xff80
	v_cmp_ge_f64_e64 vcc, |v[8:9]|, s[18:19]
	v_ldexp_f64 v[17:18], |v[8:9]|, s15
	v_trig_preop_f64 v[14:15], |v[8:9]|, 1
	v_and_b32_e32 v19, 0x7fffffff, v9
	s_mov_b32 s15, 0x3ff921fb
	v_cndmask_b32_e32 v18, v19, v18, vcc
	v_cndmask_b32_e32 v17, v8, v17, vcc
	v_mul_f64 v[21:22], v[12:13], v[17:18]
	v_mul_f64 v[19:20], v[14:15], v[17:18]
	v_fma_f64 v[12:13], v[12:13], v[17:18], -v[21:22]
	v_fma_f64 v[14:15], v[14:15], v[17:18], -v[19:20]
	v_add_f64 v[23:24], v[19:20], v[12:13]
	v_add_f64 v[31:32], v[23:24], -v[19:20]
	v_add_f64 v[25:26], v[21:22], v[23:24]
	v_add_f64 v[12:13], v[12:13], -v[31:32]
	v_add_f64 v[31:32], v[23:24], -v[31:32]
	v_ldexp_f64 v[27:28], v[25:26], -2
	v_add_f64 v[21:22], v[25:26], -v[21:22]
	v_add_f64 v[31:32], v[19:20], -v[31:32]
	v_trig_preop_f64 v[19:20], |v[8:9]|, 2
	v_fract_f64_e32 v[29:30], v[27:28]
	v_add_f64 v[21:22], v[23:24], -v[21:22]
	v_cmp_neq_f64_e64 vcc, |v[27:28]|, s[4:5]
	v_add_f64 v[12:13], v[12:13], v[31:32]
	v_mul_f64 v[31:32], v[19:20], v[17:18]
	v_add_f64 v[33:34], v[31:32], v[14:15]
	v_add_f64 v[35:36], v[33:34], v[12:13]
	v_add_f64 v[25:26], v[35:36], -v[33:34]
	v_add_f64 v[23:24], v[21:22], v[35:36]
	v_add_f64 v[12:13], v[12:13], -v[25:26]
	v_add_f64 v[25:26], v[35:36], -v[25:26]
	;; [unrolled: 1-line block ×5, first 2 shown]
	v_add_f64 v[12:13], v[12:13], v[25:26]
	v_add_f64 v[25:26], v[33:34], -v[31:32]
	v_add_f64 v[14:15], v[14:15], -v[25:26]
	v_add_f64 v[25:26], v[33:34], -v[25:26]
	v_add_f64 v[25:26], v[31:32], -v[25:26]
	v_add_f64 v[14:15], v[14:15], v[25:26]
	v_add_f64 v[12:13], v[14:15], v[12:13]
	v_fma_f64 v[14:15], v[19:20], v[17:18], -v[31:32]
	v_add_f64 v[12:13], v[14:15], v[12:13]
	v_ldexp_f64 v[14:15], v[29:30], 2
	v_add_f64 v[12:13], v[21:22], v[12:13]
	v_cndmask_b32_e32 v15, 0, v15, vcc
	v_cndmask_b32_e32 v14, 0, v14, vcc
	v_add_f64 v[17:18], v[23:24], v[14:15]
	v_cmp_gt_f64_e32 vcc, 0, v[17:18]
	v_mov_b32_e32 v17, 0x40100000
	v_mov_b32_e32 v18, 0
	v_cndmask_b32_e32 v19, 0, v17, vcc
	v_add_f64 v[14:15], v[14:15], v[18:19]
	v_add_f64 v[19:20], v[23:24], v[14:15]
	v_cvt_i32_f64_e32 v17, v[19:20]
	v_cvt_f64_i32_e32 v[19:20], v17
	v_add_f64 v[14:15], v[14:15], -v[19:20]
	v_add_f64 v[20:21], v[23:24], v[14:15]
	v_add_f64 v[14:15], v[20:21], -v[14:15]
	v_cmp_le_f64_e32 vcc, 0.5, v[20:21]
	v_add_f64 v[14:15], v[23:24], -v[14:15]
	v_addc_co_u32_e64 v17, s[4:5], 0, v17, vcc
	s_mov_b32 s4, 0x33145c07
	s_mov_b32 s5, 0x3c91a626
	v_add_f64 v[12:13], v[12:13], v[14:15]
	v_mov_b32_e32 v14, 0x3ff00000
	v_cndmask_b32_e32 v19, 0, v14, vcc
	v_add_f64 v[14:15], v[20:21], -v[18:19]
	v_add_f64 v[18:19], v[14:15], v[12:13]
	v_add_f64 v[14:15], v[18:19], -v[14:15]
	v_add_f64 v[12:13], v[12:13], -v[14:15]
	v_mul_f64 v[14:15], v[18:19], s[14:15]
	v_fma_f64 v[20:21], v[18:19], s[14:15], -v[14:15]
	v_fma_f64 v[18:19], v[18:19], s[4:5], v[20:21]
	v_fma_f64 v[18:19], v[12:13], s[14:15], v[18:19]
	v_add_f64 v[12:13], v[14:15], v[18:19]
	v_add_f64 v[14:15], v[12:13], -v[14:15]
	v_add_f64 v[14:15], v[18:19], -v[14:15]
.LBB1_29:
	s_andn2_saveexec_b64 s[4:5], s[16:17]
	s_cbranch_execz .LBB1_31
; %bb.30:
	s_mov_b32 s14, 0x6dc9c883
	s_mov_b32 s15, 0x3fe45f30
	v_mul_f64 v[12:13], |v[8:9]|, s[14:15]
	s_mov_b32 s14, 0x54442d18
	s_mov_b32 s15, 0xbff921fb
	;; [unrolled: 1-line block ×4, first 2 shown]
	v_rndne_f64_e32 v[17:18], v[12:13]
	v_fma_f64 v[12:13], v[17:18], s[14:15], |v[8:9]|
	v_mul_f64 v[14:15], v[17:18], s[16:17]
	s_mov_b32 s14, 0x252049c0
	s_mov_b32 s15, 0xb97b839a
	v_fma_f64 v[23:24], v[17:18], s[16:17], v[12:13]
	v_add_f64 v[19:20], v[12:13], v[14:15]
	s_mov_b32 s17, 0x3c91a626
	v_add_f64 v[21:22], v[12:13], -v[19:20]
	v_add_f64 v[19:20], v[19:20], -v[23:24]
	v_add_f64 v[12:13], v[21:22], v[14:15]
	v_fma_f64 v[14:15], v[17:18], s[16:17], v[14:15]
	v_add_f64 v[12:13], v[19:20], v[12:13]
	v_add_f64 v[12:13], v[12:13], -v[14:15]
	v_fma_f64 v[14:15], v[17:18], s[14:15], v[12:13]
	v_cvt_i32_f64_e32 v17, v[17:18]
	v_add_f64 v[12:13], v[23:24], v[14:15]
	v_add_f64 v[19:20], v[12:13], -v[23:24]
	v_add_f64 v[14:15], v[14:15], -v[19:20]
.LBB1_31:
	s_or_b64 exec, exec, s[4:5]
	v_mul_f64 v[18:19], v[12:13], v[12:13]
	v_add_f64 v[20:21], v[14:15], v[14:15]
	s_mov_b32 s4, 0xc751c08c
	s_mov_b32 s5, 0x3ef5e089
	v_and_b32_e32 v17, 1, v17
	v_cmp_eq_u32_e32 vcc, 0, v17
	s_mov_b32 s16, 0x54442d18
	s_mov_b32 s17, 0xc00921fb
	v_fma_f64 v[22:23], v[12:13], v[12:13], -v[18:19]
	v_add_f64 v[10:11], -v[10:11], 1.0
	s_mov_b64 s[14:15], exec
	v_fma_f64 v[20:21], v[12:13], v[20:21], v[22:23]
	v_add_f64 v[18:19], v[18:19], v[20:21]
	v_mov_b32_e32 v20, 0xa9a29f71
	v_mov_b32_e32 v21, 0xbf078809
	v_fma_f64 v[20:21], v[18:19], s[4:5], v[20:21]
	s_mov_b32 s4, 0x90a8aae0
	s_mov_b32 s5, 0x3f17746f
	v_fma_f64 v[20:21], v[18:19], v[20:21], s[4:5]
	s_mov_b32 s4, 0xa6fbf144
	s_mov_b32 s5, 0xbefbb44d
	;; [unrolled: 3-line block ×12, first 2 shown]
	v_fma_f64 v[20:21], v[18:19], v[20:21], s[4:5]
	s_movk_i32 s4, 0x1f8
	v_cmp_class_f64_e64 s[4:5], v[8:9], s4
	v_mul_f64 v[18:19], v[18:19], v[20:21]
	v_mul_f64 v[20:21], v[12:13], v[18:19]
	v_add_f64 v[22:23], v[12:13], v[20:21]
	v_fma_f64 v[18:19], v[12:13], v[18:19], -v[20:21]
	v_add_f64 v[12:13], v[22:23], -v[12:13]
	v_add_f64 v[14:15], v[14:15], v[18:19]
	v_add_f64 v[12:13], v[20:21], -v[12:13]
	v_add_f64 v[12:13], v[14:15], v[12:13]
	v_add_f64 v[14:15], v[22:23], v[12:13]
	v_rcp_f64_e32 v[18:19], v[14:15]
	v_fma_f64 v[20:21], -v[14:15], v[18:19], 1.0
	v_fma_f64 v[18:19], v[20:21], v[18:19], v[18:19]
	v_fma_f64 v[20:21], -v[14:15], v[18:19], 1.0
	v_fma_f64 v[18:19], v[20:21], v[18:19], v[18:19]
	v_add_f64 v[20:21], v[14:15], -v[22:23]
	v_mul_f64 v[22:23], v[14:15], v[18:19]
	v_add_f64 v[12:13], v[12:13], -v[20:21]
	v_fma_f64 v[20:21], v[18:19], v[14:15], -v[22:23]
	v_fma_f64 v[12:13], v[18:19], v[12:13], v[20:21]
	v_add_f64 v[20:21], v[22:23], v[12:13]
	v_add_f64 v[24:25], -v[20:21], 1.0
	v_add_f64 v[22:23], v[20:21], -v[22:23]
	v_add_f64 v[26:27], -v[24:25], 1.0
	v_add_f64 v[12:13], v[22:23], -v[12:13]
	v_add_f64 v[20:21], v[26:27], -v[20:21]
	v_add_f64 v[12:13], v[12:13], v[20:21]
	v_add_f64 v[12:13], v[24:25], v[12:13]
	v_mul_f64 v[12:13], v[18:19], v[12:13]
	v_add_f64 v[12:13], v[18:19], v[12:13]
	v_and_b32_e32 v18, 0x80000000, v9
	v_mov_b32_e32 v9, 0x7ff80000
	v_xor_b32_e32 v8, 0x80000000, v13
	v_cndmask_b32_e32 v12, v12, v14, vcc
	v_cndmask_b32_e32 v13, v8, v15, vcc
	v_cndmask_b32_e64 v8, 0, v12, s[4:5]
	v_xor_b32_e32 v12, v13, v18
	v_cndmask_b32_e64 v9, v9, v12, s[4:5]
	v_div_scale_f64 v[12:13], s[4:5], v[8:9], v[8:9], s[16:17]
	v_rcp_f64_e32 v[14:15], v[12:13]
	v_fma_f64 v[17:18], -v[12:13], v[14:15], 1.0
	v_fma_f64 v[14:15], v[14:15], v[17:18], v[14:15]
	v_div_scale_f64 v[17:18], vcc, s[16:17], v[8:9], s[16:17]
	v_fma_f64 v[19:20], -v[12:13], v[14:15], 1.0
	v_fma_f64 v[14:15], v[14:15], v[19:20], v[14:15]
	v_mul_f64 v[19:20], v[17:18], v[14:15]
	v_fma_f64 v[12:13], -v[12:13], v[19:20], v[17:18]
	v_div_fmas_f64 v[12:13], v[12:13], v[14:15], v[19:20]
	v_div_fixup_f64 v[12:13], v[12:13], v[8:9], s[16:17]
.LBB1_32:
	s_or_b64 exec, exec, s[12:13]
	s_orn2_b64 s[12:13], s[14:15], exec
.LBB1_33:
	s_or_b64 exec, exec, s[10:11]
	v_mov_b32_e32 v8, 0
	v_mov_b32_e32 v9, 0x7ff80000
	s_and_saveexec_b64 s[4:5], s[12:13]
	s_cbranch_execz .LBB1_45
; %bb.34:
	s_mov_b32 s12, 0
	s_mov_b32 s13, 0x40240000
	v_cmp_gt_f64_e32 vcc, s[12:13], v[10:11]
	s_and_saveexec_b64 s[10:11], vcc
	s_cbranch_execz .LBB1_38
; %bb.35:
	s_mov_b64 s[14:15], 0
.LBB1_36:                               ; =>This Inner Loop Header: Depth=1
	v_div_scale_f64 v[8:9], s[16:17], v[10:11], v[10:11], 1.0
	v_rcp_f64_e32 v[14:15], v[8:9]
	v_fma_f64 v[17:18], -v[8:9], v[14:15], 1.0
	v_fma_f64 v[14:15], v[14:15], v[17:18], v[14:15]
	v_div_scale_f64 v[17:18], vcc, 1.0, v[10:11], 1.0
	v_fma_f64 v[19:20], -v[8:9], v[14:15], 1.0
	v_fma_f64 v[14:15], v[14:15], v[19:20], v[14:15]
	v_mul_f64 v[19:20], v[17:18], v[14:15]
	v_fma_f64 v[8:9], -v[8:9], v[19:20], v[17:18]
	v_div_fmas_f64 v[8:9], v[8:9], v[14:15], v[19:20]
	v_div_fixup_f64 v[8:9], v[8:9], v[10:11], 1.0
	v_add_f64 v[10:11], v[10:11], 1.0
	v_add_f64 v[12:13], v[12:13], -v[8:9]
	v_cmp_ngt_f64_e32 vcc, s[12:13], v[10:11]
	s_or_b64 s[14:15], vcc, s[14:15]
	s_andn2_b64 exec, exec, s[14:15]
	s_cbranch_execnz .LBB1_36
; %bb.37:
	s_or_b64 exec, exec, s[14:15]
.LBB1_38:
	s_or_b64 exec, exec, s[10:11]
	s_mov_b32 s10, 0
	s_mov_b32 s11, 0x40240000
	v_cmp_neq_f64_e32 vcc, s[10:11], v[10:11]
	s_and_saveexec_b64 s[10:11], vcc
	s_xor_b64 s[10:11], exec, s[10:11]
	s_cbranch_execz .LBB1_42
; %bb.39:
	s_mov_b32 s12, 0x85d8a000
	s_mov_b32 s13, 0x43763457
	v_cmp_gt_f64_e32 vcc, s[12:13], v[10:11]
	v_mov_b32_e32 v8, 0
	v_mov_b32_e32 v9, 0
	s_and_saveexec_b64 s[12:13], vcc
	s_cbranch_execz .LBB1_41
; %bb.40:
	v_mul_f64 v[8:9], v[10:11], v[10:11]
	s_mov_b32 s16, 0x95995996
	s_mov_b32 s17, 0xbf959959
	s_mov_b32 s18, 0x10410410
	s_mov_b32 s19, 0x3f704104
	v_div_scale_f64 v[14:15], s[14:15], v[8:9], v[8:9], 1.0
	v_div_scale_f64 v[21:22], vcc, 1.0, v[8:9], 1.0
	s_mov_b32 s14, 0x55555555
	s_mov_b32 s15, 0x3fb55555
	v_rcp_f64_e32 v[17:18], v[14:15]
	v_fma_f64 v[19:20], -v[14:15], v[17:18], 1.0
	v_fma_f64 v[17:18], v[17:18], v[19:20], v[17:18]
	v_fma_f64 v[19:20], -v[14:15], v[17:18], 1.0
	v_fma_f64 v[17:18], v[17:18], v[19:20], v[17:18]
	v_mul_f64 v[19:20], v[21:22], v[17:18]
	v_fma_f64 v[14:15], -v[14:15], v[19:20], v[21:22]
	v_div_fmas_f64 v[14:15], v[14:15], v[17:18], v[19:20]
	v_div_fixup_f64 v[8:9], v[14:15], v[8:9], 1.0
	v_fma_f64 v[14:15], v[8:9], 0, s[14:15]
	v_fma_f64 v[14:15], v[8:9], v[14:15], s[16:17]
	s_mov_b32 s16, 0xf07c1f08
	s_mov_b32 s17, 0x3f7f07c1
	v_fma_f64 v[14:15], v[8:9], v[14:15], s[16:17]
	s_mov_b32 s17, 0xbf711111
	s_mov_b32 s16, 0x11111111
	v_fma_f64 v[14:15], v[8:9], v[14:15], s[16:17]
	s_mov_b32 s17, 0xbf811111
	v_fma_f64 v[14:15], v[8:9], v[14:15], s[18:19]
	v_fma_f64 v[14:15], v[8:9], v[14:15], s[16:17]
	;; [unrolled: 1-line block ×3, first 2 shown]
	v_mul_f64 v[8:9], v[8:9], v[14:15]
.LBB1_41:
	s_or_b64 exec, exec, s[12:13]
	v_frexp_mant_f64_e32 v[14:15], v[10:11]
	s_mov_b32 s13, 0x3fe55555
	s_mov_b32 s12, 0x55555555
	v_frexp_exp_i32_f64_e32 v17, v[10:11]
	s_mov_b32 s14, 0xbf559e2b
	s_mov_b32 s15, 0x3fc3ab76
	v_cmp_gt_f64_e32 vcc, s[12:13], v[14:15]
	s_mov_b32 s12, 0x55555780
	v_cndmask_b32_e64 v18, 0, 1, vcc
	v_ldexp_f64 v[14:15], v[14:15], v18
	v_subbrev_co_u32_e32 v29, vcc, 0, v17, vcc
	v_add_f64 v[19:20], v[14:15], 1.0
	v_add_f64 v[17:18], v[14:15], -1.0
	v_add_f64 v[21:22], v[19:20], -1.0
	v_add_f64 v[14:15], v[14:15], -v[21:22]
	v_rcp_f64_e32 v[21:22], v[19:20]
	v_fma_f64 v[23:24], -v[19:20], v[21:22], 1.0
	v_fma_f64 v[21:22], v[23:24], v[21:22], v[21:22]
	v_fma_f64 v[23:24], -v[19:20], v[21:22], 1.0
	v_fma_f64 v[21:22], v[23:24], v[21:22], v[21:22]
	v_mul_f64 v[23:24], v[17:18], v[21:22]
	v_mul_f64 v[25:26], v[19:20], v[23:24]
	v_fma_f64 v[19:20], v[23:24], v[19:20], -v[25:26]
	v_fma_f64 v[14:15], v[23:24], v[14:15], v[19:20]
	v_add_f64 v[19:20], v[25:26], v[14:15]
	v_add_f64 v[27:28], v[17:18], -v[19:20]
	v_add_f64 v[25:26], v[19:20], -v[25:26]
	;; [unrolled: 1-line block ×5, first 2 shown]
	v_add_f64 v[14:15], v[14:15], v[17:18]
	v_add_f64 v[14:15], v[27:28], v[14:15]
	v_mul_f64 v[14:15], v[21:22], v[14:15]
	v_mov_b32_e32 v21, 0x6b47b09a
	v_mov_b32_e32 v22, 0x3fc38538
	v_add_f64 v[17:18], v[23:24], v[14:15]
	v_add_f64 v[19:20], v[17:18], -v[23:24]
	v_ldexp_f64 v[23:24], v[17:18], 1
	v_add_f64 v[14:15], v[14:15], -v[19:20]
	v_mul_f64 v[19:20], v[17:18], v[17:18]
	v_ldexp_f64 v[14:15], v[14:15], 1
	v_fma_f64 v[21:22], v[19:20], s[14:15], v[21:22]
	s_mov_b32 s14, 0xd7f4df2e
	s_mov_b32 s15, 0x3fc7474d
	v_mul_f64 v[17:18], v[17:18], v[19:20]
	v_fma_f64 v[21:22], v[19:20], v[21:22], s[14:15]
	s_mov_b32 s14, 0x16291751
	s_mov_b32 s15, 0x3fcc71c0
	v_fma_f64 v[21:22], v[19:20], v[21:22], s[14:15]
	s_mov_b32 s14, 0x9b27acf1
	s_mov_b32 s15, 0x3fd24924
	;; [unrolled: 3-line block ×3, first 2 shown]
	v_fma_f64 v[21:22], v[19:20], v[21:22], s[14:15]
	v_fma_f64 v[21:22], v[19:20], v[21:22], s[12:13]
	s_mov_b32 s12, 0xfefa39ef
	s_mov_b32 s13, 0x3fe62e42
	v_mul_f64 v[17:18], v[17:18], v[21:22]
	v_add_f64 v[19:20], v[23:24], v[17:18]
	v_add_f64 v[21:22], v[19:20], -v[23:24]
	v_add_f64 v[17:18], v[17:18], -v[21:22]
	v_add_f64 v[14:15], v[14:15], v[17:18]
	v_add_f64 v[17:18], v[19:20], v[14:15]
	v_add_f64 v[19:20], v[17:18], -v[19:20]
	v_add_f64 v[14:15], v[14:15], -v[19:20]
	v_cvt_f64_i32_e32 v[19:20], v29
	v_mul_f64 v[21:22], v[19:20], s[12:13]
	v_fma_f64 v[23:24], v[19:20], s[12:13], -v[21:22]
	s_mov_b32 s12, 0x3b39803f
	s_mov_b32 s13, 0x3c7abc9e
	v_fma_f64 v[19:20], v[19:20], s[12:13], v[23:24]
	s_movk_i32 s12, 0x204
	v_cmp_class_f64_e64 vcc, v[10:11], s12
	v_add_f64 v[23:24], v[21:22], v[19:20]
	v_add_f64 v[21:22], v[23:24], -v[21:22]
	v_add_f64 v[19:20], v[19:20], -v[21:22]
	v_add_f64 v[21:22], v[23:24], v[17:18]
	v_add_f64 v[25:26], v[21:22], -v[23:24]
	v_add_f64 v[27:28], v[21:22], -v[25:26]
	;; [unrolled: 1-line block ×4, first 2 shown]
	v_add_f64 v[17:18], v[17:18], v[23:24]
	v_add_f64 v[23:24], v[19:20], v[14:15]
	v_add_f64 v[25:26], v[23:24], -v[19:20]
	v_add_f64 v[17:18], v[23:24], v[17:18]
	v_add_f64 v[27:28], v[23:24], -v[25:26]
	v_add_f64 v[14:15], v[14:15], -v[25:26]
	;; [unrolled: 1-line block ×3, first 2 shown]
	v_add_f64 v[14:15], v[14:15], v[19:20]
	v_add_f64 v[19:20], v[21:22], v[17:18]
	v_add_f64 v[21:22], v[19:20], -v[21:22]
	v_add_f64 v[17:18], v[17:18], -v[21:22]
	v_add_f64 v[14:15], v[14:15], v[17:18]
	v_div_scale_f64 v[17:18], s[12:13], v[10:11], v[10:11], -0.5
	v_add_f64 v[14:15], v[19:20], v[14:15]
	v_cndmask_b32_e32 v15, v15, v11, vcc
	v_rcp_f64_e32 v[19:20], v[17:18]
	v_cndmask_b32_e32 v14, v14, v10, vcc
	v_fma_f64 v[21:22], -v[17:18], v[19:20], 1.0
	v_fma_f64 v[19:20], v[19:20], v[21:22], v[19:20]
	v_fma_f64 v[21:22], -v[17:18], v[19:20], 1.0
	v_fma_f64 v[19:20], v[19:20], v[21:22], v[19:20]
	v_div_scale_f64 v[21:22], vcc, -0.5, v[10:11], -0.5
	v_mul_f64 v[23:24], v[21:22], v[19:20]
	v_fma_f64 v[17:18], -v[17:18], v[23:24], v[21:22]
	s_nop 1
	v_div_fmas_f64 v[17:18], v[17:18], v[19:20], v[23:24]
	v_div_fixup_f64 v[10:11], v[17:18], v[10:11], -0.5
	v_add_f64 v[10:11], v[14:15], v[10:11]
	v_add_f64 v[8:9], v[10:11], -v[8:9]
	v_add_f64 v[8:9], v[12:13], v[8:9]
                                        ; implicit-def: $vgpr12_vgpr13
.LBB1_42:
	s_andn2_saveexec_b64 s[10:11], s[10:11]
	s_cbranch_execz .LBB1_44
; %bb.43:
	s_mov_b32 s12, 0xdc85cc95
	s_mov_b32 s13, 0x40020396
	v_add_f64 v[8:9], v[12:13], s[12:13]
.LBB1_44:
	s_or_b64 exec, exec, s[10:11]
.LBB1_45:
	s_or_b64 exec, exec, s[4:5]
                                        ; implicit-def: $vgpr10_vgpr11
.LBB1_46:
	s_andn2_saveexec_b64 s[4:5], s[8:9]
; %bb.47:
	v_xor_b32_e32 v8, 0x80000000, v11
	s_brev_b32 s8, -2
	v_mov_b32_e32 v9, 0x7ff00000
	v_bfi_b32 v9, s8, v9, v8
	v_mov_b32_e32 v8, 0
; %bb.48:
	s_or_b64 exec, exec, s[4:5]
	v_cmp_neq_f64_e32 vcc, 0, v[2:3]
                                        ; implicit-def: $vgpr10_vgpr11
	s_and_saveexec_b64 s[4:5], vcc
	s_xor_b64 s[8:9], exec, s[4:5]
	s_cbranch_execz .LBB1_70
; %bb.49:
	v_cmp_gt_f64_e32 vcc, 0, v[2:3]
	v_mov_b32_e32 v12, 0
	v_mov_b32_e32 v13, 0
	s_mov_b64 s[12:13], -1
	s_and_saveexec_b64 s[10:11], vcc
	s_cbranch_execz .LBB1_57
; %bb.50:
	v_trunc_f64_e32 v[10:11], v[2:3]
	v_mov_b32_e32 v12, 0
	v_mov_b32_e32 v13, 0
	s_mov_b64 s[14:15], 0
	v_cmp_neq_f64_e32 vcc, v[2:3], v[10:11]
	s_and_saveexec_b64 s[12:13], vcc
	s_cbranch_execz .LBB1_56
; %bb.51:
	v_add_f64 v[10:11], v[2:3], -v[10:11]
	s_mov_b32 s4, 0
	s_mov_b32 s15, 0xc00921fb
	;; [unrolled: 1-line block ×4, first 2 shown]
	v_cmp_neq_f64_e64 vcc, |v[2:3]|, s[4:5]
	v_bfrev_b32_e32 v12, 1
	s_mov_b32 s16, 0
	v_mul_f64 v[10:11], |v[10:11]|, s[14:15]
	s_mov_b32 s17, 0x41d00000
                                        ; implicit-def: $vgpr17
                                        ; implicit-def: $vgpr14_vgpr15
	v_cndmask_b32_e32 v11, v12, v11, vcc
	v_cndmask_b32_e32 v10, 0, v10, vcc
	v_cmp_nlt_f64_e64 s[16:17], |v[10:11]|, s[16:17]
                                        ; implicit-def: $vgpr12_vgpr13
	s_and_saveexec_b64 s[18:19], s[16:17]
	s_xor_b64 s[16:17], exec, s[18:19]
	s_cbranch_execz .LBB1_53
; %bb.52:
	v_trig_preop_f64 v[12:13], |v[10:11]|, 0
	s_mov_b32 s18, 0
	s_mov_b32 s19, 0x7b000000
	s_movk_i32 s15, 0xff80
	v_cmp_ge_f64_e64 vcc, |v[10:11]|, s[18:19]
	v_ldexp_f64 v[17:18], |v[10:11]|, s15
	v_trig_preop_f64 v[14:15], |v[10:11]|, 1
	v_and_b32_e32 v19, 0x7fffffff, v11
	s_mov_b32 s15, 0x3ff921fb
	v_cndmask_b32_e32 v18, v19, v18, vcc
	v_cndmask_b32_e32 v17, v10, v17, vcc
	v_mul_f64 v[21:22], v[12:13], v[17:18]
	v_mul_f64 v[19:20], v[14:15], v[17:18]
	v_fma_f64 v[12:13], v[12:13], v[17:18], -v[21:22]
	v_fma_f64 v[14:15], v[14:15], v[17:18], -v[19:20]
	v_add_f64 v[23:24], v[19:20], v[12:13]
	v_add_f64 v[31:32], v[23:24], -v[19:20]
	v_add_f64 v[25:26], v[21:22], v[23:24]
	v_add_f64 v[12:13], v[12:13], -v[31:32]
	v_add_f64 v[31:32], v[23:24], -v[31:32]
	v_ldexp_f64 v[27:28], v[25:26], -2
	v_add_f64 v[21:22], v[25:26], -v[21:22]
	v_add_f64 v[31:32], v[19:20], -v[31:32]
	v_trig_preop_f64 v[19:20], |v[10:11]|, 2
	v_fract_f64_e32 v[29:30], v[27:28]
	v_add_f64 v[21:22], v[23:24], -v[21:22]
	v_cmp_neq_f64_e64 vcc, |v[27:28]|, s[4:5]
	v_add_f64 v[12:13], v[12:13], v[31:32]
	v_mul_f64 v[31:32], v[19:20], v[17:18]
	v_add_f64 v[33:34], v[31:32], v[14:15]
	v_add_f64 v[35:36], v[33:34], v[12:13]
	v_add_f64 v[25:26], v[35:36], -v[33:34]
	v_add_f64 v[23:24], v[21:22], v[35:36]
	v_add_f64 v[12:13], v[12:13], -v[25:26]
	v_add_f64 v[25:26], v[35:36], -v[25:26]
	;; [unrolled: 1-line block ×5, first 2 shown]
	v_add_f64 v[12:13], v[12:13], v[25:26]
	v_add_f64 v[25:26], v[33:34], -v[31:32]
	v_add_f64 v[14:15], v[14:15], -v[25:26]
	v_add_f64 v[25:26], v[33:34], -v[25:26]
	v_add_f64 v[25:26], v[31:32], -v[25:26]
	v_add_f64 v[14:15], v[14:15], v[25:26]
	v_add_f64 v[12:13], v[14:15], v[12:13]
	v_fma_f64 v[14:15], v[19:20], v[17:18], -v[31:32]
	v_add_f64 v[12:13], v[14:15], v[12:13]
	v_ldexp_f64 v[14:15], v[29:30], 2
	v_add_f64 v[12:13], v[21:22], v[12:13]
	v_cndmask_b32_e32 v15, 0, v15, vcc
	v_cndmask_b32_e32 v14, 0, v14, vcc
	v_add_f64 v[17:18], v[23:24], v[14:15]
	v_cmp_gt_f64_e32 vcc, 0, v[17:18]
	v_mov_b32_e32 v17, 0x40100000
	v_mov_b32_e32 v18, 0
	v_cndmask_b32_e32 v19, 0, v17, vcc
	v_add_f64 v[14:15], v[14:15], v[18:19]
	v_add_f64 v[19:20], v[23:24], v[14:15]
	v_cvt_i32_f64_e32 v17, v[19:20]
	v_cvt_f64_i32_e32 v[19:20], v17
	v_add_f64 v[14:15], v[14:15], -v[19:20]
	v_add_f64 v[20:21], v[23:24], v[14:15]
	v_add_f64 v[14:15], v[20:21], -v[14:15]
	v_cmp_le_f64_e32 vcc, 0.5, v[20:21]
	v_add_f64 v[14:15], v[23:24], -v[14:15]
	v_addc_co_u32_e64 v17, s[4:5], 0, v17, vcc
	s_mov_b32 s4, 0x33145c07
	s_mov_b32 s5, 0x3c91a626
	v_add_f64 v[12:13], v[12:13], v[14:15]
	v_mov_b32_e32 v14, 0x3ff00000
	v_cndmask_b32_e32 v19, 0, v14, vcc
	v_add_f64 v[14:15], v[20:21], -v[18:19]
	v_add_f64 v[18:19], v[14:15], v[12:13]
	v_add_f64 v[14:15], v[18:19], -v[14:15]
	v_add_f64 v[12:13], v[12:13], -v[14:15]
	v_mul_f64 v[14:15], v[18:19], s[14:15]
	v_fma_f64 v[20:21], v[18:19], s[14:15], -v[14:15]
	v_fma_f64 v[18:19], v[18:19], s[4:5], v[20:21]
	v_fma_f64 v[18:19], v[12:13], s[14:15], v[18:19]
	v_add_f64 v[12:13], v[14:15], v[18:19]
	v_add_f64 v[14:15], v[12:13], -v[14:15]
	v_add_f64 v[14:15], v[18:19], -v[14:15]
.LBB1_53:
	s_andn2_saveexec_b64 s[4:5], s[16:17]
	s_cbranch_execz .LBB1_55
; %bb.54:
	s_mov_b32 s14, 0x6dc9c883
	s_mov_b32 s15, 0x3fe45f30
	v_mul_f64 v[12:13], |v[10:11]|, s[14:15]
	s_mov_b32 s14, 0x54442d18
	s_mov_b32 s15, 0xbff921fb
	;; [unrolled: 1-line block ×4, first 2 shown]
	v_rndne_f64_e32 v[17:18], v[12:13]
	v_fma_f64 v[12:13], v[17:18], s[14:15], |v[10:11]|
	v_mul_f64 v[14:15], v[17:18], s[16:17]
	s_mov_b32 s14, 0x252049c0
	s_mov_b32 s15, 0xb97b839a
	v_fma_f64 v[23:24], v[17:18], s[16:17], v[12:13]
	v_add_f64 v[19:20], v[12:13], v[14:15]
	s_mov_b32 s17, 0x3c91a626
	v_add_f64 v[21:22], v[12:13], -v[19:20]
	v_add_f64 v[19:20], v[19:20], -v[23:24]
	v_add_f64 v[12:13], v[21:22], v[14:15]
	v_fma_f64 v[14:15], v[17:18], s[16:17], v[14:15]
	v_add_f64 v[12:13], v[19:20], v[12:13]
	v_add_f64 v[12:13], v[12:13], -v[14:15]
	v_fma_f64 v[14:15], v[17:18], s[14:15], v[12:13]
	v_cvt_i32_f64_e32 v17, v[17:18]
	v_add_f64 v[12:13], v[23:24], v[14:15]
	v_add_f64 v[19:20], v[12:13], -v[23:24]
	v_add_f64 v[14:15], v[14:15], -v[19:20]
.LBB1_55:
	s_or_b64 exec, exec, s[4:5]
	v_mul_f64 v[18:19], v[12:13], v[12:13]
	v_add_f64 v[20:21], v[14:15], v[14:15]
	s_mov_b32 s4, 0xc751c08c
	s_mov_b32 s5, 0x3ef5e089
	v_and_b32_e32 v17, 1, v17
	v_cmp_eq_u32_e32 vcc, 0, v17
	s_mov_b32 s16, 0x54442d18
	s_mov_b32 s17, 0xc00921fb
	v_fma_f64 v[22:23], v[12:13], v[12:13], -v[18:19]
	v_add_f64 v[2:3], -v[2:3], 1.0
	s_mov_b64 s[14:15], exec
	v_fma_f64 v[20:21], v[12:13], v[20:21], v[22:23]
	v_add_f64 v[18:19], v[18:19], v[20:21]
	v_mov_b32_e32 v20, 0xa9a29f71
	v_mov_b32_e32 v21, 0xbf078809
	v_fma_f64 v[20:21], v[18:19], s[4:5], v[20:21]
	s_mov_b32 s4, 0x90a8aae0
	s_mov_b32 s5, 0x3f17746f
	v_fma_f64 v[20:21], v[18:19], v[20:21], s[4:5]
	s_mov_b32 s4, 0xa6fbf144
	s_mov_b32 s5, 0xbefbb44d
	;; [unrolled: 3-line block ×12, first 2 shown]
	v_fma_f64 v[20:21], v[18:19], v[20:21], s[4:5]
	s_movk_i32 s4, 0x1f8
	v_cmp_class_f64_e64 s[4:5], v[10:11], s4
	v_mul_f64 v[18:19], v[18:19], v[20:21]
	v_mul_f64 v[20:21], v[12:13], v[18:19]
	v_add_f64 v[22:23], v[12:13], v[20:21]
	v_fma_f64 v[18:19], v[12:13], v[18:19], -v[20:21]
	v_add_f64 v[12:13], v[22:23], -v[12:13]
	v_add_f64 v[14:15], v[14:15], v[18:19]
	v_add_f64 v[12:13], v[20:21], -v[12:13]
	v_add_f64 v[12:13], v[14:15], v[12:13]
	v_add_f64 v[14:15], v[22:23], v[12:13]
	v_rcp_f64_e32 v[18:19], v[14:15]
	v_fma_f64 v[20:21], -v[14:15], v[18:19], 1.0
	v_fma_f64 v[18:19], v[20:21], v[18:19], v[18:19]
	v_fma_f64 v[20:21], -v[14:15], v[18:19], 1.0
	v_fma_f64 v[18:19], v[20:21], v[18:19], v[18:19]
	v_add_f64 v[20:21], v[14:15], -v[22:23]
	v_mul_f64 v[22:23], v[14:15], v[18:19]
	v_add_f64 v[12:13], v[12:13], -v[20:21]
	v_fma_f64 v[20:21], v[18:19], v[14:15], -v[22:23]
	v_fma_f64 v[12:13], v[18:19], v[12:13], v[20:21]
	v_add_f64 v[20:21], v[22:23], v[12:13]
	v_add_f64 v[24:25], -v[20:21], 1.0
	v_add_f64 v[22:23], v[20:21], -v[22:23]
	v_add_f64 v[26:27], -v[24:25], 1.0
	v_add_f64 v[12:13], v[22:23], -v[12:13]
	v_add_f64 v[20:21], v[26:27], -v[20:21]
	v_add_f64 v[12:13], v[12:13], v[20:21]
	v_add_f64 v[12:13], v[24:25], v[12:13]
	v_mul_f64 v[12:13], v[18:19], v[12:13]
	v_add_f64 v[12:13], v[18:19], v[12:13]
	v_and_b32_e32 v18, 0x80000000, v11
	v_mov_b32_e32 v11, 0x7ff80000
	v_xor_b32_e32 v10, 0x80000000, v13
	v_cndmask_b32_e32 v12, v12, v14, vcc
	v_cndmask_b32_e32 v13, v10, v15, vcc
	v_cndmask_b32_e64 v10, 0, v12, s[4:5]
	v_xor_b32_e32 v12, v13, v18
	v_cndmask_b32_e64 v11, v11, v12, s[4:5]
	v_div_scale_f64 v[12:13], s[4:5], v[10:11], v[10:11], s[16:17]
	v_rcp_f64_e32 v[14:15], v[12:13]
	v_fma_f64 v[17:18], -v[12:13], v[14:15], 1.0
	v_fma_f64 v[14:15], v[14:15], v[17:18], v[14:15]
	v_div_scale_f64 v[17:18], vcc, s[16:17], v[10:11], s[16:17]
	v_fma_f64 v[19:20], -v[12:13], v[14:15], 1.0
	v_fma_f64 v[14:15], v[14:15], v[19:20], v[14:15]
	v_mul_f64 v[19:20], v[17:18], v[14:15]
	v_fma_f64 v[12:13], -v[12:13], v[19:20], v[17:18]
	v_div_fmas_f64 v[12:13], v[12:13], v[14:15], v[19:20]
	v_div_fixup_f64 v[12:13], v[12:13], v[10:11], s[16:17]
.LBB1_56:
	s_or_b64 exec, exec, s[12:13]
	s_orn2_b64 s[12:13], s[14:15], exec
.LBB1_57:
	s_or_b64 exec, exec, s[10:11]
	v_mov_b32_e32 v10, 0
	v_mov_b32_e32 v11, 0x7ff80000
	s_and_saveexec_b64 s[4:5], s[12:13]
	s_cbranch_execz .LBB1_69
; %bb.58:
	s_mov_b32 s12, 0
	s_mov_b32 s13, 0x40240000
	v_cmp_gt_f64_e32 vcc, s[12:13], v[2:3]
	s_and_saveexec_b64 s[10:11], vcc
	s_cbranch_execz .LBB1_62
; %bb.59:
	s_mov_b64 s[14:15], 0
.LBB1_60:                               ; =>This Inner Loop Header: Depth=1
	v_div_scale_f64 v[10:11], s[16:17], v[2:3], v[2:3], 1.0
	v_rcp_f64_e32 v[14:15], v[10:11]
	v_fma_f64 v[17:18], -v[10:11], v[14:15], 1.0
	v_fma_f64 v[14:15], v[14:15], v[17:18], v[14:15]
	v_div_scale_f64 v[17:18], vcc, 1.0, v[2:3], 1.0
	v_fma_f64 v[19:20], -v[10:11], v[14:15], 1.0
	v_fma_f64 v[14:15], v[14:15], v[19:20], v[14:15]
	v_mul_f64 v[19:20], v[17:18], v[14:15]
	v_fma_f64 v[10:11], -v[10:11], v[19:20], v[17:18]
	v_div_fmas_f64 v[10:11], v[10:11], v[14:15], v[19:20]
	v_div_fixup_f64 v[10:11], v[10:11], v[2:3], 1.0
	v_add_f64 v[2:3], v[2:3], 1.0
	v_add_f64 v[12:13], v[12:13], -v[10:11]
	v_cmp_ngt_f64_e32 vcc, s[12:13], v[2:3]
	s_or_b64 s[14:15], vcc, s[14:15]
	s_andn2_b64 exec, exec, s[14:15]
	s_cbranch_execnz .LBB1_60
; %bb.61:
	s_or_b64 exec, exec, s[14:15]
.LBB1_62:
	s_or_b64 exec, exec, s[10:11]
	s_mov_b32 s10, 0
	s_mov_b32 s11, 0x40240000
	v_cmp_neq_f64_e32 vcc, s[10:11], v[2:3]
                                        ; implicit-def: $vgpr10_vgpr11
	s_and_saveexec_b64 s[10:11], vcc
	s_xor_b64 s[10:11], exec, s[10:11]
	s_cbranch_execz .LBB1_66
; %bb.63:
	s_mov_b32 s12, 0x85d8a000
	s_mov_b32 s13, 0x43763457
	v_cmp_gt_f64_e32 vcc, s[12:13], v[2:3]
	v_mov_b32_e32 v10, 0
	v_mov_b32_e32 v11, 0
	s_and_saveexec_b64 s[12:13], vcc
	s_cbranch_execz .LBB1_65
; %bb.64:
	v_mul_f64 v[10:11], v[2:3], v[2:3]
	s_mov_b32 s16, 0x95995996
	s_mov_b32 s17, 0xbf959959
	;; [unrolled: 1-line block ×4, first 2 shown]
	v_div_scale_f64 v[14:15], s[14:15], v[10:11], v[10:11], 1.0
	v_div_scale_f64 v[21:22], vcc, 1.0, v[10:11], 1.0
	s_mov_b32 s14, 0x55555555
	s_mov_b32 s15, 0x3fb55555
	v_rcp_f64_e32 v[17:18], v[14:15]
	v_fma_f64 v[19:20], -v[14:15], v[17:18], 1.0
	v_fma_f64 v[17:18], v[17:18], v[19:20], v[17:18]
	v_fma_f64 v[19:20], -v[14:15], v[17:18], 1.0
	v_fma_f64 v[17:18], v[17:18], v[19:20], v[17:18]
	v_mul_f64 v[19:20], v[21:22], v[17:18]
	v_fma_f64 v[14:15], -v[14:15], v[19:20], v[21:22]
	v_div_fmas_f64 v[14:15], v[14:15], v[17:18], v[19:20]
	v_div_fixup_f64 v[10:11], v[14:15], v[10:11], 1.0
	v_fma_f64 v[14:15], v[10:11], 0, s[14:15]
	v_fma_f64 v[14:15], v[10:11], v[14:15], s[16:17]
	s_mov_b32 s16, 0xf07c1f08
	s_mov_b32 s17, 0x3f7f07c1
	v_fma_f64 v[14:15], v[10:11], v[14:15], s[16:17]
	s_mov_b32 s17, 0xbf711111
	s_mov_b32 s16, 0x11111111
	v_fma_f64 v[14:15], v[10:11], v[14:15], s[16:17]
	s_mov_b32 s17, 0xbf811111
	v_fma_f64 v[14:15], v[10:11], v[14:15], s[18:19]
	v_fma_f64 v[14:15], v[10:11], v[14:15], s[16:17]
	;; [unrolled: 1-line block ×3, first 2 shown]
	v_mul_f64 v[10:11], v[10:11], v[14:15]
.LBB1_65:
	s_or_b64 exec, exec, s[12:13]
	v_frexp_mant_f64_e32 v[14:15], v[2:3]
	s_mov_b32 s13, 0x3fe55555
	s_mov_b32 s12, 0x55555555
	v_frexp_exp_i32_f64_e32 v17, v[2:3]
	s_mov_b32 s14, 0xbf559e2b
	s_mov_b32 s15, 0x3fc3ab76
	v_cmp_gt_f64_e32 vcc, s[12:13], v[14:15]
	s_mov_b32 s12, 0x55555780
	v_cndmask_b32_e64 v18, 0, 1, vcc
	v_ldexp_f64 v[14:15], v[14:15], v18
	v_subbrev_co_u32_e32 v29, vcc, 0, v17, vcc
	v_add_f64 v[19:20], v[14:15], 1.0
	v_add_f64 v[17:18], v[14:15], -1.0
	v_add_f64 v[21:22], v[19:20], -1.0
	v_add_f64 v[14:15], v[14:15], -v[21:22]
	v_rcp_f64_e32 v[21:22], v[19:20]
	v_fma_f64 v[23:24], -v[19:20], v[21:22], 1.0
	v_fma_f64 v[21:22], v[23:24], v[21:22], v[21:22]
	v_fma_f64 v[23:24], -v[19:20], v[21:22], 1.0
	v_fma_f64 v[21:22], v[23:24], v[21:22], v[21:22]
	v_mul_f64 v[23:24], v[17:18], v[21:22]
	v_mul_f64 v[25:26], v[19:20], v[23:24]
	v_fma_f64 v[19:20], v[23:24], v[19:20], -v[25:26]
	v_fma_f64 v[14:15], v[23:24], v[14:15], v[19:20]
	v_add_f64 v[19:20], v[25:26], v[14:15]
	v_add_f64 v[27:28], v[17:18], -v[19:20]
	v_add_f64 v[25:26], v[19:20], -v[25:26]
	;; [unrolled: 1-line block ×5, first 2 shown]
	v_add_f64 v[14:15], v[14:15], v[17:18]
	v_add_f64 v[14:15], v[27:28], v[14:15]
	v_mul_f64 v[14:15], v[21:22], v[14:15]
	v_mov_b32_e32 v21, 0x6b47b09a
	v_mov_b32_e32 v22, 0x3fc38538
	v_add_f64 v[17:18], v[23:24], v[14:15]
	v_add_f64 v[19:20], v[17:18], -v[23:24]
	v_ldexp_f64 v[23:24], v[17:18], 1
	v_add_f64 v[14:15], v[14:15], -v[19:20]
	v_mul_f64 v[19:20], v[17:18], v[17:18]
	v_ldexp_f64 v[14:15], v[14:15], 1
	v_fma_f64 v[21:22], v[19:20], s[14:15], v[21:22]
	s_mov_b32 s14, 0xd7f4df2e
	s_mov_b32 s15, 0x3fc7474d
	v_mul_f64 v[17:18], v[17:18], v[19:20]
	v_fma_f64 v[21:22], v[19:20], v[21:22], s[14:15]
	s_mov_b32 s14, 0x16291751
	s_mov_b32 s15, 0x3fcc71c0
	v_fma_f64 v[21:22], v[19:20], v[21:22], s[14:15]
	s_mov_b32 s14, 0x9b27acf1
	s_mov_b32 s15, 0x3fd24924
	;; [unrolled: 3-line block ×3, first 2 shown]
	v_fma_f64 v[21:22], v[19:20], v[21:22], s[14:15]
	v_fma_f64 v[21:22], v[19:20], v[21:22], s[12:13]
	s_mov_b32 s12, 0xfefa39ef
	s_mov_b32 s13, 0x3fe62e42
	v_mul_f64 v[17:18], v[17:18], v[21:22]
	v_add_f64 v[19:20], v[23:24], v[17:18]
	v_add_f64 v[21:22], v[19:20], -v[23:24]
	v_add_f64 v[17:18], v[17:18], -v[21:22]
	v_add_f64 v[14:15], v[14:15], v[17:18]
	v_add_f64 v[17:18], v[19:20], v[14:15]
	v_add_f64 v[19:20], v[17:18], -v[19:20]
	v_add_f64 v[14:15], v[14:15], -v[19:20]
	v_cvt_f64_i32_e32 v[19:20], v29
	v_mul_f64 v[21:22], v[19:20], s[12:13]
	v_fma_f64 v[23:24], v[19:20], s[12:13], -v[21:22]
	s_mov_b32 s12, 0x3b39803f
	s_mov_b32 s13, 0x3c7abc9e
	v_fma_f64 v[19:20], v[19:20], s[12:13], v[23:24]
	s_movk_i32 s12, 0x204
	v_cmp_class_f64_e64 vcc, v[2:3], s12
	v_add_f64 v[23:24], v[21:22], v[19:20]
	v_add_f64 v[21:22], v[23:24], -v[21:22]
	v_add_f64 v[19:20], v[19:20], -v[21:22]
	v_add_f64 v[21:22], v[23:24], v[17:18]
	v_add_f64 v[25:26], v[21:22], -v[23:24]
	v_add_f64 v[27:28], v[21:22], -v[25:26]
	;; [unrolled: 1-line block ×4, first 2 shown]
	v_add_f64 v[17:18], v[17:18], v[23:24]
	v_add_f64 v[23:24], v[19:20], v[14:15]
	v_add_f64 v[25:26], v[23:24], -v[19:20]
	v_add_f64 v[17:18], v[23:24], v[17:18]
	v_add_f64 v[27:28], v[23:24], -v[25:26]
	v_add_f64 v[14:15], v[14:15], -v[25:26]
	;; [unrolled: 1-line block ×3, first 2 shown]
	v_add_f64 v[14:15], v[14:15], v[19:20]
	v_add_f64 v[19:20], v[21:22], v[17:18]
	v_add_f64 v[21:22], v[19:20], -v[21:22]
	v_add_f64 v[17:18], v[17:18], -v[21:22]
	v_add_f64 v[14:15], v[14:15], v[17:18]
	v_div_scale_f64 v[17:18], s[12:13], v[2:3], v[2:3], -0.5
	v_add_f64 v[14:15], v[19:20], v[14:15]
	v_cndmask_b32_e32 v15, v15, v3, vcc
	v_rcp_f64_e32 v[19:20], v[17:18]
	v_cndmask_b32_e32 v14, v14, v2, vcc
	v_fma_f64 v[21:22], -v[17:18], v[19:20], 1.0
	v_fma_f64 v[19:20], v[19:20], v[21:22], v[19:20]
	v_fma_f64 v[21:22], -v[17:18], v[19:20], 1.0
	v_fma_f64 v[19:20], v[19:20], v[21:22], v[19:20]
	v_div_scale_f64 v[21:22], vcc, -0.5, v[2:3], -0.5
	v_mul_f64 v[23:24], v[21:22], v[19:20]
	v_fma_f64 v[17:18], -v[17:18], v[23:24], v[21:22]
	s_nop 1
	v_div_fmas_f64 v[17:18], v[17:18], v[19:20], v[23:24]
	v_div_fixup_f64 v[17:18], v[17:18], v[2:3], -0.5
	v_add_f64 v[14:15], v[14:15], v[17:18]
	v_add_f64 v[10:11], v[14:15], -v[10:11]
	v_add_f64 v[10:11], v[12:13], v[10:11]
                                        ; implicit-def: $vgpr12_vgpr13
.LBB1_66:
	s_andn2_saveexec_b64 s[10:11], s[10:11]
	s_cbranch_execz .LBB1_68
; %bb.67:
	s_mov_b32 s12, 0xdc85cc95
	s_mov_b32 s13, 0x40020396
	v_add_f64 v[10:11], v[12:13], s[12:13]
.LBB1_68:
	s_or_b64 exec, exec, s[10:11]
.LBB1_69:
	s_or_b64 exec, exec, s[4:5]
.LBB1_70:
	s_andn2_saveexec_b64 s[4:5], s[8:9]
; %bb.71:
	v_xor_b32_e32 v2, 0x80000000, v3
	s_brev_b32 s8, -2
	v_mov_b32_e32 v3, 0x7ff00000
	v_bfi_b32 v11, s8, v3, v2
	v_mov_b32_e32 v10, 0
; %bb.72:
	s_or_b64 exec, exec, s[4:5]
	v_cmp_neq_f64_e32 vcc, 0, v[4:5]
	s_and_saveexec_b64 s[4:5], vcc
	s_xor_b64 s[8:9], exec, s[4:5]
	s_cbranch_execz .LBB1_94
; %bb.73:
	v_cmp_gt_f64_e32 vcc, 0, v[4:5]
	v_mov_b32_e32 v2, 0
	v_mov_b32_e32 v3, 0
	s_mov_b64 s[12:13], -1
	s_and_saveexec_b64 s[10:11], vcc
	s_cbranch_execz .LBB1_81
; %bb.74:
	v_trunc_f64_e32 v[12:13], v[4:5]
	v_mov_b32_e32 v2, 0
	v_mov_b32_e32 v3, 0
	s_mov_b64 s[14:15], 0
	v_cmp_neq_f64_e32 vcc, v[4:5], v[12:13]
	s_and_saveexec_b64 s[12:13], vcc
	s_cbranch_execz .LBB1_80
; %bb.75:
	v_add_f64 v[2:3], v[4:5], -v[12:13]
	s_mov_b32 s4, 0
	s_mov_b32 s15, 0xc00921fb
	;; [unrolled: 1-line block ×4, first 2 shown]
	v_cmp_neq_f64_e64 vcc, |v[4:5]|, s[4:5]
	v_bfrev_b32_e32 v12, 1
	s_mov_b32 s16, 0
	v_mul_f64 v[2:3], |v[2:3]|, s[14:15]
	s_mov_b32 s17, 0x41d00000
                                        ; implicit-def: $vgpr17
                                        ; implicit-def: $vgpr14_vgpr15
	v_cndmask_b32_e32 v3, v12, v3, vcc
	v_cndmask_b32_e32 v2, 0, v2, vcc
	v_cmp_nlt_f64_e64 s[16:17], |v[2:3]|, s[16:17]
                                        ; implicit-def: $vgpr12_vgpr13
	s_and_saveexec_b64 s[18:19], s[16:17]
	s_xor_b64 s[16:17], exec, s[18:19]
	s_cbranch_execz .LBB1_77
; %bb.76:
	v_trig_preop_f64 v[12:13], |v[2:3]|, 0
	s_mov_b32 s18, 0
	s_mov_b32 s19, 0x7b000000
	s_movk_i32 s15, 0xff80
	v_cmp_ge_f64_e64 vcc, |v[2:3]|, s[18:19]
	v_ldexp_f64 v[17:18], |v[2:3]|, s15
	v_trig_preop_f64 v[14:15], |v[2:3]|, 1
	v_and_b32_e32 v19, 0x7fffffff, v3
	s_mov_b32 s15, 0x3ff921fb
	v_cndmask_b32_e32 v18, v19, v18, vcc
	v_cndmask_b32_e32 v17, v2, v17, vcc
	v_mul_f64 v[21:22], v[12:13], v[17:18]
	v_mul_f64 v[19:20], v[14:15], v[17:18]
	v_fma_f64 v[12:13], v[12:13], v[17:18], -v[21:22]
	v_fma_f64 v[14:15], v[14:15], v[17:18], -v[19:20]
	v_add_f64 v[23:24], v[19:20], v[12:13]
	v_add_f64 v[31:32], v[23:24], -v[19:20]
	v_add_f64 v[25:26], v[21:22], v[23:24]
	v_add_f64 v[12:13], v[12:13], -v[31:32]
	v_add_f64 v[31:32], v[23:24], -v[31:32]
	v_ldexp_f64 v[27:28], v[25:26], -2
	v_add_f64 v[21:22], v[25:26], -v[21:22]
	v_add_f64 v[31:32], v[19:20], -v[31:32]
	v_trig_preop_f64 v[19:20], |v[2:3]|, 2
	v_fract_f64_e32 v[29:30], v[27:28]
	v_add_f64 v[21:22], v[23:24], -v[21:22]
	v_cmp_neq_f64_e64 vcc, |v[27:28]|, s[4:5]
	v_add_f64 v[12:13], v[12:13], v[31:32]
	v_mul_f64 v[31:32], v[19:20], v[17:18]
	v_add_f64 v[33:34], v[31:32], v[14:15]
	v_add_f64 v[35:36], v[33:34], v[12:13]
	v_add_f64 v[25:26], v[35:36], -v[33:34]
	v_add_f64 v[23:24], v[21:22], v[35:36]
	v_add_f64 v[12:13], v[12:13], -v[25:26]
	v_add_f64 v[25:26], v[35:36], -v[25:26]
	;; [unrolled: 1-line block ×5, first 2 shown]
	v_add_f64 v[12:13], v[12:13], v[25:26]
	v_add_f64 v[25:26], v[33:34], -v[31:32]
	v_add_f64 v[14:15], v[14:15], -v[25:26]
	;; [unrolled: 1-line block ×4, first 2 shown]
	v_add_f64 v[14:15], v[14:15], v[25:26]
	v_add_f64 v[12:13], v[14:15], v[12:13]
	v_fma_f64 v[14:15], v[19:20], v[17:18], -v[31:32]
	v_add_f64 v[12:13], v[14:15], v[12:13]
	v_ldexp_f64 v[14:15], v[29:30], 2
	v_add_f64 v[12:13], v[21:22], v[12:13]
	v_cndmask_b32_e32 v15, 0, v15, vcc
	v_cndmask_b32_e32 v14, 0, v14, vcc
	v_add_f64 v[17:18], v[23:24], v[14:15]
	v_cmp_gt_f64_e32 vcc, 0, v[17:18]
	v_mov_b32_e32 v17, 0x40100000
	v_mov_b32_e32 v18, 0
	v_cndmask_b32_e32 v19, 0, v17, vcc
	v_add_f64 v[14:15], v[14:15], v[18:19]
	v_add_f64 v[19:20], v[23:24], v[14:15]
	v_cvt_i32_f64_e32 v17, v[19:20]
	v_cvt_f64_i32_e32 v[19:20], v17
	v_add_f64 v[14:15], v[14:15], -v[19:20]
	v_add_f64 v[20:21], v[23:24], v[14:15]
	v_add_f64 v[14:15], v[20:21], -v[14:15]
	v_cmp_le_f64_e32 vcc, 0.5, v[20:21]
	v_add_f64 v[14:15], v[23:24], -v[14:15]
	v_addc_co_u32_e64 v17, s[4:5], 0, v17, vcc
	s_mov_b32 s4, 0x33145c07
	s_mov_b32 s5, 0x3c91a626
	v_add_f64 v[12:13], v[12:13], v[14:15]
	v_mov_b32_e32 v14, 0x3ff00000
	v_cndmask_b32_e32 v19, 0, v14, vcc
	v_add_f64 v[14:15], v[20:21], -v[18:19]
	v_add_f64 v[18:19], v[14:15], v[12:13]
	v_add_f64 v[14:15], v[18:19], -v[14:15]
	v_add_f64 v[12:13], v[12:13], -v[14:15]
	v_mul_f64 v[14:15], v[18:19], s[14:15]
	v_fma_f64 v[20:21], v[18:19], s[14:15], -v[14:15]
	v_fma_f64 v[18:19], v[18:19], s[4:5], v[20:21]
	v_fma_f64 v[18:19], v[12:13], s[14:15], v[18:19]
	v_add_f64 v[12:13], v[14:15], v[18:19]
	v_add_f64 v[14:15], v[12:13], -v[14:15]
	v_add_f64 v[14:15], v[18:19], -v[14:15]
.LBB1_77:
	s_andn2_saveexec_b64 s[4:5], s[16:17]
	s_cbranch_execz .LBB1_79
; %bb.78:
	s_mov_b32 s14, 0x6dc9c883
	s_mov_b32 s15, 0x3fe45f30
	v_mul_f64 v[12:13], |v[2:3]|, s[14:15]
	s_mov_b32 s14, 0x54442d18
	s_mov_b32 s15, 0xbff921fb
	;; [unrolled: 1-line block ×4, first 2 shown]
	v_rndne_f64_e32 v[17:18], v[12:13]
	v_fma_f64 v[12:13], v[17:18], s[14:15], |v[2:3]|
	v_mul_f64 v[14:15], v[17:18], s[16:17]
	s_mov_b32 s14, 0x252049c0
	s_mov_b32 s15, 0xb97b839a
	v_fma_f64 v[23:24], v[17:18], s[16:17], v[12:13]
	v_add_f64 v[19:20], v[12:13], v[14:15]
	s_mov_b32 s17, 0x3c91a626
	v_add_f64 v[21:22], v[12:13], -v[19:20]
	v_add_f64 v[19:20], v[19:20], -v[23:24]
	v_add_f64 v[12:13], v[21:22], v[14:15]
	v_fma_f64 v[14:15], v[17:18], s[16:17], v[14:15]
	v_add_f64 v[12:13], v[19:20], v[12:13]
	v_add_f64 v[12:13], v[12:13], -v[14:15]
	v_fma_f64 v[14:15], v[17:18], s[14:15], v[12:13]
	v_cvt_i32_f64_e32 v17, v[17:18]
	v_add_f64 v[12:13], v[23:24], v[14:15]
	v_add_f64 v[19:20], v[12:13], -v[23:24]
	v_add_f64 v[14:15], v[14:15], -v[19:20]
.LBB1_79:
	s_or_b64 exec, exec, s[4:5]
	v_mul_f64 v[18:19], v[12:13], v[12:13]
	v_add_f64 v[20:21], v[14:15], v[14:15]
	s_mov_b32 s4, 0xc751c08c
	s_mov_b32 s5, 0x3ef5e089
	v_and_b32_e32 v17, 1, v17
	v_cmp_eq_u32_e32 vcc, 0, v17
	s_mov_b32 s16, 0x54442d18
	s_mov_b32 s17, 0xc00921fb
	v_fma_f64 v[22:23], v[12:13], v[12:13], -v[18:19]
	v_add_f64 v[4:5], -v[4:5], 1.0
	s_mov_b64 s[14:15], exec
	v_fma_f64 v[20:21], v[12:13], v[20:21], v[22:23]
	v_add_f64 v[18:19], v[18:19], v[20:21]
	v_mov_b32_e32 v20, 0xa9a29f71
	v_mov_b32_e32 v21, 0xbf078809
	v_fma_f64 v[20:21], v[18:19], s[4:5], v[20:21]
	s_mov_b32 s4, 0x90a8aae0
	s_mov_b32 s5, 0x3f17746f
	v_fma_f64 v[20:21], v[18:19], v[20:21], s[4:5]
	s_mov_b32 s4, 0xa6fbf144
	s_mov_b32 s5, 0xbefbb44d
	;; [unrolled: 3-line block ×12, first 2 shown]
	v_fma_f64 v[20:21], v[18:19], v[20:21], s[4:5]
	s_movk_i32 s4, 0x1f8
	v_cmp_class_f64_e64 s[4:5], v[2:3], s4
	v_mul_f64 v[18:19], v[18:19], v[20:21]
	v_mul_f64 v[20:21], v[12:13], v[18:19]
	v_add_f64 v[22:23], v[12:13], v[20:21]
	v_fma_f64 v[18:19], v[12:13], v[18:19], -v[20:21]
	v_add_f64 v[12:13], v[22:23], -v[12:13]
	v_add_f64 v[14:15], v[14:15], v[18:19]
	v_add_f64 v[12:13], v[20:21], -v[12:13]
	v_add_f64 v[12:13], v[14:15], v[12:13]
	v_add_f64 v[14:15], v[22:23], v[12:13]
	v_rcp_f64_e32 v[18:19], v[14:15]
	v_fma_f64 v[20:21], -v[14:15], v[18:19], 1.0
	v_fma_f64 v[18:19], v[20:21], v[18:19], v[18:19]
	v_fma_f64 v[20:21], -v[14:15], v[18:19], 1.0
	v_fma_f64 v[18:19], v[20:21], v[18:19], v[18:19]
	v_add_f64 v[20:21], v[14:15], -v[22:23]
	v_mul_f64 v[22:23], v[14:15], v[18:19]
	v_add_f64 v[12:13], v[12:13], -v[20:21]
	v_fma_f64 v[20:21], v[18:19], v[14:15], -v[22:23]
	v_fma_f64 v[12:13], v[18:19], v[12:13], v[20:21]
	v_add_f64 v[20:21], v[22:23], v[12:13]
	v_add_f64 v[24:25], -v[20:21], 1.0
	v_add_f64 v[22:23], v[20:21], -v[22:23]
	v_add_f64 v[26:27], -v[24:25], 1.0
	v_add_f64 v[12:13], v[22:23], -v[12:13]
	v_add_f64 v[20:21], v[26:27], -v[20:21]
	v_add_f64 v[12:13], v[12:13], v[20:21]
	v_add_f64 v[12:13], v[24:25], v[12:13]
	v_mul_f64 v[12:13], v[18:19], v[12:13]
	v_add_f64 v[12:13], v[18:19], v[12:13]
	v_and_b32_e32 v18, 0x80000000, v3
	v_mov_b32_e32 v3, 0x7ff80000
	v_xor_b32_e32 v2, 0x80000000, v13
	v_cndmask_b32_e32 v12, v12, v14, vcc
	v_cndmask_b32_e32 v13, v2, v15, vcc
	v_cndmask_b32_e64 v2, 0, v12, s[4:5]
	v_xor_b32_e32 v12, v13, v18
	v_cndmask_b32_e64 v3, v3, v12, s[4:5]
	v_div_scale_f64 v[12:13], s[4:5], v[2:3], v[2:3], s[16:17]
	v_rcp_f64_e32 v[14:15], v[12:13]
	v_fma_f64 v[17:18], -v[12:13], v[14:15], 1.0
	v_fma_f64 v[14:15], v[14:15], v[17:18], v[14:15]
	v_div_scale_f64 v[17:18], vcc, s[16:17], v[2:3], s[16:17]
	v_fma_f64 v[19:20], -v[12:13], v[14:15], 1.0
	v_fma_f64 v[14:15], v[14:15], v[19:20], v[14:15]
	v_mul_f64 v[19:20], v[17:18], v[14:15]
	v_fma_f64 v[12:13], -v[12:13], v[19:20], v[17:18]
	v_div_fmas_f64 v[12:13], v[12:13], v[14:15], v[19:20]
	v_div_fixup_f64 v[2:3], v[12:13], v[2:3], s[16:17]
.LBB1_80:
	s_or_b64 exec, exec, s[12:13]
	s_orn2_b64 s[12:13], s[14:15], exec
.LBB1_81:
	s_or_b64 exec, exec, s[10:11]
	v_mov_b32_e32 v12, 0
	v_mov_b32_e32 v13, 0x7ff80000
	s_and_saveexec_b64 s[4:5], s[12:13]
	s_cbranch_execz .LBB1_93
; %bb.82:
	s_mov_b32 s12, 0
	s_mov_b32 s13, 0x40240000
	v_cmp_gt_f64_e32 vcc, s[12:13], v[4:5]
	s_and_saveexec_b64 s[10:11], vcc
	s_cbranch_execz .LBB1_86
; %bb.83:
	s_mov_b64 s[14:15], 0
.LBB1_84:                               ; =>This Inner Loop Header: Depth=1
	v_div_scale_f64 v[12:13], s[16:17], v[4:5], v[4:5], 1.0
	v_rcp_f64_e32 v[14:15], v[12:13]
	v_fma_f64 v[17:18], -v[12:13], v[14:15], 1.0
	v_fma_f64 v[14:15], v[14:15], v[17:18], v[14:15]
	v_div_scale_f64 v[17:18], vcc, 1.0, v[4:5], 1.0
	v_fma_f64 v[19:20], -v[12:13], v[14:15], 1.0
	v_fma_f64 v[14:15], v[14:15], v[19:20], v[14:15]
	v_mul_f64 v[19:20], v[17:18], v[14:15]
	v_fma_f64 v[12:13], -v[12:13], v[19:20], v[17:18]
	v_div_fmas_f64 v[12:13], v[12:13], v[14:15], v[19:20]
	v_div_fixup_f64 v[12:13], v[12:13], v[4:5], 1.0
	v_add_f64 v[4:5], v[4:5], 1.0
	v_add_f64 v[2:3], v[2:3], -v[12:13]
	v_cmp_ngt_f64_e32 vcc, s[12:13], v[4:5]
	s_or_b64 s[14:15], vcc, s[14:15]
	s_andn2_b64 exec, exec, s[14:15]
	s_cbranch_execnz .LBB1_84
; %bb.85:
	s_or_b64 exec, exec, s[14:15]
.LBB1_86:
	s_or_b64 exec, exec, s[10:11]
	s_mov_b32 s10, 0
	s_mov_b32 s11, 0x40240000
	v_cmp_neq_f64_e32 vcc, s[10:11], v[4:5]
	s_and_saveexec_b64 s[10:11], vcc
	s_xor_b64 s[10:11], exec, s[10:11]
	s_cbranch_execz .LBB1_90
; %bb.87:
	s_mov_b32 s12, 0x85d8a000
	s_mov_b32 s13, 0x43763457
	v_cmp_gt_f64_e32 vcc, s[12:13], v[4:5]
	v_mov_b32_e32 v12, 0
	v_mov_b32_e32 v13, 0
	s_and_saveexec_b64 s[12:13], vcc
	s_cbranch_execz .LBB1_89
; %bb.88:
	v_mul_f64 v[12:13], v[4:5], v[4:5]
	s_mov_b32 s16, 0x95995996
	s_mov_b32 s17, 0xbf959959
	;; [unrolled: 1-line block ×4, first 2 shown]
	v_div_scale_f64 v[14:15], s[14:15], v[12:13], v[12:13], 1.0
	v_div_scale_f64 v[21:22], vcc, 1.0, v[12:13], 1.0
	s_mov_b32 s14, 0x55555555
	s_mov_b32 s15, 0x3fb55555
	v_rcp_f64_e32 v[17:18], v[14:15]
	v_fma_f64 v[19:20], -v[14:15], v[17:18], 1.0
	v_fma_f64 v[17:18], v[17:18], v[19:20], v[17:18]
	v_fma_f64 v[19:20], -v[14:15], v[17:18], 1.0
	v_fma_f64 v[17:18], v[17:18], v[19:20], v[17:18]
	v_mul_f64 v[19:20], v[21:22], v[17:18]
	v_fma_f64 v[14:15], -v[14:15], v[19:20], v[21:22]
	v_div_fmas_f64 v[14:15], v[14:15], v[17:18], v[19:20]
	v_div_fixup_f64 v[12:13], v[14:15], v[12:13], 1.0
	v_fma_f64 v[14:15], v[12:13], 0, s[14:15]
	v_fma_f64 v[14:15], v[12:13], v[14:15], s[16:17]
	s_mov_b32 s16, 0xf07c1f08
	s_mov_b32 s17, 0x3f7f07c1
	v_fma_f64 v[14:15], v[12:13], v[14:15], s[16:17]
	s_mov_b32 s17, 0xbf711111
	s_mov_b32 s16, 0x11111111
	v_fma_f64 v[14:15], v[12:13], v[14:15], s[16:17]
	s_mov_b32 s17, 0xbf811111
	v_fma_f64 v[14:15], v[12:13], v[14:15], s[18:19]
	v_fma_f64 v[14:15], v[12:13], v[14:15], s[16:17]
	;; [unrolled: 1-line block ×3, first 2 shown]
	v_mul_f64 v[12:13], v[12:13], v[14:15]
.LBB1_89:
	s_or_b64 exec, exec, s[12:13]
	v_frexp_mant_f64_e32 v[14:15], v[4:5]
	s_mov_b32 s13, 0x3fe55555
	s_mov_b32 s12, 0x55555555
	v_frexp_exp_i32_f64_e32 v17, v[4:5]
	s_mov_b32 s14, 0xbf559e2b
	s_mov_b32 s15, 0x3fc3ab76
	v_cmp_gt_f64_e32 vcc, s[12:13], v[14:15]
	s_mov_b32 s12, 0x55555780
	v_cndmask_b32_e64 v18, 0, 1, vcc
	v_ldexp_f64 v[14:15], v[14:15], v18
	v_subbrev_co_u32_e32 v29, vcc, 0, v17, vcc
	v_add_f64 v[19:20], v[14:15], 1.0
	v_add_f64 v[17:18], v[14:15], -1.0
	v_add_f64 v[21:22], v[19:20], -1.0
	v_add_f64 v[14:15], v[14:15], -v[21:22]
	v_rcp_f64_e32 v[21:22], v[19:20]
	v_fma_f64 v[23:24], -v[19:20], v[21:22], 1.0
	v_fma_f64 v[21:22], v[23:24], v[21:22], v[21:22]
	v_fma_f64 v[23:24], -v[19:20], v[21:22], 1.0
	v_fma_f64 v[21:22], v[23:24], v[21:22], v[21:22]
	v_mul_f64 v[23:24], v[17:18], v[21:22]
	v_mul_f64 v[25:26], v[19:20], v[23:24]
	v_fma_f64 v[19:20], v[23:24], v[19:20], -v[25:26]
	v_fma_f64 v[14:15], v[23:24], v[14:15], v[19:20]
	v_add_f64 v[19:20], v[25:26], v[14:15]
	v_add_f64 v[27:28], v[17:18], -v[19:20]
	v_add_f64 v[25:26], v[19:20], -v[25:26]
	;; [unrolled: 1-line block ×5, first 2 shown]
	v_add_f64 v[14:15], v[14:15], v[17:18]
	v_add_f64 v[14:15], v[27:28], v[14:15]
	v_mul_f64 v[14:15], v[21:22], v[14:15]
	v_mov_b32_e32 v21, 0x6b47b09a
	v_mov_b32_e32 v22, 0x3fc38538
	v_add_f64 v[17:18], v[23:24], v[14:15]
	v_add_f64 v[19:20], v[17:18], -v[23:24]
	v_ldexp_f64 v[23:24], v[17:18], 1
	v_add_f64 v[14:15], v[14:15], -v[19:20]
	v_mul_f64 v[19:20], v[17:18], v[17:18]
	v_ldexp_f64 v[14:15], v[14:15], 1
	v_fma_f64 v[21:22], v[19:20], s[14:15], v[21:22]
	s_mov_b32 s14, 0xd7f4df2e
	s_mov_b32 s15, 0x3fc7474d
	v_mul_f64 v[17:18], v[17:18], v[19:20]
	v_fma_f64 v[21:22], v[19:20], v[21:22], s[14:15]
	s_mov_b32 s14, 0x16291751
	s_mov_b32 s15, 0x3fcc71c0
	v_fma_f64 v[21:22], v[19:20], v[21:22], s[14:15]
	s_mov_b32 s14, 0x9b27acf1
	s_mov_b32 s15, 0x3fd24924
	;; [unrolled: 3-line block ×3, first 2 shown]
	v_fma_f64 v[21:22], v[19:20], v[21:22], s[14:15]
	v_fma_f64 v[21:22], v[19:20], v[21:22], s[12:13]
	s_mov_b32 s12, 0xfefa39ef
	s_mov_b32 s13, 0x3fe62e42
	v_mul_f64 v[17:18], v[17:18], v[21:22]
	v_add_f64 v[19:20], v[23:24], v[17:18]
	v_add_f64 v[21:22], v[19:20], -v[23:24]
	v_add_f64 v[17:18], v[17:18], -v[21:22]
	v_add_f64 v[14:15], v[14:15], v[17:18]
	v_add_f64 v[17:18], v[19:20], v[14:15]
	v_add_f64 v[19:20], v[17:18], -v[19:20]
	v_add_f64 v[14:15], v[14:15], -v[19:20]
	v_cvt_f64_i32_e32 v[19:20], v29
	v_mul_f64 v[21:22], v[19:20], s[12:13]
	v_fma_f64 v[23:24], v[19:20], s[12:13], -v[21:22]
	s_mov_b32 s12, 0x3b39803f
	s_mov_b32 s13, 0x3c7abc9e
	v_fma_f64 v[19:20], v[19:20], s[12:13], v[23:24]
	s_movk_i32 s12, 0x204
	v_cmp_class_f64_e64 vcc, v[4:5], s12
	v_add_f64 v[23:24], v[21:22], v[19:20]
	v_add_f64 v[21:22], v[23:24], -v[21:22]
	v_add_f64 v[19:20], v[19:20], -v[21:22]
	v_add_f64 v[21:22], v[23:24], v[17:18]
	v_add_f64 v[25:26], v[21:22], -v[23:24]
	v_add_f64 v[27:28], v[21:22], -v[25:26]
	;; [unrolled: 1-line block ×4, first 2 shown]
	v_add_f64 v[17:18], v[17:18], v[23:24]
	v_add_f64 v[23:24], v[19:20], v[14:15]
	v_add_f64 v[25:26], v[23:24], -v[19:20]
	v_add_f64 v[17:18], v[23:24], v[17:18]
	v_add_f64 v[27:28], v[23:24], -v[25:26]
	v_add_f64 v[14:15], v[14:15], -v[25:26]
	;; [unrolled: 1-line block ×3, first 2 shown]
	v_add_f64 v[14:15], v[14:15], v[19:20]
	v_add_f64 v[19:20], v[21:22], v[17:18]
	v_add_f64 v[21:22], v[19:20], -v[21:22]
	v_add_f64 v[17:18], v[17:18], -v[21:22]
	v_add_f64 v[14:15], v[14:15], v[17:18]
	v_div_scale_f64 v[17:18], s[12:13], v[4:5], v[4:5], -0.5
	v_add_f64 v[14:15], v[19:20], v[14:15]
	v_cndmask_b32_e32 v15, v15, v5, vcc
	v_rcp_f64_e32 v[19:20], v[17:18]
	v_cndmask_b32_e32 v14, v14, v4, vcc
	v_fma_f64 v[21:22], -v[17:18], v[19:20], 1.0
	v_fma_f64 v[19:20], v[19:20], v[21:22], v[19:20]
	v_fma_f64 v[21:22], -v[17:18], v[19:20], 1.0
	v_fma_f64 v[19:20], v[19:20], v[21:22], v[19:20]
	v_div_scale_f64 v[21:22], vcc, -0.5, v[4:5], -0.5
	v_mul_f64 v[23:24], v[21:22], v[19:20]
	v_fma_f64 v[17:18], -v[17:18], v[23:24], v[21:22]
	s_nop 1
	v_div_fmas_f64 v[17:18], v[17:18], v[19:20], v[23:24]
	v_div_fixup_f64 v[4:5], v[17:18], v[4:5], -0.5
	v_add_f64 v[4:5], v[14:15], v[4:5]
	v_add_f64 v[4:5], v[4:5], -v[12:13]
	v_add_f64 v[12:13], v[2:3], v[4:5]
                                        ; implicit-def: $vgpr2_vgpr3
.LBB1_90:
	s_andn2_saveexec_b64 s[10:11], s[10:11]
	s_cbranch_execz .LBB1_92
; %bb.91:
	s_mov_b32 s12, 0xdc85cc95
	s_mov_b32 s13, 0x40020396
	v_add_f64 v[12:13], v[2:3], s[12:13]
.LBB1_92:
	s_or_b64 exec, exec, s[10:11]
.LBB1_93:
	s_or_b64 exec, exec, s[4:5]
                                        ; implicit-def: $vgpr4_vgpr5
.LBB1_94:
	s_andn2_saveexec_b64 s[4:5], s[8:9]
; %bb.95:
	v_xor_b32_e32 v2, 0x80000000, v5
	s_brev_b32 s8, -2
	v_mov_b32_e32 v3, 0x7ff00000
	v_bfi_b32 v13, s8, v3, v2
	v_mov_b32_e32 v12, 0
; %bb.96:
	s_or_b64 exec, exec, s[4:5]
	v_mov_b32_e32 v2, s7
	v_add_co_u32_e32 v0, vcc, s6, v0
	v_addc_co_u32_e32 v1, vcc, v1, v2, vcc
	v_add_co_u32_e32 v0, vcc, v0, v16
	v_addc_co_u32_e32 v1, vcc, 0, v1, vcc
	flat_store_dwordx4 v[0:1], v[6:9]
	flat_store_dwordx4 v[0:1], v[10:13] offset:16
	s_waitcnt vmcnt(0) lgkmcnt(0)
	s_setpc_b64 s[30:31]
.Lfunc_end1:
	.size	_ZN2at6native25elementwise_kernel_helperILb0EZZZNS0_19digamma_kernel_cudaERNS_18TensorIteratorBaseEENKUlvE_clEvENKUlvE_clEvEUldE_NS0_6memory8policies10vectorizedILi4ESt5arrayIPcLm2EELi4EEEEEvT0_T1_, .Lfunc_end1-_ZN2at6native25elementwise_kernel_helperILb0EZZZNS0_19digamma_kernel_cudaERNS_18TensorIteratorBaseEENKUlvE_clEvENKUlvE_clEvEUldE_NS0_6memory8policies10vectorizedILi4ESt5arrayIPcLm2EELi4EEEEEvT0_T1_
                                        ; -- End function
	.set .L_ZN2at6native25elementwise_kernel_helperILb0EZZZNS0_19digamma_kernel_cudaERNS_18TensorIteratorBaseEENKUlvE_clEvENKUlvE_clEvEUldE_NS0_6memory8policies10vectorizedILi4ESt5arrayIPcLm2EELi4EEEEEvT0_T1_.num_vgpr, 37
	.set .L_ZN2at6native25elementwise_kernel_helperILb0EZZZNS0_19digamma_kernel_cudaERNS_18TensorIteratorBaseEENKUlvE_clEvENKUlvE_clEvEUldE_NS0_6memory8policies10vectorizedILi4ESt5arrayIPcLm2EELi4EEEEEvT0_T1_.num_agpr, 0
	.set .L_ZN2at6native25elementwise_kernel_helperILb0EZZZNS0_19digamma_kernel_cudaERNS_18TensorIteratorBaseEENKUlvE_clEvENKUlvE_clEvEUldE_NS0_6memory8policies10vectorizedILi4ESt5arrayIPcLm2EELi4EEEEEvT0_T1_.numbered_sgpr, 32
	.set .L_ZN2at6native25elementwise_kernel_helperILb0EZZZNS0_19digamma_kernel_cudaERNS_18TensorIteratorBaseEENKUlvE_clEvENKUlvE_clEvEUldE_NS0_6memory8policies10vectorizedILi4ESt5arrayIPcLm2EELi4EEEEEvT0_T1_.num_named_barrier, 0
	.set .L_ZN2at6native25elementwise_kernel_helperILb0EZZZNS0_19digamma_kernel_cudaERNS_18TensorIteratorBaseEENKUlvE_clEvENKUlvE_clEvEUldE_NS0_6memory8policies10vectorizedILi4ESt5arrayIPcLm2EELi4EEEEEvT0_T1_.private_seg_size, 0
	.set .L_ZN2at6native25elementwise_kernel_helperILb0EZZZNS0_19digamma_kernel_cudaERNS_18TensorIteratorBaseEENKUlvE_clEvENKUlvE_clEvEUldE_NS0_6memory8policies10vectorizedILi4ESt5arrayIPcLm2EELi4EEEEEvT0_T1_.uses_vcc, 1
	.set .L_ZN2at6native25elementwise_kernel_helperILb0EZZZNS0_19digamma_kernel_cudaERNS_18TensorIteratorBaseEENKUlvE_clEvENKUlvE_clEvEUldE_NS0_6memory8policies10vectorizedILi4ESt5arrayIPcLm2EELi4EEEEEvT0_T1_.uses_flat_scratch, 0
	.set .L_ZN2at6native25elementwise_kernel_helperILb0EZZZNS0_19digamma_kernel_cudaERNS_18TensorIteratorBaseEENKUlvE_clEvENKUlvE_clEvEUldE_NS0_6memory8policies10vectorizedILi4ESt5arrayIPcLm2EELi4EEEEEvT0_T1_.has_dyn_sized_stack, 0
	.set .L_ZN2at6native25elementwise_kernel_helperILb0EZZZNS0_19digamma_kernel_cudaERNS_18TensorIteratorBaseEENKUlvE_clEvENKUlvE_clEvEUldE_NS0_6memory8policies10vectorizedILi4ESt5arrayIPcLm2EELi4EEEEEvT0_T1_.has_recursion, 0
	.set .L_ZN2at6native25elementwise_kernel_helperILb0EZZZNS0_19digamma_kernel_cudaERNS_18TensorIteratorBaseEENKUlvE_clEvENKUlvE_clEvEUldE_NS0_6memory8policies10vectorizedILi4ESt5arrayIPcLm2EELi4EEEEEvT0_T1_.has_indirect_call, 0
	.section	.AMDGPU.csdata,"",@progbits
; Function info:
; codeLenInByte = 12844
; TotalNumSgprs: 36
; NumVgprs: 37
; ScratchSize: 0
; MemoryBound: 0
	.section	.text._ZN2at6native29vectorized_elementwise_kernelILi16EZZZNS0_19digamma_kernel_cudaERNS_18TensorIteratorBaseEENKUlvE_clEvENKUlvE_clEvEUldE_St5arrayIPcLm2EEEEviT0_T1_,"axG",@progbits,_ZN2at6native29vectorized_elementwise_kernelILi16EZZZNS0_19digamma_kernel_cudaERNS_18TensorIteratorBaseEENKUlvE_clEvENKUlvE_clEvEUldE_St5arrayIPcLm2EEEEviT0_T1_,comdat
	.globl	_ZN2at6native29vectorized_elementwise_kernelILi16EZZZNS0_19digamma_kernel_cudaERNS_18TensorIteratorBaseEENKUlvE_clEvENKUlvE_clEvEUldE_St5arrayIPcLm2EEEEviT0_T1_ ; -- Begin function _ZN2at6native29vectorized_elementwise_kernelILi16EZZZNS0_19digamma_kernel_cudaERNS_18TensorIteratorBaseEENKUlvE_clEvENKUlvE_clEvEUldE_St5arrayIPcLm2EEEEviT0_T1_
	.p2align	8
	.type	_ZN2at6native29vectorized_elementwise_kernelILi16EZZZNS0_19digamma_kernel_cudaERNS_18TensorIteratorBaseEENKUlvE_clEvENKUlvE_clEvEUldE_St5arrayIPcLm2EEEEviT0_T1_,@function
_ZN2at6native29vectorized_elementwise_kernelILi16EZZZNS0_19digamma_kernel_cudaERNS_18TensorIteratorBaseEENKUlvE_clEvENKUlvE_clEvEUldE_St5arrayIPcLm2EEEEviT0_T1_: ; @_ZN2at6native29vectorized_elementwise_kernelILi16EZZZNS0_19digamma_kernel_cudaERNS_18TensorIteratorBaseEENKUlvE_clEvENKUlvE_clEvEUldE_St5arrayIPcLm2EEEEviT0_T1_
; %bb.0:
	s_mov_b32 s20, s6
	s_load_dword s6, s[4:5], 0x0
	s_load_dwordx4 s[24:27], s[4:5], 0x8
	s_add_u32 s0, s0, s7
	s_addc_u32 s1, s1, 0
	s_lshl_b32 s4, s20, 10
	s_waitcnt lgkmcnt(0)
	s_sub_i32 s21, s6, s4
	v_mov_b32_e32 v37, v0
	s_cmpk_gt_i32 s21, 0x3ff
	s_mov_b64 s[4:5], -1
	s_mov_b32 s32, 0
	s_cbranch_scc1 .LBB2_3
; %bb.1:
	s_andn2_b64 vcc, exec, s[4:5]
	s_cbranch_vccz .LBB2_4
.LBB2_2:
	s_endpgm
.LBB2_3:
	s_getpc_b64 s[4:5]
	s_add_u32 s4, s4, _ZN2at6native25elementwise_kernel_helperILb0EZZZNS0_19digamma_kernel_cudaERNS_18TensorIteratorBaseEENKUlvE_clEvENKUlvE_clEvEUldE_NS0_6memory8policies10vectorizedILi4ESt5arrayIPcLm2EELi4EEEEEvT0_T1_@rel32@lo+4
	s_addc_u32 s5, s5, _ZN2at6native25elementwise_kernel_helperILb0EZZZNS0_19digamma_kernel_cudaERNS_18TensorIteratorBaseEENKUlvE_clEvENKUlvE_clEvEUldE_NS0_6memory8policies10vectorizedILi4ESt5arrayIPcLm2EELi4EEEEEvT0_T1_@rel32@hi+12
	s_mov_b32 s12, s20
	v_mov_b32_e32 v31, v37
	v_mov_b32_e32 v0, s24
	;; [unrolled: 1-line block ×5, first 2 shown]
	s_swappc_b64 s[30:31], s[4:5]
	s_cbranch_execnz .LBB2_2
.LBB2_4:
	s_getpc_b64 s[4:5]
	s_add_u32 s4, s4, _ZN2at6native25elementwise_kernel_helperILb0EZZZNS0_19digamma_kernel_cudaERNS_18TensorIteratorBaseEENKUlvE_clEvENKUlvE_clEvEUldE_NS0_6memory8policies11unroll_baseILi256ESt5arrayIPcLm2EE23TrivialOffsetCalculatorILi1EjESE_NS7_15LoadWithoutCastENS7_16StoreWithoutCastELi4ELi1EEEEEvT0_T1_@rel32@lo+4
	s_addc_u32 s5, s5, _ZN2at6native25elementwise_kernel_helperILb0EZZZNS0_19digamma_kernel_cudaERNS_18TensorIteratorBaseEENKUlvE_clEvENKUlvE_clEvEUldE_NS0_6memory8policies11unroll_baseILi256ESt5arrayIPcLm2EE23TrivialOffsetCalculatorILi1EjESE_NS7_15LoadWithoutCastENS7_16StoreWithoutCastELi4ELi1EEEEEvT0_T1_@rel32@hi+12
	s_mov_b32 s12, s20
	v_mov_b32_e32 v31, v37
	v_mov_b32_e32 v0, s24
	;; [unrolled: 1-line block ×6, first 2 shown]
	s_swappc_b64 s[30:31], s[4:5]
	s_endpgm
	.section	.rodata,"a",@progbits
	.p2align	6, 0x0
	.amdhsa_kernel _ZN2at6native29vectorized_elementwise_kernelILi16EZZZNS0_19digamma_kernel_cudaERNS_18TensorIteratorBaseEENKUlvE_clEvENKUlvE_clEvEUldE_St5arrayIPcLm2EEEEviT0_T1_
		.amdhsa_group_segment_fixed_size 0
		.amdhsa_private_segment_fixed_size 0
		.amdhsa_kernarg_size 24
		.amdhsa_user_sgpr_count 6
		.amdhsa_user_sgpr_private_segment_buffer 1
		.amdhsa_user_sgpr_dispatch_ptr 0
		.amdhsa_user_sgpr_queue_ptr 0
		.amdhsa_user_sgpr_kernarg_segment_ptr 1
		.amdhsa_user_sgpr_dispatch_id 0
		.amdhsa_user_sgpr_flat_scratch_init 0
		.amdhsa_user_sgpr_private_segment_size 0
		.amdhsa_uses_dynamic_stack 0
		.amdhsa_system_sgpr_private_segment_wavefront_offset 0
		.amdhsa_system_sgpr_workgroup_id_x 1
		.amdhsa_system_sgpr_workgroup_id_y 0
		.amdhsa_system_sgpr_workgroup_id_z 0
		.amdhsa_system_sgpr_workgroup_info 0
		.amdhsa_system_vgpr_workitem_id 0
		.amdhsa_next_free_vgpr 54
		.amdhsa_next_free_sgpr 33
		.amdhsa_reserve_vcc 1
		.amdhsa_reserve_flat_scratch 0
		.amdhsa_float_round_mode_32 0
		.amdhsa_float_round_mode_16_64 0
		.amdhsa_float_denorm_mode_32 3
		.amdhsa_float_denorm_mode_16_64 3
		.amdhsa_dx10_clamp 1
		.amdhsa_ieee_mode 1
		.amdhsa_fp16_overflow 0
		.amdhsa_exception_fp_ieee_invalid_op 0
		.amdhsa_exception_fp_denorm_src 0
		.amdhsa_exception_fp_ieee_div_zero 0
		.amdhsa_exception_fp_ieee_overflow 0
		.amdhsa_exception_fp_ieee_underflow 0
		.amdhsa_exception_fp_ieee_inexact 0
		.amdhsa_exception_int_div_zero 0
	.end_amdhsa_kernel
	.section	.text._ZN2at6native29vectorized_elementwise_kernelILi16EZZZNS0_19digamma_kernel_cudaERNS_18TensorIteratorBaseEENKUlvE_clEvENKUlvE_clEvEUldE_St5arrayIPcLm2EEEEviT0_T1_,"axG",@progbits,_ZN2at6native29vectorized_elementwise_kernelILi16EZZZNS0_19digamma_kernel_cudaERNS_18TensorIteratorBaseEENKUlvE_clEvENKUlvE_clEvEUldE_St5arrayIPcLm2EEEEviT0_T1_,comdat
.Lfunc_end2:
	.size	_ZN2at6native29vectorized_elementwise_kernelILi16EZZZNS0_19digamma_kernel_cudaERNS_18TensorIteratorBaseEENKUlvE_clEvENKUlvE_clEvEUldE_St5arrayIPcLm2EEEEviT0_T1_, .Lfunc_end2-_ZN2at6native29vectorized_elementwise_kernelILi16EZZZNS0_19digamma_kernel_cudaERNS_18TensorIteratorBaseEENKUlvE_clEvENKUlvE_clEvEUldE_St5arrayIPcLm2EEEEviT0_T1_
                                        ; -- End function
	.set _ZN2at6native29vectorized_elementwise_kernelILi16EZZZNS0_19digamma_kernel_cudaERNS_18TensorIteratorBaseEENKUlvE_clEvENKUlvE_clEvEUldE_St5arrayIPcLm2EEEEviT0_T1_.num_vgpr, max(38, .L_ZN2at6native25elementwise_kernel_helperILb0EZZZNS0_19digamma_kernel_cudaERNS_18TensorIteratorBaseEENKUlvE_clEvENKUlvE_clEvEUldE_NS0_6memory8policies10vectorizedILi4ESt5arrayIPcLm2EELi4EEEEEvT0_T1_.num_vgpr, .L_ZN2at6native25elementwise_kernel_helperILb0EZZZNS0_19digamma_kernel_cudaERNS_18TensorIteratorBaseEENKUlvE_clEvENKUlvE_clEvEUldE_NS0_6memory8policies11unroll_baseILi256ESt5arrayIPcLm2EE23TrivialOffsetCalculatorILi1EjESE_NS7_15LoadWithoutCastENS7_16StoreWithoutCastELi4ELi1EEEEEvT0_T1_.num_vgpr)
	.set _ZN2at6native29vectorized_elementwise_kernelILi16EZZZNS0_19digamma_kernel_cudaERNS_18TensorIteratorBaseEENKUlvE_clEvENKUlvE_clEvEUldE_St5arrayIPcLm2EEEEviT0_T1_.num_agpr, max(0, .L_ZN2at6native25elementwise_kernel_helperILb0EZZZNS0_19digamma_kernel_cudaERNS_18TensorIteratorBaseEENKUlvE_clEvENKUlvE_clEvEUldE_NS0_6memory8policies10vectorizedILi4ESt5arrayIPcLm2EELi4EEEEEvT0_T1_.num_agpr, .L_ZN2at6native25elementwise_kernel_helperILb0EZZZNS0_19digamma_kernel_cudaERNS_18TensorIteratorBaseEENKUlvE_clEvENKUlvE_clEvEUldE_NS0_6memory8policies11unroll_baseILi256ESt5arrayIPcLm2EE23TrivialOffsetCalculatorILi1EjESE_NS7_15LoadWithoutCastENS7_16StoreWithoutCastELi4ELi1EEEEEvT0_T1_.num_agpr)
	.set _ZN2at6native29vectorized_elementwise_kernelILi16EZZZNS0_19digamma_kernel_cudaERNS_18TensorIteratorBaseEENKUlvE_clEvENKUlvE_clEvEUldE_St5arrayIPcLm2EEEEviT0_T1_.numbered_sgpr, max(33, .L_ZN2at6native25elementwise_kernel_helperILb0EZZZNS0_19digamma_kernel_cudaERNS_18TensorIteratorBaseEENKUlvE_clEvENKUlvE_clEvEUldE_NS0_6memory8policies10vectorizedILi4ESt5arrayIPcLm2EELi4EEEEEvT0_T1_.numbered_sgpr, .L_ZN2at6native25elementwise_kernel_helperILb0EZZZNS0_19digamma_kernel_cudaERNS_18TensorIteratorBaseEENKUlvE_clEvENKUlvE_clEvEUldE_NS0_6memory8policies11unroll_baseILi256ESt5arrayIPcLm2EE23TrivialOffsetCalculatorILi1EjESE_NS7_15LoadWithoutCastENS7_16StoreWithoutCastELi4ELi1EEEEEvT0_T1_.numbered_sgpr)
	.set _ZN2at6native29vectorized_elementwise_kernelILi16EZZZNS0_19digamma_kernel_cudaERNS_18TensorIteratorBaseEENKUlvE_clEvENKUlvE_clEvEUldE_St5arrayIPcLm2EEEEviT0_T1_.num_named_barrier, max(0, .L_ZN2at6native25elementwise_kernel_helperILb0EZZZNS0_19digamma_kernel_cudaERNS_18TensorIteratorBaseEENKUlvE_clEvENKUlvE_clEvEUldE_NS0_6memory8policies10vectorizedILi4ESt5arrayIPcLm2EELi4EEEEEvT0_T1_.num_named_barrier, .L_ZN2at6native25elementwise_kernel_helperILb0EZZZNS0_19digamma_kernel_cudaERNS_18TensorIteratorBaseEENKUlvE_clEvENKUlvE_clEvEUldE_NS0_6memory8policies11unroll_baseILi256ESt5arrayIPcLm2EE23TrivialOffsetCalculatorILi1EjESE_NS7_15LoadWithoutCastENS7_16StoreWithoutCastELi4ELi1EEEEEvT0_T1_.num_named_barrier)
	.set _ZN2at6native29vectorized_elementwise_kernelILi16EZZZNS0_19digamma_kernel_cudaERNS_18TensorIteratorBaseEENKUlvE_clEvENKUlvE_clEvEUldE_St5arrayIPcLm2EEEEviT0_T1_.private_seg_size, 0+max(.L_ZN2at6native25elementwise_kernel_helperILb0EZZZNS0_19digamma_kernel_cudaERNS_18TensorIteratorBaseEENKUlvE_clEvENKUlvE_clEvEUldE_NS0_6memory8policies10vectorizedILi4ESt5arrayIPcLm2EELi4EEEEEvT0_T1_.private_seg_size, .L_ZN2at6native25elementwise_kernel_helperILb0EZZZNS0_19digamma_kernel_cudaERNS_18TensorIteratorBaseEENKUlvE_clEvENKUlvE_clEvEUldE_NS0_6memory8policies11unroll_baseILi256ESt5arrayIPcLm2EE23TrivialOffsetCalculatorILi1EjESE_NS7_15LoadWithoutCastENS7_16StoreWithoutCastELi4ELi1EEEEEvT0_T1_.private_seg_size)
	.set _ZN2at6native29vectorized_elementwise_kernelILi16EZZZNS0_19digamma_kernel_cudaERNS_18TensorIteratorBaseEENKUlvE_clEvENKUlvE_clEvEUldE_St5arrayIPcLm2EEEEviT0_T1_.uses_vcc, or(1, .L_ZN2at6native25elementwise_kernel_helperILb0EZZZNS0_19digamma_kernel_cudaERNS_18TensorIteratorBaseEENKUlvE_clEvENKUlvE_clEvEUldE_NS0_6memory8policies10vectorizedILi4ESt5arrayIPcLm2EELi4EEEEEvT0_T1_.uses_vcc, .L_ZN2at6native25elementwise_kernel_helperILb0EZZZNS0_19digamma_kernel_cudaERNS_18TensorIteratorBaseEENKUlvE_clEvENKUlvE_clEvEUldE_NS0_6memory8policies11unroll_baseILi256ESt5arrayIPcLm2EE23TrivialOffsetCalculatorILi1EjESE_NS7_15LoadWithoutCastENS7_16StoreWithoutCastELi4ELi1EEEEEvT0_T1_.uses_vcc)
	.set _ZN2at6native29vectorized_elementwise_kernelILi16EZZZNS0_19digamma_kernel_cudaERNS_18TensorIteratorBaseEENKUlvE_clEvENKUlvE_clEvEUldE_St5arrayIPcLm2EEEEviT0_T1_.uses_flat_scratch, or(0, .L_ZN2at6native25elementwise_kernel_helperILb0EZZZNS0_19digamma_kernel_cudaERNS_18TensorIteratorBaseEENKUlvE_clEvENKUlvE_clEvEUldE_NS0_6memory8policies10vectorizedILi4ESt5arrayIPcLm2EELi4EEEEEvT0_T1_.uses_flat_scratch, .L_ZN2at6native25elementwise_kernel_helperILb0EZZZNS0_19digamma_kernel_cudaERNS_18TensorIteratorBaseEENKUlvE_clEvENKUlvE_clEvEUldE_NS0_6memory8policies11unroll_baseILi256ESt5arrayIPcLm2EE23TrivialOffsetCalculatorILi1EjESE_NS7_15LoadWithoutCastENS7_16StoreWithoutCastELi4ELi1EEEEEvT0_T1_.uses_flat_scratch)
	.set _ZN2at6native29vectorized_elementwise_kernelILi16EZZZNS0_19digamma_kernel_cudaERNS_18TensorIteratorBaseEENKUlvE_clEvENKUlvE_clEvEUldE_St5arrayIPcLm2EEEEviT0_T1_.has_dyn_sized_stack, or(0, .L_ZN2at6native25elementwise_kernel_helperILb0EZZZNS0_19digamma_kernel_cudaERNS_18TensorIteratorBaseEENKUlvE_clEvENKUlvE_clEvEUldE_NS0_6memory8policies10vectorizedILi4ESt5arrayIPcLm2EELi4EEEEEvT0_T1_.has_dyn_sized_stack, .L_ZN2at6native25elementwise_kernel_helperILb0EZZZNS0_19digamma_kernel_cudaERNS_18TensorIteratorBaseEENKUlvE_clEvENKUlvE_clEvEUldE_NS0_6memory8policies11unroll_baseILi256ESt5arrayIPcLm2EE23TrivialOffsetCalculatorILi1EjESE_NS7_15LoadWithoutCastENS7_16StoreWithoutCastELi4ELi1EEEEEvT0_T1_.has_dyn_sized_stack)
	.set _ZN2at6native29vectorized_elementwise_kernelILi16EZZZNS0_19digamma_kernel_cudaERNS_18TensorIteratorBaseEENKUlvE_clEvENKUlvE_clEvEUldE_St5arrayIPcLm2EEEEviT0_T1_.has_recursion, or(0, .L_ZN2at6native25elementwise_kernel_helperILb0EZZZNS0_19digamma_kernel_cudaERNS_18TensorIteratorBaseEENKUlvE_clEvENKUlvE_clEvEUldE_NS0_6memory8policies10vectorizedILi4ESt5arrayIPcLm2EELi4EEEEEvT0_T1_.has_recursion, .L_ZN2at6native25elementwise_kernel_helperILb0EZZZNS0_19digamma_kernel_cudaERNS_18TensorIteratorBaseEENKUlvE_clEvENKUlvE_clEvEUldE_NS0_6memory8policies11unroll_baseILi256ESt5arrayIPcLm2EE23TrivialOffsetCalculatorILi1EjESE_NS7_15LoadWithoutCastENS7_16StoreWithoutCastELi4ELi1EEEEEvT0_T1_.has_recursion)
	.set _ZN2at6native29vectorized_elementwise_kernelILi16EZZZNS0_19digamma_kernel_cudaERNS_18TensorIteratorBaseEENKUlvE_clEvENKUlvE_clEvEUldE_St5arrayIPcLm2EEEEviT0_T1_.has_indirect_call, or(0, .L_ZN2at6native25elementwise_kernel_helperILb0EZZZNS0_19digamma_kernel_cudaERNS_18TensorIteratorBaseEENKUlvE_clEvENKUlvE_clEvEUldE_NS0_6memory8policies10vectorizedILi4ESt5arrayIPcLm2EELi4EEEEEvT0_T1_.has_indirect_call, .L_ZN2at6native25elementwise_kernel_helperILb0EZZZNS0_19digamma_kernel_cudaERNS_18TensorIteratorBaseEENKUlvE_clEvENKUlvE_clEvEUldE_NS0_6memory8policies11unroll_baseILi256ESt5arrayIPcLm2EE23TrivialOffsetCalculatorILi1EjESE_NS7_15LoadWithoutCastENS7_16StoreWithoutCastELi4ELi1EEEEEvT0_T1_.has_indirect_call)
	.section	.AMDGPU.csdata,"",@progbits
; Kernel info:
; codeLenInByte = 180
; TotalNumSgprs: 37
; NumVgprs: 54
; ScratchSize: 0
; MemoryBound: 0
; FloatMode: 240
; IeeeMode: 1
; LDSByteSize: 0 bytes/workgroup (compile time only)
; SGPRBlocks: 4
; VGPRBlocks: 13
; NumSGPRsForWavesPerEU: 37
; NumVGPRsForWavesPerEU: 54
; Occupancy: 4
; WaveLimiterHint : 0
; COMPUTE_PGM_RSRC2:SCRATCH_EN: 0
; COMPUTE_PGM_RSRC2:USER_SGPR: 6
; COMPUTE_PGM_RSRC2:TRAP_HANDLER: 0
; COMPUTE_PGM_RSRC2:TGID_X_EN: 1
; COMPUTE_PGM_RSRC2:TGID_Y_EN: 0
; COMPUTE_PGM_RSRC2:TGID_Z_EN: 0
; COMPUTE_PGM_RSRC2:TIDIG_COMP_CNT: 0
	.section	.text._ZN2at6native29vectorized_elementwise_kernelILi8EZZZNS0_19digamma_kernel_cudaERNS_18TensorIteratorBaseEENKUlvE_clEvENKUlvE_clEvEUldE_St5arrayIPcLm2EEEEviT0_T1_,"axG",@progbits,_ZN2at6native29vectorized_elementwise_kernelILi8EZZZNS0_19digamma_kernel_cudaERNS_18TensorIteratorBaseEENKUlvE_clEvENKUlvE_clEvEUldE_St5arrayIPcLm2EEEEviT0_T1_,comdat
	.globl	_ZN2at6native29vectorized_elementwise_kernelILi8EZZZNS0_19digamma_kernel_cudaERNS_18TensorIteratorBaseEENKUlvE_clEvENKUlvE_clEvEUldE_St5arrayIPcLm2EEEEviT0_T1_ ; -- Begin function _ZN2at6native29vectorized_elementwise_kernelILi8EZZZNS0_19digamma_kernel_cudaERNS_18TensorIteratorBaseEENKUlvE_clEvENKUlvE_clEvEUldE_St5arrayIPcLm2EEEEviT0_T1_
	.p2align	8
	.type	_ZN2at6native29vectorized_elementwise_kernelILi8EZZZNS0_19digamma_kernel_cudaERNS_18TensorIteratorBaseEENKUlvE_clEvENKUlvE_clEvEUldE_St5arrayIPcLm2EEEEviT0_T1_,@function
_ZN2at6native29vectorized_elementwise_kernelILi8EZZZNS0_19digamma_kernel_cudaERNS_18TensorIteratorBaseEENKUlvE_clEvENKUlvE_clEvEUldE_St5arrayIPcLm2EEEEviT0_T1_: ; @_ZN2at6native29vectorized_elementwise_kernelILi8EZZZNS0_19digamma_kernel_cudaERNS_18TensorIteratorBaseEENKUlvE_clEvENKUlvE_clEvEUldE_St5arrayIPcLm2EEEEviT0_T1_
; %bb.0:
	s_mov_b32 s20, s6
	s_load_dword s6, s[4:5], 0x0
	s_load_dwordx4 s[24:27], s[4:5], 0x8
	s_add_u32 s0, s0, s7
	s_addc_u32 s1, s1, 0
	s_lshl_b32 s4, s20, 10
	s_waitcnt lgkmcnt(0)
	s_sub_i32 s21, s6, s4
	v_mov_b32_e32 v37, v0
	s_cmpk_gt_i32 s21, 0x3ff
	s_mov_b64 s[4:5], -1
	s_mov_b32 s32, 0
	s_cbranch_scc1 .LBB3_3
; %bb.1:
	s_andn2_b64 vcc, exec, s[4:5]
	s_cbranch_vccz .LBB3_4
.LBB3_2:
	s_endpgm
.LBB3_3:
	s_getpc_b64 s[4:5]
	s_add_u32 s4, s4, _ZN2at6native25elementwise_kernel_helperILb0EZZZNS0_19digamma_kernel_cudaERNS_18TensorIteratorBaseEENKUlvE_clEvENKUlvE_clEvEUldE_NS0_6memory8policies10vectorizedILi4ESt5arrayIPcLm2EELi4EEEEEvT0_T1_@rel32@lo+4
	s_addc_u32 s5, s5, _ZN2at6native25elementwise_kernel_helperILb0EZZZNS0_19digamma_kernel_cudaERNS_18TensorIteratorBaseEENKUlvE_clEvENKUlvE_clEvEUldE_NS0_6memory8policies10vectorizedILi4ESt5arrayIPcLm2EELi4EEEEEvT0_T1_@rel32@hi+12
	s_mov_b32 s12, s20
	v_mov_b32_e32 v31, v37
	v_mov_b32_e32 v0, s24
	;; [unrolled: 1-line block ×5, first 2 shown]
	s_swappc_b64 s[30:31], s[4:5]
	s_cbranch_execnz .LBB3_2
.LBB3_4:
	s_getpc_b64 s[4:5]
	s_add_u32 s4, s4, _ZN2at6native25elementwise_kernel_helperILb0EZZZNS0_19digamma_kernel_cudaERNS_18TensorIteratorBaseEENKUlvE_clEvENKUlvE_clEvEUldE_NS0_6memory8policies11unroll_baseILi256ESt5arrayIPcLm2EE23TrivialOffsetCalculatorILi1EjESE_NS7_15LoadWithoutCastENS7_16StoreWithoutCastELi4ELi1EEEEEvT0_T1_@rel32@lo+4
	s_addc_u32 s5, s5, _ZN2at6native25elementwise_kernel_helperILb0EZZZNS0_19digamma_kernel_cudaERNS_18TensorIteratorBaseEENKUlvE_clEvENKUlvE_clEvEUldE_NS0_6memory8policies11unroll_baseILi256ESt5arrayIPcLm2EE23TrivialOffsetCalculatorILi1EjESE_NS7_15LoadWithoutCastENS7_16StoreWithoutCastELi4ELi1EEEEEvT0_T1_@rel32@hi+12
	s_mov_b32 s12, s20
	v_mov_b32_e32 v31, v37
	v_mov_b32_e32 v0, s24
	;; [unrolled: 1-line block ×6, first 2 shown]
	s_swappc_b64 s[30:31], s[4:5]
	s_endpgm
	.section	.rodata,"a",@progbits
	.p2align	6, 0x0
	.amdhsa_kernel _ZN2at6native29vectorized_elementwise_kernelILi8EZZZNS0_19digamma_kernel_cudaERNS_18TensorIteratorBaseEENKUlvE_clEvENKUlvE_clEvEUldE_St5arrayIPcLm2EEEEviT0_T1_
		.amdhsa_group_segment_fixed_size 0
		.amdhsa_private_segment_fixed_size 0
		.amdhsa_kernarg_size 24
		.amdhsa_user_sgpr_count 6
		.amdhsa_user_sgpr_private_segment_buffer 1
		.amdhsa_user_sgpr_dispatch_ptr 0
		.amdhsa_user_sgpr_queue_ptr 0
		.amdhsa_user_sgpr_kernarg_segment_ptr 1
		.amdhsa_user_sgpr_dispatch_id 0
		.amdhsa_user_sgpr_flat_scratch_init 0
		.amdhsa_user_sgpr_private_segment_size 0
		.amdhsa_uses_dynamic_stack 0
		.amdhsa_system_sgpr_private_segment_wavefront_offset 0
		.amdhsa_system_sgpr_workgroup_id_x 1
		.amdhsa_system_sgpr_workgroup_id_y 0
		.amdhsa_system_sgpr_workgroup_id_z 0
		.amdhsa_system_sgpr_workgroup_info 0
		.amdhsa_system_vgpr_workitem_id 0
		.amdhsa_next_free_vgpr 54
		.amdhsa_next_free_sgpr 33
		.amdhsa_reserve_vcc 1
		.amdhsa_reserve_flat_scratch 0
		.amdhsa_float_round_mode_32 0
		.amdhsa_float_round_mode_16_64 0
		.amdhsa_float_denorm_mode_32 3
		.amdhsa_float_denorm_mode_16_64 3
		.amdhsa_dx10_clamp 1
		.amdhsa_ieee_mode 1
		.amdhsa_fp16_overflow 0
		.amdhsa_exception_fp_ieee_invalid_op 0
		.amdhsa_exception_fp_denorm_src 0
		.amdhsa_exception_fp_ieee_div_zero 0
		.amdhsa_exception_fp_ieee_overflow 0
		.amdhsa_exception_fp_ieee_underflow 0
		.amdhsa_exception_fp_ieee_inexact 0
		.amdhsa_exception_int_div_zero 0
	.end_amdhsa_kernel
	.section	.text._ZN2at6native29vectorized_elementwise_kernelILi8EZZZNS0_19digamma_kernel_cudaERNS_18TensorIteratorBaseEENKUlvE_clEvENKUlvE_clEvEUldE_St5arrayIPcLm2EEEEviT0_T1_,"axG",@progbits,_ZN2at6native29vectorized_elementwise_kernelILi8EZZZNS0_19digamma_kernel_cudaERNS_18TensorIteratorBaseEENKUlvE_clEvENKUlvE_clEvEUldE_St5arrayIPcLm2EEEEviT0_T1_,comdat
.Lfunc_end3:
	.size	_ZN2at6native29vectorized_elementwise_kernelILi8EZZZNS0_19digamma_kernel_cudaERNS_18TensorIteratorBaseEENKUlvE_clEvENKUlvE_clEvEUldE_St5arrayIPcLm2EEEEviT0_T1_, .Lfunc_end3-_ZN2at6native29vectorized_elementwise_kernelILi8EZZZNS0_19digamma_kernel_cudaERNS_18TensorIteratorBaseEENKUlvE_clEvENKUlvE_clEvEUldE_St5arrayIPcLm2EEEEviT0_T1_
                                        ; -- End function
	.set _ZN2at6native29vectorized_elementwise_kernelILi8EZZZNS0_19digamma_kernel_cudaERNS_18TensorIteratorBaseEENKUlvE_clEvENKUlvE_clEvEUldE_St5arrayIPcLm2EEEEviT0_T1_.num_vgpr, max(38, .L_ZN2at6native25elementwise_kernel_helperILb0EZZZNS0_19digamma_kernel_cudaERNS_18TensorIteratorBaseEENKUlvE_clEvENKUlvE_clEvEUldE_NS0_6memory8policies10vectorizedILi4ESt5arrayIPcLm2EELi4EEEEEvT0_T1_.num_vgpr, .L_ZN2at6native25elementwise_kernel_helperILb0EZZZNS0_19digamma_kernel_cudaERNS_18TensorIteratorBaseEENKUlvE_clEvENKUlvE_clEvEUldE_NS0_6memory8policies11unroll_baseILi256ESt5arrayIPcLm2EE23TrivialOffsetCalculatorILi1EjESE_NS7_15LoadWithoutCastENS7_16StoreWithoutCastELi4ELi1EEEEEvT0_T1_.num_vgpr)
	.set _ZN2at6native29vectorized_elementwise_kernelILi8EZZZNS0_19digamma_kernel_cudaERNS_18TensorIteratorBaseEENKUlvE_clEvENKUlvE_clEvEUldE_St5arrayIPcLm2EEEEviT0_T1_.num_agpr, max(0, .L_ZN2at6native25elementwise_kernel_helperILb0EZZZNS0_19digamma_kernel_cudaERNS_18TensorIteratorBaseEENKUlvE_clEvENKUlvE_clEvEUldE_NS0_6memory8policies10vectorizedILi4ESt5arrayIPcLm2EELi4EEEEEvT0_T1_.num_agpr, .L_ZN2at6native25elementwise_kernel_helperILb0EZZZNS0_19digamma_kernel_cudaERNS_18TensorIteratorBaseEENKUlvE_clEvENKUlvE_clEvEUldE_NS0_6memory8policies11unroll_baseILi256ESt5arrayIPcLm2EE23TrivialOffsetCalculatorILi1EjESE_NS7_15LoadWithoutCastENS7_16StoreWithoutCastELi4ELi1EEEEEvT0_T1_.num_agpr)
	.set _ZN2at6native29vectorized_elementwise_kernelILi8EZZZNS0_19digamma_kernel_cudaERNS_18TensorIteratorBaseEENKUlvE_clEvENKUlvE_clEvEUldE_St5arrayIPcLm2EEEEviT0_T1_.numbered_sgpr, max(33, .L_ZN2at6native25elementwise_kernel_helperILb0EZZZNS0_19digamma_kernel_cudaERNS_18TensorIteratorBaseEENKUlvE_clEvENKUlvE_clEvEUldE_NS0_6memory8policies10vectorizedILi4ESt5arrayIPcLm2EELi4EEEEEvT0_T1_.numbered_sgpr, .L_ZN2at6native25elementwise_kernel_helperILb0EZZZNS0_19digamma_kernel_cudaERNS_18TensorIteratorBaseEENKUlvE_clEvENKUlvE_clEvEUldE_NS0_6memory8policies11unroll_baseILi256ESt5arrayIPcLm2EE23TrivialOffsetCalculatorILi1EjESE_NS7_15LoadWithoutCastENS7_16StoreWithoutCastELi4ELi1EEEEEvT0_T1_.numbered_sgpr)
	.set _ZN2at6native29vectorized_elementwise_kernelILi8EZZZNS0_19digamma_kernel_cudaERNS_18TensorIteratorBaseEENKUlvE_clEvENKUlvE_clEvEUldE_St5arrayIPcLm2EEEEviT0_T1_.num_named_barrier, max(0, .L_ZN2at6native25elementwise_kernel_helperILb0EZZZNS0_19digamma_kernel_cudaERNS_18TensorIteratorBaseEENKUlvE_clEvENKUlvE_clEvEUldE_NS0_6memory8policies10vectorizedILi4ESt5arrayIPcLm2EELi4EEEEEvT0_T1_.num_named_barrier, .L_ZN2at6native25elementwise_kernel_helperILb0EZZZNS0_19digamma_kernel_cudaERNS_18TensorIteratorBaseEENKUlvE_clEvENKUlvE_clEvEUldE_NS0_6memory8policies11unroll_baseILi256ESt5arrayIPcLm2EE23TrivialOffsetCalculatorILi1EjESE_NS7_15LoadWithoutCastENS7_16StoreWithoutCastELi4ELi1EEEEEvT0_T1_.num_named_barrier)
	.set _ZN2at6native29vectorized_elementwise_kernelILi8EZZZNS0_19digamma_kernel_cudaERNS_18TensorIteratorBaseEENKUlvE_clEvENKUlvE_clEvEUldE_St5arrayIPcLm2EEEEviT0_T1_.private_seg_size, 0+max(.L_ZN2at6native25elementwise_kernel_helperILb0EZZZNS0_19digamma_kernel_cudaERNS_18TensorIteratorBaseEENKUlvE_clEvENKUlvE_clEvEUldE_NS0_6memory8policies10vectorizedILi4ESt5arrayIPcLm2EELi4EEEEEvT0_T1_.private_seg_size, .L_ZN2at6native25elementwise_kernel_helperILb0EZZZNS0_19digamma_kernel_cudaERNS_18TensorIteratorBaseEENKUlvE_clEvENKUlvE_clEvEUldE_NS0_6memory8policies11unroll_baseILi256ESt5arrayIPcLm2EE23TrivialOffsetCalculatorILi1EjESE_NS7_15LoadWithoutCastENS7_16StoreWithoutCastELi4ELi1EEEEEvT0_T1_.private_seg_size)
	.set _ZN2at6native29vectorized_elementwise_kernelILi8EZZZNS0_19digamma_kernel_cudaERNS_18TensorIteratorBaseEENKUlvE_clEvENKUlvE_clEvEUldE_St5arrayIPcLm2EEEEviT0_T1_.uses_vcc, or(1, .L_ZN2at6native25elementwise_kernel_helperILb0EZZZNS0_19digamma_kernel_cudaERNS_18TensorIteratorBaseEENKUlvE_clEvENKUlvE_clEvEUldE_NS0_6memory8policies10vectorizedILi4ESt5arrayIPcLm2EELi4EEEEEvT0_T1_.uses_vcc, .L_ZN2at6native25elementwise_kernel_helperILb0EZZZNS0_19digamma_kernel_cudaERNS_18TensorIteratorBaseEENKUlvE_clEvENKUlvE_clEvEUldE_NS0_6memory8policies11unroll_baseILi256ESt5arrayIPcLm2EE23TrivialOffsetCalculatorILi1EjESE_NS7_15LoadWithoutCastENS7_16StoreWithoutCastELi4ELi1EEEEEvT0_T1_.uses_vcc)
	.set _ZN2at6native29vectorized_elementwise_kernelILi8EZZZNS0_19digamma_kernel_cudaERNS_18TensorIteratorBaseEENKUlvE_clEvENKUlvE_clEvEUldE_St5arrayIPcLm2EEEEviT0_T1_.uses_flat_scratch, or(0, .L_ZN2at6native25elementwise_kernel_helperILb0EZZZNS0_19digamma_kernel_cudaERNS_18TensorIteratorBaseEENKUlvE_clEvENKUlvE_clEvEUldE_NS0_6memory8policies10vectorizedILi4ESt5arrayIPcLm2EELi4EEEEEvT0_T1_.uses_flat_scratch, .L_ZN2at6native25elementwise_kernel_helperILb0EZZZNS0_19digamma_kernel_cudaERNS_18TensorIteratorBaseEENKUlvE_clEvENKUlvE_clEvEUldE_NS0_6memory8policies11unroll_baseILi256ESt5arrayIPcLm2EE23TrivialOffsetCalculatorILi1EjESE_NS7_15LoadWithoutCastENS7_16StoreWithoutCastELi4ELi1EEEEEvT0_T1_.uses_flat_scratch)
	.set _ZN2at6native29vectorized_elementwise_kernelILi8EZZZNS0_19digamma_kernel_cudaERNS_18TensorIteratorBaseEENKUlvE_clEvENKUlvE_clEvEUldE_St5arrayIPcLm2EEEEviT0_T1_.has_dyn_sized_stack, or(0, .L_ZN2at6native25elementwise_kernel_helperILb0EZZZNS0_19digamma_kernel_cudaERNS_18TensorIteratorBaseEENKUlvE_clEvENKUlvE_clEvEUldE_NS0_6memory8policies10vectorizedILi4ESt5arrayIPcLm2EELi4EEEEEvT0_T1_.has_dyn_sized_stack, .L_ZN2at6native25elementwise_kernel_helperILb0EZZZNS0_19digamma_kernel_cudaERNS_18TensorIteratorBaseEENKUlvE_clEvENKUlvE_clEvEUldE_NS0_6memory8policies11unroll_baseILi256ESt5arrayIPcLm2EE23TrivialOffsetCalculatorILi1EjESE_NS7_15LoadWithoutCastENS7_16StoreWithoutCastELi4ELi1EEEEEvT0_T1_.has_dyn_sized_stack)
	.set _ZN2at6native29vectorized_elementwise_kernelILi8EZZZNS0_19digamma_kernel_cudaERNS_18TensorIteratorBaseEENKUlvE_clEvENKUlvE_clEvEUldE_St5arrayIPcLm2EEEEviT0_T1_.has_recursion, or(0, .L_ZN2at6native25elementwise_kernel_helperILb0EZZZNS0_19digamma_kernel_cudaERNS_18TensorIteratorBaseEENKUlvE_clEvENKUlvE_clEvEUldE_NS0_6memory8policies10vectorizedILi4ESt5arrayIPcLm2EELi4EEEEEvT0_T1_.has_recursion, .L_ZN2at6native25elementwise_kernel_helperILb0EZZZNS0_19digamma_kernel_cudaERNS_18TensorIteratorBaseEENKUlvE_clEvENKUlvE_clEvEUldE_NS0_6memory8policies11unroll_baseILi256ESt5arrayIPcLm2EE23TrivialOffsetCalculatorILi1EjESE_NS7_15LoadWithoutCastENS7_16StoreWithoutCastELi4ELi1EEEEEvT0_T1_.has_recursion)
	.set _ZN2at6native29vectorized_elementwise_kernelILi8EZZZNS0_19digamma_kernel_cudaERNS_18TensorIteratorBaseEENKUlvE_clEvENKUlvE_clEvEUldE_St5arrayIPcLm2EEEEviT0_T1_.has_indirect_call, or(0, .L_ZN2at6native25elementwise_kernel_helperILb0EZZZNS0_19digamma_kernel_cudaERNS_18TensorIteratorBaseEENKUlvE_clEvENKUlvE_clEvEUldE_NS0_6memory8policies10vectorizedILi4ESt5arrayIPcLm2EELi4EEEEEvT0_T1_.has_indirect_call, .L_ZN2at6native25elementwise_kernel_helperILb0EZZZNS0_19digamma_kernel_cudaERNS_18TensorIteratorBaseEENKUlvE_clEvENKUlvE_clEvEUldE_NS0_6memory8policies11unroll_baseILi256ESt5arrayIPcLm2EE23TrivialOffsetCalculatorILi1EjESE_NS7_15LoadWithoutCastENS7_16StoreWithoutCastELi4ELi1EEEEEvT0_T1_.has_indirect_call)
	.section	.AMDGPU.csdata,"",@progbits
; Kernel info:
; codeLenInByte = 180
; TotalNumSgprs: 37
; NumVgprs: 54
; ScratchSize: 0
; MemoryBound: 0
; FloatMode: 240
; IeeeMode: 1
; LDSByteSize: 0 bytes/workgroup (compile time only)
; SGPRBlocks: 4
; VGPRBlocks: 13
; NumSGPRsForWavesPerEU: 37
; NumVGPRsForWavesPerEU: 54
; Occupancy: 4
; WaveLimiterHint : 0
; COMPUTE_PGM_RSRC2:SCRATCH_EN: 0
; COMPUTE_PGM_RSRC2:USER_SGPR: 6
; COMPUTE_PGM_RSRC2:TRAP_HANDLER: 0
; COMPUTE_PGM_RSRC2:TGID_X_EN: 1
; COMPUTE_PGM_RSRC2:TGID_Y_EN: 0
; COMPUTE_PGM_RSRC2:TGID_Z_EN: 0
; COMPUTE_PGM_RSRC2:TIDIG_COMP_CNT: 0
	.section	.text._ZN2at6native29vectorized_elementwise_kernelILi4EZZZNS0_19digamma_kernel_cudaERNS_18TensorIteratorBaseEENKUlvE_clEvENKUlvE_clEvEUldE_St5arrayIPcLm2EEEEviT0_T1_,"axG",@progbits,_ZN2at6native29vectorized_elementwise_kernelILi4EZZZNS0_19digamma_kernel_cudaERNS_18TensorIteratorBaseEENKUlvE_clEvENKUlvE_clEvEUldE_St5arrayIPcLm2EEEEviT0_T1_,comdat
	.globl	_ZN2at6native29vectorized_elementwise_kernelILi4EZZZNS0_19digamma_kernel_cudaERNS_18TensorIteratorBaseEENKUlvE_clEvENKUlvE_clEvEUldE_St5arrayIPcLm2EEEEviT0_T1_ ; -- Begin function _ZN2at6native29vectorized_elementwise_kernelILi4EZZZNS0_19digamma_kernel_cudaERNS_18TensorIteratorBaseEENKUlvE_clEvENKUlvE_clEvEUldE_St5arrayIPcLm2EEEEviT0_T1_
	.p2align	8
	.type	_ZN2at6native29vectorized_elementwise_kernelILi4EZZZNS0_19digamma_kernel_cudaERNS_18TensorIteratorBaseEENKUlvE_clEvENKUlvE_clEvEUldE_St5arrayIPcLm2EEEEviT0_T1_,@function
_ZN2at6native29vectorized_elementwise_kernelILi4EZZZNS0_19digamma_kernel_cudaERNS_18TensorIteratorBaseEENKUlvE_clEvENKUlvE_clEvEUldE_St5arrayIPcLm2EEEEviT0_T1_: ; @_ZN2at6native29vectorized_elementwise_kernelILi4EZZZNS0_19digamma_kernel_cudaERNS_18TensorIteratorBaseEENKUlvE_clEvENKUlvE_clEvEUldE_St5arrayIPcLm2EEEEviT0_T1_
; %bb.0:
	s_mov_b32 s20, s6
	s_load_dword s6, s[4:5], 0x0
	s_load_dwordx4 s[24:27], s[4:5], 0x8
	s_add_u32 s0, s0, s7
	s_addc_u32 s1, s1, 0
	s_lshl_b32 s4, s20, 10
	s_waitcnt lgkmcnt(0)
	s_sub_i32 s21, s6, s4
	v_mov_b32_e32 v37, v0
	s_cmpk_gt_i32 s21, 0x3ff
	s_mov_b64 s[4:5], -1
	s_mov_b32 s32, 0
	s_cbranch_scc1 .LBB4_3
; %bb.1:
	s_andn2_b64 vcc, exec, s[4:5]
	s_cbranch_vccz .LBB4_4
.LBB4_2:
	s_endpgm
.LBB4_3:
	s_getpc_b64 s[4:5]
	s_add_u32 s4, s4, _ZN2at6native25elementwise_kernel_helperILb0EZZZNS0_19digamma_kernel_cudaERNS_18TensorIteratorBaseEENKUlvE_clEvENKUlvE_clEvEUldE_NS0_6memory8policies10vectorizedILi4ESt5arrayIPcLm2EELi4EEEEEvT0_T1_@rel32@lo+4
	s_addc_u32 s5, s5, _ZN2at6native25elementwise_kernel_helperILb0EZZZNS0_19digamma_kernel_cudaERNS_18TensorIteratorBaseEENKUlvE_clEvENKUlvE_clEvEUldE_NS0_6memory8policies10vectorizedILi4ESt5arrayIPcLm2EELi4EEEEEvT0_T1_@rel32@hi+12
	s_mov_b32 s12, s20
	v_mov_b32_e32 v31, v37
	v_mov_b32_e32 v0, s24
	;; [unrolled: 1-line block ×5, first 2 shown]
	s_swappc_b64 s[30:31], s[4:5]
	s_cbranch_execnz .LBB4_2
.LBB4_4:
	s_getpc_b64 s[4:5]
	s_add_u32 s4, s4, _ZN2at6native25elementwise_kernel_helperILb0EZZZNS0_19digamma_kernel_cudaERNS_18TensorIteratorBaseEENKUlvE_clEvENKUlvE_clEvEUldE_NS0_6memory8policies11unroll_baseILi256ESt5arrayIPcLm2EE23TrivialOffsetCalculatorILi1EjESE_NS7_15LoadWithoutCastENS7_16StoreWithoutCastELi4ELi1EEEEEvT0_T1_@rel32@lo+4
	s_addc_u32 s5, s5, _ZN2at6native25elementwise_kernel_helperILb0EZZZNS0_19digamma_kernel_cudaERNS_18TensorIteratorBaseEENKUlvE_clEvENKUlvE_clEvEUldE_NS0_6memory8policies11unroll_baseILi256ESt5arrayIPcLm2EE23TrivialOffsetCalculatorILi1EjESE_NS7_15LoadWithoutCastENS7_16StoreWithoutCastELi4ELi1EEEEEvT0_T1_@rel32@hi+12
	s_mov_b32 s12, s20
	v_mov_b32_e32 v31, v37
	v_mov_b32_e32 v0, s24
	;; [unrolled: 1-line block ×6, first 2 shown]
	s_swappc_b64 s[30:31], s[4:5]
	s_endpgm
	.section	.rodata,"a",@progbits
	.p2align	6, 0x0
	.amdhsa_kernel _ZN2at6native29vectorized_elementwise_kernelILi4EZZZNS0_19digamma_kernel_cudaERNS_18TensorIteratorBaseEENKUlvE_clEvENKUlvE_clEvEUldE_St5arrayIPcLm2EEEEviT0_T1_
		.amdhsa_group_segment_fixed_size 0
		.amdhsa_private_segment_fixed_size 0
		.amdhsa_kernarg_size 24
		.amdhsa_user_sgpr_count 6
		.amdhsa_user_sgpr_private_segment_buffer 1
		.amdhsa_user_sgpr_dispatch_ptr 0
		.amdhsa_user_sgpr_queue_ptr 0
		.amdhsa_user_sgpr_kernarg_segment_ptr 1
		.amdhsa_user_sgpr_dispatch_id 0
		.amdhsa_user_sgpr_flat_scratch_init 0
		.amdhsa_user_sgpr_private_segment_size 0
		.amdhsa_uses_dynamic_stack 0
		.amdhsa_system_sgpr_private_segment_wavefront_offset 0
		.amdhsa_system_sgpr_workgroup_id_x 1
		.amdhsa_system_sgpr_workgroup_id_y 0
		.amdhsa_system_sgpr_workgroup_id_z 0
		.amdhsa_system_sgpr_workgroup_info 0
		.amdhsa_system_vgpr_workitem_id 0
		.amdhsa_next_free_vgpr 54
		.amdhsa_next_free_sgpr 33
		.amdhsa_reserve_vcc 1
		.amdhsa_reserve_flat_scratch 0
		.amdhsa_float_round_mode_32 0
		.amdhsa_float_round_mode_16_64 0
		.amdhsa_float_denorm_mode_32 3
		.amdhsa_float_denorm_mode_16_64 3
		.amdhsa_dx10_clamp 1
		.amdhsa_ieee_mode 1
		.amdhsa_fp16_overflow 0
		.amdhsa_exception_fp_ieee_invalid_op 0
		.amdhsa_exception_fp_denorm_src 0
		.amdhsa_exception_fp_ieee_div_zero 0
		.amdhsa_exception_fp_ieee_overflow 0
		.amdhsa_exception_fp_ieee_underflow 0
		.amdhsa_exception_fp_ieee_inexact 0
		.amdhsa_exception_int_div_zero 0
	.end_amdhsa_kernel
	.section	.text._ZN2at6native29vectorized_elementwise_kernelILi4EZZZNS0_19digamma_kernel_cudaERNS_18TensorIteratorBaseEENKUlvE_clEvENKUlvE_clEvEUldE_St5arrayIPcLm2EEEEviT0_T1_,"axG",@progbits,_ZN2at6native29vectorized_elementwise_kernelILi4EZZZNS0_19digamma_kernel_cudaERNS_18TensorIteratorBaseEENKUlvE_clEvENKUlvE_clEvEUldE_St5arrayIPcLm2EEEEviT0_T1_,comdat
.Lfunc_end4:
	.size	_ZN2at6native29vectorized_elementwise_kernelILi4EZZZNS0_19digamma_kernel_cudaERNS_18TensorIteratorBaseEENKUlvE_clEvENKUlvE_clEvEUldE_St5arrayIPcLm2EEEEviT0_T1_, .Lfunc_end4-_ZN2at6native29vectorized_elementwise_kernelILi4EZZZNS0_19digamma_kernel_cudaERNS_18TensorIteratorBaseEENKUlvE_clEvENKUlvE_clEvEUldE_St5arrayIPcLm2EEEEviT0_T1_
                                        ; -- End function
	.set _ZN2at6native29vectorized_elementwise_kernelILi4EZZZNS0_19digamma_kernel_cudaERNS_18TensorIteratorBaseEENKUlvE_clEvENKUlvE_clEvEUldE_St5arrayIPcLm2EEEEviT0_T1_.num_vgpr, max(38, .L_ZN2at6native25elementwise_kernel_helperILb0EZZZNS0_19digamma_kernel_cudaERNS_18TensorIteratorBaseEENKUlvE_clEvENKUlvE_clEvEUldE_NS0_6memory8policies10vectorizedILi4ESt5arrayIPcLm2EELi4EEEEEvT0_T1_.num_vgpr, .L_ZN2at6native25elementwise_kernel_helperILb0EZZZNS0_19digamma_kernel_cudaERNS_18TensorIteratorBaseEENKUlvE_clEvENKUlvE_clEvEUldE_NS0_6memory8policies11unroll_baseILi256ESt5arrayIPcLm2EE23TrivialOffsetCalculatorILi1EjESE_NS7_15LoadWithoutCastENS7_16StoreWithoutCastELi4ELi1EEEEEvT0_T1_.num_vgpr)
	.set _ZN2at6native29vectorized_elementwise_kernelILi4EZZZNS0_19digamma_kernel_cudaERNS_18TensorIteratorBaseEENKUlvE_clEvENKUlvE_clEvEUldE_St5arrayIPcLm2EEEEviT0_T1_.num_agpr, max(0, .L_ZN2at6native25elementwise_kernel_helperILb0EZZZNS0_19digamma_kernel_cudaERNS_18TensorIteratorBaseEENKUlvE_clEvENKUlvE_clEvEUldE_NS0_6memory8policies10vectorizedILi4ESt5arrayIPcLm2EELi4EEEEEvT0_T1_.num_agpr, .L_ZN2at6native25elementwise_kernel_helperILb0EZZZNS0_19digamma_kernel_cudaERNS_18TensorIteratorBaseEENKUlvE_clEvENKUlvE_clEvEUldE_NS0_6memory8policies11unroll_baseILi256ESt5arrayIPcLm2EE23TrivialOffsetCalculatorILi1EjESE_NS7_15LoadWithoutCastENS7_16StoreWithoutCastELi4ELi1EEEEEvT0_T1_.num_agpr)
	.set _ZN2at6native29vectorized_elementwise_kernelILi4EZZZNS0_19digamma_kernel_cudaERNS_18TensorIteratorBaseEENKUlvE_clEvENKUlvE_clEvEUldE_St5arrayIPcLm2EEEEviT0_T1_.numbered_sgpr, max(33, .L_ZN2at6native25elementwise_kernel_helperILb0EZZZNS0_19digamma_kernel_cudaERNS_18TensorIteratorBaseEENKUlvE_clEvENKUlvE_clEvEUldE_NS0_6memory8policies10vectorizedILi4ESt5arrayIPcLm2EELi4EEEEEvT0_T1_.numbered_sgpr, .L_ZN2at6native25elementwise_kernel_helperILb0EZZZNS0_19digamma_kernel_cudaERNS_18TensorIteratorBaseEENKUlvE_clEvENKUlvE_clEvEUldE_NS0_6memory8policies11unroll_baseILi256ESt5arrayIPcLm2EE23TrivialOffsetCalculatorILi1EjESE_NS7_15LoadWithoutCastENS7_16StoreWithoutCastELi4ELi1EEEEEvT0_T1_.numbered_sgpr)
	.set _ZN2at6native29vectorized_elementwise_kernelILi4EZZZNS0_19digamma_kernel_cudaERNS_18TensorIteratorBaseEENKUlvE_clEvENKUlvE_clEvEUldE_St5arrayIPcLm2EEEEviT0_T1_.num_named_barrier, max(0, .L_ZN2at6native25elementwise_kernel_helperILb0EZZZNS0_19digamma_kernel_cudaERNS_18TensorIteratorBaseEENKUlvE_clEvENKUlvE_clEvEUldE_NS0_6memory8policies10vectorizedILi4ESt5arrayIPcLm2EELi4EEEEEvT0_T1_.num_named_barrier, .L_ZN2at6native25elementwise_kernel_helperILb0EZZZNS0_19digamma_kernel_cudaERNS_18TensorIteratorBaseEENKUlvE_clEvENKUlvE_clEvEUldE_NS0_6memory8policies11unroll_baseILi256ESt5arrayIPcLm2EE23TrivialOffsetCalculatorILi1EjESE_NS7_15LoadWithoutCastENS7_16StoreWithoutCastELi4ELi1EEEEEvT0_T1_.num_named_barrier)
	.set _ZN2at6native29vectorized_elementwise_kernelILi4EZZZNS0_19digamma_kernel_cudaERNS_18TensorIteratorBaseEENKUlvE_clEvENKUlvE_clEvEUldE_St5arrayIPcLm2EEEEviT0_T1_.private_seg_size, 0+max(.L_ZN2at6native25elementwise_kernel_helperILb0EZZZNS0_19digamma_kernel_cudaERNS_18TensorIteratorBaseEENKUlvE_clEvENKUlvE_clEvEUldE_NS0_6memory8policies10vectorizedILi4ESt5arrayIPcLm2EELi4EEEEEvT0_T1_.private_seg_size, .L_ZN2at6native25elementwise_kernel_helperILb0EZZZNS0_19digamma_kernel_cudaERNS_18TensorIteratorBaseEENKUlvE_clEvENKUlvE_clEvEUldE_NS0_6memory8policies11unroll_baseILi256ESt5arrayIPcLm2EE23TrivialOffsetCalculatorILi1EjESE_NS7_15LoadWithoutCastENS7_16StoreWithoutCastELi4ELi1EEEEEvT0_T1_.private_seg_size)
	.set _ZN2at6native29vectorized_elementwise_kernelILi4EZZZNS0_19digamma_kernel_cudaERNS_18TensorIteratorBaseEENKUlvE_clEvENKUlvE_clEvEUldE_St5arrayIPcLm2EEEEviT0_T1_.uses_vcc, or(1, .L_ZN2at6native25elementwise_kernel_helperILb0EZZZNS0_19digamma_kernel_cudaERNS_18TensorIteratorBaseEENKUlvE_clEvENKUlvE_clEvEUldE_NS0_6memory8policies10vectorizedILi4ESt5arrayIPcLm2EELi4EEEEEvT0_T1_.uses_vcc, .L_ZN2at6native25elementwise_kernel_helperILb0EZZZNS0_19digamma_kernel_cudaERNS_18TensorIteratorBaseEENKUlvE_clEvENKUlvE_clEvEUldE_NS0_6memory8policies11unroll_baseILi256ESt5arrayIPcLm2EE23TrivialOffsetCalculatorILi1EjESE_NS7_15LoadWithoutCastENS7_16StoreWithoutCastELi4ELi1EEEEEvT0_T1_.uses_vcc)
	.set _ZN2at6native29vectorized_elementwise_kernelILi4EZZZNS0_19digamma_kernel_cudaERNS_18TensorIteratorBaseEENKUlvE_clEvENKUlvE_clEvEUldE_St5arrayIPcLm2EEEEviT0_T1_.uses_flat_scratch, or(0, .L_ZN2at6native25elementwise_kernel_helperILb0EZZZNS0_19digamma_kernel_cudaERNS_18TensorIteratorBaseEENKUlvE_clEvENKUlvE_clEvEUldE_NS0_6memory8policies10vectorizedILi4ESt5arrayIPcLm2EELi4EEEEEvT0_T1_.uses_flat_scratch, .L_ZN2at6native25elementwise_kernel_helperILb0EZZZNS0_19digamma_kernel_cudaERNS_18TensorIteratorBaseEENKUlvE_clEvENKUlvE_clEvEUldE_NS0_6memory8policies11unroll_baseILi256ESt5arrayIPcLm2EE23TrivialOffsetCalculatorILi1EjESE_NS7_15LoadWithoutCastENS7_16StoreWithoutCastELi4ELi1EEEEEvT0_T1_.uses_flat_scratch)
	.set _ZN2at6native29vectorized_elementwise_kernelILi4EZZZNS0_19digamma_kernel_cudaERNS_18TensorIteratorBaseEENKUlvE_clEvENKUlvE_clEvEUldE_St5arrayIPcLm2EEEEviT0_T1_.has_dyn_sized_stack, or(0, .L_ZN2at6native25elementwise_kernel_helperILb0EZZZNS0_19digamma_kernel_cudaERNS_18TensorIteratorBaseEENKUlvE_clEvENKUlvE_clEvEUldE_NS0_6memory8policies10vectorizedILi4ESt5arrayIPcLm2EELi4EEEEEvT0_T1_.has_dyn_sized_stack, .L_ZN2at6native25elementwise_kernel_helperILb0EZZZNS0_19digamma_kernel_cudaERNS_18TensorIteratorBaseEENKUlvE_clEvENKUlvE_clEvEUldE_NS0_6memory8policies11unroll_baseILi256ESt5arrayIPcLm2EE23TrivialOffsetCalculatorILi1EjESE_NS7_15LoadWithoutCastENS7_16StoreWithoutCastELi4ELi1EEEEEvT0_T1_.has_dyn_sized_stack)
	.set _ZN2at6native29vectorized_elementwise_kernelILi4EZZZNS0_19digamma_kernel_cudaERNS_18TensorIteratorBaseEENKUlvE_clEvENKUlvE_clEvEUldE_St5arrayIPcLm2EEEEviT0_T1_.has_recursion, or(0, .L_ZN2at6native25elementwise_kernel_helperILb0EZZZNS0_19digamma_kernel_cudaERNS_18TensorIteratorBaseEENKUlvE_clEvENKUlvE_clEvEUldE_NS0_6memory8policies10vectorizedILi4ESt5arrayIPcLm2EELi4EEEEEvT0_T1_.has_recursion, .L_ZN2at6native25elementwise_kernel_helperILb0EZZZNS0_19digamma_kernel_cudaERNS_18TensorIteratorBaseEENKUlvE_clEvENKUlvE_clEvEUldE_NS0_6memory8policies11unroll_baseILi256ESt5arrayIPcLm2EE23TrivialOffsetCalculatorILi1EjESE_NS7_15LoadWithoutCastENS7_16StoreWithoutCastELi4ELi1EEEEEvT0_T1_.has_recursion)
	.set _ZN2at6native29vectorized_elementwise_kernelILi4EZZZNS0_19digamma_kernel_cudaERNS_18TensorIteratorBaseEENKUlvE_clEvENKUlvE_clEvEUldE_St5arrayIPcLm2EEEEviT0_T1_.has_indirect_call, or(0, .L_ZN2at6native25elementwise_kernel_helperILb0EZZZNS0_19digamma_kernel_cudaERNS_18TensorIteratorBaseEENKUlvE_clEvENKUlvE_clEvEUldE_NS0_6memory8policies10vectorizedILi4ESt5arrayIPcLm2EELi4EEEEEvT0_T1_.has_indirect_call, .L_ZN2at6native25elementwise_kernel_helperILb0EZZZNS0_19digamma_kernel_cudaERNS_18TensorIteratorBaseEENKUlvE_clEvENKUlvE_clEvEUldE_NS0_6memory8policies11unroll_baseILi256ESt5arrayIPcLm2EE23TrivialOffsetCalculatorILi1EjESE_NS7_15LoadWithoutCastENS7_16StoreWithoutCastELi4ELi1EEEEEvT0_T1_.has_indirect_call)
	.section	.AMDGPU.csdata,"",@progbits
; Kernel info:
; codeLenInByte = 180
; TotalNumSgprs: 37
; NumVgprs: 54
; ScratchSize: 0
; MemoryBound: 0
; FloatMode: 240
; IeeeMode: 1
; LDSByteSize: 0 bytes/workgroup (compile time only)
; SGPRBlocks: 4
; VGPRBlocks: 13
; NumSGPRsForWavesPerEU: 37
; NumVGPRsForWavesPerEU: 54
; Occupancy: 4
; WaveLimiterHint : 0
; COMPUTE_PGM_RSRC2:SCRATCH_EN: 0
; COMPUTE_PGM_RSRC2:USER_SGPR: 6
; COMPUTE_PGM_RSRC2:TRAP_HANDLER: 0
; COMPUTE_PGM_RSRC2:TGID_X_EN: 1
; COMPUTE_PGM_RSRC2:TGID_Y_EN: 0
; COMPUTE_PGM_RSRC2:TGID_Z_EN: 0
; COMPUTE_PGM_RSRC2:TIDIG_COMP_CNT: 0
	.section	.text._ZN2at6native29vectorized_elementwise_kernelILi2EZZZNS0_19digamma_kernel_cudaERNS_18TensorIteratorBaseEENKUlvE_clEvENKUlvE_clEvEUldE_St5arrayIPcLm2EEEEviT0_T1_,"axG",@progbits,_ZN2at6native29vectorized_elementwise_kernelILi2EZZZNS0_19digamma_kernel_cudaERNS_18TensorIteratorBaseEENKUlvE_clEvENKUlvE_clEvEUldE_St5arrayIPcLm2EEEEviT0_T1_,comdat
	.globl	_ZN2at6native29vectorized_elementwise_kernelILi2EZZZNS0_19digamma_kernel_cudaERNS_18TensorIteratorBaseEENKUlvE_clEvENKUlvE_clEvEUldE_St5arrayIPcLm2EEEEviT0_T1_ ; -- Begin function _ZN2at6native29vectorized_elementwise_kernelILi2EZZZNS0_19digamma_kernel_cudaERNS_18TensorIteratorBaseEENKUlvE_clEvENKUlvE_clEvEUldE_St5arrayIPcLm2EEEEviT0_T1_
	.p2align	8
	.type	_ZN2at6native29vectorized_elementwise_kernelILi2EZZZNS0_19digamma_kernel_cudaERNS_18TensorIteratorBaseEENKUlvE_clEvENKUlvE_clEvEUldE_St5arrayIPcLm2EEEEviT0_T1_,@function
_ZN2at6native29vectorized_elementwise_kernelILi2EZZZNS0_19digamma_kernel_cudaERNS_18TensorIteratorBaseEENKUlvE_clEvENKUlvE_clEvEUldE_St5arrayIPcLm2EEEEviT0_T1_: ; @_ZN2at6native29vectorized_elementwise_kernelILi2EZZZNS0_19digamma_kernel_cudaERNS_18TensorIteratorBaseEENKUlvE_clEvENKUlvE_clEvEUldE_St5arrayIPcLm2EEEEviT0_T1_
; %bb.0:
	s_add_u32 s0, s0, s7
	s_load_dword s7, s[4:5], 0x0
	s_load_dwordx4 s[8:11], s[4:5], 0x8
	s_addc_u32 s1, s1, 0
	s_lshl_b32 s4, s6, 10
	s_mov_b64 s[12:13], -1
	s_waitcnt lgkmcnt(0)
	s_sub_i32 s7, s7, s4
	s_cmpk_gt_i32 s7, 0x3ff
	s_mov_b32 s32, 0
	s_cbranch_scc1 .LBB5_3
; %bb.1:
	s_and_b64 vcc, exec, s[12:13]
	s_cbranch_vccnz .LBB5_100
.LBB5_2:
	s_endpgm
.LBB5_3:
	s_ashr_i32 s5, s4, 31
	s_lshl_b64 s[12:13], s[4:5], 3
	s_add_u32 s4, s10, s12
	s_addc_u32 s5, s11, s13
	v_lshlrev_b32_e32 v15, 4, v0
	global_load_dwordx4 v[7:10], v15, s[4:5]
	v_mov_b32_e32 v1, s5
	v_add_co_u32_e32 v2, vcc, s4, v15
	v_addc_co_u32_e32 v3, vcc, 0, v1, vcc
	v_add_co_u32_e32 v1, vcc, 0x1000, v2
	v_addc_co_u32_e32 v2, vcc, 0, v3, vcc
	global_load_dwordx4 v[1:4], v[1:2], off
                                        ; implicit-def: $vgpr5_vgpr6
	s_waitcnt vmcnt(1)
	v_cmp_neq_f64_e32 vcc, 0, v[7:8]
	s_and_saveexec_b64 s[4:5], vcc
	s_xor_b64 s[14:15], exec, s[4:5]
	s_cbranch_execz .LBB5_25
; %bb.4:
	v_cmp_gt_f64_e32 vcc, 0, v[7:8]
	v_mov_b32_e32 v11, 0
	v_mov_b32_e32 v12, 0
	s_mov_b64 s[18:19], -1
	s_and_saveexec_b64 s[16:17], vcc
	s_cbranch_execz .LBB5_12
; %bb.5:
	v_trunc_f64_e32 v[5:6], v[7:8]
	v_mov_b32_e32 v11, 0
	v_mov_b32_e32 v12, 0
	s_mov_b64 s[20:21], 0
	v_cmp_neq_f64_e32 vcc, v[7:8], v[5:6]
	s_and_saveexec_b64 s[18:19], vcc
	s_cbranch_execz .LBB5_11
; %bb.6:
	v_add_f64 v[5:6], v[7:8], -v[5:6]
	s_mov_b32 s4, 0
	s_mov_b32 s21, 0xc00921fb
	;; [unrolled: 1-line block ×4, first 2 shown]
	v_cmp_neq_f64_e64 vcc, |v[7:8]|, s[4:5]
	v_bfrev_b32_e32 v11, 1
	s_mov_b32 s22, 0
	v_mul_f64 v[5:6], |v[5:6]|, s[20:21]
	s_mov_b32 s23, 0x41d00000
                                        ; implicit-def: $vgpr16
                                        ; implicit-def: $vgpr13_vgpr14
	v_cndmask_b32_e32 v6, v11, v6, vcc
	v_cndmask_b32_e32 v5, 0, v5, vcc
	v_cmp_nlt_f64_e64 s[22:23], |v[5:6]|, s[22:23]
                                        ; implicit-def: $vgpr11_vgpr12
	s_and_saveexec_b64 s[24:25], s[22:23]
	s_xor_b64 s[22:23], exec, s[24:25]
	s_cbranch_execz .LBB5_8
; %bb.7:
	v_trig_preop_f64 v[11:12], |v[5:6]|, 0
	s_mov_b32 s24, 0
	s_mov_b32 s25, 0x7b000000
	s_movk_i32 s21, 0xff80
	v_ldexp_f64 v[16:17], |v[5:6]|, s21
	v_cmp_ge_f64_e64 vcc, |v[5:6]|, s[24:25]
	v_trig_preop_f64 v[13:14], |v[5:6]|, 1
	v_and_b32_e32 v18, 0x7fffffff, v6
	v_trig_preop_f64 v[24:25], |v[5:6]|, 2
	v_mov_b32_e32 v35, 0x40100000
	v_mov_b32_e32 v34, 0
	s_mov_b32 s21, 0x3ff921fb
	v_cndmask_b32_e32 v17, v18, v17, vcc
	v_cndmask_b32_e32 v16, v5, v16, vcc
	v_mul_f64 v[18:19], v[11:12], v[16:17]
	v_mul_f64 v[20:21], v[13:14], v[16:17]
	;; [unrolled: 1-line block ×3, first 2 shown]
	v_fma_f64 v[11:12], v[11:12], v[16:17], -v[18:19]
	v_fma_f64 v[13:14], v[13:14], v[16:17], -v[20:21]
	;; [unrolled: 1-line block ×3, first 2 shown]
	v_add_f64 v[22:23], v[20:21], v[11:12]
	v_add_f64 v[26:27], v[22:23], -v[20:21]
	v_add_f64 v[32:33], v[18:19], v[22:23]
	v_add_f64 v[28:29], v[22:23], -v[26:27]
	v_add_f64 v[11:12], v[11:12], -v[26:27]
	v_add_f64 v[26:27], v[30:31], v[13:14]
	v_add_f64 v[18:19], v[32:33], -v[18:19]
	v_add_f64 v[20:21], v[20:21], -v[28:29]
	v_ldexp_f64 v[28:29], v[32:33], -2
	v_add_f64 v[36:37], v[26:27], -v[30:31]
	v_add_f64 v[18:19], v[22:23], -v[18:19]
	v_add_f64 v[11:12], v[11:12], v[20:21]
	v_fract_f64_e32 v[20:21], v[28:29]
	v_cmp_neq_f64_e64 vcc, |v[28:29]|, s[4:5]
	v_add_f64 v[13:14], v[13:14], -v[36:37]
	v_add_f64 v[22:23], v[26:27], v[11:12]
	v_ldexp_f64 v[20:21], v[20:21], 2
	v_add_f64 v[28:29], v[18:19], v[22:23]
	v_cndmask_b32_e32 v21, 0, v21, vcc
	v_cndmask_b32_e32 v20, 0, v20, vcc
	v_add_f64 v[38:39], v[22:23], -v[26:27]
	v_add_f64 v[32:33], v[28:29], v[20:21]
	v_add_f64 v[18:19], v[28:29], -v[18:19]
	v_add_f64 v[40:41], v[22:23], -v[38:39]
	;; [unrolled: 1-line block ×3, first 2 shown]
	v_cmp_gt_f64_e32 vcc, 0, v[32:33]
	v_add_f64 v[32:33], v[26:27], -v[36:37]
	v_add_f64 v[18:19], v[22:23], -v[18:19]
	;; [unrolled: 1-line block ×3, first 2 shown]
	v_cndmask_b32_e32 v35, 0, v35, vcc
	v_add_f64 v[20:21], v[20:21], v[34:35]
	v_add_f64 v[32:33], v[30:31], -v[32:33]
	v_add_f64 v[11:12], v[11:12], v[26:27]
	v_add_f64 v[42:43], v[28:29], v[20:21]
	;; [unrolled: 1-line block ×3, first 2 shown]
	v_cvt_i32_f64_e32 v37, v[42:43]
	v_add_f64 v[11:12], v[13:14], v[11:12]
	v_cvt_f64_i32_e32 v[35:36], v37
	v_add_f64 v[20:21], v[20:21], -v[35:36]
	v_add_f64 v[11:12], v[16:17], v[11:12]
	v_add_f64 v[13:14], v[28:29], v[20:21]
	;; [unrolled: 1-line block ×3, first 2 shown]
	v_mov_b32_e32 v19, 0x3ff00000
	v_add_f64 v[16:17], v[13:14], -v[20:21]
	v_cmp_le_f64_e32 vcc, 0.5, v[13:14]
	v_add_f64 v[17:18], v[28:29], -v[16:17]
	v_cndmask_b32_e32 v35, 0, v19, vcc
	v_add_f64 v[13:14], v[13:14], -v[34:35]
	v_addc_co_u32_e64 v16, s[4:5], 0, v37, vcc
	s_mov_b32 s4, 0x33145c07
	s_mov_b32 s5, 0x3c91a626
	v_add_f64 v[11:12], v[11:12], v[17:18]
	v_add_f64 v[17:18], v[13:14], v[11:12]
	v_mul_f64 v[19:20], v[17:18], s[20:21]
	v_add_f64 v[13:14], v[17:18], -v[13:14]
	v_fma_f64 v[21:22], v[17:18], s[20:21], -v[19:20]
	v_add_f64 v[11:12], v[11:12], -v[13:14]
	v_fma_f64 v[13:14], v[17:18], s[4:5], v[21:22]
	v_fma_f64 v[13:14], v[11:12], s[20:21], v[13:14]
	v_add_f64 v[11:12], v[19:20], v[13:14]
	v_add_f64 v[17:18], v[11:12], -v[19:20]
	v_add_f64 v[13:14], v[13:14], -v[17:18]
.LBB5_8:
	s_andn2_saveexec_b64 s[4:5], s[22:23]
	s_cbranch_execz .LBB5_10
; %bb.9:
	s_mov_b32 s20, 0x6dc9c883
	s_mov_b32 s21, 0x3fe45f30
	v_mul_f64 v[11:12], |v[5:6]|, s[20:21]
	s_mov_b32 s20, 0x54442d18
	s_mov_b32 s21, 0xbff921fb
	;; [unrolled: 1-line block ×4, first 2 shown]
	v_rndne_f64_e32 v[16:17], v[11:12]
	v_fma_f64 v[11:12], v[16:17], s[20:21], |v[5:6]|
	v_mul_f64 v[13:14], v[16:17], s[22:23]
	s_mov_b32 s20, 0x252049c0
	s_mov_b32 s21, 0xb97b839a
	v_fma_f64 v[22:23], v[16:17], s[22:23], v[11:12]
	v_add_f64 v[18:19], v[11:12], v[13:14]
	s_mov_b32 s23, 0x3c91a626
	v_add_f64 v[20:21], v[11:12], -v[18:19]
	v_add_f64 v[18:19], v[18:19], -v[22:23]
	v_add_f64 v[11:12], v[20:21], v[13:14]
	v_fma_f64 v[13:14], v[16:17], s[22:23], v[13:14]
	v_add_f64 v[11:12], v[18:19], v[11:12]
	v_add_f64 v[11:12], v[11:12], -v[13:14]
	v_fma_f64 v[13:14], v[16:17], s[20:21], v[11:12]
	v_cvt_i32_f64_e32 v16, v[16:17]
	v_add_f64 v[11:12], v[22:23], v[13:14]
	v_add_f64 v[18:19], v[11:12], -v[22:23]
	v_add_f64 v[13:14], v[13:14], -v[18:19]
.LBB5_10:
	s_or_b64 exec, exec, s[4:5]
	v_mul_f64 v[17:18], v[11:12], v[11:12]
	v_add_f64 v[19:20], v[13:14], v[13:14]
	s_mov_b32 s4, 0xc751c08c
	s_mov_b32 s5, 0x3ef5e089
	v_and_b32_e32 v16, 1, v16
	v_cmp_eq_u32_e32 vcc, 0, v16
	s_mov_b32 s22, 0x54442d18
	s_mov_b32 s23, 0xc00921fb
	v_fma_f64 v[21:22], v[11:12], v[11:12], -v[17:18]
	v_add_f64 v[7:8], -v[7:8], 1.0
	s_mov_b64 s[20:21], exec
	v_fma_f64 v[19:20], v[11:12], v[19:20], v[21:22]
	v_add_f64 v[17:18], v[17:18], v[19:20]
	v_mov_b32_e32 v19, 0xa9a29f71
	v_mov_b32_e32 v20, 0xbf078809
	v_fma_f64 v[19:20], v[17:18], s[4:5], v[19:20]
	s_mov_b32 s4, 0x90a8aae0
	s_mov_b32 s5, 0x3f17746f
	v_fma_f64 v[19:20], v[17:18], v[19:20], s[4:5]
	s_mov_b32 s4, 0xa6fbf144
	s_mov_b32 s5, 0xbefbb44d
	;; [unrolled: 3-line block ×12, first 2 shown]
	v_fma_f64 v[19:20], v[17:18], v[19:20], s[4:5]
	s_movk_i32 s4, 0x1f8
	v_cmp_class_f64_e64 s[4:5], v[5:6], s4
	v_mul_f64 v[17:18], v[17:18], v[19:20]
	v_mul_f64 v[19:20], v[11:12], v[17:18]
	v_add_f64 v[21:22], v[11:12], v[19:20]
	v_fma_f64 v[17:18], v[11:12], v[17:18], -v[19:20]
	v_add_f64 v[11:12], v[21:22], -v[11:12]
	v_add_f64 v[13:14], v[13:14], v[17:18]
	v_add_f64 v[11:12], v[19:20], -v[11:12]
	v_add_f64 v[11:12], v[13:14], v[11:12]
	v_add_f64 v[13:14], v[21:22], v[11:12]
	v_rcp_f64_e32 v[17:18], v[13:14]
	v_fma_f64 v[19:20], -v[13:14], v[17:18], 1.0
	v_fma_f64 v[17:18], v[19:20], v[17:18], v[17:18]
	v_fma_f64 v[19:20], -v[13:14], v[17:18], 1.0
	v_fma_f64 v[17:18], v[19:20], v[17:18], v[17:18]
	v_add_f64 v[19:20], v[13:14], -v[21:22]
	v_mul_f64 v[21:22], v[13:14], v[17:18]
	v_add_f64 v[11:12], v[11:12], -v[19:20]
	v_fma_f64 v[19:20], v[17:18], v[13:14], -v[21:22]
	v_fma_f64 v[11:12], v[17:18], v[11:12], v[19:20]
	v_add_f64 v[19:20], v[21:22], v[11:12]
	v_add_f64 v[23:24], -v[19:20], 1.0
	v_add_f64 v[21:22], v[19:20], -v[21:22]
	v_add_f64 v[25:26], -v[23:24], 1.0
	v_add_f64 v[11:12], v[21:22], -v[11:12]
	v_add_f64 v[19:20], v[25:26], -v[19:20]
	v_add_f64 v[11:12], v[11:12], v[19:20]
	v_add_f64 v[11:12], v[23:24], v[11:12]
	v_mul_f64 v[11:12], v[17:18], v[11:12]
	v_add_f64 v[11:12], v[17:18], v[11:12]
	v_and_b32_e32 v17, 0x80000000, v6
	v_mov_b32_e32 v6, 0x7ff80000
	v_xor_b32_e32 v5, 0x80000000, v12
	v_cndmask_b32_e32 v11, v11, v13, vcc
	v_cndmask_b32_e32 v12, v5, v14, vcc
	v_cndmask_b32_e64 v5, 0, v11, s[4:5]
	v_xor_b32_e32 v11, v12, v17
	v_cndmask_b32_e64 v6, v6, v11, s[4:5]
	v_div_scale_f64 v[11:12], s[4:5], v[5:6], v[5:6], s[22:23]
	v_rcp_f64_e32 v[13:14], v[11:12]
	v_fma_f64 v[16:17], -v[11:12], v[13:14], 1.0
	v_fma_f64 v[13:14], v[13:14], v[16:17], v[13:14]
	v_div_scale_f64 v[16:17], vcc, s[22:23], v[5:6], s[22:23]
	v_fma_f64 v[18:19], -v[11:12], v[13:14], 1.0
	v_fma_f64 v[13:14], v[13:14], v[18:19], v[13:14]
	v_mul_f64 v[18:19], v[16:17], v[13:14]
	v_fma_f64 v[11:12], -v[11:12], v[18:19], v[16:17]
	v_div_fmas_f64 v[11:12], v[11:12], v[13:14], v[18:19]
	v_div_fixup_f64 v[11:12], v[11:12], v[5:6], s[22:23]
.LBB5_11:
	s_or_b64 exec, exec, s[18:19]
	s_orn2_b64 s[18:19], s[20:21], exec
.LBB5_12:
	s_or_b64 exec, exec, s[16:17]
	v_mov_b32_e32 v5, 0
	v_mov_b32_e32 v6, 0x7ff80000
	s_and_saveexec_b64 s[4:5], s[18:19]
	s_cbranch_execz .LBB5_24
; %bb.13:
	s_mov_b32 s18, 0
	s_mov_b32 s19, 0x40240000
	v_cmp_gt_f64_e32 vcc, s[18:19], v[7:8]
	s_and_saveexec_b64 s[16:17], vcc
	s_cbranch_execz .LBB5_17
; %bb.14:
	s_mov_b64 s[20:21], 0
.LBB5_15:                               ; =>This Inner Loop Header: Depth=1
	v_div_scale_f64 v[5:6], s[22:23], v[7:8], v[7:8], 1.0
	v_rcp_f64_e32 v[13:14], v[5:6]
	v_fma_f64 v[16:17], -v[5:6], v[13:14], 1.0
	v_fma_f64 v[13:14], v[13:14], v[16:17], v[13:14]
	v_div_scale_f64 v[16:17], vcc, 1.0, v[7:8], 1.0
	v_fma_f64 v[18:19], -v[5:6], v[13:14], 1.0
	v_fma_f64 v[13:14], v[13:14], v[18:19], v[13:14]
	v_mul_f64 v[18:19], v[16:17], v[13:14]
	v_fma_f64 v[5:6], -v[5:6], v[18:19], v[16:17]
	v_div_fmas_f64 v[5:6], v[5:6], v[13:14], v[18:19]
	v_div_fixup_f64 v[5:6], v[5:6], v[7:8], 1.0
	v_add_f64 v[7:8], v[7:8], 1.0
	v_add_f64 v[11:12], v[11:12], -v[5:6]
	v_cmp_ngt_f64_e32 vcc, s[18:19], v[7:8]
	s_or_b64 s[20:21], vcc, s[20:21]
	s_andn2_b64 exec, exec, s[20:21]
	s_cbranch_execnz .LBB5_15
; %bb.16:
	s_or_b64 exec, exec, s[20:21]
.LBB5_17:
	s_or_b64 exec, exec, s[16:17]
	s_mov_b32 s16, 0
	s_mov_b32 s17, 0x40240000
	v_cmp_neq_f64_e32 vcc, s[16:17], v[7:8]
                                        ; implicit-def: $vgpr5_vgpr6
	s_and_saveexec_b64 s[16:17], vcc
	s_xor_b64 s[16:17], exec, s[16:17]
	s_cbranch_execz .LBB5_21
; %bb.18:
	s_mov_b32 s18, 0x85d8a000
	s_mov_b32 s19, 0x43763457
	v_cmp_gt_f64_e32 vcc, s[18:19], v[7:8]
	v_mov_b32_e32 v5, 0
	v_mov_b32_e32 v6, 0
	s_and_saveexec_b64 s[18:19], vcc
	s_cbranch_execz .LBB5_20
; %bb.19:
	v_mul_f64 v[5:6], v[7:8], v[7:8]
	s_mov_b32 s22, 0x95995996
	s_mov_b32 s23, 0xbf959959
	;; [unrolled: 1-line block ×4, first 2 shown]
	v_div_scale_f64 v[13:14], s[20:21], v[5:6], v[5:6], 1.0
	v_div_scale_f64 v[20:21], vcc, 1.0, v[5:6], 1.0
	s_mov_b32 s20, 0x55555555
	s_mov_b32 s21, 0x3fb55555
	v_rcp_f64_e32 v[16:17], v[13:14]
	v_fma_f64 v[18:19], -v[13:14], v[16:17], 1.0
	v_fma_f64 v[16:17], v[16:17], v[18:19], v[16:17]
	v_fma_f64 v[18:19], -v[13:14], v[16:17], 1.0
	v_fma_f64 v[16:17], v[16:17], v[18:19], v[16:17]
	v_mul_f64 v[18:19], v[20:21], v[16:17]
	v_fma_f64 v[13:14], -v[13:14], v[18:19], v[20:21]
	v_div_fmas_f64 v[13:14], v[13:14], v[16:17], v[18:19]
	v_div_fixup_f64 v[5:6], v[13:14], v[5:6], 1.0
	v_fma_f64 v[13:14], v[5:6], 0, s[20:21]
	v_fma_f64 v[13:14], v[5:6], v[13:14], s[22:23]
	s_mov_b32 s22, 0xf07c1f08
	s_mov_b32 s23, 0x3f7f07c1
	v_fma_f64 v[13:14], v[5:6], v[13:14], s[22:23]
	s_mov_b32 s23, 0xbf711111
	s_mov_b32 s22, 0x11111111
	v_fma_f64 v[13:14], v[5:6], v[13:14], s[22:23]
	s_mov_b32 s23, 0xbf811111
	v_fma_f64 v[13:14], v[5:6], v[13:14], s[24:25]
	v_fma_f64 v[13:14], v[5:6], v[13:14], s[22:23]
	;; [unrolled: 1-line block ×3, first 2 shown]
	v_mul_f64 v[5:6], v[5:6], v[13:14]
.LBB5_20:
	s_or_b64 exec, exec, s[18:19]
	v_frexp_mant_f64_e32 v[13:14], v[7:8]
	s_mov_b32 s19, 0x3fe55555
	s_mov_b32 s18, 0x55555555
	;; [unrolled: 1-line block ×4, first 2 shown]
	v_cmp_gt_f64_e32 vcc, s[18:19], v[13:14]
	s_mov_b32 s18, 0x55555780
	v_cndmask_b32_e64 v16, 0, 1, vcc
	v_ldexp_f64 v[13:14], v[13:14], v16
	v_add_f64 v[16:17], v[13:14], 1.0
	v_add_f64 v[22:23], v[13:14], -1.0
	v_rcp_f64_e32 v[18:19], v[16:17]
	v_add_f64 v[24:25], v[16:17], -1.0
	v_add_f64 v[13:14], v[13:14], -v[24:25]
	v_fma_f64 v[20:21], -v[16:17], v[18:19], 1.0
	v_fma_f64 v[18:19], v[20:21], v[18:19], v[18:19]
	v_fma_f64 v[20:21], -v[16:17], v[18:19], 1.0
	v_fma_f64 v[18:19], v[20:21], v[18:19], v[18:19]
	v_mul_f64 v[20:21], v[22:23], v[18:19]
	v_mul_f64 v[26:27], v[16:17], v[20:21]
	v_fma_f64 v[16:17], v[20:21], v[16:17], -v[26:27]
	v_fma_f64 v[13:14], v[20:21], v[13:14], v[16:17]
	v_add_f64 v[16:17], v[26:27], v[13:14]
	v_add_f64 v[24:25], v[22:23], -v[16:17]
	v_add_f64 v[26:27], v[16:17], -v[26:27]
	;; [unrolled: 1-line block ×5, first 2 shown]
	v_mov_b32_e32 v22, 0x6b47b09a
	v_mov_b32_e32 v23, 0x3fc38538
	v_add_f64 v[13:14], v[13:14], v[16:17]
	v_add_f64 v[13:14], v[24:25], v[13:14]
	v_mul_f64 v[13:14], v[18:19], v[13:14]
	v_add_f64 v[16:17], v[20:21], v[13:14]
	v_mul_f64 v[18:19], v[16:17], v[16:17]
	v_fma_f64 v[22:23], v[18:19], s[20:21], v[22:23]
	s_mov_b32 s20, 0xd7f4df2e
	s_mov_b32 s21, 0x3fc7474d
	v_mul_f64 v[24:25], v[16:17], v[18:19]
	v_fma_f64 v[22:23], v[18:19], v[22:23], s[20:21]
	s_mov_b32 s20, 0x16291751
	s_mov_b32 s21, 0x3fcc71c0
	v_fma_f64 v[22:23], v[18:19], v[22:23], s[20:21]
	s_mov_b32 s20, 0x9b27acf1
	s_mov_b32 s21, 0x3fd24924
	;; [unrolled: 3-line block ×3, first 2 shown]
	v_fma_f64 v[22:23], v[18:19], v[22:23], s[20:21]
	v_fma_f64 v[18:19], v[18:19], v[22:23], s[18:19]
	v_ldexp_f64 v[22:23], v[16:17], 1
	v_add_f64 v[16:17], v[16:17], -v[20:21]
	s_mov_b32 s18, 0xfefa39ef
	s_mov_b32 s19, 0x3fe62e42
	v_mul_f64 v[18:19], v[24:25], v[18:19]
	v_frexp_exp_i32_f64_e32 v24, v[7:8]
	v_add_f64 v[13:14], v[13:14], -v[16:17]
	v_add_f64 v[20:21], v[22:23], v[18:19]
	v_subbrev_co_u32_e32 v24, vcc, 0, v24, vcc
	v_cvt_f64_i32_e32 v[24:25], v24
	v_ldexp_f64 v[13:14], v[13:14], 1
	v_mul_f64 v[26:27], v[24:25], s[18:19]
	v_add_f64 v[16:17], v[20:21], -v[22:23]
	v_fma_f64 v[22:23], v[24:25], s[18:19], -v[26:27]
	v_add_f64 v[16:17], v[18:19], -v[16:17]
	s_mov_b32 s18, 0x3b39803f
	s_mov_b32 s19, 0x3c7abc9e
	v_fma_f64 v[18:19], v[24:25], s[18:19], v[22:23]
	v_add_f64 v[13:14], v[13:14], v[16:17]
	v_div_scale_f64 v[16:17], s[18:19], v[7:8], v[7:8], -0.5
	s_movk_i32 s18, 0x204
	v_add_f64 v[22:23], v[26:27], v[18:19]
	v_add_f64 v[24:25], v[20:21], v[13:14]
	v_add_f64 v[26:27], v[22:23], -v[26:27]
	v_add_f64 v[28:29], v[22:23], v[24:25]
	v_rcp_f64_e32 v[30:31], v[16:17]
	v_add_f64 v[20:21], v[24:25], -v[20:21]
	v_add_f64 v[18:19], v[18:19], -v[26:27]
	;; [unrolled: 1-line block ×5, first 2 shown]
	v_fma_f64 v[36:37], -v[16:17], v[30:31], 1.0
	v_add_f64 v[20:21], v[24:25], -v[32:33]
	v_add_f64 v[26:27], v[18:19], v[13:14]
	v_add_f64 v[22:23], v[22:23], -v[34:35]
	v_fma_f64 v[24:25], v[30:31], v[36:37], v[30:31]
	v_add_f64 v[32:33], v[26:27], -v[18:19]
	v_add_f64 v[20:21], v[20:21], v[22:23]
	v_div_scale_f64 v[22:23], vcc, -0.5, v[7:8], -0.5
	v_fma_f64 v[30:31], -v[16:17], v[24:25], 1.0
	v_add_f64 v[13:14], v[13:14], -v[32:33]
	v_add_f64 v[20:21], v[26:27], v[20:21]
	v_add_f64 v[26:27], v[26:27], -v[32:33]
	v_fma_f64 v[24:25], v[24:25], v[30:31], v[24:25]
	v_add_f64 v[30:31], v[28:29], v[20:21]
	v_add_f64 v[18:19], v[18:19], -v[26:27]
	v_mul_f64 v[34:35], v[22:23], v[24:25]
	v_add_f64 v[26:27], v[30:31], -v[28:29]
	v_add_f64 v[13:14], v[13:14], v[18:19]
	v_fma_f64 v[16:17], -v[16:17], v[34:35], v[22:23]
	v_add_f64 v[18:19], v[20:21], -v[26:27]
	v_div_fmas_f64 v[16:17], v[16:17], v[24:25], v[34:35]
	v_cmp_class_f64_e64 vcc, v[7:8], s18
	v_add_f64 v[13:14], v[13:14], v[18:19]
	v_add_f64 v[13:14], v[30:31], v[13:14]
	v_div_fixup_f64 v[16:17], v[16:17], v[7:8], -0.5
	v_cndmask_b32_e32 v8, v14, v8, vcc
	v_cndmask_b32_e32 v7, v13, v7, vcc
	v_add_f64 v[7:8], v[7:8], v[16:17]
	v_add_f64 v[5:6], v[7:8], -v[5:6]
	v_add_f64 v[5:6], v[11:12], v[5:6]
                                        ; implicit-def: $vgpr11_vgpr12
.LBB5_21:
	s_andn2_saveexec_b64 s[16:17], s[16:17]
	s_cbranch_execz .LBB5_23
; %bb.22:
	s_mov_b32 s18, 0xdc85cc95
	s_mov_b32 s19, 0x40020396
	v_add_f64 v[5:6], v[11:12], s[18:19]
.LBB5_23:
	s_or_b64 exec, exec, s[16:17]
.LBB5_24:
	s_or_b64 exec, exec, s[4:5]
.LBB5_25:
	s_andn2_saveexec_b64 s[4:5], s[14:15]
; %bb.26:
	v_xor_b32_e32 v5, 0x80000000, v8
	s_brev_b32 s14, -2
	v_mov_b32_e32 v6, 0x7ff00000
	v_bfi_b32 v6, s14, v6, v5
	v_mov_b32_e32 v5, 0
; %bb.27:
	s_or_b64 exec, exec, s[4:5]
	v_cmp_neq_f64_e32 vcc, 0, v[9:10]
	s_and_saveexec_b64 s[4:5], vcc
	s_xor_b64 s[14:15], exec, s[4:5]
	s_cbranch_execz .LBB5_49
; %bb.28:
	v_cmp_gt_f64_e32 vcc, 0, v[9:10]
	v_mov_b32_e32 v11, 0
	v_mov_b32_e32 v12, 0
	s_mov_b64 s[18:19], -1
	s_and_saveexec_b64 s[16:17], vcc
	s_cbranch_execz .LBB5_36
; %bb.29:
	v_trunc_f64_e32 v[7:8], v[9:10]
	v_mov_b32_e32 v11, 0
	v_mov_b32_e32 v12, 0
	s_mov_b64 s[20:21], 0
	v_cmp_neq_f64_e32 vcc, v[9:10], v[7:8]
	s_and_saveexec_b64 s[18:19], vcc
	s_cbranch_execz .LBB5_35
; %bb.30:
	v_add_f64 v[7:8], v[9:10], -v[7:8]
	s_mov_b32 s22, 0
	s_mov_b32 s5, 0xc00921fb
	;; [unrolled: 1-line block ×4, first 2 shown]
	v_cmp_neq_f64_e64 vcc, |v[9:10]|, s[22:23]
	v_bfrev_b32_e32 v11, 1
	s_mov_b32 s20, 0
	v_mul_f64 v[7:8], |v[7:8]|, s[4:5]
	s_mov_b32 s21, 0x41d00000
                                        ; implicit-def: $vgpr16
                                        ; implicit-def: $vgpr13_vgpr14
	v_cndmask_b32_e32 v8, v11, v8, vcc
	v_cndmask_b32_e32 v7, 0, v7, vcc
	v_cmp_nlt_f64_e64 s[20:21], |v[7:8]|, s[20:21]
                                        ; implicit-def: $vgpr11_vgpr12
	s_and_saveexec_b64 s[24:25], s[20:21]
	s_xor_b64 s[20:21], exec, s[24:25]
	s_cbranch_execz .LBB5_32
; %bb.31:
	v_trig_preop_f64 v[11:12], |v[7:8]|, 0
	s_mov_b32 s24, 0
	s_mov_b32 s25, 0x7b000000
	s_movk_i32 s5, 0xff80
	v_ldexp_f64 v[16:17], |v[7:8]|, s5
	v_cmp_ge_f64_e64 vcc, |v[7:8]|, s[24:25]
	v_trig_preop_f64 v[13:14], |v[7:8]|, 1
	v_and_b32_e32 v18, 0x7fffffff, v8
	v_trig_preop_f64 v[24:25], |v[7:8]|, 2
	v_mov_b32_e32 v35, 0x40100000
	v_mov_b32_e32 v34, 0
	s_mov_b32 s5, 0x3ff921fb
	v_cndmask_b32_e32 v17, v18, v17, vcc
	v_cndmask_b32_e32 v16, v7, v16, vcc
	v_mul_f64 v[18:19], v[11:12], v[16:17]
	v_mul_f64 v[20:21], v[13:14], v[16:17]
	;; [unrolled: 1-line block ×3, first 2 shown]
	v_fma_f64 v[11:12], v[11:12], v[16:17], -v[18:19]
	v_fma_f64 v[13:14], v[13:14], v[16:17], -v[20:21]
	;; [unrolled: 1-line block ×3, first 2 shown]
	v_add_f64 v[22:23], v[20:21], v[11:12]
	v_add_f64 v[26:27], v[22:23], -v[20:21]
	v_add_f64 v[32:33], v[18:19], v[22:23]
	v_add_f64 v[28:29], v[22:23], -v[26:27]
	v_add_f64 v[11:12], v[11:12], -v[26:27]
	v_add_f64 v[26:27], v[30:31], v[13:14]
	v_add_f64 v[18:19], v[32:33], -v[18:19]
	v_add_f64 v[20:21], v[20:21], -v[28:29]
	v_ldexp_f64 v[28:29], v[32:33], -2
	v_add_f64 v[36:37], v[26:27], -v[30:31]
	v_add_f64 v[18:19], v[22:23], -v[18:19]
	v_add_f64 v[11:12], v[11:12], v[20:21]
	v_fract_f64_e32 v[20:21], v[28:29]
	v_cmp_neq_f64_e64 vcc, |v[28:29]|, s[22:23]
	v_add_f64 v[13:14], v[13:14], -v[36:37]
	s_mov_b32 s22, 0x33145c07
	s_mov_b32 s23, 0x3c91a626
	v_add_f64 v[22:23], v[26:27], v[11:12]
	v_ldexp_f64 v[20:21], v[20:21], 2
	v_add_f64 v[28:29], v[18:19], v[22:23]
	v_cndmask_b32_e32 v21, 0, v21, vcc
	v_cndmask_b32_e32 v20, 0, v20, vcc
	v_add_f64 v[38:39], v[22:23], -v[26:27]
	v_add_f64 v[32:33], v[28:29], v[20:21]
	v_add_f64 v[18:19], v[28:29], -v[18:19]
	v_add_f64 v[40:41], v[22:23], -v[38:39]
	;; [unrolled: 1-line block ×3, first 2 shown]
	v_cmp_gt_f64_e32 vcc, 0, v[32:33]
	v_add_f64 v[32:33], v[26:27], -v[36:37]
	v_add_f64 v[18:19], v[22:23], -v[18:19]
	;; [unrolled: 1-line block ×3, first 2 shown]
	v_cndmask_b32_e32 v35, 0, v35, vcc
	v_add_f64 v[20:21], v[20:21], v[34:35]
	v_add_f64 v[32:33], v[30:31], -v[32:33]
	v_add_f64 v[11:12], v[11:12], v[26:27]
	v_add_f64 v[42:43], v[28:29], v[20:21]
	;; [unrolled: 1-line block ×3, first 2 shown]
	v_cvt_i32_f64_e32 v37, v[42:43]
	v_add_f64 v[11:12], v[13:14], v[11:12]
	v_cvt_f64_i32_e32 v[35:36], v37
	v_add_f64 v[20:21], v[20:21], -v[35:36]
	v_add_f64 v[11:12], v[16:17], v[11:12]
	v_add_f64 v[13:14], v[28:29], v[20:21]
	;; [unrolled: 1-line block ×3, first 2 shown]
	v_mov_b32_e32 v18, 0x3ff00000
	v_add_f64 v[16:17], v[13:14], -v[20:21]
	v_cmp_le_f64_e32 vcc, 0.5, v[13:14]
	v_add_f64 v[16:17], v[28:29], -v[16:17]
	v_cndmask_b32_e32 v35, 0, v18, vcc
	v_add_f64 v[13:14], v[13:14], -v[34:35]
	v_add_f64 v[11:12], v[11:12], v[16:17]
	v_add_f64 v[16:17], v[13:14], v[11:12]
	v_mul_f64 v[18:19], v[16:17], s[4:5]
	v_add_f64 v[13:14], v[16:17], -v[13:14]
	v_fma_f64 v[20:21], v[16:17], s[4:5], -v[18:19]
	v_add_f64 v[11:12], v[11:12], -v[13:14]
	v_fma_f64 v[13:14], v[16:17], s[22:23], v[20:21]
	v_fma_f64 v[13:14], v[11:12], s[4:5], v[13:14]
	v_add_f64 v[11:12], v[18:19], v[13:14]
	v_add_f64 v[16:17], v[11:12], -v[18:19]
	v_add_f64 v[13:14], v[13:14], -v[16:17]
	v_addc_co_u32_e32 v16, vcc, 0, v37, vcc
.LBB5_32:
	s_andn2_saveexec_b64 s[4:5], s[20:21]
	s_cbranch_execz .LBB5_34
; %bb.33:
	s_mov_b32 s20, 0x6dc9c883
	s_mov_b32 s21, 0x3fe45f30
	v_mul_f64 v[11:12], |v[7:8]|, s[20:21]
	s_mov_b32 s20, 0x54442d18
	s_mov_b32 s21, 0xbff921fb
	;; [unrolled: 1-line block ×4, first 2 shown]
	v_rndne_f64_e32 v[16:17], v[11:12]
	v_fma_f64 v[11:12], v[16:17], s[20:21], |v[7:8]|
	v_mul_f64 v[13:14], v[16:17], s[22:23]
	s_mov_b32 s20, 0x252049c0
	s_mov_b32 s21, 0xb97b839a
	v_fma_f64 v[22:23], v[16:17], s[22:23], v[11:12]
	v_add_f64 v[18:19], v[11:12], v[13:14]
	s_mov_b32 s23, 0x3c91a626
	v_add_f64 v[20:21], v[11:12], -v[18:19]
	v_add_f64 v[18:19], v[18:19], -v[22:23]
	v_add_f64 v[11:12], v[20:21], v[13:14]
	v_fma_f64 v[13:14], v[16:17], s[22:23], v[13:14]
	v_add_f64 v[11:12], v[18:19], v[11:12]
	v_add_f64 v[11:12], v[11:12], -v[13:14]
	v_fma_f64 v[13:14], v[16:17], s[20:21], v[11:12]
	v_cvt_i32_f64_e32 v16, v[16:17]
	v_add_f64 v[11:12], v[22:23], v[13:14]
	v_add_f64 v[18:19], v[11:12], -v[22:23]
	v_add_f64 v[13:14], v[13:14], -v[18:19]
.LBB5_34:
	s_or_b64 exec, exec, s[4:5]
	v_mul_f64 v[17:18], v[11:12], v[11:12]
	v_add_f64 v[19:20], v[13:14], v[13:14]
	s_mov_b32 s4, 0xc751c08c
	s_mov_b32 s5, 0x3ef5e089
	v_and_b32_e32 v16, 1, v16
	v_cmp_eq_u32_e32 vcc, 0, v16
	s_mov_b32 s22, 0x54442d18
	s_mov_b32 s23, 0xc00921fb
	v_fma_f64 v[21:22], v[11:12], v[11:12], -v[17:18]
	v_add_f64 v[9:10], -v[9:10], 1.0
	s_mov_b64 s[20:21], exec
	v_fma_f64 v[19:20], v[11:12], v[19:20], v[21:22]
	v_add_f64 v[17:18], v[17:18], v[19:20]
	v_mov_b32_e32 v19, 0xa9a29f71
	v_mov_b32_e32 v20, 0xbf078809
	v_fma_f64 v[19:20], v[17:18], s[4:5], v[19:20]
	s_mov_b32 s4, 0x90a8aae0
	s_mov_b32 s5, 0x3f17746f
	v_fma_f64 v[19:20], v[17:18], v[19:20], s[4:5]
	s_mov_b32 s4, 0xa6fbf144
	s_mov_b32 s5, 0xbefbb44d
	;; [unrolled: 3-line block ×12, first 2 shown]
	v_fma_f64 v[19:20], v[17:18], v[19:20], s[4:5]
	s_movk_i32 s4, 0x1f8
	v_cmp_class_f64_e64 s[4:5], v[7:8], s4
	v_mul_f64 v[17:18], v[17:18], v[19:20]
	v_mul_f64 v[19:20], v[11:12], v[17:18]
	v_add_f64 v[21:22], v[11:12], v[19:20]
	v_fma_f64 v[17:18], v[11:12], v[17:18], -v[19:20]
	v_add_f64 v[11:12], v[21:22], -v[11:12]
	v_add_f64 v[13:14], v[13:14], v[17:18]
	v_add_f64 v[11:12], v[19:20], -v[11:12]
	v_add_f64 v[11:12], v[13:14], v[11:12]
	v_add_f64 v[13:14], v[21:22], v[11:12]
	v_rcp_f64_e32 v[17:18], v[13:14]
	v_fma_f64 v[19:20], -v[13:14], v[17:18], 1.0
	v_fma_f64 v[17:18], v[19:20], v[17:18], v[17:18]
	v_fma_f64 v[19:20], -v[13:14], v[17:18], 1.0
	v_fma_f64 v[17:18], v[19:20], v[17:18], v[17:18]
	v_add_f64 v[19:20], v[13:14], -v[21:22]
	v_mul_f64 v[21:22], v[13:14], v[17:18]
	v_add_f64 v[11:12], v[11:12], -v[19:20]
	v_fma_f64 v[19:20], v[17:18], v[13:14], -v[21:22]
	v_fma_f64 v[11:12], v[17:18], v[11:12], v[19:20]
	v_add_f64 v[19:20], v[21:22], v[11:12]
	v_add_f64 v[23:24], -v[19:20], 1.0
	v_add_f64 v[21:22], v[19:20], -v[21:22]
	v_add_f64 v[25:26], -v[23:24], 1.0
	v_add_f64 v[11:12], v[21:22], -v[11:12]
	v_add_f64 v[19:20], v[25:26], -v[19:20]
	v_add_f64 v[11:12], v[11:12], v[19:20]
	v_add_f64 v[11:12], v[23:24], v[11:12]
	v_mul_f64 v[11:12], v[17:18], v[11:12]
	v_add_f64 v[11:12], v[17:18], v[11:12]
	v_and_b32_e32 v17, 0x80000000, v8
	v_mov_b32_e32 v8, 0x7ff80000
	v_xor_b32_e32 v7, 0x80000000, v12
	v_cndmask_b32_e32 v11, v11, v13, vcc
	v_cndmask_b32_e32 v12, v7, v14, vcc
	v_cndmask_b32_e64 v7, 0, v11, s[4:5]
	v_xor_b32_e32 v11, v12, v17
	v_cndmask_b32_e64 v8, v8, v11, s[4:5]
	v_div_scale_f64 v[11:12], s[4:5], v[7:8], v[7:8], s[22:23]
	v_rcp_f64_e32 v[13:14], v[11:12]
	v_fma_f64 v[16:17], -v[11:12], v[13:14], 1.0
	v_fma_f64 v[13:14], v[13:14], v[16:17], v[13:14]
	v_div_scale_f64 v[16:17], vcc, s[22:23], v[7:8], s[22:23]
	v_fma_f64 v[18:19], -v[11:12], v[13:14], 1.0
	v_fma_f64 v[13:14], v[13:14], v[18:19], v[13:14]
	v_mul_f64 v[18:19], v[16:17], v[13:14]
	v_fma_f64 v[11:12], -v[11:12], v[18:19], v[16:17]
	v_div_fmas_f64 v[11:12], v[11:12], v[13:14], v[18:19]
	v_div_fixup_f64 v[11:12], v[11:12], v[7:8], s[22:23]
.LBB5_35:
	s_or_b64 exec, exec, s[18:19]
	s_orn2_b64 s[18:19], s[20:21], exec
.LBB5_36:
	s_or_b64 exec, exec, s[16:17]
	v_mov_b32_e32 v7, 0
	v_mov_b32_e32 v8, 0x7ff80000
	s_and_saveexec_b64 s[4:5], s[18:19]
	s_cbranch_execz .LBB5_48
; %bb.37:
	s_mov_b32 s18, 0
	s_mov_b32 s19, 0x40240000
	v_cmp_gt_f64_e32 vcc, s[18:19], v[9:10]
	s_and_saveexec_b64 s[16:17], vcc
	s_cbranch_execz .LBB5_41
; %bb.38:
	s_mov_b64 s[20:21], 0
.LBB5_39:                               ; =>This Inner Loop Header: Depth=1
	v_div_scale_f64 v[7:8], s[22:23], v[9:10], v[9:10], 1.0
	v_rcp_f64_e32 v[13:14], v[7:8]
	v_fma_f64 v[16:17], -v[7:8], v[13:14], 1.0
	v_fma_f64 v[13:14], v[13:14], v[16:17], v[13:14]
	v_div_scale_f64 v[16:17], vcc, 1.0, v[9:10], 1.0
	v_fma_f64 v[18:19], -v[7:8], v[13:14], 1.0
	v_fma_f64 v[13:14], v[13:14], v[18:19], v[13:14]
	v_mul_f64 v[18:19], v[16:17], v[13:14]
	v_fma_f64 v[7:8], -v[7:8], v[18:19], v[16:17]
	v_div_fmas_f64 v[7:8], v[7:8], v[13:14], v[18:19]
	v_div_fixup_f64 v[7:8], v[7:8], v[9:10], 1.0
	v_add_f64 v[9:10], v[9:10], 1.0
	v_add_f64 v[11:12], v[11:12], -v[7:8]
	v_cmp_ngt_f64_e32 vcc, s[18:19], v[9:10]
	s_or_b64 s[20:21], vcc, s[20:21]
	s_andn2_b64 exec, exec, s[20:21]
	s_cbranch_execnz .LBB5_39
; %bb.40:
	s_or_b64 exec, exec, s[20:21]
.LBB5_41:
	s_or_b64 exec, exec, s[16:17]
	s_mov_b32 s16, 0
	s_mov_b32 s17, 0x40240000
	v_cmp_neq_f64_e32 vcc, s[16:17], v[9:10]
	s_and_saveexec_b64 s[16:17], vcc
	s_xor_b64 s[16:17], exec, s[16:17]
	s_cbranch_execz .LBB5_45
; %bb.42:
	s_mov_b32 s18, 0x85d8a000
	s_mov_b32 s19, 0x43763457
	v_cmp_gt_f64_e32 vcc, s[18:19], v[9:10]
	v_mov_b32_e32 v7, 0
	v_mov_b32_e32 v8, 0
	s_and_saveexec_b64 s[18:19], vcc
	s_cbranch_execz .LBB5_44
; %bb.43:
	v_mul_f64 v[7:8], v[9:10], v[9:10]
	s_mov_b32 s22, 0x95995996
	s_mov_b32 s23, 0xbf959959
	;; [unrolled: 1-line block ×4, first 2 shown]
	v_div_scale_f64 v[13:14], s[20:21], v[7:8], v[7:8], 1.0
	v_div_scale_f64 v[20:21], vcc, 1.0, v[7:8], 1.0
	s_mov_b32 s20, 0x55555555
	s_mov_b32 s21, 0x3fb55555
	v_rcp_f64_e32 v[16:17], v[13:14]
	v_fma_f64 v[18:19], -v[13:14], v[16:17], 1.0
	v_fma_f64 v[16:17], v[16:17], v[18:19], v[16:17]
	v_fma_f64 v[18:19], -v[13:14], v[16:17], 1.0
	v_fma_f64 v[16:17], v[16:17], v[18:19], v[16:17]
	v_mul_f64 v[18:19], v[20:21], v[16:17]
	v_fma_f64 v[13:14], -v[13:14], v[18:19], v[20:21]
	v_div_fmas_f64 v[13:14], v[13:14], v[16:17], v[18:19]
	v_div_fixup_f64 v[7:8], v[13:14], v[7:8], 1.0
	v_fma_f64 v[13:14], v[7:8], 0, s[20:21]
	v_fma_f64 v[13:14], v[7:8], v[13:14], s[22:23]
	s_mov_b32 s22, 0xf07c1f08
	s_mov_b32 s23, 0x3f7f07c1
	v_fma_f64 v[13:14], v[7:8], v[13:14], s[22:23]
	s_mov_b32 s23, 0xbf711111
	s_mov_b32 s22, 0x11111111
	v_fma_f64 v[13:14], v[7:8], v[13:14], s[22:23]
	s_mov_b32 s23, 0xbf811111
	v_fma_f64 v[13:14], v[7:8], v[13:14], s[24:25]
	v_fma_f64 v[13:14], v[7:8], v[13:14], s[22:23]
	;; [unrolled: 1-line block ×3, first 2 shown]
	v_mul_f64 v[7:8], v[7:8], v[13:14]
.LBB5_44:
	s_or_b64 exec, exec, s[18:19]
	v_frexp_mant_f64_e32 v[13:14], v[9:10]
	s_mov_b32 s19, 0x3fe55555
	s_mov_b32 s18, 0x55555555
	;; [unrolled: 1-line block ×4, first 2 shown]
	v_cmp_gt_f64_e32 vcc, s[18:19], v[13:14]
	s_mov_b32 s18, 0x55555780
	v_cndmask_b32_e64 v16, 0, 1, vcc
	v_ldexp_f64 v[13:14], v[13:14], v16
	v_add_f64 v[16:17], v[13:14], 1.0
	v_add_f64 v[22:23], v[13:14], -1.0
	v_rcp_f64_e32 v[18:19], v[16:17]
	v_add_f64 v[24:25], v[16:17], -1.0
	v_add_f64 v[13:14], v[13:14], -v[24:25]
	v_fma_f64 v[20:21], -v[16:17], v[18:19], 1.0
	v_fma_f64 v[18:19], v[20:21], v[18:19], v[18:19]
	v_fma_f64 v[20:21], -v[16:17], v[18:19], 1.0
	v_fma_f64 v[18:19], v[20:21], v[18:19], v[18:19]
	v_mul_f64 v[20:21], v[22:23], v[18:19]
	v_mul_f64 v[26:27], v[16:17], v[20:21]
	v_fma_f64 v[16:17], v[20:21], v[16:17], -v[26:27]
	v_fma_f64 v[13:14], v[20:21], v[13:14], v[16:17]
	v_add_f64 v[16:17], v[26:27], v[13:14]
	v_add_f64 v[24:25], v[22:23], -v[16:17]
	v_add_f64 v[26:27], v[16:17], -v[26:27]
	;; [unrolled: 1-line block ×5, first 2 shown]
	v_mov_b32_e32 v22, 0x6b47b09a
	v_mov_b32_e32 v23, 0x3fc38538
	v_add_f64 v[13:14], v[13:14], v[16:17]
	v_add_f64 v[13:14], v[24:25], v[13:14]
	v_mul_f64 v[13:14], v[18:19], v[13:14]
	v_add_f64 v[16:17], v[20:21], v[13:14]
	v_mul_f64 v[18:19], v[16:17], v[16:17]
	v_fma_f64 v[22:23], v[18:19], s[20:21], v[22:23]
	s_mov_b32 s20, 0xd7f4df2e
	s_mov_b32 s21, 0x3fc7474d
	v_mul_f64 v[24:25], v[16:17], v[18:19]
	v_fma_f64 v[22:23], v[18:19], v[22:23], s[20:21]
	s_mov_b32 s20, 0x16291751
	s_mov_b32 s21, 0x3fcc71c0
	v_fma_f64 v[22:23], v[18:19], v[22:23], s[20:21]
	s_mov_b32 s20, 0x9b27acf1
	s_mov_b32 s21, 0x3fd24924
	;; [unrolled: 3-line block ×3, first 2 shown]
	v_fma_f64 v[22:23], v[18:19], v[22:23], s[20:21]
	v_fma_f64 v[18:19], v[18:19], v[22:23], s[18:19]
	v_ldexp_f64 v[22:23], v[16:17], 1
	v_add_f64 v[16:17], v[16:17], -v[20:21]
	s_mov_b32 s18, 0xfefa39ef
	s_mov_b32 s19, 0x3fe62e42
	v_mul_f64 v[18:19], v[24:25], v[18:19]
	v_frexp_exp_i32_f64_e32 v24, v[9:10]
	v_add_f64 v[13:14], v[13:14], -v[16:17]
	v_add_f64 v[20:21], v[22:23], v[18:19]
	v_subbrev_co_u32_e32 v24, vcc, 0, v24, vcc
	v_cvt_f64_i32_e32 v[24:25], v24
	v_ldexp_f64 v[13:14], v[13:14], 1
	v_mul_f64 v[26:27], v[24:25], s[18:19]
	v_add_f64 v[16:17], v[20:21], -v[22:23]
	v_fma_f64 v[22:23], v[24:25], s[18:19], -v[26:27]
	v_add_f64 v[16:17], v[18:19], -v[16:17]
	s_mov_b32 s18, 0x3b39803f
	s_mov_b32 s19, 0x3c7abc9e
	v_fma_f64 v[18:19], v[24:25], s[18:19], v[22:23]
	v_add_f64 v[13:14], v[13:14], v[16:17]
	v_div_scale_f64 v[16:17], s[18:19], v[9:10], v[9:10], -0.5
	s_movk_i32 s18, 0x204
	v_add_f64 v[22:23], v[26:27], v[18:19]
	v_add_f64 v[24:25], v[20:21], v[13:14]
	v_add_f64 v[26:27], v[22:23], -v[26:27]
	v_add_f64 v[28:29], v[22:23], v[24:25]
	v_rcp_f64_e32 v[30:31], v[16:17]
	v_add_f64 v[20:21], v[24:25], -v[20:21]
	v_add_f64 v[18:19], v[18:19], -v[26:27]
	;; [unrolled: 1-line block ×5, first 2 shown]
	v_fma_f64 v[36:37], -v[16:17], v[30:31], 1.0
	v_add_f64 v[20:21], v[24:25], -v[32:33]
	v_add_f64 v[26:27], v[18:19], v[13:14]
	v_add_f64 v[22:23], v[22:23], -v[34:35]
	v_fma_f64 v[24:25], v[30:31], v[36:37], v[30:31]
	v_add_f64 v[32:33], v[26:27], -v[18:19]
	v_add_f64 v[20:21], v[20:21], v[22:23]
	v_div_scale_f64 v[22:23], vcc, -0.5, v[9:10], -0.5
	v_fma_f64 v[30:31], -v[16:17], v[24:25], 1.0
	v_add_f64 v[13:14], v[13:14], -v[32:33]
	v_add_f64 v[20:21], v[26:27], v[20:21]
	v_add_f64 v[26:27], v[26:27], -v[32:33]
	v_fma_f64 v[24:25], v[24:25], v[30:31], v[24:25]
	v_add_f64 v[30:31], v[28:29], v[20:21]
	v_add_f64 v[18:19], v[18:19], -v[26:27]
	v_mul_f64 v[34:35], v[22:23], v[24:25]
	v_add_f64 v[26:27], v[30:31], -v[28:29]
	v_add_f64 v[13:14], v[13:14], v[18:19]
	v_fma_f64 v[16:17], -v[16:17], v[34:35], v[22:23]
	v_add_f64 v[18:19], v[20:21], -v[26:27]
	v_div_fmas_f64 v[16:17], v[16:17], v[24:25], v[34:35]
	v_cmp_class_f64_e64 vcc, v[9:10], s18
	v_add_f64 v[13:14], v[13:14], v[18:19]
	v_add_f64 v[13:14], v[30:31], v[13:14]
	v_div_fixup_f64 v[16:17], v[16:17], v[9:10], -0.5
	v_cndmask_b32_e32 v10, v14, v10, vcc
	v_cndmask_b32_e32 v9, v13, v9, vcc
	v_add_f64 v[9:10], v[9:10], v[16:17]
	v_add_f64 v[7:8], v[9:10], -v[7:8]
	v_add_f64 v[7:8], v[11:12], v[7:8]
                                        ; implicit-def: $vgpr11_vgpr12
.LBB5_45:
	s_andn2_saveexec_b64 s[16:17], s[16:17]
	s_cbranch_execz .LBB5_47
; %bb.46:
	s_mov_b32 s18, 0xdc85cc95
	s_mov_b32 s19, 0x40020396
	v_add_f64 v[7:8], v[11:12], s[18:19]
.LBB5_47:
	s_or_b64 exec, exec, s[16:17]
.LBB5_48:
	s_or_b64 exec, exec, s[4:5]
                                        ; implicit-def: $vgpr9_vgpr10
.LBB5_49:
	s_andn2_saveexec_b64 s[4:5], s[14:15]
; %bb.50:
	v_xor_b32_e32 v7, 0x80000000, v10
	s_brev_b32 s14, -2
	v_mov_b32_e32 v8, 0x7ff00000
	v_bfi_b32 v8, s14, v8, v7
	v_mov_b32_e32 v7, 0
; %bb.51:
	s_or_b64 exec, exec, s[4:5]
	s_waitcnt vmcnt(0)
	v_cmp_neq_f64_e32 vcc, 0, v[1:2]
                                        ; implicit-def: $vgpr9_vgpr10
	s_and_saveexec_b64 s[4:5], vcc
	s_xor_b64 s[14:15], exec, s[4:5]
	s_cbranch_execz .LBB5_73
; %bb.52:
	v_cmp_gt_f64_e32 vcc, 0, v[1:2]
	v_mov_b32_e32 v11, 0
	v_mov_b32_e32 v12, 0
	s_mov_b64 s[18:19], -1
	s_and_saveexec_b64 s[16:17], vcc
	s_cbranch_execz .LBB5_60
; %bb.53:
	v_trunc_f64_e32 v[9:10], v[1:2]
	v_mov_b32_e32 v11, 0
	v_mov_b32_e32 v12, 0
	s_mov_b64 s[20:21], 0
	v_cmp_neq_f64_e32 vcc, v[1:2], v[9:10]
	s_and_saveexec_b64 s[18:19], vcc
	s_cbranch_execz .LBB5_59
; %bb.54:
	v_add_f64 v[9:10], v[1:2], -v[9:10]
	s_mov_b32 s22, 0
	s_mov_b32 s5, 0xc00921fb
	;; [unrolled: 1-line block ×4, first 2 shown]
	v_cmp_neq_f64_e64 vcc, |v[1:2]|, s[22:23]
	v_bfrev_b32_e32 v11, 1
	s_mov_b32 s20, 0
	v_mul_f64 v[9:10], |v[9:10]|, s[4:5]
	s_mov_b32 s21, 0x41d00000
                                        ; implicit-def: $vgpr16
                                        ; implicit-def: $vgpr13_vgpr14
	v_cndmask_b32_e32 v10, v11, v10, vcc
	v_cndmask_b32_e32 v9, 0, v9, vcc
	v_cmp_nlt_f64_e64 s[20:21], |v[9:10]|, s[20:21]
                                        ; implicit-def: $vgpr11_vgpr12
	s_and_saveexec_b64 s[24:25], s[20:21]
	s_xor_b64 s[20:21], exec, s[24:25]
	s_cbranch_execz .LBB5_56
; %bb.55:
	v_trig_preop_f64 v[11:12], |v[9:10]|, 0
	s_mov_b32 s24, 0
	s_mov_b32 s25, 0x7b000000
	s_movk_i32 s5, 0xff80
	v_ldexp_f64 v[16:17], |v[9:10]|, s5
	v_cmp_ge_f64_e64 vcc, |v[9:10]|, s[24:25]
	v_trig_preop_f64 v[13:14], |v[9:10]|, 1
	v_and_b32_e32 v18, 0x7fffffff, v10
	v_trig_preop_f64 v[24:25], |v[9:10]|, 2
	v_mov_b32_e32 v35, 0x40100000
	v_mov_b32_e32 v34, 0
	s_mov_b32 s5, 0x3ff921fb
	v_cndmask_b32_e32 v17, v18, v17, vcc
	v_cndmask_b32_e32 v16, v9, v16, vcc
	v_mul_f64 v[18:19], v[11:12], v[16:17]
	v_mul_f64 v[20:21], v[13:14], v[16:17]
	;; [unrolled: 1-line block ×3, first 2 shown]
	v_fma_f64 v[11:12], v[11:12], v[16:17], -v[18:19]
	v_fma_f64 v[13:14], v[13:14], v[16:17], -v[20:21]
	;; [unrolled: 1-line block ×3, first 2 shown]
	v_add_f64 v[22:23], v[20:21], v[11:12]
	v_add_f64 v[26:27], v[22:23], -v[20:21]
	v_add_f64 v[32:33], v[18:19], v[22:23]
	v_add_f64 v[28:29], v[22:23], -v[26:27]
	v_add_f64 v[11:12], v[11:12], -v[26:27]
	v_add_f64 v[26:27], v[30:31], v[13:14]
	v_add_f64 v[18:19], v[32:33], -v[18:19]
	v_add_f64 v[20:21], v[20:21], -v[28:29]
	v_ldexp_f64 v[28:29], v[32:33], -2
	v_add_f64 v[36:37], v[26:27], -v[30:31]
	v_add_f64 v[18:19], v[22:23], -v[18:19]
	v_add_f64 v[11:12], v[11:12], v[20:21]
	v_fract_f64_e32 v[20:21], v[28:29]
	v_cmp_neq_f64_e64 vcc, |v[28:29]|, s[22:23]
	v_add_f64 v[13:14], v[13:14], -v[36:37]
	s_mov_b32 s22, 0x33145c07
	s_mov_b32 s23, 0x3c91a626
	v_add_f64 v[22:23], v[26:27], v[11:12]
	v_ldexp_f64 v[20:21], v[20:21], 2
	v_add_f64 v[28:29], v[18:19], v[22:23]
	v_cndmask_b32_e32 v21, 0, v21, vcc
	v_cndmask_b32_e32 v20, 0, v20, vcc
	v_add_f64 v[38:39], v[22:23], -v[26:27]
	v_add_f64 v[32:33], v[28:29], v[20:21]
	v_add_f64 v[18:19], v[28:29], -v[18:19]
	v_add_f64 v[40:41], v[22:23], -v[38:39]
	;; [unrolled: 1-line block ×3, first 2 shown]
	v_cmp_gt_f64_e32 vcc, 0, v[32:33]
	v_add_f64 v[32:33], v[26:27], -v[36:37]
	v_add_f64 v[18:19], v[22:23], -v[18:19]
	;; [unrolled: 1-line block ×3, first 2 shown]
	v_cndmask_b32_e32 v35, 0, v35, vcc
	v_add_f64 v[20:21], v[20:21], v[34:35]
	v_add_f64 v[32:33], v[30:31], -v[32:33]
	v_add_f64 v[11:12], v[11:12], v[26:27]
	v_add_f64 v[42:43], v[28:29], v[20:21]
	;; [unrolled: 1-line block ×3, first 2 shown]
	v_cvt_i32_f64_e32 v37, v[42:43]
	v_add_f64 v[11:12], v[13:14], v[11:12]
	v_cvt_f64_i32_e32 v[35:36], v37
	v_add_f64 v[20:21], v[20:21], -v[35:36]
	v_add_f64 v[11:12], v[16:17], v[11:12]
	v_add_f64 v[13:14], v[28:29], v[20:21]
	;; [unrolled: 1-line block ×3, first 2 shown]
	v_mov_b32_e32 v18, 0x3ff00000
	v_add_f64 v[16:17], v[13:14], -v[20:21]
	v_cmp_le_f64_e32 vcc, 0.5, v[13:14]
	v_add_f64 v[16:17], v[28:29], -v[16:17]
	v_cndmask_b32_e32 v35, 0, v18, vcc
	v_add_f64 v[13:14], v[13:14], -v[34:35]
	v_add_f64 v[11:12], v[11:12], v[16:17]
	v_add_f64 v[16:17], v[13:14], v[11:12]
	v_mul_f64 v[18:19], v[16:17], s[4:5]
	v_add_f64 v[13:14], v[16:17], -v[13:14]
	v_fma_f64 v[20:21], v[16:17], s[4:5], -v[18:19]
	v_add_f64 v[11:12], v[11:12], -v[13:14]
	v_fma_f64 v[13:14], v[16:17], s[22:23], v[20:21]
	v_fma_f64 v[13:14], v[11:12], s[4:5], v[13:14]
	v_add_f64 v[11:12], v[18:19], v[13:14]
	v_add_f64 v[16:17], v[11:12], -v[18:19]
	v_add_f64 v[13:14], v[13:14], -v[16:17]
	v_addc_co_u32_e32 v16, vcc, 0, v37, vcc
.LBB5_56:
	s_andn2_saveexec_b64 s[4:5], s[20:21]
	s_cbranch_execz .LBB5_58
; %bb.57:
	s_mov_b32 s20, 0x6dc9c883
	s_mov_b32 s21, 0x3fe45f30
	v_mul_f64 v[11:12], |v[9:10]|, s[20:21]
	s_mov_b32 s20, 0x54442d18
	s_mov_b32 s21, 0xbff921fb
	;; [unrolled: 1-line block ×4, first 2 shown]
	v_rndne_f64_e32 v[16:17], v[11:12]
	v_fma_f64 v[11:12], v[16:17], s[20:21], |v[9:10]|
	v_mul_f64 v[13:14], v[16:17], s[22:23]
	s_mov_b32 s20, 0x252049c0
	s_mov_b32 s21, 0xb97b839a
	v_fma_f64 v[22:23], v[16:17], s[22:23], v[11:12]
	v_add_f64 v[18:19], v[11:12], v[13:14]
	s_mov_b32 s23, 0x3c91a626
	v_add_f64 v[20:21], v[11:12], -v[18:19]
	v_add_f64 v[18:19], v[18:19], -v[22:23]
	v_add_f64 v[11:12], v[20:21], v[13:14]
	v_fma_f64 v[13:14], v[16:17], s[22:23], v[13:14]
	v_add_f64 v[11:12], v[18:19], v[11:12]
	v_add_f64 v[11:12], v[11:12], -v[13:14]
	v_fma_f64 v[13:14], v[16:17], s[20:21], v[11:12]
	v_cvt_i32_f64_e32 v16, v[16:17]
	v_add_f64 v[11:12], v[22:23], v[13:14]
	v_add_f64 v[18:19], v[11:12], -v[22:23]
	v_add_f64 v[13:14], v[13:14], -v[18:19]
.LBB5_58:
	s_or_b64 exec, exec, s[4:5]
	v_mul_f64 v[17:18], v[11:12], v[11:12]
	v_add_f64 v[19:20], v[13:14], v[13:14]
	s_mov_b32 s4, 0xc751c08c
	s_mov_b32 s5, 0x3ef5e089
	v_and_b32_e32 v16, 1, v16
	v_cmp_eq_u32_e32 vcc, 0, v16
	s_mov_b32 s22, 0x54442d18
	s_mov_b32 s23, 0xc00921fb
	v_fma_f64 v[21:22], v[11:12], v[11:12], -v[17:18]
	v_add_f64 v[1:2], -v[1:2], 1.0
	s_mov_b64 s[20:21], exec
	v_fma_f64 v[19:20], v[11:12], v[19:20], v[21:22]
	v_add_f64 v[17:18], v[17:18], v[19:20]
	v_mov_b32_e32 v19, 0xa9a29f71
	v_mov_b32_e32 v20, 0xbf078809
	v_fma_f64 v[19:20], v[17:18], s[4:5], v[19:20]
	s_mov_b32 s4, 0x90a8aae0
	s_mov_b32 s5, 0x3f17746f
	v_fma_f64 v[19:20], v[17:18], v[19:20], s[4:5]
	s_mov_b32 s4, 0xa6fbf144
	s_mov_b32 s5, 0xbefbb44d
	;; [unrolled: 3-line block ×12, first 2 shown]
	v_fma_f64 v[19:20], v[17:18], v[19:20], s[4:5]
	s_movk_i32 s4, 0x1f8
	v_cmp_class_f64_e64 s[4:5], v[9:10], s4
	v_mul_f64 v[17:18], v[17:18], v[19:20]
	v_mul_f64 v[19:20], v[11:12], v[17:18]
	v_add_f64 v[21:22], v[11:12], v[19:20]
	v_fma_f64 v[17:18], v[11:12], v[17:18], -v[19:20]
	v_add_f64 v[11:12], v[21:22], -v[11:12]
	v_add_f64 v[13:14], v[13:14], v[17:18]
	v_add_f64 v[11:12], v[19:20], -v[11:12]
	v_add_f64 v[11:12], v[13:14], v[11:12]
	v_add_f64 v[13:14], v[21:22], v[11:12]
	v_rcp_f64_e32 v[17:18], v[13:14]
	v_fma_f64 v[19:20], -v[13:14], v[17:18], 1.0
	v_fma_f64 v[17:18], v[19:20], v[17:18], v[17:18]
	v_fma_f64 v[19:20], -v[13:14], v[17:18], 1.0
	v_fma_f64 v[17:18], v[19:20], v[17:18], v[17:18]
	v_add_f64 v[19:20], v[13:14], -v[21:22]
	v_mul_f64 v[21:22], v[13:14], v[17:18]
	v_add_f64 v[11:12], v[11:12], -v[19:20]
	v_fma_f64 v[19:20], v[17:18], v[13:14], -v[21:22]
	v_fma_f64 v[11:12], v[17:18], v[11:12], v[19:20]
	v_add_f64 v[19:20], v[21:22], v[11:12]
	v_add_f64 v[23:24], -v[19:20], 1.0
	v_add_f64 v[21:22], v[19:20], -v[21:22]
	v_add_f64 v[25:26], -v[23:24], 1.0
	v_add_f64 v[11:12], v[21:22], -v[11:12]
	v_add_f64 v[19:20], v[25:26], -v[19:20]
	v_add_f64 v[11:12], v[11:12], v[19:20]
	v_add_f64 v[11:12], v[23:24], v[11:12]
	v_mul_f64 v[11:12], v[17:18], v[11:12]
	v_add_f64 v[11:12], v[17:18], v[11:12]
	v_and_b32_e32 v17, 0x80000000, v10
	v_mov_b32_e32 v10, 0x7ff80000
	v_xor_b32_e32 v9, 0x80000000, v12
	v_cndmask_b32_e32 v11, v11, v13, vcc
	v_cndmask_b32_e32 v12, v9, v14, vcc
	v_cndmask_b32_e64 v9, 0, v11, s[4:5]
	v_xor_b32_e32 v11, v12, v17
	v_cndmask_b32_e64 v10, v10, v11, s[4:5]
	v_div_scale_f64 v[11:12], s[4:5], v[9:10], v[9:10], s[22:23]
	v_rcp_f64_e32 v[13:14], v[11:12]
	v_fma_f64 v[16:17], -v[11:12], v[13:14], 1.0
	v_fma_f64 v[13:14], v[13:14], v[16:17], v[13:14]
	v_div_scale_f64 v[16:17], vcc, s[22:23], v[9:10], s[22:23]
	v_fma_f64 v[18:19], -v[11:12], v[13:14], 1.0
	v_fma_f64 v[13:14], v[13:14], v[18:19], v[13:14]
	v_mul_f64 v[18:19], v[16:17], v[13:14]
	v_fma_f64 v[11:12], -v[11:12], v[18:19], v[16:17]
	v_div_fmas_f64 v[11:12], v[11:12], v[13:14], v[18:19]
	v_div_fixup_f64 v[11:12], v[11:12], v[9:10], s[22:23]
.LBB5_59:
	s_or_b64 exec, exec, s[18:19]
	s_orn2_b64 s[18:19], s[20:21], exec
.LBB5_60:
	s_or_b64 exec, exec, s[16:17]
	v_mov_b32_e32 v9, 0
	v_mov_b32_e32 v10, 0x7ff80000
	s_and_saveexec_b64 s[4:5], s[18:19]
	s_cbranch_execz .LBB5_72
; %bb.61:
	s_mov_b32 s18, 0
	s_mov_b32 s19, 0x40240000
	v_cmp_gt_f64_e32 vcc, s[18:19], v[1:2]
	s_and_saveexec_b64 s[16:17], vcc
	s_cbranch_execz .LBB5_65
; %bb.62:
	s_mov_b64 s[20:21], 0
.LBB5_63:                               ; =>This Inner Loop Header: Depth=1
	v_div_scale_f64 v[9:10], s[22:23], v[1:2], v[1:2], 1.0
	v_rcp_f64_e32 v[13:14], v[9:10]
	v_fma_f64 v[16:17], -v[9:10], v[13:14], 1.0
	v_fma_f64 v[13:14], v[13:14], v[16:17], v[13:14]
	v_div_scale_f64 v[16:17], vcc, 1.0, v[1:2], 1.0
	v_fma_f64 v[18:19], -v[9:10], v[13:14], 1.0
	v_fma_f64 v[13:14], v[13:14], v[18:19], v[13:14]
	v_mul_f64 v[18:19], v[16:17], v[13:14]
	v_fma_f64 v[9:10], -v[9:10], v[18:19], v[16:17]
	v_div_fmas_f64 v[9:10], v[9:10], v[13:14], v[18:19]
	v_div_fixup_f64 v[9:10], v[9:10], v[1:2], 1.0
	v_add_f64 v[1:2], v[1:2], 1.0
	v_add_f64 v[11:12], v[11:12], -v[9:10]
	v_cmp_ngt_f64_e32 vcc, s[18:19], v[1:2]
	s_or_b64 s[20:21], vcc, s[20:21]
	s_andn2_b64 exec, exec, s[20:21]
	s_cbranch_execnz .LBB5_63
; %bb.64:
	s_or_b64 exec, exec, s[20:21]
.LBB5_65:
	s_or_b64 exec, exec, s[16:17]
	s_mov_b32 s16, 0
	s_mov_b32 s17, 0x40240000
	v_cmp_neq_f64_e32 vcc, s[16:17], v[1:2]
                                        ; implicit-def: $vgpr9_vgpr10
	s_and_saveexec_b64 s[16:17], vcc
	s_xor_b64 s[16:17], exec, s[16:17]
	s_cbranch_execz .LBB5_69
; %bb.66:
	s_mov_b32 s18, 0x85d8a000
	s_mov_b32 s19, 0x43763457
	v_cmp_gt_f64_e32 vcc, s[18:19], v[1:2]
	v_mov_b32_e32 v9, 0
	v_mov_b32_e32 v10, 0
	s_and_saveexec_b64 s[18:19], vcc
	s_cbranch_execz .LBB5_68
; %bb.67:
	v_mul_f64 v[9:10], v[1:2], v[1:2]
	s_mov_b32 s22, 0x95995996
	s_mov_b32 s23, 0xbf959959
	;; [unrolled: 1-line block ×4, first 2 shown]
	v_div_scale_f64 v[13:14], s[20:21], v[9:10], v[9:10], 1.0
	v_div_scale_f64 v[20:21], vcc, 1.0, v[9:10], 1.0
	s_mov_b32 s20, 0x55555555
	s_mov_b32 s21, 0x3fb55555
	v_rcp_f64_e32 v[16:17], v[13:14]
	v_fma_f64 v[18:19], -v[13:14], v[16:17], 1.0
	v_fma_f64 v[16:17], v[16:17], v[18:19], v[16:17]
	v_fma_f64 v[18:19], -v[13:14], v[16:17], 1.0
	v_fma_f64 v[16:17], v[16:17], v[18:19], v[16:17]
	v_mul_f64 v[18:19], v[20:21], v[16:17]
	v_fma_f64 v[13:14], -v[13:14], v[18:19], v[20:21]
	v_div_fmas_f64 v[13:14], v[13:14], v[16:17], v[18:19]
	v_div_fixup_f64 v[9:10], v[13:14], v[9:10], 1.0
	v_fma_f64 v[13:14], v[9:10], 0, s[20:21]
	v_fma_f64 v[13:14], v[9:10], v[13:14], s[22:23]
	s_mov_b32 s22, 0xf07c1f08
	s_mov_b32 s23, 0x3f7f07c1
	v_fma_f64 v[13:14], v[9:10], v[13:14], s[22:23]
	s_mov_b32 s23, 0xbf711111
	s_mov_b32 s22, 0x11111111
	v_fma_f64 v[13:14], v[9:10], v[13:14], s[22:23]
	s_mov_b32 s23, 0xbf811111
	v_fma_f64 v[13:14], v[9:10], v[13:14], s[24:25]
	v_fma_f64 v[13:14], v[9:10], v[13:14], s[22:23]
	;; [unrolled: 1-line block ×3, first 2 shown]
	v_mul_f64 v[9:10], v[9:10], v[13:14]
.LBB5_68:
	s_or_b64 exec, exec, s[18:19]
	v_frexp_mant_f64_e32 v[13:14], v[1:2]
	s_mov_b32 s19, 0x3fe55555
	s_mov_b32 s18, 0x55555555
	;; [unrolled: 1-line block ×4, first 2 shown]
	v_cmp_gt_f64_e32 vcc, s[18:19], v[13:14]
	s_mov_b32 s18, 0x55555780
	v_cndmask_b32_e64 v16, 0, 1, vcc
	v_ldexp_f64 v[13:14], v[13:14], v16
	v_add_f64 v[16:17], v[13:14], 1.0
	v_add_f64 v[22:23], v[13:14], -1.0
	v_rcp_f64_e32 v[18:19], v[16:17]
	v_add_f64 v[24:25], v[16:17], -1.0
	v_add_f64 v[13:14], v[13:14], -v[24:25]
	v_fma_f64 v[20:21], -v[16:17], v[18:19], 1.0
	v_fma_f64 v[18:19], v[20:21], v[18:19], v[18:19]
	v_fma_f64 v[20:21], -v[16:17], v[18:19], 1.0
	v_fma_f64 v[18:19], v[20:21], v[18:19], v[18:19]
	v_mul_f64 v[20:21], v[22:23], v[18:19]
	v_mul_f64 v[26:27], v[16:17], v[20:21]
	v_fma_f64 v[16:17], v[20:21], v[16:17], -v[26:27]
	v_fma_f64 v[13:14], v[20:21], v[13:14], v[16:17]
	v_add_f64 v[16:17], v[26:27], v[13:14]
	v_add_f64 v[24:25], v[22:23], -v[16:17]
	v_add_f64 v[26:27], v[16:17], -v[26:27]
	;; [unrolled: 1-line block ×5, first 2 shown]
	v_mov_b32_e32 v22, 0x6b47b09a
	v_mov_b32_e32 v23, 0x3fc38538
	v_add_f64 v[13:14], v[13:14], v[16:17]
	v_add_f64 v[13:14], v[24:25], v[13:14]
	v_mul_f64 v[13:14], v[18:19], v[13:14]
	v_add_f64 v[16:17], v[20:21], v[13:14]
	v_mul_f64 v[18:19], v[16:17], v[16:17]
	v_fma_f64 v[22:23], v[18:19], s[20:21], v[22:23]
	s_mov_b32 s20, 0xd7f4df2e
	s_mov_b32 s21, 0x3fc7474d
	v_mul_f64 v[24:25], v[16:17], v[18:19]
	v_fma_f64 v[22:23], v[18:19], v[22:23], s[20:21]
	s_mov_b32 s20, 0x16291751
	s_mov_b32 s21, 0x3fcc71c0
	v_fma_f64 v[22:23], v[18:19], v[22:23], s[20:21]
	s_mov_b32 s20, 0x9b27acf1
	s_mov_b32 s21, 0x3fd24924
	;; [unrolled: 3-line block ×3, first 2 shown]
	v_fma_f64 v[22:23], v[18:19], v[22:23], s[20:21]
	v_fma_f64 v[18:19], v[18:19], v[22:23], s[18:19]
	v_ldexp_f64 v[22:23], v[16:17], 1
	v_add_f64 v[16:17], v[16:17], -v[20:21]
	s_mov_b32 s18, 0xfefa39ef
	s_mov_b32 s19, 0x3fe62e42
	v_mul_f64 v[18:19], v[24:25], v[18:19]
	v_frexp_exp_i32_f64_e32 v24, v[1:2]
	v_add_f64 v[13:14], v[13:14], -v[16:17]
	v_add_f64 v[20:21], v[22:23], v[18:19]
	v_subbrev_co_u32_e32 v24, vcc, 0, v24, vcc
	v_cvt_f64_i32_e32 v[24:25], v24
	v_ldexp_f64 v[13:14], v[13:14], 1
	v_mul_f64 v[26:27], v[24:25], s[18:19]
	v_add_f64 v[16:17], v[20:21], -v[22:23]
	v_fma_f64 v[22:23], v[24:25], s[18:19], -v[26:27]
	v_add_f64 v[16:17], v[18:19], -v[16:17]
	s_mov_b32 s18, 0x3b39803f
	s_mov_b32 s19, 0x3c7abc9e
	v_fma_f64 v[18:19], v[24:25], s[18:19], v[22:23]
	v_add_f64 v[13:14], v[13:14], v[16:17]
	v_div_scale_f64 v[16:17], s[18:19], v[1:2], v[1:2], -0.5
	s_movk_i32 s18, 0x204
	v_add_f64 v[22:23], v[26:27], v[18:19]
	v_add_f64 v[24:25], v[20:21], v[13:14]
	v_add_f64 v[26:27], v[22:23], -v[26:27]
	v_add_f64 v[28:29], v[22:23], v[24:25]
	v_rcp_f64_e32 v[30:31], v[16:17]
	v_add_f64 v[20:21], v[24:25], -v[20:21]
	v_add_f64 v[18:19], v[18:19], -v[26:27]
	;; [unrolled: 1-line block ×5, first 2 shown]
	v_fma_f64 v[36:37], -v[16:17], v[30:31], 1.0
	v_add_f64 v[20:21], v[24:25], -v[32:33]
	v_add_f64 v[26:27], v[18:19], v[13:14]
	v_add_f64 v[22:23], v[22:23], -v[34:35]
	v_fma_f64 v[24:25], v[30:31], v[36:37], v[30:31]
	v_add_f64 v[32:33], v[26:27], -v[18:19]
	v_add_f64 v[20:21], v[20:21], v[22:23]
	v_div_scale_f64 v[22:23], vcc, -0.5, v[1:2], -0.5
	v_fma_f64 v[30:31], -v[16:17], v[24:25], 1.0
	v_add_f64 v[13:14], v[13:14], -v[32:33]
	v_add_f64 v[20:21], v[26:27], v[20:21]
	v_add_f64 v[26:27], v[26:27], -v[32:33]
	v_fma_f64 v[24:25], v[24:25], v[30:31], v[24:25]
	v_add_f64 v[30:31], v[28:29], v[20:21]
	v_add_f64 v[18:19], v[18:19], -v[26:27]
	v_mul_f64 v[34:35], v[22:23], v[24:25]
	v_add_f64 v[26:27], v[30:31], -v[28:29]
	v_add_f64 v[13:14], v[13:14], v[18:19]
	v_fma_f64 v[16:17], -v[16:17], v[34:35], v[22:23]
	v_add_f64 v[18:19], v[20:21], -v[26:27]
	v_div_fmas_f64 v[16:17], v[16:17], v[24:25], v[34:35]
	v_cmp_class_f64_e64 vcc, v[1:2], s18
	v_add_f64 v[13:14], v[13:14], v[18:19]
	v_add_f64 v[13:14], v[30:31], v[13:14]
	v_div_fixup_f64 v[16:17], v[16:17], v[1:2], -0.5
	v_cndmask_b32_e32 v2, v14, v2, vcc
	v_cndmask_b32_e32 v1, v13, v1, vcc
	v_add_f64 v[1:2], v[1:2], v[16:17]
	v_add_f64 v[1:2], v[1:2], -v[9:10]
	v_add_f64 v[9:10], v[11:12], v[1:2]
                                        ; implicit-def: $vgpr11_vgpr12
.LBB5_69:
	s_andn2_saveexec_b64 s[16:17], s[16:17]
	s_cbranch_execz .LBB5_71
; %bb.70:
	s_mov_b32 s18, 0xdc85cc95
	s_mov_b32 s19, 0x40020396
	v_add_f64 v[9:10], v[11:12], s[18:19]
.LBB5_71:
	s_or_b64 exec, exec, s[16:17]
.LBB5_72:
	s_or_b64 exec, exec, s[4:5]
.LBB5_73:
	s_andn2_saveexec_b64 s[4:5], s[14:15]
; %bb.74:
	v_xor_b32_e32 v1, 0x80000000, v2
	s_brev_b32 s14, -2
	v_mov_b32_e32 v2, 0x7ff00000
	v_bfi_b32 v10, s14, v2, v1
	v_mov_b32_e32 v9, 0
; %bb.75:
	s_or_b64 exec, exec, s[4:5]
	v_cmp_neq_f64_e32 vcc, 0, v[3:4]
	s_and_saveexec_b64 s[4:5], vcc
	s_xor_b64 s[14:15], exec, s[4:5]
	s_cbranch_execz .LBB5_97
; %bb.76:
	v_cmp_gt_f64_e32 vcc, 0, v[3:4]
	v_mov_b32_e32 v1, 0
	v_mov_b32_e32 v2, 0
	s_mov_b64 s[18:19], -1
	s_and_saveexec_b64 s[16:17], vcc
	s_cbranch_execz .LBB5_84
; %bb.77:
	v_trunc_f64_e32 v[11:12], v[3:4]
	v_mov_b32_e32 v1, 0
	v_mov_b32_e32 v2, 0
	s_mov_b64 s[20:21], 0
	v_cmp_neq_f64_e32 vcc, v[3:4], v[11:12]
	s_and_saveexec_b64 s[18:19], vcc
	s_cbranch_execz .LBB5_83
; %bb.78:
	v_add_f64 v[1:2], v[3:4], -v[11:12]
	s_mov_b32 s22, 0
	s_mov_b32 s5, 0xc00921fb
	;; [unrolled: 1-line block ×4, first 2 shown]
	v_cmp_neq_f64_e64 vcc, |v[3:4]|, s[22:23]
	v_bfrev_b32_e32 v11, 1
	s_mov_b32 s20, 0
	v_mul_f64 v[1:2], |v[1:2]|, s[4:5]
	s_mov_b32 s21, 0x41d00000
                                        ; implicit-def: $vgpr16
                                        ; implicit-def: $vgpr13_vgpr14
	v_cndmask_b32_e32 v2, v11, v2, vcc
	v_cndmask_b32_e32 v1, 0, v1, vcc
	v_cmp_nlt_f64_e64 s[20:21], |v[1:2]|, s[20:21]
                                        ; implicit-def: $vgpr11_vgpr12
	s_and_saveexec_b64 s[24:25], s[20:21]
	s_xor_b64 s[20:21], exec, s[24:25]
	s_cbranch_execz .LBB5_80
; %bb.79:
	v_trig_preop_f64 v[11:12], |v[1:2]|, 0
	s_mov_b32 s24, 0
	s_mov_b32 s25, 0x7b000000
	s_movk_i32 s5, 0xff80
	v_ldexp_f64 v[16:17], |v[1:2]|, s5
	v_cmp_ge_f64_e64 vcc, |v[1:2]|, s[24:25]
	v_trig_preop_f64 v[13:14], |v[1:2]|, 1
	v_and_b32_e32 v18, 0x7fffffff, v2
	v_trig_preop_f64 v[24:25], |v[1:2]|, 2
	v_mov_b32_e32 v35, 0x40100000
	v_mov_b32_e32 v34, 0
	s_mov_b32 s5, 0x3ff921fb
	v_cndmask_b32_e32 v17, v18, v17, vcc
	v_cndmask_b32_e32 v16, v1, v16, vcc
	v_mul_f64 v[18:19], v[11:12], v[16:17]
	v_mul_f64 v[20:21], v[13:14], v[16:17]
	;; [unrolled: 1-line block ×3, first 2 shown]
	v_fma_f64 v[11:12], v[11:12], v[16:17], -v[18:19]
	v_fma_f64 v[13:14], v[13:14], v[16:17], -v[20:21]
	;; [unrolled: 1-line block ×3, first 2 shown]
	v_add_f64 v[22:23], v[20:21], v[11:12]
	v_add_f64 v[26:27], v[22:23], -v[20:21]
	v_add_f64 v[32:33], v[18:19], v[22:23]
	v_add_f64 v[28:29], v[22:23], -v[26:27]
	v_add_f64 v[11:12], v[11:12], -v[26:27]
	v_add_f64 v[26:27], v[30:31], v[13:14]
	v_add_f64 v[18:19], v[32:33], -v[18:19]
	v_add_f64 v[20:21], v[20:21], -v[28:29]
	v_ldexp_f64 v[28:29], v[32:33], -2
	v_add_f64 v[36:37], v[26:27], -v[30:31]
	v_add_f64 v[18:19], v[22:23], -v[18:19]
	v_add_f64 v[11:12], v[11:12], v[20:21]
	v_fract_f64_e32 v[20:21], v[28:29]
	v_cmp_neq_f64_e64 vcc, |v[28:29]|, s[22:23]
	v_add_f64 v[13:14], v[13:14], -v[36:37]
	s_mov_b32 s22, 0x33145c07
	s_mov_b32 s23, 0x3c91a626
	v_add_f64 v[22:23], v[26:27], v[11:12]
	v_ldexp_f64 v[20:21], v[20:21], 2
	v_add_f64 v[28:29], v[18:19], v[22:23]
	v_cndmask_b32_e32 v21, 0, v21, vcc
	v_cndmask_b32_e32 v20, 0, v20, vcc
	v_add_f64 v[38:39], v[22:23], -v[26:27]
	v_add_f64 v[32:33], v[28:29], v[20:21]
	v_add_f64 v[18:19], v[28:29], -v[18:19]
	v_add_f64 v[40:41], v[22:23], -v[38:39]
	v_add_f64 v[11:12], v[11:12], -v[38:39]
	v_cmp_gt_f64_e32 vcc, 0, v[32:33]
	v_add_f64 v[32:33], v[26:27], -v[36:37]
	v_add_f64 v[18:19], v[22:23], -v[18:19]
	;; [unrolled: 1-line block ×3, first 2 shown]
	v_cndmask_b32_e32 v35, 0, v35, vcc
	v_add_f64 v[20:21], v[20:21], v[34:35]
	v_add_f64 v[32:33], v[30:31], -v[32:33]
	v_add_f64 v[11:12], v[11:12], v[26:27]
	v_add_f64 v[42:43], v[28:29], v[20:21]
	;; [unrolled: 1-line block ×3, first 2 shown]
	v_cvt_i32_f64_e32 v37, v[42:43]
	v_add_f64 v[11:12], v[13:14], v[11:12]
	v_cvt_f64_i32_e32 v[35:36], v37
	v_add_f64 v[20:21], v[20:21], -v[35:36]
	v_add_f64 v[11:12], v[16:17], v[11:12]
	v_add_f64 v[13:14], v[28:29], v[20:21]
	;; [unrolled: 1-line block ×3, first 2 shown]
	v_mov_b32_e32 v18, 0x3ff00000
	v_add_f64 v[16:17], v[13:14], -v[20:21]
	v_cmp_le_f64_e32 vcc, 0.5, v[13:14]
	v_add_f64 v[16:17], v[28:29], -v[16:17]
	v_cndmask_b32_e32 v35, 0, v18, vcc
	v_add_f64 v[13:14], v[13:14], -v[34:35]
	v_add_f64 v[11:12], v[11:12], v[16:17]
	v_add_f64 v[16:17], v[13:14], v[11:12]
	v_mul_f64 v[18:19], v[16:17], s[4:5]
	v_add_f64 v[13:14], v[16:17], -v[13:14]
	v_fma_f64 v[20:21], v[16:17], s[4:5], -v[18:19]
	v_add_f64 v[11:12], v[11:12], -v[13:14]
	v_fma_f64 v[13:14], v[16:17], s[22:23], v[20:21]
	v_fma_f64 v[13:14], v[11:12], s[4:5], v[13:14]
	v_add_f64 v[11:12], v[18:19], v[13:14]
	v_add_f64 v[16:17], v[11:12], -v[18:19]
	v_add_f64 v[13:14], v[13:14], -v[16:17]
	v_addc_co_u32_e32 v16, vcc, 0, v37, vcc
.LBB5_80:
	s_andn2_saveexec_b64 s[4:5], s[20:21]
	s_cbranch_execz .LBB5_82
; %bb.81:
	s_mov_b32 s20, 0x6dc9c883
	s_mov_b32 s21, 0x3fe45f30
	v_mul_f64 v[11:12], |v[1:2]|, s[20:21]
	s_mov_b32 s20, 0x54442d18
	s_mov_b32 s21, 0xbff921fb
	;; [unrolled: 1-line block ×4, first 2 shown]
	v_rndne_f64_e32 v[16:17], v[11:12]
	v_fma_f64 v[11:12], v[16:17], s[20:21], |v[1:2]|
	v_mul_f64 v[13:14], v[16:17], s[22:23]
	s_mov_b32 s20, 0x252049c0
	s_mov_b32 s21, 0xb97b839a
	v_fma_f64 v[22:23], v[16:17], s[22:23], v[11:12]
	v_add_f64 v[18:19], v[11:12], v[13:14]
	s_mov_b32 s23, 0x3c91a626
	v_add_f64 v[20:21], v[11:12], -v[18:19]
	v_add_f64 v[18:19], v[18:19], -v[22:23]
	v_add_f64 v[11:12], v[20:21], v[13:14]
	v_fma_f64 v[13:14], v[16:17], s[22:23], v[13:14]
	v_add_f64 v[11:12], v[18:19], v[11:12]
	v_add_f64 v[11:12], v[11:12], -v[13:14]
	v_fma_f64 v[13:14], v[16:17], s[20:21], v[11:12]
	v_cvt_i32_f64_e32 v16, v[16:17]
	v_add_f64 v[11:12], v[22:23], v[13:14]
	v_add_f64 v[18:19], v[11:12], -v[22:23]
	v_add_f64 v[13:14], v[13:14], -v[18:19]
.LBB5_82:
	s_or_b64 exec, exec, s[4:5]
	v_mul_f64 v[17:18], v[11:12], v[11:12]
	v_add_f64 v[19:20], v[13:14], v[13:14]
	s_mov_b32 s4, 0xc751c08c
	s_mov_b32 s5, 0x3ef5e089
	v_and_b32_e32 v16, 1, v16
	v_cmp_eq_u32_e32 vcc, 0, v16
	s_mov_b32 s22, 0x54442d18
	s_mov_b32 s23, 0xc00921fb
	v_fma_f64 v[21:22], v[11:12], v[11:12], -v[17:18]
	v_add_f64 v[3:4], -v[3:4], 1.0
	s_mov_b64 s[20:21], exec
	v_fma_f64 v[19:20], v[11:12], v[19:20], v[21:22]
	v_add_f64 v[17:18], v[17:18], v[19:20]
	v_mov_b32_e32 v19, 0xa9a29f71
	v_mov_b32_e32 v20, 0xbf078809
	v_fma_f64 v[19:20], v[17:18], s[4:5], v[19:20]
	s_mov_b32 s4, 0x90a8aae0
	s_mov_b32 s5, 0x3f17746f
	v_fma_f64 v[19:20], v[17:18], v[19:20], s[4:5]
	s_mov_b32 s4, 0xa6fbf144
	s_mov_b32 s5, 0xbefbb44d
	;; [unrolled: 3-line block ×12, first 2 shown]
	v_fma_f64 v[19:20], v[17:18], v[19:20], s[4:5]
	s_movk_i32 s4, 0x1f8
	v_cmp_class_f64_e64 s[4:5], v[1:2], s4
	v_mul_f64 v[17:18], v[17:18], v[19:20]
	v_mul_f64 v[19:20], v[11:12], v[17:18]
	v_add_f64 v[21:22], v[11:12], v[19:20]
	v_fma_f64 v[17:18], v[11:12], v[17:18], -v[19:20]
	v_add_f64 v[11:12], v[21:22], -v[11:12]
	v_add_f64 v[13:14], v[13:14], v[17:18]
	v_add_f64 v[11:12], v[19:20], -v[11:12]
	v_add_f64 v[11:12], v[13:14], v[11:12]
	v_add_f64 v[13:14], v[21:22], v[11:12]
	v_rcp_f64_e32 v[17:18], v[13:14]
	v_fma_f64 v[19:20], -v[13:14], v[17:18], 1.0
	v_fma_f64 v[17:18], v[19:20], v[17:18], v[17:18]
	v_fma_f64 v[19:20], -v[13:14], v[17:18], 1.0
	v_fma_f64 v[17:18], v[19:20], v[17:18], v[17:18]
	v_add_f64 v[19:20], v[13:14], -v[21:22]
	v_mul_f64 v[21:22], v[13:14], v[17:18]
	v_add_f64 v[11:12], v[11:12], -v[19:20]
	v_fma_f64 v[19:20], v[17:18], v[13:14], -v[21:22]
	v_fma_f64 v[11:12], v[17:18], v[11:12], v[19:20]
	v_add_f64 v[19:20], v[21:22], v[11:12]
	v_add_f64 v[23:24], -v[19:20], 1.0
	v_add_f64 v[21:22], v[19:20], -v[21:22]
	v_add_f64 v[25:26], -v[23:24], 1.0
	v_add_f64 v[11:12], v[21:22], -v[11:12]
	v_add_f64 v[19:20], v[25:26], -v[19:20]
	v_add_f64 v[11:12], v[11:12], v[19:20]
	v_add_f64 v[11:12], v[23:24], v[11:12]
	v_mul_f64 v[11:12], v[17:18], v[11:12]
	v_add_f64 v[11:12], v[17:18], v[11:12]
	v_and_b32_e32 v17, 0x80000000, v2
	v_mov_b32_e32 v2, 0x7ff80000
	v_xor_b32_e32 v1, 0x80000000, v12
	v_cndmask_b32_e32 v11, v11, v13, vcc
	v_cndmask_b32_e32 v12, v1, v14, vcc
	v_cndmask_b32_e64 v1, 0, v11, s[4:5]
	v_xor_b32_e32 v11, v12, v17
	v_cndmask_b32_e64 v2, v2, v11, s[4:5]
	v_div_scale_f64 v[11:12], s[4:5], v[1:2], v[1:2], s[22:23]
	v_rcp_f64_e32 v[13:14], v[11:12]
	v_fma_f64 v[16:17], -v[11:12], v[13:14], 1.0
	v_fma_f64 v[13:14], v[13:14], v[16:17], v[13:14]
	v_div_scale_f64 v[16:17], vcc, s[22:23], v[1:2], s[22:23]
	v_fma_f64 v[18:19], -v[11:12], v[13:14], 1.0
	v_fma_f64 v[13:14], v[13:14], v[18:19], v[13:14]
	v_mul_f64 v[18:19], v[16:17], v[13:14]
	v_fma_f64 v[11:12], -v[11:12], v[18:19], v[16:17]
	v_div_fmas_f64 v[11:12], v[11:12], v[13:14], v[18:19]
	v_div_fixup_f64 v[1:2], v[11:12], v[1:2], s[22:23]
.LBB5_83:
	s_or_b64 exec, exec, s[18:19]
	s_orn2_b64 s[18:19], s[20:21], exec
.LBB5_84:
	s_or_b64 exec, exec, s[16:17]
	v_mov_b32_e32 v11, 0
	v_mov_b32_e32 v12, 0x7ff80000
	s_and_saveexec_b64 s[4:5], s[18:19]
	s_cbranch_execz .LBB5_96
; %bb.85:
	s_mov_b32 s18, 0
	s_mov_b32 s19, 0x40240000
	v_cmp_gt_f64_e32 vcc, s[18:19], v[3:4]
	s_and_saveexec_b64 s[16:17], vcc
	s_cbranch_execz .LBB5_89
; %bb.86:
	s_mov_b64 s[20:21], 0
.LBB5_87:                               ; =>This Inner Loop Header: Depth=1
	v_div_scale_f64 v[11:12], s[22:23], v[3:4], v[3:4], 1.0
	v_rcp_f64_e32 v[13:14], v[11:12]
	v_fma_f64 v[16:17], -v[11:12], v[13:14], 1.0
	v_fma_f64 v[13:14], v[13:14], v[16:17], v[13:14]
	v_div_scale_f64 v[16:17], vcc, 1.0, v[3:4], 1.0
	v_fma_f64 v[18:19], -v[11:12], v[13:14], 1.0
	v_fma_f64 v[13:14], v[13:14], v[18:19], v[13:14]
	v_mul_f64 v[18:19], v[16:17], v[13:14]
	v_fma_f64 v[11:12], -v[11:12], v[18:19], v[16:17]
	v_div_fmas_f64 v[11:12], v[11:12], v[13:14], v[18:19]
	v_div_fixup_f64 v[11:12], v[11:12], v[3:4], 1.0
	v_add_f64 v[3:4], v[3:4], 1.0
	v_add_f64 v[1:2], v[1:2], -v[11:12]
	v_cmp_ngt_f64_e32 vcc, s[18:19], v[3:4]
	s_or_b64 s[20:21], vcc, s[20:21]
	s_andn2_b64 exec, exec, s[20:21]
	s_cbranch_execnz .LBB5_87
; %bb.88:
	s_or_b64 exec, exec, s[20:21]
.LBB5_89:
	s_or_b64 exec, exec, s[16:17]
	s_mov_b32 s16, 0
	s_mov_b32 s17, 0x40240000
	v_cmp_neq_f64_e32 vcc, s[16:17], v[3:4]
	s_and_saveexec_b64 s[16:17], vcc
	s_xor_b64 s[16:17], exec, s[16:17]
	s_cbranch_execz .LBB5_93
; %bb.90:
	s_mov_b32 s18, 0x85d8a000
	s_mov_b32 s19, 0x43763457
	v_cmp_gt_f64_e32 vcc, s[18:19], v[3:4]
	v_mov_b32_e32 v11, 0
	v_mov_b32_e32 v12, 0
	s_and_saveexec_b64 s[18:19], vcc
	s_cbranch_execz .LBB5_92
; %bb.91:
	v_mul_f64 v[11:12], v[3:4], v[3:4]
	s_mov_b32 s22, 0x95995996
	s_mov_b32 s23, 0xbf959959
	;; [unrolled: 1-line block ×4, first 2 shown]
	v_div_scale_f64 v[13:14], s[20:21], v[11:12], v[11:12], 1.0
	v_div_scale_f64 v[20:21], vcc, 1.0, v[11:12], 1.0
	s_mov_b32 s20, 0x55555555
	s_mov_b32 s21, 0x3fb55555
	v_rcp_f64_e32 v[16:17], v[13:14]
	v_fma_f64 v[18:19], -v[13:14], v[16:17], 1.0
	v_fma_f64 v[16:17], v[16:17], v[18:19], v[16:17]
	v_fma_f64 v[18:19], -v[13:14], v[16:17], 1.0
	v_fma_f64 v[16:17], v[16:17], v[18:19], v[16:17]
	v_mul_f64 v[18:19], v[20:21], v[16:17]
	v_fma_f64 v[13:14], -v[13:14], v[18:19], v[20:21]
	v_div_fmas_f64 v[13:14], v[13:14], v[16:17], v[18:19]
	v_div_fixup_f64 v[11:12], v[13:14], v[11:12], 1.0
	v_fma_f64 v[13:14], v[11:12], 0, s[20:21]
	v_fma_f64 v[13:14], v[11:12], v[13:14], s[22:23]
	s_mov_b32 s22, 0xf07c1f08
	s_mov_b32 s23, 0x3f7f07c1
	v_fma_f64 v[13:14], v[11:12], v[13:14], s[22:23]
	s_mov_b32 s23, 0xbf711111
	s_mov_b32 s22, 0x11111111
	v_fma_f64 v[13:14], v[11:12], v[13:14], s[22:23]
	s_mov_b32 s23, 0xbf811111
	v_fma_f64 v[13:14], v[11:12], v[13:14], s[24:25]
	v_fma_f64 v[13:14], v[11:12], v[13:14], s[22:23]
	;; [unrolled: 1-line block ×3, first 2 shown]
	v_mul_f64 v[11:12], v[11:12], v[13:14]
.LBB5_92:
	s_or_b64 exec, exec, s[18:19]
	v_frexp_mant_f64_e32 v[13:14], v[3:4]
	s_mov_b32 s19, 0x3fe55555
	s_mov_b32 s18, 0x55555555
	;; [unrolled: 1-line block ×4, first 2 shown]
	v_cmp_gt_f64_e32 vcc, s[18:19], v[13:14]
	s_mov_b32 s18, 0x55555780
	v_cndmask_b32_e64 v16, 0, 1, vcc
	v_ldexp_f64 v[13:14], v[13:14], v16
	v_add_f64 v[16:17], v[13:14], 1.0
	v_add_f64 v[22:23], v[13:14], -1.0
	v_rcp_f64_e32 v[18:19], v[16:17]
	v_add_f64 v[24:25], v[16:17], -1.0
	v_add_f64 v[13:14], v[13:14], -v[24:25]
	v_fma_f64 v[20:21], -v[16:17], v[18:19], 1.0
	v_fma_f64 v[18:19], v[20:21], v[18:19], v[18:19]
	v_fma_f64 v[20:21], -v[16:17], v[18:19], 1.0
	v_fma_f64 v[18:19], v[20:21], v[18:19], v[18:19]
	v_mul_f64 v[20:21], v[22:23], v[18:19]
	v_mul_f64 v[26:27], v[16:17], v[20:21]
	v_fma_f64 v[16:17], v[20:21], v[16:17], -v[26:27]
	v_fma_f64 v[13:14], v[20:21], v[13:14], v[16:17]
	v_add_f64 v[16:17], v[26:27], v[13:14]
	v_add_f64 v[24:25], v[22:23], -v[16:17]
	v_add_f64 v[26:27], v[16:17], -v[26:27]
	;; [unrolled: 1-line block ×5, first 2 shown]
	v_mov_b32_e32 v22, 0x6b47b09a
	v_mov_b32_e32 v23, 0x3fc38538
	v_add_f64 v[13:14], v[13:14], v[16:17]
	v_add_f64 v[13:14], v[24:25], v[13:14]
	v_mul_f64 v[13:14], v[18:19], v[13:14]
	v_add_f64 v[16:17], v[20:21], v[13:14]
	v_mul_f64 v[18:19], v[16:17], v[16:17]
	v_fma_f64 v[22:23], v[18:19], s[20:21], v[22:23]
	s_mov_b32 s20, 0xd7f4df2e
	s_mov_b32 s21, 0x3fc7474d
	v_mul_f64 v[24:25], v[16:17], v[18:19]
	v_fma_f64 v[22:23], v[18:19], v[22:23], s[20:21]
	s_mov_b32 s20, 0x16291751
	s_mov_b32 s21, 0x3fcc71c0
	v_fma_f64 v[22:23], v[18:19], v[22:23], s[20:21]
	s_mov_b32 s20, 0x9b27acf1
	s_mov_b32 s21, 0x3fd24924
	;; [unrolled: 3-line block ×3, first 2 shown]
	v_fma_f64 v[22:23], v[18:19], v[22:23], s[20:21]
	v_fma_f64 v[18:19], v[18:19], v[22:23], s[18:19]
	v_ldexp_f64 v[22:23], v[16:17], 1
	v_add_f64 v[16:17], v[16:17], -v[20:21]
	s_mov_b32 s18, 0xfefa39ef
	s_mov_b32 s19, 0x3fe62e42
	v_mul_f64 v[18:19], v[24:25], v[18:19]
	v_frexp_exp_i32_f64_e32 v24, v[3:4]
	v_add_f64 v[13:14], v[13:14], -v[16:17]
	v_add_f64 v[20:21], v[22:23], v[18:19]
	v_subbrev_co_u32_e32 v24, vcc, 0, v24, vcc
	v_cvt_f64_i32_e32 v[24:25], v24
	v_ldexp_f64 v[13:14], v[13:14], 1
	v_mul_f64 v[26:27], v[24:25], s[18:19]
	v_add_f64 v[16:17], v[20:21], -v[22:23]
	v_fma_f64 v[22:23], v[24:25], s[18:19], -v[26:27]
	v_add_f64 v[16:17], v[18:19], -v[16:17]
	s_mov_b32 s18, 0x3b39803f
	s_mov_b32 s19, 0x3c7abc9e
	v_fma_f64 v[18:19], v[24:25], s[18:19], v[22:23]
	v_add_f64 v[13:14], v[13:14], v[16:17]
	v_div_scale_f64 v[16:17], s[18:19], v[3:4], v[3:4], -0.5
	s_movk_i32 s18, 0x204
	v_add_f64 v[22:23], v[26:27], v[18:19]
	v_add_f64 v[24:25], v[20:21], v[13:14]
	v_add_f64 v[26:27], v[22:23], -v[26:27]
	v_add_f64 v[28:29], v[22:23], v[24:25]
	v_rcp_f64_e32 v[30:31], v[16:17]
	v_add_f64 v[20:21], v[24:25], -v[20:21]
	v_add_f64 v[18:19], v[18:19], -v[26:27]
	;; [unrolled: 1-line block ×5, first 2 shown]
	v_fma_f64 v[36:37], -v[16:17], v[30:31], 1.0
	v_add_f64 v[20:21], v[24:25], -v[32:33]
	v_add_f64 v[26:27], v[18:19], v[13:14]
	v_add_f64 v[22:23], v[22:23], -v[34:35]
	v_fma_f64 v[24:25], v[30:31], v[36:37], v[30:31]
	v_add_f64 v[32:33], v[26:27], -v[18:19]
	v_add_f64 v[20:21], v[20:21], v[22:23]
	v_div_scale_f64 v[22:23], vcc, -0.5, v[3:4], -0.5
	v_fma_f64 v[30:31], -v[16:17], v[24:25], 1.0
	v_add_f64 v[13:14], v[13:14], -v[32:33]
	v_add_f64 v[20:21], v[26:27], v[20:21]
	v_add_f64 v[26:27], v[26:27], -v[32:33]
	v_fma_f64 v[24:25], v[24:25], v[30:31], v[24:25]
	v_add_f64 v[30:31], v[28:29], v[20:21]
	v_add_f64 v[18:19], v[18:19], -v[26:27]
	v_mul_f64 v[34:35], v[22:23], v[24:25]
	v_add_f64 v[26:27], v[30:31], -v[28:29]
	v_add_f64 v[13:14], v[13:14], v[18:19]
	v_fma_f64 v[16:17], -v[16:17], v[34:35], v[22:23]
	v_add_f64 v[18:19], v[20:21], -v[26:27]
	v_div_fmas_f64 v[16:17], v[16:17], v[24:25], v[34:35]
	v_cmp_class_f64_e64 vcc, v[3:4], s18
	v_add_f64 v[13:14], v[13:14], v[18:19]
	v_add_f64 v[13:14], v[30:31], v[13:14]
	v_div_fixup_f64 v[16:17], v[16:17], v[3:4], -0.5
	v_cndmask_b32_e32 v4, v14, v4, vcc
	v_cndmask_b32_e32 v3, v13, v3, vcc
	v_add_f64 v[3:4], v[3:4], v[16:17]
	v_add_f64 v[3:4], v[3:4], -v[11:12]
	v_add_f64 v[11:12], v[1:2], v[3:4]
                                        ; implicit-def: $vgpr1_vgpr2
.LBB5_93:
	s_andn2_saveexec_b64 s[16:17], s[16:17]
	s_cbranch_execz .LBB5_95
; %bb.94:
	s_mov_b32 s18, 0xdc85cc95
	s_mov_b32 s19, 0x40020396
	v_add_f64 v[11:12], v[1:2], s[18:19]
.LBB5_95:
	s_or_b64 exec, exec, s[16:17]
.LBB5_96:
	s_or_b64 exec, exec, s[4:5]
                                        ; implicit-def: $vgpr3_vgpr4
.LBB5_97:
	s_andn2_saveexec_b64 s[4:5], s[14:15]
; %bb.98:
	v_xor_b32_e32 v1, 0x80000000, v4
	s_brev_b32 s14, -2
	v_mov_b32_e32 v2, 0x7ff00000
	v_bfi_b32 v12, s14, v2, v1
	v_mov_b32_e32 v11, 0
; %bb.99:
	s_or_b64 exec, exec, s[4:5]
	s_add_u32 s4, s8, s12
	s_addc_u32 s5, s9, s13
	v_mov_b32_e32 v1, s5
	v_add_co_u32_e32 v2, vcc, s4, v15
	v_addc_co_u32_e32 v3, vcc, 0, v1, vcc
	v_add_co_u32_e32 v1, vcc, 0x1000, v2
	v_addc_co_u32_e32 v2, vcc, 0, v3, vcc
	global_store_dwordx4 v15, v[5:8], s[4:5]
	global_store_dwordx4 v[1:2], v[9:12], off
	s_branch .LBB5_2
.LBB5_100:
	s_getpc_b64 s[4:5]
	s_add_u32 s4, s4, _ZN2at6native25elementwise_kernel_helperILb0EZZZNS0_19digamma_kernel_cudaERNS_18TensorIteratorBaseEENKUlvE_clEvENKUlvE_clEvEUldE_NS0_6memory8policies11unroll_baseILi256ESt5arrayIPcLm2EE23TrivialOffsetCalculatorILi1EjESE_NS7_15LoadWithoutCastENS7_16StoreWithoutCastELi4ELi1EEEEEvT0_T1_@rel32@lo+4
	s_addc_u32 s5, s5, _ZN2at6native25elementwise_kernel_helperILb0EZZZNS0_19digamma_kernel_cudaERNS_18TensorIteratorBaseEENKUlvE_clEvENKUlvE_clEvEUldE_NS0_6memory8policies11unroll_baseILi256ESt5arrayIPcLm2EE23TrivialOffsetCalculatorILi1EjESE_NS7_15LoadWithoutCastENS7_16StoreWithoutCastELi4ELi1EEEEEvT0_T1_@rel32@hi+12
	s_mov_b32 s12, s6
	v_mov_b32_e32 v31, v0
	v_mov_b32_e32 v0, s8
	;; [unrolled: 1-line block ×6, first 2 shown]
	s_swappc_b64 s[30:31], s[4:5]
	s_endpgm
	.section	.rodata,"a",@progbits
	.p2align	6, 0x0
	.amdhsa_kernel _ZN2at6native29vectorized_elementwise_kernelILi2EZZZNS0_19digamma_kernel_cudaERNS_18TensorIteratorBaseEENKUlvE_clEvENKUlvE_clEvEUldE_St5arrayIPcLm2EEEEviT0_T1_
		.amdhsa_group_segment_fixed_size 0
		.amdhsa_private_segment_fixed_size 0
		.amdhsa_kernarg_size 24
		.amdhsa_user_sgpr_count 6
		.amdhsa_user_sgpr_private_segment_buffer 1
		.amdhsa_user_sgpr_dispatch_ptr 0
		.amdhsa_user_sgpr_queue_ptr 0
		.amdhsa_user_sgpr_kernarg_segment_ptr 1
		.amdhsa_user_sgpr_dispatch_id 0
		.amdhsa_user_sgpr_flat_scratch_init 0
		.amdhsa_user_sgpr_private_segment_size 0
		.amdhsa_uses_dynamic_stack 0
		.amdhsa_system_sgpr_private_segment_wavefront_offset 0
		.amdhsa_system_sgpr_workgroup_id_x 1
		.amdhsa_system_sgpr_workgroup_id_y 0
		.amdhsa_system_sgpr_workgroup_id_z 0
		.amdhsa_system_sgpr_workgroup_info 0
		.amdhsa_system_vgpr_workitem_id 0
		.amdhsa_next_free_vgpr 54
		.amdhsa_next_free_sgpr 33
		.amdhsa_reserve_vcc 1
		.amdhsa_reserve_flat_scratch 0
		.amdhsa_float_round_mode_32 0
		.amdhsa_float_round_mode_16_64 0
		.amdhsa_float_denorm_mode_32 3
		.amdhsa_float_denorm_mode_16_64 3
		.amdhsa_dx10_clamp 1
		.amdhsa_ieee_mode 1
		.amdhsa_fp16_overflow 0
		.amdhsa_exception_fp_ieee_invalid_op 0
		.amdhsa_exception_fp_denorm_src 0
		.amdhsa_exception_fp_ieee_div_zero 0
		.amdhsa_exception_fp_ieee_overflow 0
		.amdhsa_exception_fp_ieee_underflow 0
		.amdhsa_exception_fp_ieee_inexact 0
		.amdhsa_exception_int_div_zero 0
	.end_amdhsa_kernel
	.section	.text._ZN2at6native29vectorized_elementwise_kernelILi2EZZZNS0_19digamma_kernel_cudaERNS_18TensorIteratorBaseEENKUlvE_clEvENKUlvE_clEvEUldE_St5arrayIPcLm2EEEEviT0_T1_,"axG",@progbits,_ZN2at6native29vectorized_elementwise_kernelILi2EZZZNS0_19digamma_kernel_cudaERNS_18TensorIteratorBaseEENKUlvE_clEvENKUlvE_clEvEUldE_St5arrayIPcLm2EEEEviT0_T1_,comdat
.Lfunc_end5:
	.size	_ZN2at6native29vectorized_elementwise_kernelILi2EZZZNS0_19digamma_kernel_cudaERNS_18TensorIteratorBaseEENKUlvE_clEvENKUlvE_clEvEUldE_St5arrayIPcLm2EEEEviT0_T1_, .Lfunc_end5-_ZN2at6native29vectorized_elementwise_kernelILi2EZZZNS0_19digamma_kernel_cudaERNS_18TensorIteratorBaseEENKUlvE_clEvENKUlvE_clEvEUldE_St5arrayIPcLm2EEEEviT0_T1_
                                        ; -- End function
	.set _ZN2at6native29vectorized_elementwise_kernelILi2EZZZNS0_19digamma_kernel_cudaERNS_18TensorIteratorBaseEENKUlvE_clEvENKUlvE_clEvEUldE_St5arrayIPcLm2EEEEviT0_T1_.num_vgpr, max(44, .L_ZN2at6native25elementwise_kernel_helperILb0EZZZNS0_19digamma_kernel_cudaERNS_18TensorIteratorBaseEENKUlvE_clEvENKUlvE_clEvEUldE_NS0_6memory8policies11unroll_baseILi256ESt5arrayIPcLm2EE23TrivialOffsetCalculatorILi1EjESE_NS7_15LoadWithoutCastENS7_16StoreWithoutCastELi4ELi1EEEEEvT0_T1_.num_vgpr)
	.set _ZN2at6native29vectorized_elementwise_kernelILi2EZZZNS0_19digamma_kernel_cudaERNS_18TensorIteratorBaseEENKUlvE_clEvENKUlvE_clEvEUldE_St5arrayIPcLm2EEEEviT0_T1_.num_agpr, max(0, .L_ZN2at6native25elementwise_kernel_helperILb0EZZZNS0_19digamma_kernel_cudaERNS_18TensorIteratorBaseEENKUlvE_clEvENKUlvE_clEvEUldE_NS0_6memory8policies11unroll_baseILi256ESt5arrayIPcLm2EE23TrivialOffsetCalculatorILi1EjESE_NS7_15LoadWithoutCastENS7_16StoreWithoutCastELi4ELi1EEEEEvT0_T1_.num_agpr)
	.set _ZN2at6native29vectorized_elementwise_kernelILi2EZZZNS0_19digamma_kernel_cudaERNS_18TensorIteratorBaseEENKUlvE_clEvENKUlvE_clEvEUldE_St5arrayIPcLm2EEEEviT0_T1_.numbered_sgpr, max(33, .L_ZN2at6native25elementwise_kernel_helperILb0EZZZNS0_19digamma_kernel_cudaERNS_18TensorIteratorBaseEENKUlvE_clEvENKUlvE_clEvEUldE_NS0_6memory8policies11unroll_baseILi256ESt5arrayIPcLm2EE23TrivialOffsetCalculatorILi1EjESE_NS7_15LoadWithoutCastENS7_16StoreWithoutCastELi4ELi1EEEEEvT0_T1_.numbered_sgpr)
	.set _ZN2at6native29vectorized_elementwise_kernelILi2EZZZNS0_19digamma_kernel_cudaERNS_18TensorIteratorBaseEENKUlvE_clEvENKUlvE_clEvEUldE_St5arrayIPcLm2EEEEviT0_T1_.num_named_barrier, max(0, .L_ZN2at6native25elementwise_kernel_helperILb0EZZZNS0_19digamma_kernel_cudaERNS_18TensorIteratorBaseEENKUlvE_clEvENKUlvE_clEvEUldE_NS0_6memory8policies11unroll_baseILi256ESt5arrayIPcLm2EE23TrivialOffsetCalculatorILi1EjESE_NS7_15LoadWithoutCastENS7_16StoreWithoutCastELi4ELi1EEEEEvT0_T1_.num_named_barrier)
	.set _ZN2at6native29vectorized_elementwise_kernelILi2EZZZNS0_19digamma_kernel_cudaERNS_18TensorIteratorBaseEENKUlvE_clEvENKUlvE_clEvEUldE_St5arrayIPcLm2EEEEviT0_T1_.private_seg_size, 0+max(.L_ZN2at6native25elementwise_kernel_helperILb0EZZZNS0_19digamma_kernel_cudaERNS_18TensorIteratorBaseEENKUlvE_clEvENKUlvE_clEvEUldE_NS0_6memory8policies11unroll_baseILi256ESt5arrayIPcLm2EE23TrivialOffsetCalculatorILi1EjESE_NS7_15LoadWithoutCastENS7_16StoreWithoutCastELi4ELi1EEEEEvT0_T1_.private_seg_size)
	.set _ZN2at6native29vectorized_elementwise_kernelILi2EZZZNS0_19digamma_kernel_cudaERNS_18TensorIteratorBaseEENKUlvE_clEvENKUlvE_clEvEUldE_St5arrayIPcLm2EEEEviT0_T1_.uses_vcc, or(1, .L_ZN2at6native25elementwise_kernel_helperILb0EZZZNS0_19digamma_kernel_cudaERNS_18TensorIteratorBaseEENKUlvE_clEvENKUlvE_clEvEUldE_NS0_6memory8policies11unroll_baseILi256ESt5arrayIPcLm2EE23TrivialOffsetCalculatorILi1EjESE_NS7_15LoadWithoutCastENS7_16StoreWithoutCastELi4ELi1EEEEEvT0_T1_.uses_vcc)
	.set _ZN2at6native29vectorized_elementwise_kernelILi2EZZZNS0_19digamma_kernel_cudaERNS_18TensorIteratorBaseEENKUlvE_clEvENKUlvE_clEvEUldE_St5arrayIPcLm2EEEEviT0_T1_.uses_flat_scratch, or(0, .L_ZN2at6native25elementwise_kernel_helperILb0EZZZNS0_19digamma_kernel_cudaERNS_18TensorIteratorBaseEENKUlvE_clEvENKUlvE_clEvEUldE_NS0_6memory8policies11unroll_baseILi256ESt5arrayIPcLm2EE23TrivialOffsetCalculatorILi1EjESE_NS7_15LoadWithoutCastENS7_16StoreWithoutCastELi4ELi1EEEEEvT0_T1_.uses_flat_scratch)
	.set _ZN2at6native29vectorized_elementwise_kernelILi2EZZZNS0_19digamma_kernel_cudaERNS_18TensorIteratorBaseEENKUlvE_clEvENKUlvE_clEvEUldE_St5arrayIPcLm2EEEEviT0_T1_.has_dyn_sized_stack, or(0, .L_ZN2at6native25elementwise_kernel_helperILb0EZZZNS0_19digamma_kernel_cudaERNS_18TensorIteratorBaseEENKUlvE_clEvENKUlvE_clEvEUldE_NS0_6memory8policies11unroll_baseILi256ESt5arrayIPcLm2EE23TrivialOffsetCalculatorILi1EjESE_NS7_15LoadWithoutCastENS7_16StoreWithoutCastELi4ELi1EEEEEvT0_T1_.has_dyn_sized_stack)
	.set _ZN2at6native29vectorized_elementwise_kernelILi2EZZZNS0_19digamma_kernel_cudaERNS_18TensorIteratorBaseEENKUlvE_clEvENKUlvE_clEvEUldE_St5arrayIPcLm2EEEEviT0_T1_.has_recursion, or(0, .L_ZN2at6native25elementwise_kernel_helperILb0EZZZNS0_19digamma_kernel_cudaERNS_18TensorIteratorBaseEENKUlvE_clEvENKUlvE_clEvEUldE_NS0_6memory8policies11unroll_baseILi256ESt5arrayIPcLm2EE23TrivialOffsetCalculatorILi1EjESE_NS7_15LoadWithoutCastENS7_16StoreWithoutCastELi4ELi1EEEEEvT0_T1_.has_recursion)
	.set _ZN2at6native29vectorized_elementwise_kernelILi2EZZZNS0_19digamma_kernel_cudaERNS_18TensorIteratorBaseEENKUlvE_clEvENKUlvE_clEvEUldE_St5arrayIPcLm2EEEEviT0_T1_.has_indirect_call, or(0, .L_ZN2at6native25elementwise_kernel_helperILb0EZZZNS0_19digamma_kernel_cudaERNS_18TensorIteratorBaseEENKUlvE_clEvENKUlvE_clEvEUldE_NS0_6memory8policies11unroll_baseILi256ESt5arrayIPcLm2EE23TrivialOffsetCalculatorILi1EjESE_NS7_15LoadWithoutCastENS7_16StoreWithoutCastELi4ELi1EEEEEvT0_T1_.has_indirect_call)
	.section	.AMDGPU.csdata,"",@progbits
; Kernel info:
; codeLenInByte = 12948
; TotalNumSgprs: 37
; NumVgprs: 54
; ScratchSize: 0
; MemoryBound: 0
; FloatMode: 240
; IeeeMode: 1
; LDSByteSize: 0 bytes/workgroup (compile time only)
; SGPRBlocks: 4
; VGPRBlocks: 13
; NumSGPRsForWavesPerEU: 37
; NumVGPRsForWavesPerEU: 54
; Occupancy: 4
; WaveLimiterHint : 1
; COMPUTE_PGM_RSRC2:SCRATCH_EN: 0
; COMPUTE_PGM_RSRC2:USER_SGPR: 6
; COMPUTE_PGM_RSRC2:TRAP_HANDLER: 0
; COMPUTE_PGM_RSRC2:TGID_X_EN: 1
; COMPUTE_PGM_RSRC2:TGID_Y_EN: 0
; COMPUTE_PGM_RSRC2:TGID_Z_EN: 0
; COMPUTE_PGM_RSRC2:TIDIG_COMP_CNT: 0
	.section	.text._ZN2at6native27unrolled_elementwise_kernelIZZZNS0_19digamma_kernel_cudaERNS_18TensorIteratorBaseEENKUlvE_clEvENKUlvE_clEvEUldE_St5arrayIPcLm2EELi4E23TrivialOffsetCalculatorILi1EjESB_NS0_6memory15LoadWithoutCastENSC_16StoreWithoutCastEEEviT_T0_T2_T3_T4_T5_,"axG",@progbits,_ZN2at6native27unrolled_elementwise_kernelIZZZNS0_19digamma_kernel_cudaERNS_18TensorIteratorBaseEENKUlvE_clEvENKUlvE_clEvEUldE_St5arrayIPcLm2EELi4E23TrivialOffsetCalculatorILi1EjESB_NS0_6memory15LoadWithoutCastENSC_16StoreWithoutCastEEEviT_T0_T2_T3_T4_T5_,comdat
	.globl	_ZN2at6native27unrolled_elementwise_kernelIZZZNS0_19digamma_kernel_cudaERNS_18TensorIteratorBaseEENKUlvE_clEvENKUlvE_clEvEUldE_St5arrayIPcLm2EELi4E23TrivialOffsetCalculatorILi1EjESB_NS0_6memory15LoadWithoutCastENSC_16StoreWithoutCastEEEviT_T0_T2_T3_T4_T5_ ; -- Begin function _ZN2at6native27unrolled_elementwise_kernelIZZZNS0_19digamma_kernel_cudaERNS_18TensorIteratorBaseEENKUlvE_clEvENKUlvE_clEvEUldE_St5arrayIPcLm2EELi4E23TrivialOffsetCalculatorILi1EjESB_NS0_6memory15LoadWithoutCastENSC_16StoreWithoutCastEEEviT_T0_T2_T3_T4_T5_
	.p2align	8
	.type	_ZN2at6native27unrolled_elementwise_kernelIZZZNS0_19digamma_kernel_cudaERNS_18TensorIteratorBaseEENKUlvE_clEvENKUlvE_clEvEUldE_St5arrayIPcLm2EELi4E23TrivialOffsetCalculatorILi1EjESB_NS0_6memory15LoadWithoutCastENSC_16StoreWithoutCastEEEviT_T0_T2_T3_T4_T5_,@function
_ZN2at6native27unrolled_elementwise_kernelIZZZNS0_19digamma_kernel_cudaERNS_18TensorIteratorBaseEENKUlvE_clEvENKUlvE_clEvEUldE_St5arrayIPcLm2EELi4E23TrivialOffsetCalculatorILi1EjESB_NS0_6memory15LoadWithoutCastENSC_16StoreWithoutCastEEEviT_T0_T2_T3_T4_T5_: ; @_ZN2at6native27unrolled_elementwise_kernelIZZZNS0_19digamma_kernel_cudaERNS_18TensorIteratorBaseEENKUlvE_clEvENKUlvE_clEvEUldE_St5arrayIPcLm2EELi4E23TrivialOffsetCalculatorILi1EjESB_NS0_6memory15LoadWithoutCastENSC_16StoreWithoutCastEEEviT_T0_T2_T3_T4_T5_
; %bb.0:
	s_add_u32 s0, s0, s7
	s_load_dword s7, s[4:5], 0x0
	s_load_dwordx4 s[8:11], s[4:5], 0x8
	s_addc_u32 s1, s1, 0
	s_lshl_b32 s4, s6, 10
	s_mov_b32 s12, s6
	s_waitcnt lgkmcnt(0)
	s_sub_i32 s7, s7, s4
	s_getpc_b64 s[4:5]
	s_add_u32 s4, s4, _ZN2at6native25elementwise_kernel_helperILb0EZZZNS0_19digamma_kernel_cudaERNS_18TensorIteratorBaseEENKUlvE_clEvENKUlvE_clEvEUldE_NS0_6memory8policies11unroll_baseILi256ESt5arrayIPcLm2EE23TrivialOffsetCalculatorILi1EjESE_NS7_15LoadWithoutCastENS7_16StoreWithoutCastELi4ELi1EEEEEvT0_T1_@rel32@lo+4
	s_addc_u32 s5, s5, _ZN2at6native25elementwise_kernel_helperILb0EZZZNS0_19digamma_kernel_cudaERNS_18TensorIteratorBaseEENKUlvE_clEvENKUlvE_clEvEUldE_NS0_6memory8policies11unroll_baseILi256ESt5arrayIPcLm2EE23TrivialOffsetCalculatorILi1EjESE_NS7_15LoadWithoutCastENS7_16StoreWithoutCastELi4ELi1EEEEEvT0_T1_@rel32@hi+12
	v_mov_b32_e32 v31, v0
	v_mov_b32_e32 v0, s8
	;; [unrolled: 1-line block ×6, first 2 shown]
	s_mov_b32 s32, 0
	s_swappc_b64 s[30:31], s[4:5]
	s_endpgm
	.section	.rodata,"a",@progbits
	.p2align	6, 0x0
	.amdhsa_kernel _ZN2at6native27unrolled_elementwise_kernelIZZZNS0_19digamma_kernel_cudaERNS_18TensorIteratorBaseEENKUlvE_clEvENKUlvE_clEvEUldE_St5arrayIPcLm2EELi4E23TrivialOffsetCalculatorILi1EjESB_NS0_6memory15LoadWithoutCastENSC_16StoreWithoutCastEEEviT_T0_T2_T3_T4_T5_
		.amdhsa_group_segment_fixed_size 0
		.amdhsa_private_segment_fixed_size 0
		.amdhsa_kernarg_size 28
		.amdhsa_user_sgpr_count 6
		.amdhsa_user_sgpr_private_segment_buffer 1
		.amdhsa_user_sgpr_dispatch_ptr 0
		.amdhsa_user_sgpr_queue_ptr 0
		.amdhsa_user_sgpr_kernarg_segment_ptr 1
		.amdhsa_user_sgpr_dispatch_id 0
		.amdhsa_user_sgpr_flat_scratch_init 0
		.amdhsa_user_sgpr_private_segment_size 0
		.amdhsa_uses_dynamic_stack 0
		.amdhsa_system_sgpr_private_segment_wavefront_offset 0
		.amdhsa_system_sgpr_workgroup_id_x 1
		.amdhsa_system_sgpr_workgroup_id_y 0
		.amdhsa_system_sgpr_workgroup_id_z 0
		.amdhsa_system_sgpr_workgroup_info 0
		.amdhsa_system_vgpr_workitem_id 0
		.amdhsa_next_free_vgpr 54
		.amdhsa_next_free_sgpr 33
		.amdhsa_reserve_vcc 1
		.amdhsa_reserve_flat_scratch 0
		.amdhsa_float_round_mode_32 0
		.amdhsa_float_round_mode_16_64 0
		.amdhsa_float_denorm_mode_32 3
		.amdhsa_float_denorm_mode_16_64 3
		.amdhsa_dx10_clamp 1
		.amdhsa_ieee_mode 1
		.amdhsa_fp16_overflow 0
		.amdhsa_exception_fp_ieee_invalid_op 0
		.amdhsa_exception_fp_denorm_src 0
		.amdhsa_exception_fp_ieee_div_zero 0
		.amdhsa_exception_fp_ieee_overflow 0
		.amdhsa_exception_fp_ieee_underflow 0
		.amdhsa_exception_fp_ieee_inexact 0
		.amdhsa_exception_int_div_zero 0
	.end_amdhsa_kernel
	.section	.text._ZN2at6native27unrolled_elementwise_kernelIZZZNS0_19digamma_kernel_cudaERNS_18TensorIteratorBaseEENKUlvE_clEvENKUlvE_clEvEUldE_St5arrayIPcLm2EELi4E23TrivialOffsetCalculatorILi1EjESB_NS0_6memory15LoadWithoutCastENSC_16StoreWithoutCastEEEviT_T0_T2_T3_T4_T5_,"axG",@progbits,_ZN2at6native27unrolled_elementwise_kernelIZZZNS0_19digamma_kernel_cudaERNS_18TensorIteratorBaseEENKUlvE_clEvENKUlvE_clEvEUldE_St5arrayIPcLm2EELi4E23TrivialOffsetCalculatorILi1EjESB_NS0_6memory15LoadWithoutCastENSC_16StoreWithoutCastEEEviT_T0_T2_T3_T4_T5_,comdat
.Lfunc_end6:
	.size	_ZN2at6native27unrolled_elementwise_kernelIZZZNS0_19digamma_kernel_cudaERNS_18TensorIteratorBaseEENKUlvE_clEvENKUlvE_clEvEUldE_St5arrayIPcLm2EELi4E23TrivialOffsetCalculatorILi1EjESB_NS0_6memory15LoadWithoutCastENSC_16StoreWithoutCastEEEviT_T0_T2_T3_T4_T5_, .Lfunc_end6-_ZN2at6native27unrolled_elementwise_kernelIZZZNS0_19digamma_kernel_cudaERNS_18TensorIteratorBaseEENKUlvE_clEvENKUlvE_clEvEUldE_St5arrayIPcLm2EELi4E23TrivialOffsetCalculatorILi1EjESB_NS0_6memory15LoadWithoutCastENSC_16StoreWithoutCastEEEviT_T0_T2_T3_T4_T5_
                                        ; -- End function
	.set _ZN2at6native27unrolled_elementwise_kernelIZZZNS0_19digamma_kernel_cudaERNS_18TensorIteratorBaseEENKUlvE_clEvENKUlvE_clEvEUldE_St5arrayIPcLm2EELi4E23TrivialOffsetCalculatorILi1EjESB_NS0_6memory15LoadWithoutCastENSC_16StoreWithoutCastEEEviT_T0_T2_T3_T4_T5_.num_vgpr, max(32, .L_ZN2at6native25elementwise_kernel_helperILb0EZZZNS0_19digamma_kernel_cudaERNS_18TensorIteratorBaseEENKUlvE_clEvENKUlvE_clEvEUldE_NS0_6memory8policies11unroll_baseILi256ESt5arrayIPcLm2EE23TrivialOffsetCalculatorILi1EjESE_NS7_15LoadWithoutCastENS7_16StoreWithoutCastELi4ELi1EEEEEvT0_T1_.num_vgpr)
	.set _ZN2at6native27unrolled_elementwise_kernelIZZZNS0_19digamma_kernel_cudaERNS_18TensorIteratorBaseEENKUlvE_clEvENKUlvE_clEvEUldE_St5arrayIPcLm2EELi4E23TrivialOffsetCalculatorILi1EjESB_NS0_6memory15LoadWithoutCastENSC_16StoreWithoutCastEEEviT_T0_T2_T3_T4_T5_.num_agpr, max(0, .L_ZN2at6native25elementwise_kernel_helperILb0EZZZNS0_19digamma_kernel_cudaERNS_18TensorIteratorBaseEENKUlvE_clEvENKUlvE_clEvEUldE_NS0_6memory8policies11unroll_baseILi256ESt5arrayIPcLm2EE23TrivialOffsetCalculatorILi1EjESE_NS7_15LoadWithoutCastENS7_16StoreWithoutCastELi4ELi1EEEEEvT0_T1_.num_agpr)
	.set _ZN2at6native27unrolled_elementwise_kernelIZZZNS0_19digamma_kernel_cudaERNS_18TensorIteratorBaseEENKUlvE_clEvENKUlvE_clEvEUldE_St5arrayIPcLm2EELi4E23TrivialOffsetCalculatorILi1EjESB_NS0_6memory15LoadWithoutCastENSC_16StoreWithoutCastEEEviT_T0_T2_T3_T4_T5_.numbered_sgpr, max(33, .L_ZN2at6native25elementwise_kernel_helperILb0EZZZNS0_19digamma_kernel_cudaERNS_18TensorIteratorBaseEENKUlvE_clEvENKUlvE_clEvEUldE_NS0_6memory8policies11unroll_baseILi256ESt5arrayIPcLm2EE23TrivialOffsetCalculatorILi1EjESE_NS7_15LoadWithoutCastENS7_16StoreWithoutCastELi4ELi1EEEEEvT0_T1_.numbered_sgpr)
	.set _ZN2at6native27unrolled_elementwise_kernelIZZZNS0_19digamma_kernel_cudaERNS_18TensorIteratorBaseEENKUlvE_clEvENKUlvE_clEvEUldE_St5arrayIPcLm2EELi4E23TrivialOffsetCalculatorILi1EjESB_NS0_6memory15LoadWithoutCastENSC_16StoreWithoutCastEEEviT_T0_T2_T3_T4_T5_.num_named_barrier, max(0, .L_ZN2at6native25elementwise_kernel_helperILb0EZZZNS0_19digamma_kernel_cudaERNS_18TensorIteratorBaseEENKUlvE_clEvENKUlvE_clEvEUldE_NS0_6memory8policies11unroll_baseILi256ESt5arrayIPcLm2EE23TrivialOffsetCalculatorILi1EjESE_NS7_15LoadWithoutCastENS7_16StoreWithoutCastELi4ELi1EEEEEvT0_T1_.num_named_barrier)
	.set _ZN2at6native27unrolled_elementwise_kernelIZZZNS0_19digamma_kernel_cudaERNS_18TensorIteratorBaseEENKUlvE_clEvENKUlvE_clEvEUldE_St5arrayIPcLm2EELi4E23TrivialOffsetCalculatorILi1EjESB_NS0_6memory15LoadWithoutCastENSC_16StoreWithoutCastEEEviT_T0_T2_T3_T4_T5_.private_seg_size, 0+max(.L_ZN2at6native25elementwise_kernel_helperILb0EZZZNS0_19digamma_kernel_cudaERNS_18TensorIteratorBaseEENKUlvE_clEvENKUlvE_clEvEUldE_NS0_6memory8policies11unroll_baseILi256ESt5arrayIPcLm2EE23TrivialOffsetCalculatorILi1EjESE_NS7_15LoadWithoutCastENS7_16StoreWithoutCastELi4ELi1EEEEEvT0_T1_.private_seg_size)
	.set _ZN2at6native27unrolled_elementwise_kernelIZZZNS0_19digamma_kernel_cudaERNS_18TensorIteratorBaseEENKUlvE_clEvENKUlvE_clEvEUldE_St5arrayIPcLm2EELi4E23TrivialOffsetCalculatorILi1EjESB_NS0_6memory15LoadWithoutCastENSC_16StoreWithoutCastEEEviT_T0_T2_T3_T4_T5_.uses_vcc, or(1, .L_ZN2at6native25elementwise_kernel_helperILb0EZZZNS0_19digamma_kernel_cudaERNS_18TensorIteratorBaseEENKUlvE_clEvENKUlvE_clEvEUldE_NS0_6memory8policies11unroll_baseILi256ESt5arrayIPcLm2EE23TrivialOffsetCalculatorILi1EjESE_NS7_15LoadWithoutCastENS7_16StoreWithoutCastELi4ELi1EEEEEvT0_T1_.uses_vcc)
	.set _ZN2at6native27unrolled_elementwise_kernelIZZZNS0_19digamma_kernel_cudaERNS_18TensorIteratorBaseEENKUlvE_clEvENKUlvE_clEvEUldE_St5arrayIPcLm2EELi4E23TrivialOffsetCalculatorILi1EjESB_NS0_6memory15LoadWithoutCastENSC_16StoreWithoutCastEEEviT_T0_T2_T3_T4_T5_.uses_flat_scratch, or(0, .L_ZN2at6native25elementwise_kernel_helperILb0EZZZNS0_19digamma_kernel_cudaERNS_18TensorIteratorBaseEENKUlvE_clEvENKUlvE_clEvEUldE_NS0_6memory8policies11unroll_baseILi256ESt5arrayIPcLm2EE23TrivialOffsetCalculatorILi1EjESE_NS7_15LoadWithoutCastENS7_16StoreWithoutCastELi4ELi1EEEEEvT0_T1_.uses_flat_scratch)
	.set _ZN2at6native27unrolled_elementwise_kernelIZZZNS0_19digamma_kernel_cudaERNS_18TensorIteratorBaseEENKUlvE_clEvENKUlvE_clEvEUldE_St5arrayIPcLm2EELi4E23TrivialOffsetCalculatorILi1EjESB_NS0_6memory15LoadWithoutCastENSC_16StoreWithoutCastEEEviT_T0_T2_T3_T4_T5_.has_dyn_sized_stack, or(0, .L_ZN2at6native25elementwise_kernel_helperILb0EZZZNS0_19digamma_kernel_cudaERNS_18TensorIteratorBaseEENKUlvE_clEvENKUlvE_clEvEUldE_NS0_6memory8policies11unroll_baseILi256ESt5arrayIPcLm2EE23TrivialOffsetCalculatorILi1EjESE_NS7_15LoadWithoutCastENS7_16StoreWithoutCastELi4ELi1EEEEEvT0_T1_.has_dyn_sized_stack)
	.set _ZN2at6native27unrolled_elementwise_kernelIZZZNS0_19digamma_kernel_cudaERNS_18TensorIteratorBaseEENKUlvE_clEvENKUlvE_clEvEUldE_St5arrayIPcLm2EELi4E23TrivialOffsetCalculatorILi1EjESB_NS0_6memory15LoadWithoutCastENSC_16StoreWithoutCastEEEviT_T0_T2_T3_T4_T5_.has_recursion, or(0, .L_ZN2at6native25elementwise_kernel_helperILb0EZZZNS0_19digamma_kernel_cudaERNS_18TensorIteratorBaseEENKUlvE_clEvENKUlvE_clEvEUldE_NS0_6memory8policies11unroll_baseILi256ESt5arrayIPcLm2EE23TrivialOffsetCalculatorILi1EjESE_NS7_15LoadWithoutCastENS7_16StoreWithoutCastELi4ELi1EEEEEvT0_T1_.has_recursion)
	.set _ZN2at6native27unrolled_elementwise_kernelIZZZNS0_19digamma_kernel_cudaERNS_18TensorIteratorBaseEENKUlvE_clEvENKUlvE_clEvEUldE_St5arrayIPcLm2EELi4E23TrivialOffsetCalculatorILi1EjESB_NS0_6memory15LoadWithoutCastENSC_16StoreWithoutCastEEEviT_T0_T2_T3_T4_T5_.has_indirect_call, or(0, .L_ZN2at6native25elementwise_kernel_helperILb0EZZZNS0_19digamma_kernel_cudaERNS_18TensorIteratorBaseEENKUlvE_clEvENKUlvE_clEvEUldE_NS0_6memory8policies11unroll_baseILi256ESt5arrayIPcLm2EE23TrivialOffsetCalculatorILi1EjESE_NS7_15LoadWithoutCastENS7_16StoreWithoutCastELi4ELi1EEEEEvT0_T1_.has_indirect_call)
	.section	.AMDGPU.csdata,"",@progbits
; Kernel info:
; codeLenInByte = 96
; TotalNumSgprs: 37
; NumVgprs: 54
; ScratchSize: 0
; MemoryBound: 0
; FloatMode: 240
; IeeeMode: 1
; LDSByteSize: 0 bytes/workgroup (compile time only)
; SGPRBlocks: 4
; VGPRBlocks: 13
; NumSGPRsForWavesPerEU: 37
; NumVGPRsForWavesPerEU: 54
; Occupancy: 4
; WaveLimiterHint : 0
; COMPUTE_PGM_RSRC2:SCRATCH_EN: 0
; COMPUTE_PGM_RSRC2:USER_SGPR: 6
; COMPUTE_PGM_RSRC2:TRAP_HANDLER: 0
; COMPUTE_PGM_RSRC2:TGID_X_EN: 1
; COMPUTE_PGM_RSRC2:TGID_Y_EN: 0
; COMPUTE_PGM_RSRC2:TGID_Z_EN: 0
; COMPUTE_PGM_RSRC2:TIDIG_COMP_CNT: 0
	.section	.text._ZN2at6native32elementwise_kernel_manual_unrollILi128ELi4EZNS0_22gpu_kernel_impl_nocastIZZZNS0_19digamma_kernel_cudaERNS_18TensorIteratorBaseEENKUlvE_clEvENKUlvE_clEvEUldE_EEvS4_RKT_EUlibE_EEviT1_,"axG",@progbits,_ZN2at6native32elementwise_kernel_manual_unrollILi128ELi4EZNS0_22gpu_kernel_impl_nocastIZZZNS0_19digamma_kernel_cudaERNS_18TensorIteratorBaseEENKUlvE_clEvENKUlvE_clEvEUldE_EEvS4_RKT_EUlibE_EEviT1_,comdat
	.globl	_ZN2at6native32elementwise_kernel_manual_unrollILi128ELi4EZNS0_22gpu_kernel_impl_nocastIZZZNS0_19digamma_kernel_cudaERNS_18TensorIteratorBaseEENKUlvE_clEvENKUlvE_clEvEUldE_EEvS4_RKT_EUlibE_EEviT1_ ; -- Begin function _ZN2at6native32elementwise_kernel_manual_unrollILi128ELi4EZNS0_22gpu_kernel_impl_nocastIZZZNS0_19digamma_kernel_cudaERNS_18TensorIteratorBaseEENKUlvE_clEvENKUlvE_clEvEUldE_EEvS4_RKT_EUlibE_EEviT1_
	.p2align	8
	.type	_ZN2at6native32elementwise_kernel_manual_unrollILi128ELi4EZNS0_22gpu_kernel_impl_nocastIZZZNS0_19digamma_kernel_cudaERNS_18TensorIteratorBaseEENKUlvE_clEvENKUlvE_clEvEUldE_EEvS4_RKT_EUlibE_EEviT1_,@function
_ZN2at6native32elementwise_kernel_manual_unrollILi128ELi4EZNS0_22gpu_kernel_impl_nocastIZZZNS0_19digamma_kernel_cudaERNS_18TensorIteratorBaseEENKUlvE_clEvENKUlvE_clEvEUldE_EEvS4_RKT_EUlibE_EEviT1_: ; @_ZN2at6native32elementwise_kernel_manual_unrollILi128ELi4EZNS0_22gpu_kernel_impl_nocastIZZZNS0_19digamma_kernel_cudaERNS_18TensorIteratorBaseEENKUlvE_clEvENKUlvE_clEvEUldE_EEvS4_RKT_EUlibE_EEviT1_
; %bb.0:
	s_load_dword s55, s[4:5], 0x0
	s_load_dword s33, s[4:5], 0x8
	s_add_u32 s34, s4, 8
	s_addc_u32 s35, s5, 0
	v_lshl_or_b32 v9, s6, 9, v0
	v_or_b32_e32 v12, 0x180, v9
	s_waitcnt lgkmcnt(0)
	s_add_i32 s54, s33, -1
	s_cmp_gt_u32 s54, 1
	v_cmp_le_i32_e32 vcc, s55, v12
	s_cselect_b64 s[36:37], -1, 0
	s_and_saveexec_b64 s[0:1], vcc
	s_xor_b64 s[38:39], exec, s[0:1]
	s_cbranch_execz .LBB7_7
; %bb.1:
	s_load_dwordx4 s[24:27], s[34:35], 0x4
	s_load_dwordx2 s[40:41], s[34:35], 0x14
	s_load_dwordx4 s[20:23], s[34:35], 0xc4
	s_load_dwordx4 s[16:19], s[34:35], 0x148
	s_cmp_lg_u32 s33, 0
	s_cselect_b64 s[46:47], -1, 0
	s_add_u32 s44, s34, 0xc4
	s_addc_u32 s45, s35, 0
	s_min_u32 s56, s54, 15
	s_cmp_gt_u32 s33, 1
	s_cselect_b64 s[42:43], -1, 0
	v_cmp_gt_i32_e32 vcc, s55, v9
	s_and_saveexec_b64 s[48:49], vcc
	s_cbranch_execz .LBB7_14
; %bb.2:
	s_andn2_b64 vcc, exec, s[36:37]
	s_cbranch_vccnz .LBB7_21
; %bb.3:
	s_andn2_b64 vcc, exec, s[46:47]
	s_cbranch_vccnz .LBB7_169
; %bb.4:
	s_add_i32 s58, s56, 1
	s_cmp_eq_u32 s54, 2
	s_cbranch_scc1 .LBB7_171
; %bb.5:
	s_and_b32 s57, s58, 28
	v_mov_b32_e32 v2, 0
	s_mov_b32 s59, 0
	s_mov_b64 s[50:51], s[34:35]
	s_mov_b64 s[52:53], s[44:45]
	v_mov_b32_e32 v0, 0
	v_mov_b32_e32 v1, v9
.LBB7_6:                                ; =>This Inner Loop Header: Depth=1
	s_load_dwordx8 s[8:15], s[50:51], 0x4
	s_load_dwordx4 s[28:31], s[50:51], 0x24
	s_load_dwordx8 s[0:7], s[52:53], 0x0
	s_add_u32 s50, s50, 48
	s_addc_u32 s51, s51, 0
	s_waitcnt lgkmcnt(0)
	v_mul_hi_u32 v3, s9, v1
	s_add_i32 s59, s59, 4
	s_add_u32 s52, s52, 32
	s_addc_u32 s53, s53, 0
	v_add_u32_e32 v3, v1, v3
	v_lshrrev_b32_e32 v3, s10, v3
	v_mul_lo_u32 v4, v3, s8
	v_mul_hi_u32 v5, s12, v3
	s_cmp_lg_u32 s57, s59
	v_sub_u32_e32 v1, v1, v4
	v_add_u32_e32 v4, v3, v5
	v_mul_lo_u32 v5, v1, s0
	v_mul_lo_u32 v6, v1, s1
	v_lshrrev_b32_e32 v1, s13, v4
	v_mul_lo_u32 v4, v1, s11
	v_mul_hi_u32 v7, s15, v1
	v_sub_u32_e32 v3, v3, v4
	v_add_u32_e32 v4, v1, v7
	v_lshrrev_b32_e32 v4, s28, v4
	v_mul_hi_u32 v8, s30, v4
	v_mul_lo_u32 v10, v4, s14
	v_mul_lo_u32 v7, v3, s2
	;; [unrolled: 1-line block ×3, first 2 shown]
	v_sub_u32_e32 v10, v1, v10
	v_add_u32_e32 v1, v4, v8
	v_lshrrev_b32_e32 v1, s31, v1
	v_mul_lo_u32 v8, v1, s29
	v_mul_lo_u32 v11, v10, s4
	;; [unrolled: 1-line block ×3, first 2 shown]
	v_add3_u32 v0, v5, v0, v7
	v_sub_u32_e32 v4, v4, v8
	v_mul_lo_u32 v8, v4, s6
	v_mul_lo_u32 v4, v4, s7
	v_add3_u32 v2, v6, v2, v3
	v_add3_u32 v0, v11, v0, v8
	;; [unrolled: 1-line block ×3, first 2 shown]
	s_cbranch_scc1 .LBB7_6
	s_branch .LBB7_172
.LBB7_7:
	s_andn2_saveexec_b64 s[0:1], s[38:39]
	s_cbranch_execz .LBB7_245
.LBB7_8:
	v_cndmask_b32_e64 v0, 0, 1, s[36:37]
	v_cmp_ne_u32_e64 s[0:1], 1, v0
	s_andn2_b64 vcc, exec, s[36:37]
	s_cbranch_vccnz .LBB7_20
; %bb.9:
	s_cmp_lg_u32 s33, 0
	s_waitcnt lgkmcnt(0)
	s_mov_b32 s26, 0
	s_cbranch_scc0 .LBB7_23
; %bb.10:
	s_min_u32 s27, s54, 15
	s_add_i32 s27, s27, 1
	s_cmp_eq_u32 s54, 2
	s_cbranch_scc1 .LBB7_24
; %bb.11:
	s_and_b32 s26, s27, 28
	s_add_u32 s2, s34, 0xc4
	s_addc_u32 s3, s35, 0
	v_mov_b32_e32 v7, 0
	s_mov_b32 s28, 0
	s_mov_b64 s[24:25], s[34:35]
	v_mov_b32_e32 v0, 0
	v_mov_b32_e32 v1, v9
.LBB7_12:                               ; =>This Inner Loop Header: Depth=1
	s_load_dwordx8 s[12:19], s[24:25], 0x4
	s_load_dwordx4 s[20:23], s[24:25], 0x24
	s_load_dwordx8 s[4:11], s[2:3], 0x0
	s_add_u32 s24, s24, 48
	s_addc_u32 s25, s25, 0
	s_waitcnt lgkmcnt(0)
	v_mul_hi_u32 v2, s13, v1
	s_add_i32 s28, s28, 4
	s_add_u32 s2, s2, 32
	s_addc_u32 s3, s3, 0
	v_add_u32_e32 v2, v1, v2
	v_lshrrev_b32_e32 v2, s14, v2
	v_mul_lo_u32 v3, v2, s12
	v_mul_hi_u32 v4, s16, v2
	s_cmp_lg_u32 s26, s28
	v_sub_u32_e32 v1, v1, v3
	v_add_u32_e32 v3, v2, v4
	v_mul_lo_u32 v4, v1, s4
	v_mul_lo_u32 v5, v1, s5
	v_lshrrev_b32_e32 v1, s17, v3
	v_mul_lo_u32 v3, v1, s15
	v_mul_hi_u32 v6, s19, v1
	v_sub_u32_e32 v2, v2, v3
	v_add_u32_e32 v3, v1, v6
	v_lshrrev_b32_e32 v3, s20, v3
	v_mul_hi_u32 v8, s22, v3
	v_mul_lo_u32 v10, v3, s18
	v_mul_lo_u32 v6, v2, s6
	;; [unrolled: 1-line block ×3, first 2 shown]
	v_sub_u32_e32 v10, v1, v10
	v_add_u32_e32 v1, v3, v8
	v_lshrrev_b32_e32 v1, s23, v1
	v_mul_lo_u32 v8, v1, s21
	v_mul_lo_u32 v11, v10, s8
	;; [unrolled: 1-line block ×3, first 2 shown]
	v_add3_u32 v0, v4, v0, v6
	v_sub_u32_e32 v3, v3, v8
	v_mul_lo_u32 v8, v3, s10
	v_mul_lo_u32 v3, v3, s11
	v_add3_u32 v2, v5, v7, v2
	v_add3_u32 v0, v11, v0, v8
	;; [unrolled: 1-line block ×3, first 2 shown]
	s_cbranch_scc1 .LBB7_12
; %bb.13:
	s_and_b32 s6, s27, 3
	s_cmp_eq_u32 s6, 0
	s_cbranch_scc0 .LBB7_25
	s_branch .LBB7_27
.LBB7_14:
	s_or_b64 exec, exec, s[48:49]
	v_cmp_gt_i32_e32 vcc, s55, v9
	s_and_saveexec_b64 s[48:49], vcc
	s_cbranch_execz .LBB7_203
.LBB7_15:
	s_andn2_b64 vcc, exec, s[36:37]
	s_cbranch_vccnz .LBB7_22
; %bb.16:
	s_andn2_b64 vcc, exec, s[46:47]
	s_cbranch_vccnz .LBB7_170
; %bb.17:
	s_add_i32 s58, s56, 1
	s_cmp_eq_u32 s54, 2
	s_cbranch_scc1 .LBB7_211
; %bb.18:
	s_and_b32 s57, s58, 28
	v_mov_b32_e32 v2, 0
	s_mov_b32 s59, 0
	s_mov_b64 s[50:51], s[34:35]
	s_mov_b64 s[52:53], s[44:45]
	v_mov_b32_e32 v0, 0
	v_mov_b32_e32 v1, v9
.LBB7_19:                               ; =>This Inner Loop Header: Depth=1
	s_load_dwordx8 s[8:15], s[50:51], 0x4
	s_load_dwordx4 s[28:31], s[50:51], 0x24
	s_load_dwordx8 s[0:7], s[52:53], 0x0
	s_add_u32 s50, s50, 48
	s_addc_u32 s51, s51, 0
	s_waitcnt lgkmcnt(0)
	v_mul_hi_u32 v3, s9, v1
	s_add_i32 s59, s59, 4
	s_add_u32 s52, s52, 32
	s_addc_u32 s53, s53, 0
	v_add_u32_e32 v3, v1, v3
	v_lshrrev_b32_e32 v3, s10, v3
	v_mul_lo_u32 v4, v3, s8
	v_mul_hi_u32 v5, s12, v3
	s_cmp_eq_u32 s57, s59
	v_sub_u32_e32 v1, v1, v4
	v_add_u32_e32 v4, v3, v5
	v_mul_lo_u32 v5, v1, s0
	v_mul_lo_u32 v6, v1, s1
	v_lshrrev_b32_e32 v1, s13, v4
	v_mul_lo_u32 v4, v1, s11
	v_mul_hi_u32 v7, s15, v1
	v_sub_u32_e32 v3, v3, v4
	v_add_u32_e32 v4, v1, v7
	v_lshrrev_b32_e32 v4, s28, v4
	v_mul_hi_u32 v8, s30, v4
	v_mul_lo_u32 v10, v4, s14
	v_mul_lo_u32 v7, v3, s2
	v_mul_lo_u32 v3, v3, s3
	v_sub_u32_e32 v10, v1, v10
	v_add_u32_e32 v1, v4, v8
	v_lshrrev_b32_e32 v1, s31, v1
	v_mul_lo_u32 v8, v1, s29
	v_mul_lo_u32 v11, v10, s4
	;; [unrolled: 1-line block ×3, first 2 shown]
	v_add3_u32 v0, v5, v0, v7
	v_sub_u32_e32 v4, v4, v8
	v_mul_lo_u32 v8, v4, s6
	v_mul_lo_u32 v4, v4, s7
	v_add3_u32 v2, v6, v2, v3
	v_add3_u32 v0, v11, v0, v8
	;; [unrolled: 1-line block ×3, first 2 shown]
	s_cbranch_scc0 .LBB7_19
	s_branch .LBB7_212
.LBB7_20:
                                        ; implicit-def: $vgpr0
                                        ; implicit-def: $vgpr7
	s_branch .LBB7_28
.LBB7_21:
                                        ; implicit-def: $vgpr0
                                        ; implicit-def: $vgpr2
	s_branch .LBB7_176
.LBB7_22:
                                        ; implicit-def: $vgpr0
                                        ; implicit-def: $vgpr2
	s_branch .LBB7_216
.LBB7_23:
	v_mov_b32_e32 v0, 0
	v_mov_b32_e32 v7, 0
	s_branch .LBB7_27
.LBB7_24:
	v_mov_b32_e32 v0, 0
	v_mov_b32_e32 v7, 0
	;; [unrolled: 1-line block ×3, first 2 shown]
	s_and_b32 s6, s27, 3
	s_cmp_eq_u32 s6, 0
	s_cbranch_scc1 .LBB7_27
.LBB7_25:
	s_lshl_b32 s2, s26, 3
	s_add_u32 s2, s34, s2
	s_addc_u32 s3, s35, 0
	s_add_u32 s2, s2, 0xc4
	s_addc_u32 s3, s3, 0
	s_mul_i32 s4, s26, 12
	s_add_u32 s4, s34, s4
	s_addc_u32 s5, s35, 0
.LBB7_26:                               ; =>This Inner Loop Header: Depth=1
	s_load_dwordx2 s[8:9], s[4:5], 0x4
	s_load_dword s7, s[4:5], 0xc
	s_load_dwordx2 s[10:11], s[2:3], 0x0
	s_add_u32 s4, s4, 12
	s_addc_u32 s5, s5, 0
	s_waitcnt lgkmcnt(0)
	v_mul_hi_u32 v2, s9, v1
	s_add_u32 s2, s2, 8
	s_addc_u32 s3, s3, 0
	s_add_i32 s6, s6, -1
	v_add_u32_e32 v2, v1, v2
	v_lshrrev_b32_e32 v2, s7, v2
	v_mul_lo_u32 v3, v2, s8
	s_cmp_lg_u32 s6, 0
	v_sub_u32_e32 v3, v1, v3
	v_mad_u64_u32 v[0:1], s[8:9], v3, s10, v[0:1]
	v_mad_u64_u32 v[7:8], s[8:9], v3, s11, v[7:8]
	v_mov_b32_e32 v1, v2
	s_cbranch_scc1 .LBB7_26
.LBB7_27:
	s_cbranch_execnz .LBB7_30
.LBB7_28:
	s_load_dwordx4 s[4:7], s[34:35], 0x4
	s_load_dwordx2 s[2:3], s[34:35], 0xc4
	s_cmp_lt_u32 s33, 2
	s_waitcnt lgkmcnt(0)
	v_mul_hi_u32 v0, s5, v9
	v_add_u32_e32 v0, v9, v0
	v_lshrrev_b32_e32 v1, s6, v0
	v_mul_lo_u32 v0, v1, s4
	v_sub_u32_e32 v2, v9, v0
	v_mul_lo_u32 v0, v2, s2
	v_mul_lo_u32 v7, v2, s3
	s_cbranch_scc1 .LBB7_30
; %bb.29:
	s_load_dwordx4 s[4:7], s[34:35], 0x10
	s_load_dwordx2 s[2:3], s[34:35], 0xcc
	s_waitcnt lgkmcnt(0)
	v_mul_hi_u32 v2, s5, v1
	v_add_u32_e32 v2, v1, v2
	v_lshrrev_b32_e32 v2, s6, v2
	v_mul_lo_u32 v2, v2, s4
	v_sub_u32_e32 v2, v1, v2
	v_mad_u64_u32 v[0:1], s[4:5], v2, s2, v[0:1]
	v_mad_u64_u32 v[7:8], s[2:3], v2, s3, v[7:8]
.LBB7_30:
	s_and_b64 vcc, exec, s[0:1]
	v_add_u32_e32 v3, 0x80, v9
	s_cbranch_vccnz .LBB7_36
; %bb.31:
	s_cmp_lg_u32 s33, 0
	s_waitcnt lgkmcnt(0)
	s_mov_b32 s26, 0
	s_cbranch_scc0 .LBB7_37
; %bb.32:
	s_min_u32 s27, s54, 15
	s_add_i32 s27, s27, 1
	s_cmp_eq_u32 s54, 2
	s_cbranch_scc1 .LBB7_38
; %bb.33:
	s_and_b32 s26, s27, 28
	s_add_u32 s2, s34, 0xc4
	s_addc_u32 s3, s35, 0
	v_mov_b32_e32 v10, 0
	s_mov_b32 s28, 0
	s_mov_b64 s[24:25], s[34:35]
	v_mov_b32_e32 v1, 0
	v_mov_b32_e32 v2, v3
.LBB7_34:                               ; =>This Inner Loop Header: Depth=1
	s_load_dwordx8 s[12:19], s[24:25], 0x4
	s_load_dwordx4 s[20:23], s[24:25], 0x24
	s_load_dwordx8 s[4:11], s[2:3], 0x0
	s_add_u32 s24, s24, 48
	s_addc_u32 s25, s25, 0
	s_waitcnt lgkmcnt(0)
	v_mul_hi_u32 v4, s13, v2
	s_add_i32 s28, s28, 4
	s_add_u32 s2, s2, 32
	s_addc_u32 s3, s3, 0
	v_add_u32_e32 v4, v2, v4
	v_lshrrev_b32_e32 v4, s14, v4
	v_mul_lo_u32 v5, v4, s12
	v_mul_hi_u32 v6, s16, v4
	s_cmp_lg_u32 s26, s28
	v_sub_u32_e32 v2, v2, v5
	v_add_u32_e32 v5, v4, v6
	v_mul_lo_u32 v6, v2, s4
	v_mul_lo_u32 v8, v2, s5
	v_lshrrev_b32_e32 v2, s17, v5
	v_mul_lo_u32 v5, v2, s15
	v_mul_hi_u32 v11, s19, v2
	v_sub_u32_e32 v4, v4, v5
	v_add_u32_e32 v5, v2, v11
	v_lshrrev_b32_e32 v5, s20, v5
	v_mul_hi_u32 v13, s22, v5
	v_mul_lo_u32 v14, v5, s18
	v_mul_lo_u32 v11, v4, s6
	;; [unrolled: 1-line block ×3, first 2 shown]
	v_sub_u32_e32 v14, v2, v14
	v_add_u32_e32 v2, v5, v13
	v_lshrrev_b32_e32 v2, s23, v2
	v_mul_lo_u32 v13, v2, s21
	v_mul_lo_u32 v15, v14, s8
	;; [unrolled: 1-line block ×3, first 2 shown]
	v_add3_u32 v1, v6, v1, v11
	v_sub_u32_e32 v5, v5, v13
	v_mul_lo_u32 v13, v5, s10
	v_mul_lo_u32 v5, v5, s11
	v_add3_u32 v4, v8, v10, v4
	v_add3_u32 v1, v15, v1, v13
	;; [unrolled: 1-line block ×3, first 2 shown]
	s_cbranch_scc1 .LBB7_34
; %bb.35:
	s_and_b32 s6, s27, 3
	s_cmp_eq_u32 s6, 0
	s_cbranch_scc0 .LBB7_39
	s_branch .LBB7_41
.LBB7_36:
                                        ; implicit-def: $vgpr1
                                        ; implicit-def: $vgpr10
	s_branch .LBB7_42
.LBB7_37:
	v_mov_b32_e32 v1, 0
	v_mov_b32_e32 v10, 0
	s_branch .LBB7_41
.LBB7_38:
	v_mov_b32_e32 v1, 0
	v_mov_b32_e32 v10, 0
	;; [unrolled: 1-line block ×3, first 2 shown]
	s_and_b32 s6, s27, 3
	s_cmp_eq_u32 s6, 0
	s_cbranch_scc1 .LBB7_41
.LBB7_39:
	s_lshl_b32 s2, s26, 3
	s_add_u32 s2, s34, s2
	s_addc_u32 s3, s35, 0
	s_add_u32 s2, s2, 0xc4
	s_addc_u32 s3, s3, 0
	s_mul_i32 s4, s26, 12
	s_add_u32 s4, s34, s4
	s_addc_u32 s5, s35, 0
.LBB7_40:                               ; =>This Inner Loop Header: Depth=1
	s_load_dwordx2 s[8:9], s[4:5], 0x4
	s_load_dword s7, s[4:5], 0xc
	s_load_dwordx2 s[10:11], s[2:3], 0x0
	s_add_u32 s4, s4, 12
	s_addc_u32 s5, s5, 0
	s_waitcnt lgkmcnt(0)
	v_mul_hi_u32 v4, s9, v2
	s_add_u32 s2, s2, 8
	s_addc_u32 s3, s3, 0
	s_add_i32 s6, s6, -1
	v_add_u32_e32 v4, v2, v4
	v_lshrrev_b32_e32 v4, s7, v4
	v_mul_lo_u32 v5, v4, s8
	s_cmp_lg_u32 s6, 0
	v_sub_u32_e32 v5, v2, v5
	v_mad_u64_u32 v[1:2], s[8:9], v5, s10, v[1:2]
	v_mad_u64_u32 v[10:11], s[8:9], v5, s11, v[10:11]
	v_mov_b32_e32 v2, v4
	s_cbranch_scc1 .LBB7_40
.LBB7_41:
	s_cbranch_execnz .LBB7_44
.LBB7_42:
	s_load_dwordx4 s[4:7], s[34:35], 0x4
	s_load_dwordx2 s[2:3], s[34:35], 0xc4
	s_cmp_lt_u32 s33, 2
	s_waitcnt lgkmcnt(0)
	v_mul_hi_u32 v1, s5, v3
	v_add_u32_e32 v1, v3, v1
	v_lshrrev_b32_e32 v2, s6, v1
	v_mul_lo_u32 v1, v2, s4
	v_sub_u32_e32 v3, v3, v1
	v_mul_lo_u32 v1, v3, s2
	v_mul_lo_u32 v10, v3, s3
	s_cbranch_scc1 .LBB7_44
; %bb.43:
	s_load_dwordx4 s[4:7], s[34:35], 0x10
	s_load_dwordx2 s[2:3], s[34:35], 0xcc
	s_waitcnt lgkmcnt(0)
	v_mul_hi_u32 v3, s5, v2
	v_add_u32_e32 v3, v2, v3
	v_lshrrev_b32_e32 v3, s6, v3
	v_mul_lo_u32 v3, v3, s4
	v_sub_u32_e32 v3, v2, v3
	v_mad_u64_u32 v[1:2], s[4:5], v3, s2, v[1:2]
	v_mad_u64_u32 v[10:11], s[2:3], v3, s3, v[10:11]
.LBB7_44:
	s_and_b64 vcc, exec, s[0:1]
	v_add_u32_e32 v4, 0x100, v9
	s_cbranch_vccnz .LBB7_50
; %bb.45:
	s_cmp_lg_u32 s33, 0
	s_waitcnt lgkmcnt(0)
	s_mov_b32 s26, 0
	s_cbranch_scc0 .LBB7_51
; %bb.46:
	s_min_u32 s27, s54, 15
	s_add_i32 s27, s27, 1
	s_cmp_eq_u32 s54, 2
	s_cbranch_scc1 .LBB7_52
; %bb.47:
	s_and_b32 s26, s27, 28
	s_add_u32 s2, s34, 0xc4
	s_addc_u32 s3, s35, 0
	v_mov_b32_e32 v8, 0
	s_mov_b32 s28, 0
	s_mov_b64 s[24:25], s[34:35]
	v_mov_b32_e32 v2, 0
	v_mov_b32_e32 v3, v4
.LBB7_48:                               ; =>This Inner Loop Header: Depth=1
	s_load_dwordx8 s[12:19], s[24:25], 0x4
	s_load_dwordx4 s[20:23], s[24:25], 0x24
	s_load_dwordx8 s[4:11], s[2:3], 0x0
	s_add_u32 s24, s24, 48
	s_addc_u32 s25, s25, 0
	s_waitcnt lgkmcnt(0)
	v_mul_hi_u32 v5, s13, v3
	s_add_i32 s28, s28, 4
	s_add_u32 s2, s2, 32
	s_addc_u32 s3, s3, 0
	v_add_u32_e32 v5, v3, v5
	v_lshrrev_b32_e32 v5, s14, v5
	v_mul_lo_u32 v6, v5, s12
	v_mul_hi_u32 v9, s16, v5
	s_cmp_lg_u32 s26, s28
	v_sub_u32_e32 v3, v3, v6
	v_add_u32_e32 v6, v5, v9
	v_mul_lo_u32 v9, v3, s4
	v_mul_lo_u32 v11, v3, s5
	v_lshrrev_b32_e32 v3, s17, v6
	v_mul_lo_u32 v6, v3, s15
	v_mul_hi_u32 v13, s19, v3
	v_sub_u32_e32 v5, v5, v6
	v_add_u32_e32 v6, v3, v13
	v_lshrrev_b32_e32 v6, s20, v6
	v_mul_hi_u32 v14, s22, v6
	v_mul_lo_u32 v15, v6, s18
	v_mul_lo_u32 v13, v5, s6
	v_mul_lo_u32 v5, v5, s7
	v_sub_u32_e32 v15, v3, v15
	v_add_u32_e32 v3, v6, v14
	v_lshrrev_b32_e32 v3, s23, v3
	v_mul_lo_u32 v14, v3, s21
	v_mul_lo_u32 v16, v15, s8
	;; [unrolled: 1-line block ×3, first 2 shown]
	v_add3_u32 v2, v9, v2, v13
	v_sub_u32_e32 v6, v6, v14
	v_mul_lo_u32 v14, v6, s10
	v_mul_lo_u32 v6, v6, s11
	v_add3_u32 v5, v11, v8, v5
	v_add3_u32 v2, v16, v2, v14
	;; [unrolled: 1-line block ×3, first 2 shown]
	s_cbranch_scc1 .LBB7_48
; %bb.49:
	s_and_b32 s6, s27, 3
	s_cmp_eq_u32 s6, 0
	s_cbranch_scc0 .LBB7_53
	s_branch .LBB7_55
.LBB7_50:
                                        ; implicit-def: $vgpr2
                                        ; implicit-def: $vgpr8
	s_branch .LBB7_56
.LBB7_51:
	v_mov_b32_e32 v2, 0
	v_mov_b32_e32 v8, 0
	s_branch .LBB7_55
.LBB7_52:
	v_mov_b32_e32 v2, 0
	v_mov_b32_e32 v8, 0
	v_mov_b32_e32 v3, v4
	s_and_b32 s6, s27, 3
	s_cmp_eq_u32 s6, 0
	s_cbranch_scc1 .LBB7_55
.LBB7_53:
	s_lshl_b32 s2, s26, 3
	s_add_u32 s2, s34, s2
	s_addc_u32 s3, s35, 0
	s_add_u32 s2, s2, 0xc4
	s_addc_u32 s3, s3, 0
	s_mul_i32 s4, s26, 12
	s_add_u32 s4, s34, s4
	s_addc_u32 s5, s35, 0
.LBB7_54:                               ; =>This Inner Loop Header: Depth=1
	s_load_dwordx2 s[8:9], s[4:5], 0x4
	s_load_dword s7, s[4:5], 0xc
	s_load_dwordx2 s[10:11], s[2:3], 0x0
	s_add_u32 s4, s4, 12
	s_addc_u32 s5, s5, 0
	s_waitcnt lgkmcnt(0)
	v_mul_hi_u32 v5, s9, v3
	s_add_u32 s2, s2, 8
	s_addc_u32 s3, s3, 0
	s_add_i32 s6, s6, -1
	v_add_u32_e32 v5, v3, v5
	v_lshrrev_b32_e32 v5, s7, v5
	v_mul_lo_u32 v6, v5, s8
	s_cmp_lg_u32 s6, 0
	v_sub_u32_e32 v6, v3, v6
	v_mad_u64_u32 v[2:3], s[8:9], v6, s10, v[2:3]
	v_mad_u64_u32 v[8:9], s[8:9], v6, s11, v[8:9]
	v_mov_b32_e32 v3, v5
	s_cbranch_scc1 .LBB7_54
.LBB7_55:
	s_cbranch_execnz .LBB7_58
.LBB7_56:
	s_load_dwordx4 s[4:7], s[34:35], 0x4
	s_load_dwordx2 s[2:3], s[34:35], 0xc4
	s_cmp_lt_u32 s33, 2
	s_waitcnt lgkmcnt(0)
	v_mul_hi_u32 v2, s5, v4
	v_add_u32_e32 v2, v4, v2
	v_lshrrev_b32_e32 v3, s6, v2
	v_mul_lo_u32 v2, v3, s4
	v_sub_u32_e32 v4, v4, v2
	v_mul_lo_u32 v2, v4, s2
	v_mul_lo_u32 v8, v4, s3
	s_cbranch_scc1 .LBB7_58
; %bb.57:
	s_load_dwordx4 s[4:7], s[34:35], 0x10
	s_load_dwordx2 s[2:3], s[34:35], 0xcc
	s_waitcnt lgkmcnt(0)
	v_mul_hi_u32 v4, s5, v3
	v_add_u32_e32 v4, v3, v4
	v_lshrrev_b32_e32 v4, s6, v4
	v_mul_lo_u32 v4, v4, s4
	v_sub_u32_e32 v4, v3, v4
	v_mad_u64_u32 v[2:3], s[4:5], v4, s2, v[2:3]
	v_mad_u64_u32 v[8:9], s[2:3], v4, s3, v[8:9]
.LBB7_58:
	s_and_b64 vcc, exec, s[0:1]
	s_cbranch_vccnz .LBB7_64
; %bb.59:
	s_cmp_lg_u32 s33, 0
	s_waitcnt lgkmcnt(0)
	s_mov_b32 s24, 0
	s_cbranch_scc0 .LBB7_65
; %bb.60:
	s_min_u32 s25, s54, 15
	s_add_i32 s25, s25, 1
	s_cmp_eq_u32 s54, 2
	s_cbranch_scc1 .LBB7_66
; %bb.61:
	s_and_b32 s24, s25, 28
	s_add_u32 s20, s34, 0xc4
	s_addc_u32 s21, s35, 0
	v_mov_b32_e32 v5, 0
	s_mov_b32 s26, 0
	s_mov_b64 s[22:23], s[34:35]
	v_mov_b32_e32 v3, 0
	v_mov_b32_e32 v4, v12
.LBB7_62:                               ; =>This Inner Loop Header: Depth=1
	s_load_dwordx8 s[8:15], s[22:23], 0x4
	s_load_dwordx4 s[16:19], s[22:23], 0x24
	s_load_dwordx8 s[0:7], s[20:21], 0x0
	s_add_u32 s22, s22, 48
	s_addc_u32 s23, s23, 0
	s_waitcnt lgkmcnt(0)
	v_mul_hi_u32 v6, s9, v4
	s_add_i32 s26, s26, 4
	s_add_u32 s20, s20, 32
	s_addc_u32 s21, s21, 0
	v_add_u32_e32 v6, v4, v6
	v_lshrrev_b32_e32 v6, s10, v6
	v_mul_lo_u32 v9, v6, s8
	v_mul_hi_u32 v11, s12, v6
	s_cmp_lg_u32 s24, s26
	v_sub_u32_e32 v4, v4, v9
	v_add_u32_e32 v9, v6, v11
	v_mul_lo_u32 v11, v4, s0
	v_mul_lo_u32 v13, v4, s1
	v_lshrrev_b32_e32 v4, s13, v9
	v_mul_lo_u32 v9, v4, s11
	v_mul_hi_u32 v14, s15, v4
	v_sub_u32_e32 v6, v6, v9
	v_add_u32_e32 v9, v4, v14
	v_lshrrev_b32_e32 v9, s16, v9
	v_mul_hi_u32 v15, s18, v9
	v_mul_lo_u32 v16, v9, s14
	v_mul_lo_u32 v14, v6, s2
	v_mul_lo_u32 v6, v6, s3
	v_sub_u32_e32 v16, v4, v16
	v_add_u32_e32 v4, v9, v15
	v_lshrrev_b32_e32 v4, s19, v4
	v_mul_lo_u32 v15, v4, s17
	v_mul_lo_u32 v17, v16, s4
	;; [unrolled: 1-line block ×3, first 2 shown]
	v_add3_u32 v3, v11, v3, v14
	v_sub_u32_e32 v9, v9, v15
	v_mul_lo_u32 v15, v9, s6
	v_mul_lo_u32 v9, v9, s7
	v_add3_u32 v5, v13, v5, v6
	v_add3_u32 v3, v17, v3, v15
	;; [unrolled: 1-line block ×3, first 2 shown]
	s_cbranch_scc1 .LBB7_62
; %bb.63:
	s_and_b32 s4, s25, 3
	s_cmp_eq_u32 s4, 0
	s_cbranch_scc0 .LBB7_67
	s_branch .LBB7_69
.LBB7_64:
                                        ; implicit-def: $vgpr3
                                        ; implicit-def: $vgpr5
	s_branch .LBB7_70
.LBB7_65:
	v_mov_b32_e32 v3, 0
	v_mov_b32_e32 v5, 0
	s_branch .LBB7_69
.LBB7_66:
	v_mov_b32_e32 v3, 0
	v_mov_b32_e32 v5, 0
	;; [unrolled: 1-line block ×3, first 2 shown]
	s_and_b32 s4, s25, 3
	s_cmp_eq_u32 s4, 0
	s_cbranch_scc1 .LBB7_69
.LBB7_67:
	s_lshl_b32 s0, s24, 3
	s_add_u32 s0, s34, s0
	s_addc_u32 s1, s35, 0
	s_add_u32 s0, s0, 0xc4
	s_addc_u32 s1, s1, 0
	s_mul_i32 s2, s24, 12
	s_add_u32 s2, s34, s2
	s_addc_u32 s3, s35, 0
.LBB7_68:                               ; =>This Inner Loop Header: Depth=1
	s_load_dwordx2 s[6:7], s[2:3], 0x4
	s_load_dword s5, s[2:3], 0xc
	s_load_dwordx2 s[8:9], s[0:1], 0x0
	s_add_u32 s2, s2, 12
	s_addc_u32 s3, s3, 0
	s_waitcnt lgkmcnt(0)
	v_mul_hi_u32 v6, s7, v4
	s_add_u32 s0, s0, 8
	s_addc_u32 s1, s1, 0
	s_add_i32 s4, s4, -1
	v_add_u32_e32 v6, v4, v6
	v_lshrrev_b32_e32 v9, s5, v6
	v_mul_lo_u32 v6, v9, s6
	s_cmp_lg_u32 s4, 0
	v_sub_u32_e32 v6, v4, v6
	v_mad_u64_u32 v[3:4], s[6:7], v6, s8, v[3:4]
	v_mad_u64_u32 v[5:6], s[6:7], v6, s9, v[5:6]
	v_mov_b32_e32 v4, v9
	s_cbranch_scc1 .LBB7_68
.LBB7_69:
	s_cbranch_execnz .LBB7_72
.LBB7_70:
	s_load_dwordx4 s[0:3], s[34:35], 0x4
	s_load_dwordx2 s[4:5], s[34:35], 0xc4
	s_cmp_lt_u32 s33, 2
	s_waitcnt lgkmcnt(0)
	v_mul_hi_u32 v3, s1, v12
	v_add_u32_e32 v3, v12, v3
	v_lshrrev_b32_e32 v4, s2, v3
	v_mul_lo_u32 v3, v4, s0
	v_sub_u32_e32 v5, v12, v3
	v_mul_lo_u32 v3, v5, s4
	v_mul_lo_u32 v5, v5, s5
	s_cbranch_scc1 .LBB7_72
; %bb.71:
	s_load_dwordx4 s[0:3], s[34:35], 0x10
	s_load_dwordx2 s[4:5], s[34:35], 0xcc
	s_waitcnt lgkmcnt(0)
	v_mul_hi_u32 v6, s1, v4
	v_add_u32_e32 v6, v4, v6
	v_lshrrev_b32_e32 v6, s2, v6
	v_mul_lo_u32 v6, v6, s0
	v_sub_u32_e32 v6, v4, v6
	v_mad_u64_u32 v[3:4], s[0:1], v6, s4, v[3:4]
	v_mad_u64_u32 v[5:6], s[0:1], v6, s5, v[5:6]
.LBB7_72:
	s_load_dwordx4 s[4:7], s[34:35], 0x148
	s_waitcnt lgkmcnt(0)
	global_load_dwordx2 v[11:12], v7, s[6:7]
                                        ; implicit-def: $vgpr6_vgpr7
	s_waitcnt vmcnt(0)
	v_cmp_neq_f64_e32 vcc, 0, v[11:12]
	s_and_saveexec_b64 s[0:1], vcc
	s_xor_b64 s[2:3], exec, s[0:1]
	s_cbranch_execz .LBB7_94
; %bb.73:
	v_cmp_gt_f64_e32 vcc, 0, v[11:12]
	v_mov_b32_e32 v13, 0
	v_mov_b32_e32 v14, 0
	s_mov_b64 s[10:11], -1
	s_and_saveexec_b64 s[8:9], vcc
	s_cbranch_execz .LBB7_81
; %bb.74:
	v_trunc_f64_e32 v[6:7], v[11:12]
	v_mov_b32_e32 v13, 0
	v_mov_b32_e32 v14, 0
	s_mov_b64 s[12:13], 0
	v_cmp_neq_f64_e32 vcc, v[11:12], v[6:7]
	s_and_saveexec_b64 s[10:11], vcc
	s_cbranch_execz .LBB7_80
; %bb.75:
	v_add_f64 v[6:7], v[11:12], -v[6:7]
	s_mov_b32 s0, 0
	s_mov_b32 s13, 0xc00921fb
	;; [unrolled: 1-line block ×4, first 2 shown]
	v_cmp_neq_f64_e64 vcc, |v[11:12]|, s[0:1]
	v_bfrev_b32_e32 v4, 1
	s_mov_b32 s14, 0
	v_mul_f64 v[6:7], |v[6:7]|, s[12:13]
	s_mov_b32 s15, 0x41d00000
                                        ; implicit-def: $vgpr13_vgpr14
                                        ; implicit-def: $vgpr15_vgpr16
	v_cndmask_b32_e32 v7, v4, v7, vcc
	v_cndmask_b32_e32 v6, 0, v6, vcc
	v_cmp_nlt_f64_e64 s[14:15], |v[6:7]|, s[14:15]
                                        ; implicit-def: $vgpr4
	s_and_saveexec_b64 s[16:17], s[14:15]
	s_xor_b64 s[14:15], exec, s[16:17]
	s_cbranch_execz .LBB7_77
; %bb.76:
	v_trig_preop_f64 v[13:14], |v[6:7]|, 0
	s_mov_b32 s16, 0
	s_mov_b32 s17, 0x7b000000
	s_movk_i32 s13, 0xff80
	v_ldexp_f64 v[17:18], |v[6:7]|, s13
	v_cmp_ge_f64_e64 vcc, |v[6:7]|, s[16:17]
	v_trig_preop_f64 v[15:16], |v[6:7]|, 1
	v_and_b32_e32 v4, 0x7fffffff, v7
	v_trig_preop_f64 v[25:26], |v[6:7]|, 2
	v_mov_b32_e32 v35, 0
	v_mov_b32_e32 v9, 0x3ff00000
	s_mov_b32 s13, 0x3ff921fb
	v_cndmask_b32_e32 v18, v4, v18, vcc
	v_cndmask_b32_e32 v17, v6, v17, vcc
	v_mov_b32_e32 v4, 0x40100000
	v_mul_f64 v[19:20], v[13:14], v[17:18]
	v_mul_f64 v[21:22], v[15:16], v[17:18]
	;; [unrolled: 1-line block ×3, first 2 shown]
	v_fma_f64 v[13:14], v[13:14], v[17:18], -v[19:20]
	v_fma_f64 v[15:16], v[15:16], v[17:18], -v[21:22]
	;; [unrolled: 1-line block ×3, first 2 shown]
	v_add_f64 v[23:24], v[21:22], v[13:14]
	v_add_f64 v[27:28], v[23:24], -v[21:22]
	v_add_f64 v[33:34], v[19:20], v[23:24]
	v_add_f64 v[29:30], v[23:24], -v[27:28]
	v_add_f64 v[13:14], v[13:14], -v[27:28]
	v_add_f64 v[27:28], v[31:32], v[15:16]
	v_add_f64 v[19:20], v[33:34], -v[19:20]
	v_add_f64 v[21:22], v[21:22], -v[29:30]
	v_ldexp_f64 v[29:30], v[33:34], -2
	v_add_f64 v[37:38], v[27:28], -v[31:32]
	v_add_f64 v[19:20], v[23:24], -v[19:20]
	v_add_f64 v[13:14], v[13:14], v[21:22]
	v_fract_f64_e32 v[21:22], v[29:30]
	v_cmp_neq_f64_e64 vcc, |v[29:30]|, s[0:1]
	v_add_f64 v[15:16], v[15:16], -v[37:38]
	v_add_f64 v[23:24], v[27:28], v[13:14]
	v_ldexp_f64 v[21:22], v[21:22], 2
	v_add_f64 v[29:30], v[19:20], v[23:24]
	v_cndmask_b32_e32 v22, 0, v22, vcc
	v_cndmask_b32_e32 v21, 0, v21, vcc
	v_add_f64 v[39:40], v[23:24], -v[27:28]
	v_add_f64 v[33:34], v[29:30], v[21:22]
	v_add_f64 v[19:20], v[29:30], -v[19:20]
	v_add_f64 v[41:42], v[23:24], -v[39:40]
	;; [unrolled: 1-line block ×3, first 2 shown]
	v_cmp_gt_f64_e32 vcc, 0, v[33:34]
	v_add_f64 v[33:34], v[27:28], -v[37:38]
	v_add_f64 v[19:20], v[23:24], -v[19:20]
	;; [unrolled: 1-line block ×3, first 2 shown]
	v_cndmask_b32_e32 v36, 0, v4, vcc
	v_add_f64 v[21:22], v[21:22], v[35:36]
	v_add_f64 v[33:34], v[31:32], -v[33:34]
	v_add_f64 v[13:14], v[13:14], v[27:28]
	v_add_f64 v[43:44], v[29:30], v[21:22]
	;; [unrolled: 1-line block ×3, first 2 shown]
	v_cvt_i32_f64_e32 v4, v[43:44]
	v_add_f64 v[13:14], v[15:16], v[13:14]
	v_cvt_f64_i32_e32 v[36:37], v4
	v_add_f64 v[21:22], v[21:22], -v[36:37]
	v_add_f64 v[13:14], v[17:18], v[13:14]
	v_add_f64 v[15:16], v[29:30], v[21:22]
	;; [unrolled: 1-line block ×3, first 2 shown]
	v_add_f64 v[17:18], v[15:16], -v[21:22]
	v_cmp_le_f64_e32 vcc, 0.5, v[15:16]
	v_add_f64 v[17:18], v[29:30], -v[17:18]
	v_cndmask_b32_e32 v36, 0, v9, vcc
	v_add_f64 v[15:16], v[15:16], -v[35:36]
	v_addc_co_u32_e64 v4, s[0:1], 0, v4, vcc
	s_mov_b32 s0, 0x33145c07
	s_mov_b32 s1, 0x3c91a626
	v_add_f64 v[13:14], v[13:14], v[17:18]
	v_add_f64 v[17:18], v[15:16], v[13:14]
	v_mul_f64 v[19:20], v[17:18], s[12:13]
	v_add_f64 v[15:16], v[17:18], -v[15:16]
	v_fma_f64 v[21:22], v[17:18], s[12:13], -v[19:20]
	v_add_f64 v[13:14], v[13:14], -v[15:16]
	v_fma_f64 v[15:16], v[17:18], s[0:1], v[21:22]
	v_fma_f64 v[15:16], v[13:14], s[12:13], v[15:16]
	v_add_f64 v[13:14], v[19:20], v[15:16]
	v_add_f64 v[17:18], v[13:14], -v[19:20]
	v_add_f64 v[15:16], v[15:16], -v[17:18]
.LBB7_77:
	s_andn2_saveexec_b64 s[0:1], s[14:15]
	s_cbranch_execz .LBB7_79
; %bb.78:
	s_mov_b32 s12, 0x6dc9c883
	s_mov_b32 s13, 0x3fe45f30
	v_mul_f64 v[13:14], |v[6:7]|, s[12:13]
	s_mov_b32 s12, 0x54442d18
	s_mov_b32 s13, 0xbff921fb
	;; [unrolled: 1-line block ×4, first 2 shown]
	v_rndne_f64_e32 v[17:18], v[13:14]
	v_fma_f64 v[13:14], v[17:18], s[12:13], |v[6:7]|
	v_mul_f64 v[15:16], v[17:18], s[14:15]
	s_mov_b32 s12, 0x252049c0
	s_mov_b32 s13, 0xb97b839a
	v_cvt_i32_f64_e32 v4, v[17:18]
	v_fma_f64 v[23:24], v[17:18], s[14:15], v[13:14]
	v_add_f64 v[19:20], v[13:14], v[15:16]
	s_mov_b32 s15, 0x3c91a626
	v_add_f64 v[21:22], v[13:14], -v[19:20]
	v_add_f64 v[19:20], v[19:20], -v[23:24]
	v_add_f64 v[13:14], v[21:22], v[15:16]
	v_fma_f64 v[15:16], v[17:18], s[14:15], v[15:16]
	v_add_f64 v[13:14], v[19:20], v[13:14]
	v_add_f64 v[13:14], v[13:14], -v[15:16]
	v_fma_f64 v[15:16], v[17:18], s[12:13], v[13:14]
	v_add_f64 v[13:14], v[23:24], v[15:16]
	v_add_f64 v[19:20], v[13:14], -v[23:24]
	v_add_f64 v[15:16], v[15:16], -v[19:20]
.LBB7_79:
	s_or_b64 exec, exec, s[0:1]
	v_mul_f64 v[17:18], v[13:14], v[13:14]
	v_add_f64 v[19:20], v[15:16], v[15:16]
	s_mov_b32 s0, 0xc751c08c
	s_mov_b32 s1, 0x3ef5e089
	v_and_b32_e32 v4, 1, v4
	v_cmp_eq_u32_e32 vcc, 0, v4
	v_and_b32_e32 v9, 0x80000000, v7
	s_mov_b32 s14, 0x54442d18
	v_fma_f64 v[21:22], v[13:14], v[13:14], -v[17:18]
	s_mov_b32 s15, 0xc00921fb
	v_add_f64 v[11:12], -v[11:12], 1.0
	s_mov_b64 s[12:13], exec
	v_fma_f64 v[19:20], v[13:14], v[19:20], v[21:22]
	v_add_f64 v[17:18], v[17:18], v[19:20]
	v_mov_b32_e32 v19, 0xa9a29f71
	v_mov_b32_e32 v20, 0xbf078809
	v_fma_f64 v[19:20], v[17:18], s[0:1], v[19:20]
	s_mov_b32 s0, 0x90a8aae0
	s_mov_b32 s1, 0x3f17746f
	v_fma_f64 v[19:20], v[17:18], v[19:20], s[0:1]
	s_mov_b32 s0, 0xa6fbf144
	s_mov_b32 s1, 0xbefbb44d
	v_fma_f64 v[19:20], v[17:18], v[19:20], s[0:1]
	s_mov_b32 s0, 0xa7943acf
	s_mov_b32 s1, 0x3f21e634
	v_fma_f64 v[19:20], v[17:18], v[19:20], s[0:1]
	s_mov_b32 s0, 0xdeb68feb
	s_mov_b32 s1, 0x3f2d250f
	v_fma_f64 v[19:20], v[17:18], v[19:20], s[0:1]
	s_mov_b32 s0, 0xb58c4d95
	s_mov_b32 s1, 0x3f437fd9
	v_fma_f64 v[19:20], v[17:18], v[19:20], s[0:1]
	s_mov_b32 s0, 0x15120e2c
	s_mov_b32 s1, 0x3f57d5af
	v_fma_f64 v[19:20], v[17:18], v[19:20], s[0:1]
	s_mov_b32 s0, 0xe09491df
	s_mov_b32 s1, 0x3f6d6d93
	v_fma_f64 v[19:20], v[17:18], v[19:20], s[0:1]
	s_mov_b32 s0, 0x2033784d
	s_mov_b32 s1, 0x3f8226e1
	v_fma_f64 v[19:20], v[17:18], v[19:20], s[0:1]
	s_mov_b32 s0, 0x9ac36ae2
	s_mov_b32 s1, 0x3f9664f4
	v_fma_f64 v[19:20], v[17:18], v[19:20], s[0:1]
	s_mov_b32 s0, 0x1b451c21
	s_mov_b32 s1, 0x3faba1ba
	v_fma_f64 v[19:20], v[17:18], v[19:20], s[0:1]
	s_mov_b32 s0, 0x111185b7
	s_mov_b32 s1, 0x3fc11111
	v_fma_f64 v[19:20], v[17:18], v[19:20], s[0:1]
	s_mov_b32 s0, 0x555554ee
	s_mov_b32 s1, 0x3fd55555
	v_fma_f64 v[19:20], v[17:18], v[19:20], s[0:1]
	s_movk_i32 s0, 0x1f8
	v_cmp_class_f64_e64 s[0:1], v[6:7], s0
	v_mov_b32_e32 v7, 0x7ff80000
	v_mul_f64 v[17:18], v[17:18], v[19:20]
	v_mul_f64 v[19:20], v[13:14], v[17:18]
	v_add_f64 v[21:22], v[13:14], v[19:20]
	v_fma_f64 v[17:18], v[13:14], v[17:18], -v[19:20]
	v_add_f64 v[13:14], v[21:22], -v[13:14]
	v_add_f64 v[15:16], v[15:16], v[17:18]
	v_add_f64 v[13:14], v[19:20], -v[13:14]
	v_add_f64 v[13:14], v[15:16], v[13:14]
	v_add_f64 v[15:16], v[21:22], v[13:14]
	v_rcp_f64_e32 v[17:18], v[15:16]
	v_fma_f64 v[19:20], -v[15:16], v[17:18], 1.0
	v_fma_f64 v[17:18], v[19:20], v[17:18], v[17:18]
	v_fma_f64 v[19:20], -v[15:16], v[17:18], 1.0
	v_fma_f64 v[17:18], v[19:20], v[17:18], v[17:18]
	v_add_f64 v[19:20], v[15:16], -v[21:22]
	v_mul_f64 v[21:22], v[15:16], v[17:18]
	v_add_f64 v[13:14], v[13:14], -v[19:20]
	v_fma_f64 v[19:20], v[17:18], v[15:16], -v[21:22]
	v_fma_f64 v[13:14], v[17:18], v[13:14], v[19:20]
	v_add_f64 v[19:20], v[21:22], v[13:14]
	v_add_f64 v[23:24], -v[19:20], 1.0
	v_add_f64 v[21:22], v[19:20], -v[21:22]
	v_add_f64 v[25:26], -v[23:24], 1.0
	v_add_f64 v[13:14], v[21:22], -v[13:14]
	v_add_f64 v[19:20], v[25:26], -v[19:20]
	v_add_f64 v[13:14], v[13:14], v[19:20]
	v_add_f64 v[13:14], v[23:24], v[13:14]
	v_mul_f64 v[13:14], v[17:18], v[13:14]
	v_add_f64 v[13:14], v[17:18], v[13:14]
	v_xor_b32_e32 v6, 0x80000000, v14
	v_cndmask_b32_e32 v4, v13, v15, vcc
	v_cndmask_b32_e32 v13, v6, v16, vcc
	v_cndmask_b32_e64 v6, 0, v4, s[0:1]
	v_xor_b32_e32 v4, v13, v9
	v_cndmask_b32_e64 v7, v7, v4, s[0:1]
	v_div_scale_f64 v[13:14], s[0:1], v[6:7], v[6:7], s[14:15]
	v_rcp_f64_e32 v[15:16], v[13:14]
	v_fma_f64 v[17:18], -v[13:14], v[15:16], 1.0
	v_fma_f64 v[15:16], v[15:16], v[17:18], v[15:16]
	v_div_scale_f64 v[17:18], vcc, s[14:15], v[6:7], s[14:15]
	v_fma_f64 v[19:20], -v[13:14], v[15:16], 1.0
	v_fma_f64 v[15:16], v[15:16], v[19:20], v[15:16]
	v_mul_f64 v[19:20], v[17:18], v[15:16]
	v_fma_f64 v[13:14], -v[13:14], v[19:20], v[17:18]
	v_div_fmas_f64 v[13:14], v[13:14], v[15:16], v[19:20]
	v_div_fixup_f64 v[13:14], v[13:14], v[6:7], s[14:15]
.LBB7_80:
	s_or_b64 exec, exec, s[10:11]
	s_orn2_b64 s[10:11], s[12:13], exec
.LBB7_81:
	s_or_b64 exec, exec, s[8:9]
	v_mov_b32_e32 v6, 0
	v_mov_b32_e32 v7, 0x7ff80000
	s_and_saveexec_b64 s[0:1], s[10:11]
	s_cbranch_execz .LBB7_93
; %bb.82:
	s_mov_b32 s10, 0
	s_mov_b32 s11, 0x40240000
	v_cmp_gt_f64_e32 vcc, s[10:11], v[11:12]
	s_and_saveexec_b64 s[8:9], vcc
	s_cbranch_execz .LBB7_86
; %bb.83:
	s_mov_b64 s[12:13], 0
.LBB7_84:                               ; =>This Inner Loop Header: Depth=1
	v_div_scale_f64 v[6:7], s[14:15], v[11:12], v[11:12], 1.0
	v_rcp_f64_e32 v[15:16], v[6:7]
	v_fma_f64 v[17:18], -v[6:7], v[15:16], 1.0
	v_fma_f64 v[15:16], v[15:16], v[17:18], v[15:16]
	v_div_scale_f64 v[17:18], vcc, 1.0, v[11:12], 1.0
	v_fma_f64 v[19:20], -v[6:7], v[15:16], 1.0
	v_fma_f64 v[15:16], v[15:16], v[19:20], v[15:16]
	v_mul_f64 v[19:20], v[17:18], v[15:16]
	v_fma_f64 v[6:7], -v[6:7], v[19:20], v[17:18]
	v_div_fmas_f64 v[6:7], v[6:7], v[15:16], v[19:20]
	v_div_fixup_f64 v[6:7], v[6:7], v[11:12], 1.0
	v_add_f64 v[11:12], v[11:12], 1.0
	v_add_f64 v[13:14], v[13:14], -v[6:7]
	v_cmp_ngt_f64_e32 vcc, s[10:11], v[11:12]
	s_or_b64 s[12:13], vcc, s[12:13]
	s_andn2_b64 exec, exec, s[12:13]
	s_cbranch_execnz .LBB7_84
; %bb.85:
	s_or_b64 exec, exec, s[12:13]
.LBB7_86:
	s_or_b64 exec, exec, s[8:9]
	s_mov_b32 s8, 0
	s_mov_b32 s9, 0x40240000
	v_cmp_neq_f64_e32 vcc, s[8:9], v[11:12]
                                        ; implicit-def: $vgpr6_vgpr7
	s_and_saveexec_b64 s[8:9], vcc
	s_xor_b64 s[8:9], exec, s[8:9]
	s_cbranch_execz .LBB7_90
; %bb.87:
	s_mov_b32 s10, 0x85d8a000
	s_mov_b32 s11, 0x43763457
	v_cmp_gt_f64_e32 vcc, s[10:11], v[11:12]
	v_mov_b32_e32 v6, 0
	v_mov_b32_e32 v7, 0
	s_and_saveexec_b64 s[10:11], vcc
	s_cbranch_execz .LBB7_89
; %bb.88:
	v_mul_f64 v[6:7], v[11:12], v[11:12]
	s_mov_b32 s14, 0x95995996
	s_mov_b32 s15, 0xbf959959
	;; [unrolled: 1-line block ×4, first 2 shown]
	v_div_scale_f64 v[15:16], s[12:13], v[6:7], v[6:7], 1.0
	v_div_scale_f64 v[21:22], vcc, 1.0, v[6:7], 1.0
	s_mov_b32 s12, 0x55555555
	s_mov_b32 s13, 0x3fb55555
	v_rcp_f64_e32 v[17:18], v[15:16]
	v_fma_f64 v[19:20], -v[15:16], v[17:18], 1.0
	v_fma_f64 v[17:18], v[17:18], v[19:20], v[17:18]
	v_fma_f64 v[19:20], -v[15:16], v[17:18], 1.0
	v_fma_f64 v[17:18], v[17:18], v[19:20], v[17:18]
	v_mul_f64 v[19:20], v[21:22], v[17:18]
	v_fma_f64 v[15:16], -v[15:16], v[19:20], v[21:22]
	v_div_fmas_f64 v[15:16], v[15:16], v[17:18], v[19:20]
	v_div_fixup_f64 v[6:7], v[15:16], v[6:7], 1.0
	v_fma_f64 v[15:16], v[6:7], 0, s[12:13]
	v_fma_f64 v[15:16], v[6:7], v[15:16], s[14:15]
	s_mov_b32 s14, 0xf07c1f08
	s_mov_b32 s15, 0x3f7f07c1
	v_fma_f64 v[15:16], v[6:7], v[15:16], s[14:15]
	s_mov_b32 s15, 0xbf711111
	s_mov_b32 s14, 0x11111111
	v_fma_f64 v[15:16], v[6:7], v[15:16], s[14:15]
	s_mov_b32 s15, 0xbf811111
	v_fma_f64 v[15:16], v[6:7], v[15:16], s[16:17]
	v_fma_f64 v[15:16], v[6:7], v[15:16], s[14:15]
	v_fma_f64 v[15:16], v[6:7], v[15:16], s[12:13]
	v_mul_f64 v[6:7], v[6:7], v[15:16]
.LBB7_89:
	s_or_b64 exec, exec, s[10:11]
	v_frexp_mant_f64_e32 v[15:16], v[11:12]
	s_mov_b32 s11, 0x3fe55555
	s_mov_b32 s10, 0x55555555
	;; [unrolled: 1-line block ×4, first 2 shown]
	v_cmp_gt_f64_e32 vcc, s[10:11], v[15:16]
	s_mov_b32 s10, 0x55555780
	v_cndmask_b32_e64 v4, 0, 1, vcc
	v_ldexp_f64 v[15:16], v[15:16], v4
	v_frexp_exp_i32_f64_e32 v4, v[11:12]
	v_add_f64 v[17:18], v[15:16], 1.0
	v_add_f64 v[23:24], v[15:16], -1.0
	v_subbrev_co_u32_e32 v4, vcc, 0, v4, vcc
	v_rcp_f64_e32 v[19:20], v[17:18]
	v_add_f64 v[25:26], v[17:18], -1.0
	v_add_f64 v[15:16], v[15:16], -v[25:26]
	v_fma_f64 v[21:22], -v[17:18], v[19:20], 1.0
	v_fma_f64 v[19:20], v[21:22], v[19:20], v[19:20]
	v_fma_f64 v[21:22], -v[17:18], v[19:20], 1.0
	v_fma_f64 v[19:20], v[21:22], v[19:20], v[19:20]
	v_mul_f64 v[21:22], v[23:24], v[19:20]
	v_mul_f64 v[27:28], v[17:18], v[21:22]
	v_fma_f64 v[17:18], v[21:22], v[17:18], -v[27:28]
	v_fma_f64 v[15:16], v[21:22], v[15:16], v[17:18]
	v_add_f64 v[17:18], v[27:28], v[15:16]
	v_add_f64 v[25:26], v[23:24], -v[17:18]
	v_add_f64 v[27:28], v[17:18], -v[27:28]
	v_add_f64 v[23:24], v[23:24], -v[25:26]
	v_add_f64 v[15:16], v[27:28], -v[15:16]
	v_add_f64 v[17:18], v[23:24], -v[17:18]
	v_mov_b32_e32 v23, 0x6b47b09a
	v_mov_b32_e32 v24, 0x3fc38538
	v_add_f64 v[15:16], v[15:16], v[17:18]
	v_add_f64 v[15:16], v[25:26], v[15:16]
	v_mul_f64 v[15:16], v[19:20], v[15:16]
	v_add_f64 v[17:18], v[21:22], v[15:16]
	v_mul_f64 v[19:20], v[17:18], v[17:18]
	v_fma_f64 v[23:24], v[19:20], s[12:13], v[23:24]
	s_mov_b32 s12, 0xd7f4df2e
	s_mov_b32 s13, 0x3fc7474d
	v_mul_f64 v[25:26], v[17:18], v[19:20]
	v_fma_f64 v[23:24], v[19:20], v[23:24], s[12:13]
	s_mov_b32 s12, 0x16291751
	s_mov_b32 s13, 0x3fcc71c0
	v_fma_f64 v[23:24], v[19:20], v[23:24], s[12:13]
	s_mov_b32 s12, 0x9b27acf1
	s_mov_b32 s13, 0x3fd24924
	v_fma_f64 v[23:24], v[19:20], v[23:24], s[12:13]
	s_mov_b32 s12, 0x998ef7b6
	s_mov_b32 s13, 0x3fd99999
	v_fma_f64 v[23:24], v[19:20], v[23:24], s[12:13]
	v_fma_f64 v[19:20], v[19:20], v[23:24], s[10:11]
	v_ldexp_f64 v[23:24], v[17:18], 1
	v_add_f64 v[17:18], v[17:18], -v[21:22]
	s_mov_b32 s10, 0xfefa39ef
	s_mov_b32 s11, 0x3fe62e42
	v_mul_f64 v[19:20], v[25:26], v[19:20]
	v_cvt_f64_i32_e32 v[25:26], v4
	v_add_f64 v[15:16], v[15:16], -v[17:18]
	v_mul_f64 v[27:28], v[25:26], s[10:11]
	v_add_f64 v[21:22], v[23:24], v[19:20]
	v_ldexp_f64 v[15:16], v[15:16], 1
	v_add_f64 v[17:18], v[21:22], -v[23:24]
	v_fma_f64 v[23:24], v[25:26], s[10:11], -v[27:28]
	s_mov_b32 s10, 0x3b39803f
	s_mov_b32 s11, 0x3c7abc9e
	v_add_f64 v[17:18], v[19:20], -v[17:18]
	v_fma_f64 v[19:20], v[25:26], s[10:11], v[23:24]
	v_add_f64 v[15:16], v[15:16], v[17:18]
	v_div_scale_f64 v[17:18], s[10:11], v[11:12], v[11:12], -0.5
	v_add_f64 v[23:24], v[27:28], v[19:20]
	s_movk_i32 s10, 0x204
	v_add_f64 v[25:26], v[21:22], v[15:16]
	v_add_f64 v[27:28], v[23:24], -v[27:28]
	v_add_f64 v[29:30], v[23:24], v[25:26]
	v_rcp_f64_e32 v[31:32], v[17:18]
	v_add_f64 v[21:22], v[25:26], -v[21:22]
	v_add_f64 v[19:20], v[19:20], -v[27:28]
	;; [unrolled: 1-line block ×5, first 2 shown]
	v_fma_f64 v[37:38], -v[17:18], v[31:32], 1.0
	v_add_f64 v[21:22], v[25:26], -v[33:34]
	v_add_f64 v[27:28], v[19:20], v[15:16]
	v_add_f64 v[23:24], v[23:24], -v[35:36]
	v_fma_f64 v[25:26], v[31:32], v[37:38], v[31:32]
	v_add_f64 v[33:34], v[27:28], -v[19:20]
	v_add_f64 v[21:22], v[21:22], v[23:24]
	v_div_scale_f64 v[23:24], vcc, -0.5, v[11:12], -0.5
	v_fma_f64 v[31:32], -v[17:18], v[25:26], 1.0
	v_add_f64 v[15:16], v[15:16], -v[33:34]
	v_add_f64 v[21:22], v[27:28], v[21:22]
	v_add_f64 v[27:28], v[27:28], -v[33:34]
	v_fma_f64 v[25:26], v[25:26], v[31:32], v[25:26]
	v_add_f64 v[31:32], v[29:30], v[21:22]
	v_add_f64 v[19:20], v[19:20], -v[27:28]
	v_mul_f64 v[35:36], v[23:24], v[25:26]
	v_add_f64 v[27:28], v[31:32], -v[29:30]
	v_add_f64 v[15:16], v[15:16], v[19:20]
	v_fma_f64 v[17:18], -v[17:18], v[35:36], v[23:24]
	v_add_f64 v[19:20], v[21:22], -v[27:28]
	v_div_fmas_f64 v[17:18], v[17:18], v[25:26], v[35:36]
	v_cmp_class_f64_e64 vcc, v[11:12], s10
	v_add_f64 v[15:16], v[15:16], v[19:20]
	v_add_f64 v[15:16], v[31:32], v[15:16]
	v_div_fixup_f64 v[17:18], v[17:18], v[11:12], -0.5
	v_cndmask_b32_e32 v12, v16, v12, vcc
	v_cndmask_b32_e32 v11, v15, v11, vcc
	v_add_f64 v[11:12], v[11:12], v[17:18]
	v_add_f64 v[6:7], v[11:12], -v[6:7]
	v_add_f64 v[6:7], v[13:14], v[6:7]
                                        ; implicit-def: $vgpr13_vgpr14
.LBB7_90:
	s_andn2_saveexec_b64 s[8:9], s[8:9]
	s_cbranch_execz .LBB7_92
; %bb.91:
	s_mov_b32 s10, 0xdc85cc95
	s_mov_b32 s11, 0x40020396
	v_add_f64 v[6:7], v[13:14], s[10:11]
.LBB7_92:
	s_or_b64 exec, exec, s[8:9]
.LBB7_93:
	s_or_b64 exec, exec, s[0:1]
                                        ; implicit-def: $vgpr11_vgpr12
.LBB7_94:
	s_andn2_saveexec_b64 s[0:1], s[2:3]
; %bb.95:
	v_xor_b32_e32 v4, 0x80000000, v12
	s_brev_b32 s2, -2
	v_mov_b32_e32 v6, 0x7ff00000
	v_bfi_b32 v7, s2, v6, v4
	v_mov_b32_e32 v6, 0
; %bb.96:
	s_or_b64 exec, exec, s[0:1]
	global_load_dwordx2 v[11:12], v10, s[6:7]
                                        ; implicit-def: $vgpr9_vgpr10
	s_waitcnt vmcnt(0)
	v_cmp_neq_f64_e32 vcc, 0, v[11:12]
	s_and_saveexec_b64 s[0:1], vcc
	s_xor_b64 s[2:3], exec, s[0:1]
	s_cbranch_execz .LBB7_118
; %bb.97:
	v_cmp_gt_f64_e32 vcc, 0, v[11:12]
	v_mov_b32_e32 v13, 0
	v_mov_b32_e32 v14, 0
	s_mov_b64 s[10:11], -1
	s_and_saveexec_b64 s[8:9], vcc
	s_cbranch_execz .LBB7_105
; %bb.98:
	v_trunc_f64_e32 v[9:10], v[11:12]
	v_mov_b32_e32 v13, 0
	v_mov_b32_e32 v14, 0
	s_mov_b64 s[12:13], 0
	v_cmp_neq_f64_e32 vcc, v[11:12], v[9:10]
	s_and_saveexec_b64 s[10:11], vcc
	s_cbranch_execz .LBB7_104
; %bb.99:
	v_add_f64 v[9:10], v[11:12], -v[9:10]
	s_mov_b32 s14, 0
	s_mov_b32 s1, 0xc00921fb
	;; [unrolled: 1-line block ×4, first 2 shown]
	v_cmp_neq_f64_e64 vcc, |v[11:12]|, s[14:15]
	v_bfrev_b32_e32 v4, 1
	s_mov_b32 s12, 0
	v_mul_f64 v[9:10], |v[9:10]|, s[0:1]
	s_mov_b32 s13, 0x41d00000
                                        ; implicit-def: $vgpr13_vgpr14
                                        ; implicit-def: $vgpr15_vgpr16
	v_cndmask_b32_e32 v10, v4, v10, vcc
	v_cndmask_b32_e32 v9, 0, v9, vcc
	v_cmp_nlt_f64_e64 s[12:13], |v[9:10]|, s[12:13]
                                        ; implicit-def: $vgpr4
	s_and_saveexec_b64 s[16:17], s[12:13]
	s_xor_b64 s[12:13], exec, s[16:17]
	s_cbranch_execz .LBB7_101
; %bb.100:
	v_trig_preop_f64 v[13:14], |v[9:10]|, 0
	s_mov_b32 s16, 0
	s_mov_b32 s17, 0x7b000000
	s_movk_i32 s1, 0xff80
	v_ldexp_f64 v[17:18], |v[9:10]|, s1
	v_cmp_ge_f64_e64 vcc, |v[9:10]|, s[16:17]
	v_trig_preop_f64 v[15:16], |v[9:10]|, 1
	v_and_b32_e32 v4, 0x7fffffff, v10
	v_trig_preop_f64 v[25:26], |v[9:10]|, 2
	v_mov_b32_e32 v35, 0
	s_mov_b32 s1, 0x3ff921fb
	v_cndmask_b32_e32 v18, v4, v18, vcc
	v_cndmask_b32_e32 v17, v9, v17, vcc
	v_mov_b32_e32 v4, 0x40100000
	v_mul_f64 v[19:20], v[13:14], v[17:18]
	v_mul_f64 v[21:22], v[15:16], v[17:18]
	;; [unrolled: 1-line block ×3, first 2 shown]
	v_fma_f64 v[13:14], v[13:14], v[17:18], -v[19:20]
	v_fma_f64 v[15:16], v[15:16], v[17:18], -v[21:22]
	;; [unrolled: 1-line block ×3, first 2 shown]
	v_add_f64 v[23:24], v[21:22], v[13:14]
	v_add_f64 v[27:28], v[23:24], -v[21:22]
	v_add_f64 v[33:34], v[19:20], v[23:24]
	v_add_f64 v[29:30], v[23:24], -v[27:28]
	v_add_f64 v[13:14], v[13:14], -v[27:28]
	v_add_f64 v[27:28], v[31:32], v[15:16]
	v_add_f64 v[19:20], v[33:34], -v[19:20]
	v_add_f64 v[21:22], v[21:22], -v[29:30]
	v_ldexp_f64 v[29:30], v[33:34], -2
	v_add_f64 v[37:38], v[27:28], -v[31:32]
	v_add_f64 v[19:20], v[23:24], -v[19:20]
	v_add_f64 v[13:14], v[13:14], v[21:22]
	v_fract_f64_e32 v[21:22], v[29:30]
	v_cmp_neq_f64_e64 vcc, |v[29:30]|, s[14:15]
	v_add_f64 v[15:16], v[15:16], -v[37:38]
	s_mov_b32 s14, 0x33145c07
	s_mov_b32 s15, 0x3c91a626
	v_add_f64 v[23:24], v[27:28], v[13:14]
	v_ldexp_f64 v[21:22], v[21:22], 2
	v_add_f64 v[29:30], v[19:20], v[23:24]
	v_cndmask_b32_e32 v22, 0, v22, vcc
	v_cndmask_b32_e32 v21, 0, v21, vcc
	v_add_f64 v[39:40], v[23:24], -v[27:28]
	v_add_f64 v[33:34], v[29:30], v[21:22]
	v_add_f64 v[19:20], v[29:30], -v[19:20]
	v_add_f64 v[41:42], v[23:24], -v[39:40]
	;; [unrolled: 1-line block ×3, first 2 shown]
	v_cmp_gt_f64_e32 vcc, 0, v[33:34]
	v_add_f64 v[33:34], v[27:28], -v[37:38]
	v_add_f64 v[19:20], v[23:24], -v[19:20]
	;; [unrolled: 1-line block ×3, first 2 shown]
	v_cndmask_b32_e32 v36, 0, v4, vcc
	v_add_f64 v[21:22], v[21:22], v[35:36]
	v_add_f64 v[33:34], v[31:32], -v[33:34]
	v_add_f64 v[13:14], v[13:14], v[27:28]
	v_add_f64 v[43:44], v[29:30], v[21:22]
	;; [unrolled: 1-line block ×3, first 2 shown]
	v_cvt_i32_f64_e32 v4, v[43:44]
	v_add_f64 v[13:14], v[15:16], v[13:14]
	v_cvt_f64_i32_e32 v[36:37], v4
	v_add_f64 v[21:22], v[21:22], -v[36:37]
	v_add_f64 v[13:14], v[17:18], v[13:14]
	v_add_f64 v[15:16], v[29:30], v[21:22]
	;; [unrolled: 1-line block ×3, first 2 shown]
	v_mov_b32_e32 v19, 0x3ff00000
	v_add_f64 v[17:18], v[15:16], -v[21:22]
	v_cmp_le_f64_e32 vcc, 0.5, v[15:16]
	v_add_f64 v[17:18], v[29:30], -v[17:18]
	v_cndmask_b32_e32 v36, 0, v19, vcc
	v_add_f64 v[15:16], v[15:16], -v[35:36]
	v_addc_co_u32_e32 v4, vcc, 0, v4, vcc
	v_add_f64 v[13:14], v[13:14], v[17:18]
	v_add_f64 v[17:18], v[15:16], v[13:14]
	v_mul_f64 v[19:20], v[17:18], s[0:1]
	v_add_f64 v[15:16], v[17:18], -v[15:16]
	v_fma_f64 v[21:22], v[17:18], s[0:1], -v[19:20]
	v_add_f64 v[13:14], v[13:14], -v[15:16]
	v_fma_f64 v[15:16], v[17:18], s[14:15], v[21:22]
	v_fma_f64 v[15:16], v[13:14], s[0:1], v[15:16]
	v_add_f64 v[13:14], v[19:20], v[15:16]
	v_add_f64 v[17:18], v[13:14], -v[19:20]
	v_add_f64 v[15:16], v[15:16], -v[17:18]
.LBB7_101:
	s_andn2_saveexec_b64 s[0:1], s[12:13]
	s_cbranch_execz .LBB7_103
; %bb.102:
	s_mov_b32 s12, 0x6dc9c883
	s_mov_b32 s13, 0x3fe45f30
	v_mul_f64 v[13:14], |v[9:10]|, s[12:13]
	s_mov_b32 s12, 0x54442d18
	s_mov_b32 s13, 0xbff921fb
	;; [unrolled: 1-line block ×4, first 2 shown]
	v_rndne_f64_e32 v[17:18], v[13:14]
	v_fma_f64 v[13:14], v[17:18], s[12:13], |v[9:10]|
	v_mul_f64 v[15:16], v[17:18], s[14:15]
	s_mov_b32 s12, 0x252049c0
	s_mov_b32 s13, 0xb97b839a
	v_cvt_i32_f64_e32 v4, v[17:18]
	v_fma_f64 v[23:24], v[17:18], s[14:15], v[13:14]
	v_add_f64 v[19:20], v[13:14], v[15:16]
	s_mov_b32 s15, 0x3c91a626
	v_add_f64 v[21:22], v[13:14], -v[19:20]
	v_add_f64 v[19:20], v[19:20], -v[23:24]
	v_add_f64 v[13:14], v[21:22], v[15:16]
	v_fma_f64 v[15:16], v[17:18], s[14:15], v[15:16]
	v_add_f64 v[13:14], v[19:20], v[13:14]
	v_add_f64 v[13:14], v[13:14], -v[15:16]
	v_fma_f64 v[15:16], v[17:18], s[12:13], v[13:14]
	v_add_f64 v[13:14], v[23:24], v[15:16]
	v_add_f64 v[19:20], v[13:14], -v[23:24]
	v_add_f64 v[15:16], v[15:16], -v[19:20]
.LBB7_103:
	s_or_b64 exec, exec, s[0:1]
	v_mul_f64 v[17:18], v[13:14], v[13:14]
	v_add_f64 v[19:20], v[15:16], v[15:16]
	s_mov_b32 s0, 0xc751c08c
	s_mov_b32 s1, 0x3ef5e089
	v_and_b32_e32 v4, 1, v4
	v_cmp_eq_u32_e32 vcc, 0, v4
	s_mov_b32 s14, 0x54442d18
	s_mov_b32 s15, 0xc00921fb
	v_fma_f64 v[21:22], v[13:14], v[13:14], -v[17:18]
	v_add_f64 v[11:12], -v[11:12], 1.0
	s_mov_b64 s[12:13], exec
	v_fma_f64 v[19:20], v[13:14], v[19:20], v[21:22]
	v_add_f64 v[17:18], v[17:18], v[19:20]
	v_mov_b32_e32 v19, 0xa9a29f71
	v_mov_b32_e32 v20, 0xbf078809
	v_fma_f64 v[19:20], v[17:18], s[0:1], v[19:20]
	s_mov_b32 s0, 0x90a8aae0
	s_mov_b32 s1, 0x3f17746f
	v_fma_f64 v[19:20], v[17:18], v[19:20], s[0:1]
	s_mov_b32 s0, 0xa6fbf144
	s_mov_b32 s1, 0xbefbb44d
	;; [unrolled: 3-line block ×12, first 2 shown]
	v_fma_f64 v[19:20], v[17:18], v[19:20], s[0:1]
	s_movk_i32 s0, 0x1f8
	v_cmp_class_f64_e64 s[0:1], v[9:10], s0
	v_mul_f64 v[17:18], v[17:18], v[19:20]
	v_mul_f64 v[19:20], v[13:14], v[17:18]
	v_add_f64 v[21:22], v[13:14], v[19:20]
	v_fma_f64 v[17:18], v[13:14], v[17:18], -v[19:20]
	v_add_f64 v[13:14], v[21:22], -v[13:14]
	v_add_f64 v[15:16], v[15:16], v[17:18]
	v_add_f64 v[13:14], v[19:20], -v[13:14]
	v_add_f64 v[13:14], v[15:16], v[13:14]
	v_add_f64 v[15:16], v[21:22], v[13:14]
	v_rcp_f64_e32 v[17:18], v[15:16]
	v_fma_f64 v[19:20], -v[15:16], v[17:18], 1.0
	v_fma_f64 v[17:18], v[19:20], v[17:18], v[17:18]
	v_fma_f64 v[19:20], -v[15:16], v[17:18], 1.0
	v_fma_f64 v[17:18], v[19:20], v[17:18], v[17:18]
	v_add_f64 v[19:20], v[15:16], -v[21:22]
	v_mul_f64 v[21:22], v[15:16], v[17:18]
	v_add_f64 v[13:14], v[13:14], -v[19:20]
	v_fma_f64 v[19:20], v[17:18], v[15:16], -v[21:22]
	v_fma_f64 v[13:14], v[17:18], v[13:14], v[19:20]
	v_add_f64 v[19:20], v[21:22], v[13:14]
	v_add_f64 v[23:24], -v[19:20], 1.0
	v_add_f64 v[21:22], v[19:20], -v[21:22]
	v_add_f64 v[25:26], -v[23:24], 1.0
	v_add_f64 v[13:14], v[21:22], -v[13:14]
	v_add_f64 v[19:20], v[25:26], -v[19:20]
	v_add_f64 v[13:14], v[13:14], v[19:20]
	v_add_f64 v[13:14], v[23:24], v[13:14]
	v_mul_f64 v[13:14], v[17:18], v[13:14]
	v_add_f64 v[13:14], v[17:18], v[13:14]
	v_and_b32_e32 v17, 0x80000000, v10
	v_mov_b32_e32 v10, 0x7ff80000
	v_xor_b32_e32 v9, 0x80000000, v14
	v_cndmask_b32_e32 v4, v13, v15, vcc
	v_cndmask_b32_e32 v13, v9, v16, vcc
	v_cndmask_b32_e64 v9, 0, v4, s[0:1]
	v_xor_b32_e32 v4, v13, v17
	v_cndmask_b32_e64 v10, v10, v4, s[0:1]
	v_div_scale_f64 v[13:14], s[0:1], v[9:10], v[9:10], s[14:15]
	v_rcp_f64_e32 v[15:16], v[13:14]
	v_fma_f64 v[17:18], -v[13:14], v[15:16], 1.0
	v_fma_f64 v[15:16], v[15:16], v[17:18], v[15:16]
	v_div_scale_f64 v[17:18], vcc, s[14:15], v[9:10], s[14:15]
	v_fma_f64 v[19:20], -v[13:14], v[15:16], 1.0
	v_fma_f64 v[15:16], v[15:16], v[19:20], v[15:16]
	v_mul_f64 v[19:20], v[17:18], v[15:16]
	v_fma_f64 v[13:14], -v[13:14], v[19:20], v[17:18]
	v_div_fmas_f64 v[13:14], v[13:14], v[15:16], v[19:20]
	v_div_fixup_f64 v[13:14], v[13:14], v[9:10], s[14:15]
.LBB7_104:
	s_or_b64 exec, exec, s[10:11]
	s_orn2_b64 s[10:11], s[12:13], exec
.LBB7_105:
	s_or_b64 exec, exec, s[8:9]
	v_mov_b32_e32 v9, 0
	v_mov_b32_e32 v10, 0x7ff80000
	s_and_saveexec_b64 s[0:1], s[10:11]
	s_cbranch_execz .LBB7_117
; %bb.106:
	s_mov_b32 s10, 0
	s_mov_b32 s11, 0x40240000
	v_cmp_gt_f64_e32 vcc, s[10:11], v[11:12]
	s_and_saveexec_b64 s[8:9], vcc
	s_cbranch_execz .LBB7_110
; %bb.107:
	s_mov_b64 s[12:13], 0
.LBB7_108:                              ; =>This Inner Loop Header: Depth=1
	v_div_scale_f64 v[9:10], s[14:15], v[11:12], v[11:12], 1.0
	v_rcp_f64_e32 v[15:16], v[9:10]
	v_fma_f64 v[17:18], -v[9:10], v[15:16], 1.0
	v_fma_f64 v[15:16], v[15:16], v[17:18], v[15:16]
	v_div_scale_f64 v[17:18], vcc, 1.0, v[11:12], 1.0
	v_fma_f64 v[19:20], -v[9:10], v[15:16], 1.0
	v_fma_f64 v[15:16], v[15:16], v[19:20], v[15:16]
	v_mul_f64 v[19:20], v[17:18], v[15:16]
	v_fma_f64 v[9:10], -v[9:10], v[19:20], v[17:18]
	v_div_fmas_f64 v[9:10], v[9:10], v[15:16], v[19:20]
	v_div_fixup_f64 v[9:10], v[9:10], v[11:12], 1.0
	v_add_f64 v[11:12], v[11:12], 1.0
	v_add_f64 v[13:14], v[13:14], -v[9:10]
	v_cmp_ngt_f64_e32 vcc, s[10:11], v[11:12]
	s_or_b64 s[12:13], vcc, s[12:13]
	s_andn2_b64 exec, exec, s[12:13]
	s_cbranch_execnz .LBB7_108
; %bb.109:
	s_or_b64 exec, exec, s[12:13]
.LBB7_110:
	s_or_b64 exec, exec, s[8:9]
	s_mov_b32 s8, 0
	s_mov_b32 s9, 0x40240000
	v_cmp_neq_f64_e32 vcc, s[8:9], v[11:12]
                                        ; implicit-def: $vgpr9_vgpr10
	s_and_saveexec_b64 s[8:9], vcc
	s_xor_b64 s[8:9], exec, s[8:9]
	s_cbranch_execz .LBB7_114
; %bb.111:
	s_mov_b32 s10, 0x85d8a000
	s_mov_b32 s11, 0x43763457
	v_cmp_gt_f64_e32 vcc, s[10:11], v[11:12]
	v_mov_b32_e32 v9, 0
	v_mov_b32_e32 v10, 0
	s_and_saveexec_b64 s[10:11], vcc
	s_cbranch_execz .LBB7_113
; %bb.112:
	v_mul_f64 v[9:10], v[11:12], v[11:12]
	s_mov_b32 s14, 0x95995996
	s_mov_b32 s15, 0xbf959959
	;; [unrolled: 1-line block ×4, first 2 shown]
	v_div_scale_f64 v[15:16], s[12:13], v[9:10], v[9:10], 1.0
	v_div_scale_f64 v[21:22], vcc, 1.0, v[9:10], 1.0
	s_mov_b32 s12, 0x55555555
	s_mov_b32 s13, 0x3fb55555
	v_rcp_f64_e32 v[17:18], v[15:16]
	v_fma_f64 v[19:20], -v[15:16], v[17:18], 1.0
	v_fma_f64 v[17:18], v[17:18], v[19:20], v[17:18]
	v_fma_f64 v[19:20], -v[15:16], v[17:18], 1.0
	v_fma_f64 v[17:18], v[17:18], v[19:20], v[17:18]
	v_mul_f64 v[19:20], v[21:22], v[17:18]
	v_fma_f64 v[15:16], -v[15:16], v[19:20], v[21:22]
	v_div_fmas_f64 v[15:16], v[15:16], v[17:18], v[19:20]
	v_div_fixup_f64 v[9:10], v[15:16], v[9:10], 1.0
	v_fma_f64 v[15:16], v[9:10], 0, s[12:13]
	v_fma_f64 v[15:16], v[9:10], v[15:16], s[14:15]
	s_mov_b32 s14, 0xf07c1f08
	s_mov_b32 s15, 0x3f7f07c1
	v_fma_f64 v[15:16], v[9:10], v[15:16], s[14:15]
	s_mov_b32 s15, 0xbf711111
	s_mov_b32 s14, 0x11111111
	v_fma_f64 v[15:16], v[9:10], v[15:16], s[14:15]
	s_mov_b32 s15, 0xbf811111
	v_fma_f64 v[15:16], v[9:10], v[15:16], s[16:17]
	v_fma_f64 v[15:16], v[9:10], v[15:16], s[14:15]
	v_fma_f64 v[15:16], v[9:10], v[15:16], s[12:13]
	v_mul_f64 v[9:10], v[9:10], v[15:16]
.LBB7_113:
	s_or_b64 exec, exec, s[10:11]
	v_frexp_mant_f64_e32 v[15:16], v[11:12]
	s_mov_b32 s11, 0x3fe55555
	s_mov_b32 s10, 0x55555555
	;; [unrolled: 1-line block ×4, first 2 shown]
	v_cmp_gt_f64_e32 vcc, s[10:11], v[15:16]
	s_mov_b32 s10, 0x55555780
	v_cndmask_b32_e64 v4, 0, 1, vcc
	v_ldexp_f64 v[15:16], v[15:16], v4
	v_frexp_exp_i32_f64_e32 v4, v[11:12]
	v_add_f64 v[17:18], v[15:16], 1.0
	v_add_f64 v[23:24], v[15:16], -1.0
	v_subbrev_co_u32_e32 v4, vcc, 0, v4, vcc
	v_rcp_f64_e32 v[19:20], v[17:18]
	v_add_f64 v[25:26], v[17:18], -1.0
	v_add_f64 v[15:16], v[15:16], -v[25:26]
	v_fma_f64 v[21:22], -v[17:18], v[19:20], 1.0
	v_fma_f64 v[19:20], v[21:22], v[19:20], v[19:20]
	v_fma_f64 v[21:22], -v[17:18], v[19:20], 1.0
	v_fma_f64 v[19:20], v[21:22], v[19:20], v[19:20]
	v_mul_f64 v[21:22], v[23:24], v[19:20]
	v_mul_f64 v[27:28], v[17:18], v[21:22]
	v_fma_f64 v[17:18], v[21:22], v[17:18], -v[27:28]
	v_fma_f64 v[15:16], v[21:22], v[15:16], v[17:18]
	v_add_f64 v[17:18], v[27:28], v[15:16]
	v_add_f64 v[25:26], v[23:24], -v[17:18]
	v_add_f64 v[27:28], v[17:18], -v[27:28]
	;; [unrolled: 1-line block ×5, first 2 shown]
	v_mov_b32_e32 v23, 0x6b47b09a
	v_mov_b32_e32 v24, 0x3fc38538
	v_add_f64 v[15:16], v[15:16], v[17:18]
	v_add_f64 v[15:16], v[25:26], v[15:16]
	v_mul_f64 v[15:16], v[19:20], v[15:16]
	v_add_f64 v[17:18], v[21:22], v[15:16]
	v_mul_f64 v[19:20], v[17:18], v[17:18]
	v_fma_f64 v[23:24], v[19:20], s[12:13], v[23:24]
	s_mov_b32 s12, 0xd7f4df2e
	s_mov_b32 s13, 0x3fc7474d
	v_mul_f64 v[25:26], v[17:18], v[19:20]
	v_fma_f64 v[23:24], v[19:20], v[23:24], s[12:13]
	s_mov_b32 s12, 0x16291751
	s_mov_b32 s13, 0x3fcc71c0
	v_fma_f64 v[23:24], v[19:20], v[23:24], s[12:13]
	s_mov_b32 s12, 0x9b27acf1
	s_mov_b32 s13, 0x3fd24924
	;; [unrolled: 3-line block ×3, first 2 shown]
	v_fma_f64 v[23:24], v[19:20], v[23:24], s[12:13]
	v_fma_f64 v[19:20], v[19:20], v[23:24], s[10:11]
	v_ldexp_f64 v[23:24], v[17:18], 1
	v_add_f64 v[17:18], v[17:18], -v[21:22]
	s_mov_b32 s10, 0xfefa39ef
	s_mov_b32 s11, 0x3fe62e42
	v_mul_f64 v[19:20], v[25:26], v[19:20]
	v_cvt_f64_i32_e32 v[25:26], v4
	v_add_f64 v[15:16], v[15:16], -v[17:18]
	v_mul_f64 v[27:28], v[25:26], s[10:11]
	v_add_f64 v[21:22], v[23:24], v[19:20]
	v_ldexp_f64 v[15:16], v[15:16], 1
	v_add_f64 v[17:18], v[21:22], -v[23:24]
	v_fma_f64 v[23:24], v[25:26], s[10:11], -v[27:28]
	s_mov_b32 s10, 0x3b39803f
	s_mov_b32 s11, 0x3c7abc9e
	v_add_f64 v[17:18], v[19:20], -v[17:18]
	v_fma_f64 v[19:20], v[25:26], s[10:11], v[23:24]
	v_add_f64 v[15:16], v[15:16], v[17:18]
	v_div_scale_f64 v[17:18], s[10:11], v[11:12], v[11:12], -0.5
	v_add_f64 v[23:24], v[27:28], v[19:20]
	s_movk_i32 s10, 0x204
	v_add_f64 v[25:26], v[21:22], v[15:16]
	v_add_f64 v[27:28], v[23:24], -v[27:28]
	v_add_f64 v[29:30], v[23:24], v[25:26]
	v_rcp_f64_e32 v[31:32], v[17:18]
	v_add_f64 v[21:22], v[25:26], -v[21:22]
	v_add_f64 v[19:20], v[19:20], -v[27:28]
	;; [unrolled: 1-line block ×5, first 2 shown]
	v_fma_f64 v[37:38], -v[17:18], v[31:32], 1.0
	v_add_f64 v[21:22], v[25:26], -v[33:34]
	v_add_f64 v[27:28], v[19:20], v[15:16]
	v_add_f64 v[23:24], v[23:24], -v[35:36]
	v_fma_f64 v[25:26], v[31:32], v[37:38], v[31:32]
	v_add_f64 v[33:34], v[27:28], -v[19:20]
	v_add_f64 v[21:22], v[21:22], v[23:24]
	v_div_scale_f64 v[23:24], vcc, -0.5, v[11:12], -0.5
	v_fma_f64 v[31:32], -v[17:18], v[25:26], 1.0
	v_add_f64 v[15:16], v[15:16], -v[33:34]
	v_add_f64 v[21:22], v[27:28], v[21:22]
	v_add_f64 v[27:28], v[27:28], -v[33:34]
	v_fma_f64 v[25:26], v[25:26], v[31:32], v[25:26]
	v_add_f64 v[31:32], v[29:30], v[21:22]
	v_add_f64 v[19:20], v[19:20], -v[27:28]
	v_mul_f64 v[35:36], v[23:24], v[25:26]
	v_add_f64 v[27:28], v[31:32], -v[29:30]
	v_add_f64 v[15:16], v[15:16], v[19:20]
	v_fma_f64 v[17:18], -v[17:18], v[35:36], v[23:24]
	v_add_f64 v[19:20], v[21:22], -v[27:28]
	v_div_fmas_f64 v[17:18], v[17:18], v[25:26], v[35:36]
	v_cmp_class_f64_e64 vcc, v[11:12], s10
	v_add_f64 v[15:16], v[15:16], v[19:20]
	v_add_f64 v[15:16], v[31:32], v[15:16]
	v_div_fixup_f64 v[17:18], v[17:18], v[11:12], -0.5
	v_cndmask_b32_e32 v12, v16, v12, vcc
	v_cndmask_b32_e32 v11, v15, v11, vcc
	v_add_f64 v[11:12], v[11:12], v[17:18]
	v_add_f64 v[9:10], v[11:12], -v[9:10]
	v_add_f64 v[9:10], v[13:14], v[9:10]
                                        ; implicit-def: $vgpr13_vgpr14
.LBB7_114:
	s_andn2_saveexec_b64 s[8:9], s[8:9]
	s_cbranch_execz .LBB7_116
; %bb.115:
	s_mov_b32 s10, 0xdc85cc95
	s_mov_b32 s11, 0x40020396
	v_add_f64 v[9:10], v[13:14], s[10:11]
.LBB7_116:
	s_or_b64 exec, exec, s[8:9]
.LBB7_117:
	s_or_b64 exec, exec, s[0:1]
                                        ; implicit-def: $vgpr11_vgpr12
.LBB7_118:
	s_andn2_saveexec_b64 s[0:1], s[2:3]
; %bb.119:
	v_xor_b32_e32 v4, 0x80000000, v12
	s_brev_b32 s2, -2
	v_mov_b32_e32 v9, 0x7ff00000
	v_bfi_b32 v10, s2, v9, v4
	v_mov_b32_e32 v9, 0
; %bb.120:
	s_or_b64 exec, exec, s[0:1]
	global_load_dwordx2 v[13:14], v8, s[6:7]
                                        ; implicit-def: $vgpr11_vgpr12
	s_waitcnt vmcnt(0)
	v_cmp_neq_f64_e32 vcc, 0, v[13:14]
	s_and_saveexec_b64 s[0:1], vcc
	s_xor_b64 s[2:3], exec, s[0:1]
	s_cbranch_execz .LBB7_142
; %bb.121:
	v_cmp_gt_f64_e32 vcc, 0, v[13:14]
	v_mov_b32_e32 v15, 0
	v_mov_b32_e32 v16, 0
	s_mov_b64 s[10:11], -1
	s_and_saveexec_b64 s[8:9], vcc
	s_cbranch_execz .LBB7_129
; %bb.122:
	v_trunc_f64_e32 v[11:12], v[13:14]
	v_mov_b32_e32 v15, 0
	v_mov_b32_e32 v16, 0
	s_mov_b64 s[12:13], 0
	v_cmp_neq_f64_e32 vcc, v[13:14], v[11:12]
	s_and_saveexec_b64 s[10:11], vcc
	s_cbranch_execz .LBB7_128
; %bb.123:
	v_add_f64 v[11:12], v[13:14], -v[11:12]
	s_mov_b32 s14, 0
	s_mov_b32 s1, 0xc00921fb
	;; [unrolled: 1-line block ×4, first 2 shown]
	v_cmp_neq_f64_e64 vcc, |v[13:14]|, s[14:15]
	v_bfrev_b32_e32 v4, 1
	s_mov_b32 s12, 0
	v_mul_f64 v[11:12], |v[11:12]|, s[0:1]
	s_mov_b32 s13, 0x41d00000
                                        ; implicit-def: $vgpr15_vgpr16
                                        ; implicit-def: $vgpr17_vgpr18
	v_cndmask_b32_e32 v12, v4, v12, vcc
	v_cndmask_b32_e32 v11, 0, v11, vcc
	v_cmp_nlt_f64_e64 s[12:13], |v[11:12]|, s[12:13]
                                        ; implicit-def: $vgpr4
	s_and_saveexec_b64 s[16:17], s[12:13]
	s_xor_b64 s[12:13], exec, s[16:17]
	s_cbranch_execz .LBB7_125
; %bb.124:
	v_trig_preop_f64 v[15:16], |v[11:12]|, 0
	s_mov_b32 s16, 0
	s_mov_b32 s17, 0x7b000000
	s_movk_i32 s1, 0xff80
	v_ldexp_f64 v[19:20], |v[11:12]|, s1
	v_cmp_ge_f64_e64 vcc, |v[11:12]|, s[16:17]
	v_trig_preop_f64 v[17:18], |v[11:12]|, 1
	v_and_b32_e32 v4, 0x7fffffff, v12
	v_trig_preop_f64 v[27:28], |v[11:12]|, 2
	v_mov_b32_e32 v37, 0
	v_mov_b32_e32 v8, 0x3ff00000
	s_mov_b32 s1, 0x3ff921fb
	v_cndmask_b32_e32 v20, v4, v20, vcc
	v_cndmask_b32_e32 v19, v11, v19, vcc
	v_mov_b32_e32 v4, 0x40100000
	v_mul_f64 v[21:22], v[15:16], v[19:20]
	v_mul_f64 v[23:24], v[17:18], v[19:20]
	;; [unrolled: 1-line block ×3, first 2 shown]
	v_fma_f64 v[15:16], v[15:16], v[19:20], -v[21:22]
	v_fma_f64 v[17:18], v[17:18], v[19:20], -v[23:24]
	;; [unrolled: 1-line block ×3, first 2 shown]
	v_add_f64 v[25:26], v[23:24], v[15:16]
	v_add_f64 v[29:30], v[25:26], -v[23:24]
	v_add_f64 v[35:36], v[21:22], v[25:26]
	v_add_f64 v[31:32], v[25:26], -v[29:30]
	v_add_f64 v[15:16], v[15:16], -v[29:30]
	v_add_f64 v[29:30], v[33:34], v[17:18]
	v_add_f64 v[21:22], v[35:36], -v[21:22]
	v_add_f64 v[23:24], v[23:24], -v[31:32]
	v_ldexp_f64 v[31:32], v[35:36], -2
	v_add_f64 v[39:40], v[29:30], -v[33:34]
	v_add_f64 v[21:22], v[25:26], -v[21:22]
	v_add_f64 v[15:16], v[15:16], v[23:24]
	v_fract_f64_e32 v[23:24], v[31:32]
	v_cmp_neq_f64_e64 vcc, |v[31:32]|, s[14:15]
	v_add_f64 v[17:18], v[17:18], -v[39:40]
	s_mov_b32 s14, 0x33145c07
	s_mov_b32 s15, 0x3c91a626
	v_add_f64 v[25:26], v[29:30], v[15:16]
	v_ldexp_f64 v[23:24], v[23:24], 2
	v_add_f64 v[31:32], v[21:22], v[25:26]
	v_cndmask_b32_e32 v24, 0, v24, vcc
	v_cndmask_b32_e32 v23, 0, v23, vcc
	v_add_f64 v[41:42], v[25:26], -v[29:30]
	v_add_f64 v[35:36], v[31:32], v[23:24]
	v_add_f64 v[21:22], v[31:32], -v[21:22]
	v_add_f64 v[43:44], v[25:26], -v[41:42]
	;; [unrolled: 1-line block ×3, first 2 shown]
	v_cmp_gt_f64_e32 vcc, 0, v[35:36]
	v_add_f64 v[35:36], v[29:30], -v[39:40]
	v_add_f64 v[21:22], v[25:26], -v[21:22]
	;; [unrolled: 1-line block ×3, first 2 shown]
	v_cndmask_b32_e32 v38, 0, v4, vcc
	v_add_f64 v[23:24], v[23:24], v[37:38]
	v_add_f64 v[35:36], v[33:34], -v[35:36]
	v_add_f64 v[15:16], v[15:16], v[29:30]
	v_add_f64 v[45:46], v[31:32], v[23:24]
	;; [unrolled: 1-line block ×3, first 2 shown]
	v_cvt_i32_f64_e32 v4, v[45:46]
	v_add_f64 v[15:16], v[17:18], v[15:16]
	v_cvt_f64_i32_e32 v[38:39], v4
	v_add_f64 v[23:24], v[23:24], -v[38:39]
	v_add_f64 v[15:16], v[19:20], v[15:16]
	v_add_f64 v[17:18], v[31:32], v[23:24]
	;; [unrolled: 1-line block ×3, first 2 shown]
	v_add_f64 v[19:20], v[17:18], -v[23:24]
	v_cmp_le_f64_e32 vcc, 0.5, v[17:18]
	v_add_f64 v[19:20], v[31:32], -v[19:20]
	v_cndmask_b32_e32 v38, 0, v8, vcc
	v_add_f64 v[17:18], v[17:18], -v[37:38]
	v_addc_co_u32_e32 v4, vcc, 0, v4, vcc
	v_add_f64 v[15:16], v[15:16], v[19:20]
	v_add_f64 v[19:20], v[17:18], v[15:16]
	v_mul_f64 v[21:22], v[19:20], s[0:1]
	v_add_f64 v[17:18], v[19:20], -v[17:18]
	v_fma_f64 v[23:24], v[19:20], s[0:1], -v[21:22]
	v_add_f64 v[15:16], v[15:16], -v[17:18]
	v_fma_f64 v[17:18], v[19:20], s[14:15], v[23:24]
	v_fma_f64 v[17:18], v[15:16], s[0:1], v[17:18]
	v_add_f64 v[15:16], v[21:22], v[17:18]
	v_add_f64 v[19:20], v[15:16], -v[21:22]
	v_add_f64 v[17:18], v[17:18], -v[19:20]
.LBB7_125:
	s_andn2_saveexec_b64 s[0:1], s[12:13]
	s_cbranch_execz .LBB7_127
; %bb.126:
	s_mov_b32 s12, 0x6dc9c883
	s_mov_b32 s13, 0x3fe45f30
	v_mul_f64 v[15:16], |v[11:12]|, s[12:13]
	s_mov_b32 s12, 0x54442d18
	s_mov_b32 s13, 0xbff921fb
	s_mov_b32 s15, 0xbc91a626
	s_mov_b32 s14, 0x33145c00
	v_rndne_f64_e32 v[19:20], v[15:16]
	v_fma_f64 v[15:16], v[19:20], s[12:13], |v[11:12]|
	v_mul_f64 v[17:18], v[19:20], s[14:15]
	s_mov_b32 s12, 0x252049c0
	s_mov_b32 s13, 0xb97b839a
	v_cvt_i32_f64_e32 v4, v[19:20]
	v_fma_f64 v[25:26], v[19:20], s[14:15], v[15:16]
	v_add_f64 v[21:22], v[15:16], v[17:18]
	s_mov_b32 s15, 0x3c91a626
	v_add_f64 v[23:24], v[15:16], -v[21:22]
	v_add_f64 v[21:22], v[21:22], -v[25:26]
	v_add_f64 v[15:16], v[23:24], v[17:18]
	v_fma_f64 v[17:18], v[19:20], s[14:15], v[17:18]
	v_add_f64 v[15:16], v[21:22], v[15:16]
	v_add_f64 v[15:16], v[15:16], -v[17:18]
	v_fma_f64 v[17:18], v[19:20], s[12:13], v[15:16]
	v_add_f64 v[15:16], v[25:26], v[17:18]
	v_add_f64 v[21:22], v[15:16], -v[25:26]
	v_add_f64 v[17:18], v[17:18], -v[21:22]
.LBB7_127:
	s_or_b64 exec, exec, s[0:1]
	v_mul_f64 v[19:20], v[15:16], v[15:16]
	v_add_f64 v[21:22], v[17:18], v[17:18]
	s_mov_b32 s0, 0xc751c08c
	s_mov_b32 s1, 0x3ef5e089
	v_and_b32_e32 v4, 1, v4
	v_cmp_eq_u32_e32 vcc, 0, v4
	v_and_b32_e32 v8, 0x80000000, v12
	s_mov_b32 s14, 0x54442d18
	v_fma_f64 v[23:24], v[15:16], v[15:16], -v[19:20]
	s_mov_b32 s15, 0xc00921fb
	v_add_f64 v[13:14], -v[13:14], 1.0
	s_mov_b64 s[12:13], exec
	v_fma_f64 v[21:22], v[15:16], v[21:22], v[23:24]
	v_add_f64 v[19:20], v[19:20], v[21:22]
	v_mov_b32_e32 v21, 0xa9a29f71
	v_mov_b32_e32 v22, 0xbf078809
	v_fma_f64 v[21:22], v[19:20], s[0:1], v[21:22]
	s_mov_b32 s0, 0x90a8aae0
	s_mov_b32 s1, 0x3f17746f
	v_fma_f64 v[21:22], v[19:20], v[21:22], s[0:1]
	s_mov_b32 s0, 0xa6fbf144
	s_mov_b32 s1, 0xbefbb44d
	;; [unrolled: 3-line block ×12, first 2 shown]
	v_fma_f64 v[21:22], v[19:20], v[21:22], s[0:1]
	s_movk_i32 s0, 0x1f8
	v_cmp_class_f64_e64 s[0:1], v[11:12], s0
	v_mov_b32_e32 v12, 0x7ff80000
	v_mul_f64 v[19:20], v[19:20], v[21:22]
	v_mul_f64 v[21:22], v[15:16], v[19:20]
	v_add_f64 v[23:24], v[15:16], v[21:22]
	v_fma_f64 v[19:20], v[15:16], v[19:20], -v[21:22]
	v_add_f64 v[15:16], v[23:24], -v[15:16]
	v_add_f64 v[17:18], v[17:18], v[19:20]
	v_add_f64 v[15:16], v[21:22], -v[15:16]
	v_add_f64 v[15:16], v[17:18], v[15:16]
	v_add_f64 v[17:18], v[23:24], v[15:16]
	v_rcp_f64_e32 v[19:20], v[17:18]
	v_fma_f64 v[21:22], -v[17:18], v[19:20], 1.0
	v_fma_f64 v[19:20], v[21:22], v[19:20], v[19:20]
	v_fma_f64 v[21:22], -v[17:18], v[19:20], 1.0
	v_fma_f64 v[19:20], v[21:22], v[19:20], v[19:20]
	v_add_f64 v[21:22], v[17:18], -v[23:24]
	v_mul_f64 v[23:24], v[17:18], v[19:20]
	v_add_f64 v[15:16], v[15:16], -v[21:22]
	v_fma_f64 v[21:22], v[19:20], v[17:18], -v[23:24]
	v_fma_f64 v[15:16], v[19:20], v[15:16], v[21:22]
	v_add_f64 v[21:22], v[23:24], v[15:16]
	v_add_f64 v[25:26], -v[21:22], 1.0
	v_add_f64 v[23:24], v[21:22], -v[23:24]
	v_add_f64 v[27:28], -v[25:26], 1.0
	v_add_f64 v[15:16], v[23:24], -v[15:16]
	v_add_f64 v[21:22], v[27:28], -v[21:22]
	v_add_f64 v[15:16], v[15:16], v[21:22]
	v_add_f64 v[15:16], v[25:26], v[15:16]
	v_mul_f64 v[15:16], v[19:20], v[15:16]
	v_add_f64 v[15:16], v[19:20], v[15:16]
	v_xor_b32_e32 v11, 0x80000000, v16
	v_cndmask_b32_e32 v4, v15, v17, vcc
	v_cndmask_b32_e32 v15, v11, v18, vcc
	v_cndmask_b32_e64 v11, 0, v4, s[0:1]
	v_xor_b32_e32 v4, v15, v8
	v_cndmask_b32_e64 v12, v12, v4, s[0:1]
	v_div_scale_f64 v[15:16], s[0:1], v[11:12], v[11:12], s[14:15]
	v_rcp_f64_e32 v[17:18], v[15:16]
	v_fma_f64 v[19:20], -v[15:16], v[17:18], 1.0
	v_fma_f64 v[17:18], v[17:18], v[19:20], v[17:18]
	v_div_scale_f64 v[19:20], vcc, s[14:15], v[11:12], s[14:15]
	v_fma_f64 v[21:22], -v[15:16], v[17:18], 1.0
	v_fma_f64 v[17:18], v[17:18], v[21:22], v[17:18]
	v_mul_f64 v[21:22], v[19:20], v[17:18]
	v_fma_f64 v[15:16], -v[15:16], v[21:22], v[19:20]
	v_div_fmas_f64 v[15:16], v[15:16], v[17:18], v[21:22]
	v_div_fixup_f64 v[15:16], v[15:16], v[11:12], s[14:15]
.LBB7_128:
	s_or_b64 exec, exec, s[10:11]
	s_orn2_b64 s[10:11], s[12:13], exec
.LBB7_129:
	s_or_b64 exec, exec, s[8:9]
	v_mov_b32_e32 v11, 0
	v_mov_b32_e32 v12, 0x7ff80000
	s_and_saveexec_b64 s[0:1], s[10:11]
	s_cbranch_execz .LBB7_141
; %bb.130:
	s_mov_b32 s10, 0
	s_mov_b32 s11, 0x40240000
	v_cmp_gt_f64_e32 vcc, s[10:11], v[13:14]
	s_and_saveexec_b64 s[8:9], vcc
	s_cbranch_execz .LBB7_134
; %bb.131:
	s_mov_b64 s[12:13], 0
.LBB7_132:                              ; =>This Inner Loop Header: Depth=1
	v_div_scale_f64 v[11:12], s[14:15], v[13:14], v[13:14], 1.0
	v_rcp_f64_e32 v[17:18], v[11:12]
	v_fma_f64 v[19:20], -v[11:12], v[17:18], 1.0
	v_fma_f64 v[17:18], v[17:18], v[19:20], v[17:18]
	v_div_scale_f64 v[19:20], vcc, 1.0, v[13:14], 1.0
	v_fma_f64 v[21:22], -v[11:12], v[17:18], 1.0
	v_fma_f64 v[17:18], v[17:18], v[21:22], v[17:18]
	v_mul_f64 v[21:22], v[19:20], v[17:18]
	v_fma_f64 v[11:12], -v[11:12], v[21:22], v[19:20]
	v_div_fmas_f64 v[11:12], v[11:12], v[17:18], v[21:22]
	v_div_fixup_f64 v[11:12], v[11:12], v[13:14], 1.0
	v_add_f64 v[13:14], v[13:14], 1.0
	v_add_f64 v[15:16], v[15:16], -v[11:12]
	v_cmp_ngt_f64_e32 vcc, s[10:11], v[13:14]
	s_or_b64 s[12:13], vcc, s[12:13]
	s_andn2_b64 exec, exec, s[12:13]
	s_cbranch_execnz .LBB7_132
; %bb.133:
	s_or_b64 exec, exec, s[12:13]
.LBB7_134:
	s_or_b64 exec, exec, s[8:9]
	s_mov_b32 s8, 0
	s_mov_b32 s9, 0x40240000
	v_cmp_neq_f64_e32 vcc, s[8:9], v[13:14]
                                        ; implicit-def: $vgpr11_vgpr12
	s_and_saveexec_b64 s[8:9], vcc
	s_xor_b64 s[8:9], exec, s[8:9]
	s_cbranch_execz .LBB7_138
; %bb.135:
	s_mov_b32 s10, 0x85d8a000
	s_mov_b32 s11, 0x43763457
	v_cmp_gt_f64_e32 vcc, s[10:11], v[13:14]
	v_mov_b32_e32 v11, 0
	v_mov_b32_e32 v12, 0
	s_and_saveexec_b64 s[10:11], vcc
	s_cbranch_execz .LBB7_137
; %bb.136:
	v_mul_f64 v[11:12], v[13:14], v[13:14]
	s_mov_b32 s14, 0x95995996
	s_mov_b32 s15, 0xbf959959
	;; [unrolled: 1-line block ×4, first 2 shown]
	v_div_scale_f64 v[17:18], s[12:13], v[11:12], v[11:12], 1.0
	v_div_scale_f64 v[23:24], vcc, 1.0, v[11:12], 1.0
	s_mov_b32 s12, 0x55555555
	s_mov_b32 s13, 0x3fb55555
	v_rcp_f64_e32 v[19:20], v[17:18]
	v_fma_f64 v[21:22], -v[17:18], v[19:20], 1.0
	v_fma_f64 v[19:20], v[19:20], v[21:22], v[19:20]
	v_fma_f64 v[21:22], -v[17:18], v[19:20], 1.0
	v_fma_f64 v[19:20], v[19:20], v[21:22], v[19:20]
	v_mul_f64 v[21:22], v[23:24], v[19:20]
	v_fma_f64 v[17:18], -v[17:18], v[21:22], v[23:24]
	v_div_fmas_f64 v[17:18], v[17:18], v[19:20], v[21:22]
	v_div_fixup_f64 v[11:12], v[17:18], v[11:12], 1.0
	v_fma_f64 v[17:18], v[11:12], 0, s[12:13]
	v_fma_f64 v[17:18], v[11:12], v[17:18], s[14:15]
	s_mov_b32 s14, 0xf07c1f08
	s_mov_b32 s15, 0x3f7f07c1
	v_fma_f64 v[17:18], v[11:12], v[17:18], s[14:15]
	s_mov_b32 s15, 0xbf711111
	s_mov_b32 s14, 0x11111111
	v_fma_f64 v[17:18], v[11:12], v[17:18], s[14:15]
	s_mov_b32 s15, 0xbf811111
	v_fma_f64 v[17:18], v[11:12], v[17:18], s[16:17]
	v_fma_f64 v[17:18], v[11:12], v[17:18], s[14:15]
	;; [unrolled: 1-line block ×3, first 2 shown]
	v_mul_f64 v[11:12], v[11:12], v[17:18]
.LBB7_137:
	s_or_b64 exec, exec, s[10:11]
	v_frexp_mant_f64_e32 v[17:18], v[13:14]
	s_mov_b32 s11, 0x3fe55555
	s_mov_b32 s10, 0x55555555
	;; [unrolled: 1-line block ×4, first 2 shown]
	v_cmp_gt_f64_e32 vcc, s[10:11], v[17:18]
	s_mov_b32 s10, 0x55555780
	v_cndmask_b32_e64 v4, 0, 1, vcc
	v_ldexp_f64 v[17:18], v[17:18], v4
	v_frexp_exp_i32_f64_e32 v4, v[13:14]
	v_add_f64 v[19:20], v[17:18], 1.0
	v_add_f64 v[25:26], v[17:18], -1.0
	v_subbrev_co_u32_e32 v4, vcc, 0, v4, vcc
	v_rcp_f64_e32 v[21:22], v[19:20]
	v_add_f64 v[27:28], v[19:20], -1.0
	v_add_f64 v[17:18], v[17:18], -v[27:28]
	v_fma_f64 v[23:24], -v[19:20], v[21:22], 1.0
	v_fma_f64 v[21:22], v[23:24], v[21:22], v[21:22]
	v_fma_f64 v[23:24], -v[19:20], v[21:22], 1.0
	v_fma_f64 v[21:22], v[23:24], v[21:22], v[21:22]
	v_mul_f64 v[23:24], v[25:26], v[21:22]
	v_mul_f64 v[29:30], v[19:20], v[23:24]
	v_fma_f64 v[19:20], v[23:24], v[19:20], -v[29:30]
	v_fma_f64 v[17:18], v[23:24], v[17:18], v[19:20]
	v_add_f64 v[19:20], v[29:30], v[17:18]
	v_add_f64 v[27:28], v[25:26], -v[19:20]
	v_add_f64 v[29:30], v[19:20], -v[29:30]
	;; [unrolled: 1-line block ×5, first 2 shown]
	v_mov_b32_e32 v25, 0x6b47b09a
	v_mov_b32_e32 v26, 0x3fc38538
	v_add_f64 v[17:18], v[17:18], v[19:20]
	v_add_f64 v[17:18], v[27:28], v[17:18]
	v_mul_f64 v[17:18], v[21:22], v[17:18]
	v_add_f64 v[19:20], v[23:24], v[17:18]
	v_mul_f64 v[21:22], v[19:20], v[19:20]
	v_fma_f64 v[25:26], v[21:22], s[12:13], v[25:26]
	s_mov_b32 s12, 0xd7f4df2e
	s_mov_b32 s13, 0x3fc7474d
	v_mul_f64 v[27:28], v[19:20], v[21:22]
	v_fma_f64 v[25:26], v[21:22], v[25:26], s[12:13]
	s_mov_b32 s12, 0x16291751
	s_mov_b32 s13, 0x3fcc71c0
	v_fma_f64 v[25:26], v[21:22], v[25:26], s[12:13]
	s_mov_b32 s12, 0x9b27acf1
	s_mov_b32 s13, 0x3fd24924
	;; [unrolled: 3-line block ×3, first 2 shown]
	v_fma_f64 v[25:26], v[21:22], v[25:26], s[12:13]
	v_fma_f64 v[21:22], v[21:22], v[25:26], s[10:11]
	v_ldexp_f64 v[25:26], v[19:20], 1
	v_add_f64 v[19:20], v[19:20], -v[23:24]
	s_mov_b32 s10, 0xfefa39ef
	s_mov_b32 s11, 0x3fe62e42
	v_mul_f64 v[21:22], v[27:28], v[21:22]
	v_cvt_f64_i32_e32 v[27:28], v4
	v_add_f64 v[17:18], v[17:18], -v[19:20]
	v_mul_f64 v[29:30], v[27:28], s[10:11]
	v_add_f64 v[23:24], v[25:26], v[21:22]
	v_ldexp_f64 v[17:18], v[17:18], 1
	v_add_f64 v[19:20], v[23:24], -v[25:26]
	v_fma_f64 v[25:26], v[27:28], s[10:11], -v[29:30]
	s_mov_b32 s10, 0x3b39803f
	s_mov_b32 s11, 0x3c7abc9e
	v_add_f64 v[19:20], v[21:22], -v[19:20]
	v_fma_f64 v[21:22], v[27:28], s[10:11], v[25:26]
	v_add_f64 v[17:18], v[17:18], v[19:20]
	v_div_scale_f64 v[19:20], s[10:11], v[13:14], v[13:14], -0.5
	v_add_f64 v[25:26], v[29:30], v[21:22]
	s_movk_i32 s10, 0x204
	v_add_f64 v[27:28], v[23:24], v[17:18]
	v_add_f64 v[29:30], v[25:26], -v[29:30]
	v_add_f64 v[31:32], v[25:26], v[27:28]
	v_rcp_f64_e32 v[33:34], v[19:20]
	v_add_f64 v[23:24], v[27:28], -v[23:24]
	v_add_f64 v[21:22], v[21:22], -v[29:30]
	;; [unrolled: 1-line block ×5, first 2 shown]
	v_fma_f64 v[39:40], -v[19:20], v[33:34], 1.0
	v_add_f64 v[23:24], v[27:28], -v[35:36]
	v_add_f64 v[29:30], v[21:22], v[17:18]
	v_add_f64 v[25:26], v[25:26], -v[37:38]
	v_fma_f64 v[27:28], v[33:34], v[39:40], v[33:34]
	v_add_f64 v[35:36], v[29:30], -v[21:22]
	v_add_f64 v[23:24], v[23:24], v[25:26]
	v_div_scale_f64 v[25:26], vcc, -0.5, v[13:14], -0.5
	v_fma_f64 v[33:34], -v[19:20], v[27:28], 1.0
	v_add_f64 v[17:18], v[17:18], -v[35:36]
	v_add_f64 v[23:24], v[29:30], v[23:24]
	v_add_f64 v[29:30], v[29:30], -v[35:36]
	v_fma_f64 v[27:28], v[27:28], v[33:34], v[27:28]
	v_add_f64 v[33:34], v[31:32], v[23:24]
	v_add_f64 v[21:22], v[21:22], -v[29:30]
	v_mul_f64 v[37:38], v[25:26], v[27:28]
	v_add_f64 v[29:30], v[33:34], -v[31:32]
	v_add_f64 v[17:18], v[17:18], v[21:22]
	v_fma_f64 v[19:20], -v[19:20], v[37:38], v[25:26]
	v_add_f64 v[21:22], v[23:24], -v[29:30]
	v_div_fmas_f64 v[19:20], v[19:20], v[27:28], v[37:38]
	v_cmp_class_f64_e64 vcc, v[13:14], s10
	v_add_f64 v[17:18], v[17:18], v[21:22]
	v_add_f64 v[17:18], v[33:34], v[17:18]
	v_div_fixup_f64 v[19:20], v[19:20], v[13:14], -0.5
	v_cndmask_b32_e32 v14, v18, v14, vcc
	v_cndmask_b32_e32 v13, v17, v13, vcc
	v_add_f64 v[13:14], v[13:14], v[19:20]
	v_add_f64 v[11:12], v[13:14], -v[11:12]
	v_add_f64 v[11:12], v[15:16], v[11:12]
                                        ; implicit-def: $vgpr15_vgpr16
.LBB7_138:
	s_andn2_saveexec_b64 s[8:9], s[8:9]
	s_cbranch_execz .LBB7_140
; %bb.139:
	s_mov_b32 s10, 0xdc85cc95
	s_mov_b32 s11, 0x40020396
	v_add_f64 v[11:12], v[15:16], s[10:11]
.LBB7_140:
	s_or_b64 exec, exec, s[8:9]
.LBB7_141:
	s_or_b64 exec, exec, s[0:1]
                                        ; implicit-def: $vgpr13_vgpr14
.LBB7_142:
	s_andn2_saveexec_b64 s[0:1], s[2:3]
; %bb.143:
	v_xor_b32_e32 v4, 0x80000000, v14
	s_brev_b32 s2, -2
	v_mov_b32_e32 v8, 0x7ff00000
	v_bfi_b32 v12, s2, v8, v4
	v_mov_b32_e32 v11, 0
; %bb.144:
	s_or_b64 exec, exec, s[0:1]
	global_load_dwordx2 v[4:5], v5, s[6:7]
                                        ; implicit-def: $vgpr15_vgpr16
	s_waitcnt vmcnt(0)
	v_cmp_neq_f64_e32 vcc, 0, v[4:5]
	s_and_saveexec_b64 s[0:1], vcc
	s_xor_b64 s[2:3], exec, s[0:1]
	s_cbranch_execz .LBB7_166
; %bb.145:
	v_cmp_gt_f64_e32 vcc, 0, v[4:5]
	v_mov_b32_e32 v13, 0
	v_mov_b32_e32 v14, 0
	s_mov_b64 s[8:9], -1
	s_and_saveexec_b64 s[6:7], vcc
	s_cbranch_execz .LBB7_153
; %bb.146:
	v_trunc_f64_e32 v[15:16], v[4:5]
	v_mov_b32_e32 v13, 0
	v_mov_b32_e32 v14, 0
	s_mov_b64 s[10:11], 0
	v_cmp_neq_f64_e32 vcc, v[4:5], v[15:16]
	s_and_saveexec_b64 s[8:9], vcc
	s_cbranch_execz .LBB7_152
; %bb.147:
	v_add_f64 v[13:14], v[4:5], -v[15:16]
	s_mov_b32 s0, 0
	s_mov_b32 s11, 0xc00921fb
	s_mov_b32 s10, 0x54442d18
	s_mov_b32 s1, 0x7ff00000
	v_cmp_neq_f64_e64 vcc, |v[4:5]|, s[0:1]
	v_bfrev_b32_e32 v8, 1
	s_mov_b32 s12, 0
	v_mul_f64 v[13:14], |v[13:14]|, s[10:11]
	s_mov_b32 s13, 0x41d00000
                                        ; implicit-def: $vgpr15_vgpr16
                                        ; implicit-def: $vgpr17_vgpr18
	v_cndmask_b32_e32 v14, v8, v14, vcc
	v_cndmask_b32_e32 v13, 0, v13, vcc
	v_cmp_nlt_f64_e64 s[12:13], |v[13:14]|, s[12:13]
                                        ; implicit-def: $vgpr8
	s_and_saveexec_b64 s[14:15], s[12:13]
	s_xor_b64 s[12:13], exec, s[14:15]
	s_cbranch_execz .LBB7_149
; %bb.148:
	v_trig_preop_f64 v[15:16], |v[13:14]|, 0
	s_mov_b32 s14, 0
	s_mov_b32 s15, 0x7b000000
	s_movk_i32 s11, 0xff80
	v_ldexp_f64 v[19:20], |v[13:14]|, s11
	v_cmp_ge_f64_e64 vcc, |v[13:14]|, s[14:15]
	v_trig_preop_f64 v[17:18], |v[13:14]|, 1
	v_and_b32_e32 v8, 0x7fffffff, v14
	v_trig_preop_f64 v[27:28], |v[13:14]|, 2
	v_mov_b32_e32 v37, 0
	s_mov_b32 s11, 0x3ff921fb
	v_cndmask_b32_e32 v20, v8, v20, vcc
	v_cndmask_b32_e32 v19, v13, v19, vcc
	v_mov_b32_e32 v8, 0x40100000
	v_mul_f64 v[21:22], v[15:16], v[19:20]
	v_mul_f64 v[23:24], v[17:18], v[19:20]
	;; [unrolled: 1-line block ×3, first 2 shown]
	v_fma_f64 v[15:16], v[15:16], v[19:20], -v[21:22]
	v_fma_f64 v[17:18], v[17:18], v[19:20], -v[23:24]
	;; [unrolled: 1-line block ×3, first 2 shown]
	v_add_f64 v[25:26], v[23:24], v[15:16]
	v_add_f64 v[29:30], v[25:26], -v[23:24]
	v_add_f64 v[35:36], v[21:22], v[25:26]
	v_add_f64 v[31:32], v[25:26], -v[29:30]
	v_add_f64 v[15:16], v[15:16], -v[29:30]
	v_add_f64 v[29:30], v[33:34], v[17:18]
	v_add_f64 v[21:22], v[35:36], -v[21:22]
	v_add_f64 v[23:24], v[23:24], -v[31:32]
	v_ldexp_f64 v[31:32], v[35:36], -2
	v_add_f64 v[39:40], v[29:30], -v[33:34]
	v_add_f64 v[21:22], v[25:26], -v[21:22]
	v_add_f64 v[15:16], v[15:16], v[23:24]
	v_fract_f64_e32 v[23:24], v[31:32]
	v_cmp_neq_f64_e64 vcc, |v[31:32]|, s[0:1]
	v_add_f64 v[17:18], v[17:18], -v[39:40]
	v_add_f64 v[25:26], v[29:30], v[15:16]
	v_ldexp_f64 v[23:24], v[23:24], 2
	v_add_f64 v[31:32], v[21:22], v[25:26]
	v_cndmask_b32_e32 v24, 0, v24, vcc
	v_cndmask_b32_e32 v23, 0, v23, vcc
	v_add_f64 v[41:42], v[25:26], -v[29:30]
	v_add_f64 v[35:36], v[31:32], v[23:24]
	v_add_f64 v[21:22], v[31:32], -v[21:22]
	v_add_f64 v[43:44], v[25:26], -v[41:42]
	;; [unrolled: 1-line block ×3, first 2 shown]
	v_cmp_gt_f64_e32 vcc, 0, v[35:36]
	v_add_f64 v[35:36], v[29:30], -v[39:40]
	v_add_f64 v[21:22], v[25:26], -v[21:22]
	;; [unrolled: 1-line block ×3, first 2 shown]
	v_cndmask_b32_e32 v38, 0, v8, vcc
	v_add_f64 v[23:24], v[23:24], v[37:38]
	v_add_f64 v[35:36], v[33:34], -v[35:36]
	v_add_f64 v[15:16], v[15:16], v[29:30]
	v_add_f64 v[45:46], v[31:32], v[23:24]
	;; [unrolled: 1-line block ×3, first 2 shown]
	v_cvt_i32_f64_e32 v8, v[45:46]
	v_add_f64 v[15:16], v[17:18], v[15:16]
	v_cvt_f64_i32_e32 v[38:39], v8
	v_add_f64 v[23:24], v[23:24], -v[38:39]
	v_add_f64 v[15:16], v[19:20], v[15:16]
	v_add_f64 v[17:18], v[31:32], v[23:24]
	;; [unrolled: 1-line block ×3, first 2 shown]
	v_mov_b32_e32 v21, 0x3ff00000
	v_add_f64 v[19:20], v[17:18], -v[23:24]
	v_cmp_le_f64_e32 vcc, 0.5, v[17:18]
	v_add_f64 v[19:20], v[31:32], -v[19:20]
	v_cndmask_b32_e32 v38, 0, v21, vcc
	v_add_f64 v[17:18], v[17:18], -v[37:38]
	v_addc_co_u32_e64 v8, s[0:1], 0, v8, vcc
	s_mov_b32 s0, 0x33145c07
	s_mov_b32 s1, 0x3c91a626
	v_add_f64 v[15:16], v[15:16], v[19:20]
	v_add_f64 v[19:20], v[17:18], v[15:16]
	v_mul_f64 v[21:22], v[19:20], s[10:11]
	v_add_f64 v[17:18], v[19:20], -v[17:18]
	v_fma_f64 v[23:24], v[19:20], s[10:11], -v[21:22]
	v_add_f64 v[15:16], v[15:16], -v[17:18]
	v_fma_f64 v[17:18], v[19:20], s[0:1], v[23:24]
	v_fma_f64 v[17:18], v[15:16], s[10:11], v[17:18]
	v_add_f64 v[15:16], v[21:22], v[17:18]
	v_add_f64 v[19:20], v[15:16], -v[21:22]
	v_add_f64 v[17:18], v[17:18], -v[19:20]
.LBB7_149:
	s_andn2_saveexec_b64 s[0:1], s[12:13]
	s_cbranch_execz .LBB7_151
; %bb.150:
	s_mov_b32 s10, 0x6dc9c883
	s_mov_b32 s11, 0x3fe45f30
	v_mul_f64 v[15:16], |v[13:14]|, s[10:11]
	s_mov_b32 s10, 0x54442d18
	s_mov_b32 s11, 0xbff921fb
	s_mov_b32 s13, 0xbc91a626
	s_mov_b32 s12, 0x33145c00
	v_rndne_f64_e32 v[19:20], v[15:16]
	v_fma_f64 v[15:16], v[19:20], s[10:11], |v[13:14]|
	v_mul_f64 v[17:18], v[19:20], s[12:13]
	s_mov_b32 s10, 0x252049c0
	s_mov_b32 s11, 0xb97b839a
	v_cvt_i32_f64_e32 v8, v[19:20]
	v_fma_f64 v[25:26], v[19:20], s[12:13], v[15:16]
	v_add_f64 v[21:22], v[15:16], v[17:18]
	s_mov_b32 s13, 0x3c91a626
	v_add_f64 v[23:24], v[15:16], -v[21:22]
	v_add_f64 v[21:22], v[21:22], -v[25:26]
	v_add_f64 v[15:16], v[23:24], v[17:18]
	v_fma_f64 v[17:18], v[19:20], s[12:13], v[17:18]
	v_add_f64 v[15:16], v[21:22], v[15:16]
	v_add_f64 v[15:16], v[15:16], -v[17:18]
	v_fma_f64 v[17:18], v[19:20], s[10:11], v[15:16]
	v_add_f64 v[15:16], v[25:26], v[17:18]
	v_add_f64 v[21:22], v[15:16], -v[25:26]
	v_add_f64 v[17:18], v[17:18], -v[21:22]
.LBB7_151:
	s_or_b64 exec, exec, s[0:1]
	v_mul_f64 v[19:20], v[15:16], v[15:16]
	v_add_f64 v[21:22], v[17:18], v[17:18]
	s_mov_b32 s0, 0xc751c08c
	s_mov_b32 s1, 0x3ef5e089
	v_and_b32_e32 v8, 1, v8
	v_cmp_eq_u32_e32 vcc, 0, v8
	s_mov_b32 s12, 0x54442d18
	s_mov_b32 s13, 0xc00921fb
	v_fma_f64 v[23:24], v[15:16], v[15:16], -v[19:20]
	v_add_f64 v[4:5], -v[4:5], 1.0
	s_mov_b64 s[10:11], exec
	v_fma_f64 v[21:22], v[15:16], v[21:22], v[23:24]
	v_add_f64 v[19:20], v[19:20], v[21:22]
	v_mov_b32_e32 v21, 0xa9a29f71
	v_mov_b32_e32 v22, 0xbf078809
	v_fma_f64 v[21:22], v[19:20], s[0:1], v[21:22]
	s_mov_b32 s0, 0x90a8aae0
	s_mov_b32 s1, 0x3f17746f
	v_fma_f64 v[21:22], v[19:20], v[21:22], s[0:1]
	s_mov_b32 s0, 0xa6fbf144
	s_mov_b32 s1, 0xbefbb44d
	;; [unrolled: 3-line block ×12, first 2 shown]
	v_fma_f64 v[21:22], v[19:20], v[21:22], s[0:1]
	s_movk_i32 s0, 0x1f8
	v_cmp_class_f64_e64 s[0:1], v[13:14], s0
	v_mul_f64 v[19:20], v[19:20], v[21:22]
	v_mul_f64 v[21:22], v[15:16], v[19:20]
	v_add_f64 v[23:24], v[15:16], v[21:22]
	v_fma_f64 v[19:20], v[15:16], v[19:20], -v[21:22]
	v_add_f64 v[15:16], v[23:24], -v[15:16]
	v_add_f64 v[17:18], v[17:18], v[19:20]
	v_add_f64 v[15:16], v[21:22], -v[15:16]
	v_add_f64 v[15:16], v[17:18], v[15:16]
	v_add_f64 v[17:18], v[23:24], v[15:16]
	v_rcp_f64_e32 v[19:20], v[17:18]
	v_fma_f64 v[21:22], -v[17:18], v[19:20], 1.0
	v_fma_f64 v[19:20], v[21:22], v[19:20], v[19:20]
	v_fma_f64 v[21:22], -v[17:18], v[19:20], 1.0
	v_fma_f64 v[19:20], v[21:22], v[19:20], v[19:20]
	v_add_f64 v[21:22], v[17:18], -v[23:24]
	v_mul_f64 v[23:24], v[17:18], v[19:20]
	v_add_f64 v[15:16], v[15:16], -v[21:22]
	v_fma_f64 v[21:22], v[19:20], v[17:18], -v[23:24]
	v_fma_f64 v[15:16], v[19:20], v[15:16], v[21:22]
	v_add_f64 v[21:22], v[23:24], v[15:16]
	v_add_f64 v[25:26], -v[21:22], 1.0
	v_add_f64 v[23:24], v[21:22], -v[23:24]
	v_add_f64 v[27:28], -v[25:26], 1.0
	v_add_f64 v[15:16], v[23:24], -v[15:16]
	v_add_f64 v[21:22], v[27:28], -v[21:22]
	v_add_f64 v[15:16], v[15:16], v[21:22]
	v_add_f64 v[15:16], v[25:26], v[15:16]
	v_mul_f64 v[15:16], v[19:20], v[15:16]
	v_add_f64 v[15:16], v[19:20], v[15:16]
	v_and_b32_e32 v19, 0x80000000, v14
	v_mov_b32_e32 v14, 0x7ff80000
	v_xor_b32_e32 v13, 0x80000000, v16
	v_cndmask_b32_e32 v8, v15, v17, vcc
	v_cndmask_b32_e32 v15, v13, v18, vcc
	v_cndmask_b32_e64 v13, 0, v8, s[0:1]
	v_xor_b32_e32 v8, v15, v19
	v_cndmask_b32_e64 v14, v14, v8, s[0:1]
	v_div_scale_f64 v[15:16], s[0:1], v[13:14], v[13:14], s[12:13]
	v_rcp_f64_e32 v[17:18], v[15:16]
	v_fma_f64 v[19:20], -v[15:16], v[17:18], 1.0
	v_fma_f64 v[17:18], v[17:18], v[19:20], v[17:18]
	v_div_scale_f64 v[19:20], vcc, s[12:13], v[13:14], s[12:13]
	v_fma_f64 v[21:22], -v[15:16], v[17:18], 1.0
	v_fma_f64 v[17:18], v[17:18], v[21:22], v[17:18]
	v_mul_f64 v[21:22], v[19:20], v[17:18]
	v_fma_f64 v[15:16], -v[15:16], v[21:22], v[19:20]
	v_div_fmas_f64 v[15:16], v[15:16], v[17:18], v[21:22]
	v_div_fixup_f64 v[13:14], v[15:16], v[13:14], s[12:13]
.LBB7_152:
	s_or_b64 exec, exec, s[8:9]
	s_orn2_b64 s[8:9], s[10:11], exec
.LBB7_153:
	s_or_b64 exec, exec, s[6:7]
	v_mov_b32_e32 v15, 0
	v_mov_b32_e32 v16, 0x7ff80000
	s_and_saveexec_b64 s[0:1], s[8:9]
	s_cbranch_execz .LBB7_165
; %bb.154:
	s_mov_b32 s8, 0
	s_mov_b32 s9, 0x40240000
	v_cmp_gt_f64_e32 vcc, s[8:9], v[4:5]
	s_and_saveexec_b64 s[6:7], vcc
	s_cbranch_execz .LBB7_158
; %bb.155:
	s_mov_b64 s[10:11], 0
.LBB7_156:                              ; =>This Inner Loop Header: Depth=1
	v_div_scale_f64 v[15:16], s[12:13], v[4:5], v[4:5], 1.0
	v_rcp_f64_e32 v[17:18], v[15:16]
	v_fma_f64 v[19:20], -v[15:16], v[17:18], 1.0
	v_fma_f64 v[17:18], v[17:18], v[19:20], v[17:18]
	v_div_scale_f64 v[19:20], vcc, 1.0, v[4:5], 1.0
	v_fma_f64 v[21:22], -v[15:16], v[17:18], 1.0
	v_fma_f64 v[17:18], v[17:18], v[21:22], v[17:18]
	v_mul_f64 v[21:22], v[19:20], v[17:18]
	v_fma_f64 v[15:16], -v[15:16], v[21:22], v[19:20]
	v_div_fmas_f64 v[15:16], v[15:16], v[17:18], v[21:22]
	v_div_fixup_f64 v[15:16], v[15:16], v[4:5], 1.0
	v_add_f64 v[4:5], v[4:5], 1.0
	v_add_f64 v[13:14], v[13:14], -v[15:16]
	v_cmp_ngt_f64_e32 vcc, s[8:9], v[4:5]
	s_or_b64 s[10:11], vcc, s[10:11]
	s_andn2_b64 exec, exec, s[10:11]
	s_cbranch_execnz .LBB7_156
; %bb.157:
	s_or_b64 exec, exec, s[10:11]
.LBB7_158:
	s_or_b64 exec, exec, s[6:7]
	s_mov_b32 s6, 0
	s_mov_b32 s7, 0x40240000
	v_cmp_neq_f64_e32 vcc, s[6:7], v[4:5]
                                        ; implicit-def: $vgpr15_vgpr16
	s_and_saveexec_b64 s[6:7], vcc
	s_xor_b64 s[6:7], exec, s[6:7]
	s_cbranch_execz .LBB7_162
; %bb.159:
	s_mov_b32 s8, 0x85d8a000
	s_mov_b32 s9, 0x43763457
	v_cmp_gt_f64_e32 vcc, s[8:9], v[4:5]
	v_mov_b32_e32 v15, 0
	v_mov_b32_e32 v16, 0
	s_and_saveexec_b64 s[8:9], vcc
	s_cbranch_execz .LBB7_161
; %bb.160:
	v_mul_f64 v[15:16], v[4:5], v[4:5]
	s_mov_b32 s12, 0x95995996
	s_mov_b32 s13, 0xbf959959
	;; [unrolled: 1-line block ×4, first 2 shown]
	v_div_scale_f64 v[17:18], s[10:11], v[15:16], v[15:16], 1.0
	v_div_scale_f64 v[23:24], vcc, 1.0, v[15:16], 1.0
	s_mov_b32 s10, 0x55555555
	s_mov_b32 s11, 0x3fb55555
	v_rcp_f64_e32 v[19:20], v[17:18]
	v_fma_f64 v[21:22], -v[17:18], v[19:20], 1.0
	v_fma_f64 v[19:20], v[19:20], v[21:22], v[19:20]
	v_fma_f64 v[21:22], -v[17:18], v[19:20], 1.0
	v_fma_f64 v[19:20], v[19:20], v[21:22], v[19:20]
	v_mul_f64 v[21:22], v[23:24], v[19:20]
	v_fma_f64 v[17:18], -v[17:18], v[21:22], v[23:24]
	v_div_fmas_f64 v[17:18], v[17:18], v[19:20], v[21:22]
	v_div_fixup_f64 v[15:16], v[17:18], v[15:16], 1.0
	v_fma_f64 v[17:18], v[15:16], 0, s[10:11]
	v_fma_f64 v[17:18], v[15:16], v[17:18], s[12:13]
	s_mov_b32 s12, 0xf07c1f08
	s_mov_b32 s13, 0x3f7f07c1
	v_fma_f64 v[17:18], v[15:16], v[17:18], s[12:13]
	s_mov_b32 s13, 0xbf711111
	s_mov_b32 s12, 0x11111111
	v_fma_f64 v[17:18], v[15:16], v[17:18], s[12:13]
	s_mov_b32 s13, 0xbf811111
	v_fma_f64 v[17:18], v[15:16], v[17:18], s[14:15]
	v_fma_f64 v[17:18], v[15:16], v[17:18], s[12:13]
	;; [unrolled: 1-line block ×3, first 2 shown]
	v_mul_f64 v[15:16], v[15:16], v[17:18]
.LBB7_161:
	s_or_b64 exec, exec, s[8:9]
	v_frexp_mant_f64_e32 v[17:18], v[4:5]
	s_mov_b32 s9, 0x3fe55555
	s_mov_b32 s8, 0x55555555
	;; [unrolled: 1-line block ×4, first 2 shown]
	v_cmp_gt_f64_e32 vcc, s[8:9], v[17:18]
	s_mov_b32 s8, 0x55555780
	v_cndmask_b32_e64 v8, 0, 1, vcc
	v_ldexp_f64 v[17:18], v[17:18], v8
	v_frexp_exp_i32_f64_e32 v8, v[4:5]
	v_add_f64 v[19:20], v[17:18], 1.0
	v_add_f64 v[25:26], v[17:18], -1.0
	v_subbrev_co_u32_e32 v8, vcc, 0, v8, vcc
	v_rcp_f64_e32 v[21:22], v[19:20]
	v_add_f64 v[27:28], v[19:20], -1.0
	v_add_f64 v[17:18], v[17:18], -v[27:28]
	v_fma_f64 v[23:24], -v[19:20], v[21:22], 1.0
	v_fma_f64 v[21:22], v[23:24], v[21:22], v[21:22]
	v_fma_f64 v[23:24], -v[19:20], v[21:22], 1.0
	v_fma_f64 v[21:22], v[23:24], v[21:22], v[21:22]
	v_mul_f64 v[23:24], v[25:26], v[21:22]
	v_mul_f64 v[29:30], v[19:20], v[23:24]
	v_fma_f64 v[19:20], v[23:24], v[19:20], -v[29:30]
	v_fma_f64 v[17:18], v[23:24], v[17:18], v[19:20]
	v_add_f64 v[19:20], v[29:30], v[17:18]
	v_add_f64 v[27:28], v[25:26], -v[19:20]
	v_add_f64 v[29:30], v[19:20], -v[29:30]
	;; [unrolled: 1-line block ×5, first 2 shown]
	v_mov_b32_e32 v25, 0x6b47b09a
	v_mov_b32_e32 v26, 0x3fc38538
	v_add_f64 v[17:18], v[17:18], v[19:20]
	v_add_f64 v[17:18], v[27:28], v[17:18]
	v_mul_f64 v[17:18], v[21:22], v[17:18]
	v_add_f64 v[19:20], v[23:24], v[17:18]
	v_mul_f64 v[21:22], v[19:20], v[19:20]
	v_fma_f64 v[25:26], v[21:22], s[10:11], v[25:26]
	s_mov_b32 s10, 0xd7f4df2e
	s_mov_b32 s11, 0x3fc7474d
	v_mul_f64 v[27:28], v[19:20], v[21:22]
	v_fma_f64 v[25:26], v[21:22], v[25:26], s[10:11]
	s_mov_b32 s10, 0x16291751
	s_mov_b32 s11, 0x3fcc71c0
	v_fma_f64 v[25:26], v[21:22], v[25:26], s[10:11]
	s_mov_b32 s10, 0x9b27acf1
	s_mov_b32 s11, 0x3fd24924
	;; [unrolled: 3-line block ×3, first 2 shown]
	v_fma_f64 v[25:26], v[21:22], v[25:26], s[10:11]
	v_fma_f64 v[21:22], v[21:22], v[25:26], s[8:9]
	v_ldexp_f64 v[25:26], v[19:20], 1
	v_add_f64 v[19:20], v[19:20], -v[23:24]
	s_mov_b32 s8, 0xfefa39ef
	s_mov_b32 s9, 0x3fe62e42
	v_mul_f64 v[21:22], v[27:28], v[21:22]
	v_cvt_f64_i32_e32 v[27:28], v8
	v_add_f64 v[17:18], v[17:18], -v[19:20]
	v_mul_f64 v[29:30], v[27:28], s[8:9]
	v_add_f64 v[23:24], v[25:26], v[21:22]
	v_ldexp_f64 v[17:18], v[17:18], 1
	v_add_f64 v[19:20], v[23:24], -v[25:26]
	v_fma_f64 v[25:26], v[27:28], s[8:9], -v[29:30]
	s_mov_b32 s8, 0x3b39803f
	s_mov_b32 s9, 0x3c7abc9e
	v_add_f64 v[19:20], v[21:22], -v[19:20]
	v_fma_f64 v[21:22], v[27:28], s[8:9], v[25:26]
	v_add_f64 v[17:18], v[17:18], v[19:20]
	v_div_scale_f64 v[19:20], s[8:9], v[4:5], v[4:5], -0.5
	v_add_f64 v[25:26], v[29:30], v[21:22]
	s_movk_i32 s8, 0x204
	v_add_f64 v[27:28], v[23:24], v[17:18]
	v_add_f64 v[29:30], v[25:26], -v[29:30]
	v_add_f64 v[31:32], v[25:26], v[27:28]
	v_rcp_f64_e32 v[33:34], v[19:20]
	v_add_f64 v[23:24], v[27:28], -v[23:24]
	v_add_f64 v[21:22], v[21:22], -v[29:30]
	;; [unrolled: 1-line block ×5, first 2 shown]
	v_fma_f64 v[39:40], -v[19:20], v[33:34], 1.0
	v_add_f64 v[23:24], v[27:28], -v[35:36]
	v_add_f64 v[29:30], v[21:22], v[17:18]
	v_add_f64 v[25:26], v[25:26], -v[37:38]
	v_fma_f64 v[27:28], v[33:34], v[39:40], v[33:34]
	v_add_f64 v[35:36], v[29:30], -v[21:22]
	v_add_f64 v[23:24], v[23:24], v[25:26]
	v_div_scale_f64 v[25:26], vcc, -0.5, v[4:5], -0.5
	v_fma_f64 v[33:34], -v[19:20], v[27:28], 1.0
	v_add_f64 v[17:18], v[17:18], -v[35:36]
	v_add_f64 v[23:24], v[29:30], v[23:24]
	v_add_f64 v[29:30], v[29:30], -v[35:36]
	v_fma_f64 v[27:28], v[27:28], v[33:34], v[27:28]
	v_add_f64 v[33:34], v[31:32], v[23:24]
	v_add_f64 v[21:22], v[21:22], -v[29:30]
	v_mul_f64 v[37:38], v[25:26], v[27:28]
	v_add_f64 v[29:30], v[33:34], -v[31:32]
	v_add_f64 v[17:18], v[17:18], v[21:22]
	v_fma_f64 v[19:20], -v[19:20], v[37:38], v[25:26]
	v_add_f64 v[21:22], v[23:24], -v[29:30]
	v_div_fmas_f64 v[19:20], v[19:20], v[27:28], v[37:38]
	v_cmp_class_f64_e64 vcc, v[4:5], s8
	v_add_f64 v[17:18], v[17:18], v[21:22]
	v_add_f64 v[17:18], v[33:34], v[17:18]
	v_div_fixup_f64 v[19:20], v[19:20], v[4:5], -0.5
	v_cndmask_b32_e32 v5, v18, v5, vcc
	v_cndmask_b32_e32 v4, v17, v4, vcc
	v_add_f64 v[4:5], v[4:5], v[19:20]
	v_add_f64 v[4:5], v[4:5], -v[15:16]
	v_add_f64 v[15:16], v[13:14], v[4:5]
                                        ; implicit-def: $vgpr13_vgpr14
.LBB7_162:
	s_andn2_saveexec_b64 s[6:7], s[6:7]
	s_cbranch_execz .LBB7_164
; %bb.163:
	s_mov_b32 s8, 0xdc85cc95
	s_mov_b32 s9, 0x40020396
	v_add_f64 v[15:16], v[13:14], s[8:9]
.LBB7_164:
	s_or_b64 exec, exec, s[6:7]
.LBB7_165:
	s_or_b64 exec, exec, s[0:1]
                                        ; implicit-def: $vgpr4_vgpr5
.LBB7_166:
	s_andn2_saveexec_b64 s[0:1], s[2:3]
; %bb.167:
	v_xor_b32_e32 v4, 0x80000000, v5
	s_brev_b32 s2, -2
	v_mov_b32_e32 v5, 0x7ff00000
	v_bfi_b32 v16, s2, v5, v4
	v_mov_b32_e32 v15, 0
; %bb.168:
	s_or_b64 exec, exec, s[0:1]
	global_store_dwordx2 v0, v[6:7], s[4:5]
	global_store_dwordx2 v1, v[9:10], s[4:5]
	;; [unrolled: 1-line block ×4, first 2 shown]
	s_endpgm
.LBB7_169:
	v_mov_b32_e32 v0, 0
	v_mov_b32_e32 v2, 0
	s_branch .LBB7_175
.LBB7_170:
	v_mov_b32_e32 v0, 0
	v_mov_b32_e32 v2, 0
	s_branch .LBB7_215
.LBB7_171:
	s_mov_b32 s57, 0
	v_mov_b32_e32 v0, 0
	v_mov_b32_e32 v2, 0
	;; [unrolled: 1-line block ×3, first 2 shown]
.LBB7_172:
	s_and_b32 s4, s58, 3
	s_cmp_eq_u32 s4, 0
	s_cbranch_scc1 .LBB7_175
; %bb.173:
	s_lshl_b32 s0, s57, 3
	s_add_u32 s0, s34, s0
	s_addc_u32 s1, s35, 0
	s_add_u32 s0, s0, 0xc4
	s_addc_u32 s1, s1, 0
	s_mul_i32 s2, s57, 12
	s_add_u32 s2, s34, s2
	s_addc_u32 s3, s35, 0
.LBB7_174:                              ; =>This Inner Loop Header: Depth=1
	s_load_dwordx2 s[6:7], s[2:3], 0x4
	s_load_dword s5, s[2:3], 0xc
	s_load_dwordx2 s[8:9], s[0:1], 0x0
	s_add_u32 s2, s2, 12
	s_addc_u32 s3, s3, 0
	s_waitcnt lgkmcnt(0)
	v_mul_hi_u32 v3, s7, v1
	s_add_u32 s0, s0, 8
	s_addc_u32 s1, s1, 0
	s_add_i32 s4, s4, -1
	v_add_u32_e32 v3, v1, v3
	v_lshrrev_b32_e32 v4, s5, v3
	v_mul_lo_u32 v3, v4, s6
	s_cmp_lg_u32 s4, 0
	v_sub_u32_e32 v3, v1, v3
	v_mad_u64_u32 v[0:1], s[6:7], v3, s8, v[0:1]
	v_mad_u64_u32 v[2:3], s[6:7], v3, s9, v[2:3]
	v_mov_b32_e32 v1, v4
	s_cbranch_scc1 .LBB7_174
.LBB7_175:
	s_cbranch_execnz .LBB7_178
.LBB7_176:
	s_waitcnt lgkmcnt(0)
	v_mul_hi_u32 v0, s25, v9
	s_andn2_b64 vcc, exec, s[42:43]
	v_add_u32_e32 v0, v9, v0
	v_lshrrev_b32_e32 v1, s26, v0
	v_mul_lo_u32 v0, v1, s24
	v_sub_u32_e32 v2, v9, v0
	v_mul_lo_u32 v0, v2, s20
	v_mul_lo_u32 v2, v2, s21
	s_cbranch_vccnz .LBB7_178
; %bb.177:
	v_mul_hi_u32 v3, s40, v1
	v_add_u32_e32 v3, v1, v3
	v_lshrrev_b32_e32 v3, s41, v3
	v_mul_lo_u32 v3, v3, s27
	v_sub_u32_e32 v3, v1, v3
	v_mad_u64_u32 v[0:1], s[0:1], v3, s22, v[0:1]
	v_mad_u64_u32 v[2:3], s[0:1], v3, s23, v[2:3]
.LBB7_178:
	s_waitcnt lgkmcnt(0)
	global_load_dwordx2 v[1:2], v2, s[18:19]
                                        ; implicit-def: $vgpr5_vgpr6
	s_waitcnt vmcnt(0)
	v_cmp_neq_f64_e32 vcc, 0, v[1:2]
	s_and_saveexec_b64 s[0:1], vcc
	s_xor_b64 s[2:3], exec, s[0:1]
	s_cbranch_execz .LBB7_200
; %bb.179:
	v_cmp_gt_f64_e32 vcc, 0, v[1:2]
	v_mov_b32_e32 v3, 0
	v_mov_b32_e32 v4, 0
	s_mov_b64 s[6:7], -1
	s_and_saveexec_b64 s[4:5], vcc
	s_cbranch_execz .LBB7_187
; %bb.180:
	v_trunc_f64_e32 v[5:6], v[1:2]
	v_mov_b32_e32 v3, 0
	v_mov_b32_e32 v4, 0
	s_mov_b64 s[8:9], 0
	v_cmp_neq_f64_e32 vcc, v[1:2], v[5:6]
	s_and_saveexec_b64 s[6:7], vcc
	s_cbranch_execz .LBB7_186
; %bb.181:
	v_add_f64 v[3:4], v[1:2], -v[5:6]
	s_mov_b32 s0, 0
	s_mov_b32 s9, 0xc00921fb
	;; [unrolled: 1-line block ×4, first 2 shown]
	v_cmp_neq_f64_e64 vcc, |v[1:2]|, s[0:1]
	v_bfrev_b32_e32 v5, 1
	s_mov_b32 s10, 0
	v_mul_f64 v[3:4], |v[3:4]|, s[8:9]
	s_mov_b32 s11, 0x41d00000
                                        ; implicit-def: $vgpr10
                                        ; implicit-def: $vgpr7_vgpr8
	v_cndmask_b32_e32 v4, v5, v4, vcc
	v_cndmask_b32_e32 v3, 0, v3, vcc
	v_cmp_nlt_f64_e64 s[10:11], |v[3:4]|, s[10:11]
                                        ; implicit-def: $vgpr5_vgpr6
	s_and_saveexec_b64 s[12:13], s[10:11]
	s_xor_b64 s[10:11], exec, s[12:13]
	s_cbranch_execz .LBB7_183
; %bb.182:
	v_trig_preop_f64 v[5:6], |v[3:4]|, 0
	s_mov_b32 s12, 0
	s_mov_b32 s13, 0x7b000000
	s_movk_i32 s9, 0xff80
	v_ldexp_f64 v[10:11], |v[3:4]|, s9
	v_cmp_ge_f64_e64 vcc, |v[3:4]|, s[12:13]
	v_trig_preop_f64 v[7:8], |v[3:4]|, 1
	v_and_b32_e32 v12, 0x7fffffff, v4
	v_trig_preop_f64 v[18:19], |v[3:4]|, 2
	v_mov_b32_e32 v29, 0x40100000
	v_mov_b32_e32 v28, 0
	s_mov_b32 s9, 0x3ff921fb
	v_cndmask_b32_e32 v11, v12, v11, vcc
	v_cndmask_b32_e32 v10, v3, v10, vcc
	v_mul_f64 v[12:13], v[5:6], v[10:11]
	v_mul_f64 v[14:15], v[7:8], v[10:11]
	;; [unrolled: 1-line block ×3, first 2 shown]
	v_fma_f64 v[5:6], v[5:6], v[10:11], -v[12:13]
	v_fma_f64 v[7:8], v[7:8], v[10:11], -v[14:15]
	v_fma_f64 v[10:11], v[18:19], v[10:11], -v[24:25]
	v_add_f64 v[16:17], v[14:15], v[5:6]
	v_add_f64 v[20:21], v[16:17], -v[14:15]
	v_add_f64 v[26:27], v[12:13], v[16:17]
	v_add_f64 v[22:23], v[16:17], -v[20:21]
	v_add_f64 v[5:6], v[5:6], -v[20:21]
	v_add_f64 v[20:21], v[24:25], v[7:8]
	v_add_f64 v[12:13], v[26:27], -v[12:13]
	v_add_f64 v[14:15], v[14:15], -v[22:23]
	v_ldexp_f64 v[22:23], v[26:27], -2
	v_add_f64 v[30:31], v[20:21], -v[24:25]
	v_add_f64 v[12:13], v[16:17], -v[12:13]
	v_add_f64 v[5:6], v[5:6], v[14:15]
	v_fract_f64_e32 v[14:15], v[22:23]
	v_cmp_neq_f64_e64 vcc, |v[22:23]|, s[0:1]
	v_add_f64 v[7:8], v[7:8], -v[30:31]
	v_add_f64 v[16:17], v[20:21], v[5:6]
	v_ldexp_f64 v[14:15], v[14:15], 2
	v_add_f64 v[22:23], v[12:13], v[16:17]
	v_cndmask_b32_e32 v15, 0, v15, vcc
	v_cndmask_b32_e32 v14, 0, v14, vcc
	v_add_f64 v[32:33], v[16:17], -v[20:21]
	v_add_f64 v[26:27], v[22:23], v[14:15]
	v_add_f64 v[12:13], v[22:23], -v[12:13]
	v_add_f64 v[34:35], v[16:17], -v[32:33]
	;; [unrolled: 1-line block ×3, first 2 shown]
	v_cmp_gt_f64_e32 vcc, 0, v[26:27]
	v_add_f64 v[26:27], v[20:21], -v[30:31]
	v_add_f64 v[12:13], v[16:17], -v[12:13]
	;; [unrolled: 1-line block ×3, first 2 shown]
	v_cndmask_b32_e32 v29, 0, v29, vcc
	v_add_f64 v[14:15], v[14:15], v[28:29]
	v_add_f64 v[26:27], v[24:25], -v[26:27]
	v_add_f64 v[5:6], v[5:6], v[20:21]
	v_add_f64 v[36:37], v[22:23], v[14:15]
	;; [unrolled: 1-line block ×3, first 2 shown]
	v_cvt_i32_f64_e32 v31, v[36:37]
	v_add_f64 v[5:6], v[7:8], v[5:6]
	v_cvt_f64_i32_e32 v[29:30], v31
	v_add_f64 v[14:15], v[14:15], -v[29:30]
	v_add_f64 v[5:6], v[10:11], v[5:6]
	v_add_f64 v[7:8], v[22:23], v[14:15]
	;; [unrolled: 1-line block ×3, first 2 shown]
	v_mov_b32_e32 v13, 0x3ff00000
	v_add_f64 v[10:11], v[7:8], -v[14:15]
	v_cmp_le_f64_e32 vcc, 0.5, v[7:8]
	v_add_f64 v[11:12], v[22:23], -v[10:11]
	v_cndmask_b32_e32 v29, 0, v13, vcc
	v_add_f64 v[7:8], v[7:8], -v[28:29]
	v_addc_co_u32_e64 v10, s[0:1], 0, v31, vcc
	s_mov_b32 s0, 0x33145c07
	s_mov_b32 s1, 0x3c91a626
	v_add_f64 v[5:6], v[5:6], v[11:12]
	v_add_f64 v[11:12], v[7:8], v[5:6]
	v_mul_f64 v[13:14], v[11:12], s[8:9]
	v_add_f64 v[7:8], v[11:12], -v[7:8]
	v_fma_f64 v[15:16], v[11:12], s[8:9], -v[13:14]
	v_add_f64 v[5:6], v[5:6], -v[7:8]
	v_fma_f64 v[7:8], v[11:12], s[0:1], v[15:16]
	v_fma_f64 v[7:8], v[5:6], s[8:9], v[7:8]
	v_add_f64 v[5:6], v[13:14], v[7:8]
	v_add_f64 v[11:12], v[5:6], -v[13:14]
	v_add_f64 v[7:8], v[7:8], -v[11:12]
.LBB7_183:
	s_andn2_saveexec_b64 s[0:1], s[10:11]
	s_cbranch_execz .LBB7_185
; %bb.184:
	s_mov_b32 s8, 0x6dc9c883
	s_mov_b32 s9, 0x3fe45f30
	v_mul_f64 v[5:6], |v[3:4]|, s[8:9]
	s_mov_b32 s8, 0x54442d18
	s_mov_b32 s9, 0xbff921fb
	;; [unrolled: 1-line block ×4, first 2 shown]
	v_rndne_f64_e32 v[10:11], v[5:6]
	v_fma_f64 v[5:6], v[10:11], s[8:9], |v[3:4]|
	v_mul_f64 v[7:8], v[10:11], s[10:11]
	s_mov_b32 s8, 0x252049c0
	s_mov_b32 s9, 0xb97b839a
	v_fma_f64 v[16:17], v[10:11], s[10:11], v[5:6]
	v_add_f64 v[12:13], v[5:6], v[7:8]
	s_mov_b32 s11, 0x3c91a626
	v_add_f64 v[14:15], v[5:6], -v[12:13]
	v_add_f64 v[12:13], v[12:13], -v[16:17]
	v_add_f64 v[5:6], v[14:15], v[7:8]
	v_fma_f64 v[7:8], v[10:11], s[10:11], v[7:8]
	v_add_f64 v[5:6], v[12:13], v[5:6]
	v_add_f64 v[5:6], v[5:6], -v[7:8]
	v_fma_f64 v[7:8], v[10:11], s[8:9], v[5:6]
	v_cvt_i32_f64_e32 v10, v[10:11]
	v_add_f64 v[5:6], v[16:17], v[7:8]
	v_add_f64 v[12:13], v[5:6], -v[16:17]
	v_add_f64 v[7:8], v[7:8], -v[12:13]
.LBB7_185:
	s_or_b64 exec, exec, s[0:1]
	v_mul_f64 v[11:12], v[5:6], v[5:6]
	v_add_f64 v[13:14], v[7:8], v[7:8]
	s_mov_b32 s0, 0xc751c08c
	s_mov_b32 s1, 0x3ef5e089
	v_and_b32_e32 v10, 1, v10
	v_cmp_eq_u32_e32 vcc, 0, v10
	s_mov_b32 s10, 0x54442d18
	s_mov_b32 s11, 0xc00921fb
	v_fma_f64 v[15:16], v[5:6], v[5:6], -v[11:12]
	v_add_f64 v[1:2], -v[1:2], 1.0
	s_mov_b64 s[8:9], exec
	v_fma_f64 v[13:14], v[5:6], v[13:14], v[15:16]
	v_add_f64 v[11:12], v[11:12], v[13:14]
	v_mov_b32_e32 v13, 0xa9a29f71
	v_mov_b32_e32 v14, 0xbf078809
	v_fma_f64 v[13:14], v[11:12], s[0:1], v[13:14]
	s_mov_b32 s0, 0x90a8aae0
	s_mov_b32 s1, 0x3f17746f
	v_fma_f64 v[13:14], v[11:12], v[13:14], s[0:1]
	s_mov_b32 s0, 0xa6fbf144
	s_mov_b32 s1, 0xbefbb44d
	;; [unrolled: 3-line block ×12, first 2 shown]
	v_fma_f64 v[13:14], v[11:12], v[13:14], s[0:1]
	s_movk_i32 s0, 0x1f8
	v_cmp_class_f64_e64 s[0:1], v[3:4], s0
	v_mul_f64 v[11:12], v[11:12], v[13:14]
	v_mul_f64 v[13:14], v[5:6], v[11:12]
	v_add_f64 v[15:16], v[5:6], v[13:14]
	v_fma_f64 v[11:12], v[5:6], v[11:12], -v[13:14]
	v_add_f64 v[5:6], v[15:16], -v[5:6]
	v_add_f64 v[7:8], v[7:8], v[11:12]
	v_add_f64 v[5:6], v[13:14], -v[5:6]
	v_add_f64 v[5:6], v[7:8], v[5:6]
	v_add_f64 v[7:8], v[15:16], v[5:6]
	v_rcp_f64_e32 v[11:12], v[7:8]
	v_fma_f64 v[13:14], -v[7:8], v[11:12], 1.0
	v_fma_f64 v[11:12], v[13:14], v[11:12], v[11:12]
	v_fma_f64 v[13:14], -v[7:8], v[11:12], 1.0
	v_fma_f64 v[11:12], v[13:14], v[11:12], v[11:12]
	v_add_f64 v[13:14], v[7:8], -v[15:16]
	v_mul_f64 v[15:16], v[7:8], v[11:12]
	v_add_f64 v[5:6], v[5:6], -v[13:14]
	v_fma_f64 v[13:14], v[11:12], v[7:8], -v[15:16]
	v_fma_f64 v[5:6], v[11:12], v[5:6], v[13:14]
	v_add_f64 v[13:14], v[15:16], v[5:6]
	v_add_f64 v[17:18], -v[13:14], 1.0
	v_add_f64 v[15:16], v[13:14], -v[15:16]
	v_add_f64 v[19:20], -v[17:18], 1.0
	v_add_f64 v[5:6], v[15:16], -v[5:6]
	v_add_f64 v[13:14], v[19:20], -v[13:14]
	v_add_f64 v[5:6], v[5:6], v[13:14]
	v_add_f64 v[5:6], v[17:18], v[5:6]
	v_mul_f64 v[5:6], v[11:12], v[5:6]
	v_add_f64 v[5:6], v[11:12], v[5:6]
	v_and_b32_e32 v11, 0x80000000, v4
	v_mov_b32_e32 v4, 0x7ff80000
	v_xor_b32_e32 v3, 0x80000000, v6
	v_cndmask_b32_e32 v5, v5, v7, vcc
	v_cndmask_b32_e32 v6, v3, v8, vcc
	v_cndmask_b32_e64 v3, 0, v5, s[0:1]
	v_xor_b32_e32 v5, v6, v11
	v_cndmask_b32_e64 v4, v4, v5, s[0:1]
	v_div_scale_f64 v[5:6], s[0:1], v[3:4], v[3:4], s[10:11]
	v_rcp_f64_e32 v[7:8], v[5:6]
	v_fma_f64 v[10:11], -v[5:6], v[7:8], 1.0
	v_fma_f64 v[7:8], v[7:8], v[10:11], v[7:8]
	v_div_scale_f64 v[10:11], vcc, s[10:11], v[3:4], s[10:11]
	v_fma_f64 v[12:13], -v[5:6], v[7:8], 1.0
	v_fma_f64 v[7:8], v[7:8], v[12:13], v[7:8]
	v_mul_f64 v[12:13], v[10:11], v[7:8]
	v_fma_f64 v[5:6], -v[5:6], v[12:13], v[10:11]
	v_div_fmas_f64 v[5:6], v[5:6], v[7:8], v[12:13]
	v_div_fixup_f64 v[3:4], v[5:6], v[3:4], s[10:11]
.LBB7_186:
	s_or_b64 exec, exec, s[6:7]
	s_orn2_b64 s[6:7], s[8:9], exec
.LBB7_187:
	s_or_b64 exec, exec, s[4:5]
	v_mov_b32_e32 v5, 0
	v_mov_b32_e32 v6, 0x7ff80000
	s_and_saveexec_b64 s[0:1], s[6:7]
	s_cbranch_execz .LBB7_199
; %bb.188:
	s_mov_b32 s6, 0
	s_mov_b32 s7, 0x40240000
	v_cmp_gt_f64_e32 vcc, s[6:7], v[1:2]
	s_and_saveexec_b64 s[4:5], vcc
	s_cbranch_execz .LBB7_192
; %bb.189:
	s_mov_b64 s[8:9], 0
.LBB7_190:                              ; =>This Inner Loop Header: Depth=1
	v_div_scale_f64 v[5:6], s[10:11], v[1:2], v[1:2], 1.0
	v_rcp_f64_e32 v[7:8], v[5:6]
	v_fma_f64 v[10:11], -v[5:6], v[7:8], 1.0
	v_fma_f64 v[7:8], v[7:8], v[10:11], v[7:8]
	v_div_scale_f64 v[10:11], vcc, 1.0, v[1:2], 1.0
	v_fma_f64 v[12:13], -v[5:6], v[7:8], 1.0
	v_fma_f64 v[7:8], v[7:8], v[12:13], v[7:8]
	v_mul_f64 v[12:13], v[10:11], v[7:8]
	v_fma_f64 v[5:6], -v[5:6], v[12:13], v[10:11]
	v_div_fmas_f64 v[5:6], v[5:6], v[7:8], v[12:13]
	v_div_fixup_f64 v[5:6], v[5:6], v[1:2], 1.0
	v_add_f64 v[1:2], v[1:2], 1.0
	v_add_f64 v[3:4], v[3:4], -v[5:6]
	v_cmp_ngt_f64_e32 vcc, s[6:7], v[1:2]
	s_or_b64 s[8:9], vcc, s[8:9]
	s_andn2_b64 exec, exec, s[8:9]
	s_cbranch_execnz .LBB7_190
; %bb.191:
	s_or_b64 exec, exec, s[8:9]
.LBB7_192:
	s_or_b64 exec, exec, s[4:5]
	s_mov_b32 s4, 0
	s_mov_b32 s5, 0x40240000
	v_cmp_neq_f64_e32 vcc, s[4:5], v[1:2]
                                        ; implicit-def: $vgpr5_vgpr6
	s_and_saveexec_b64 s[4:5], vcc
	s_xor_b64 s[4:5], exec, s[4:5]
	s_cbranch_execz .LBB7_196
; %bb.193:
	s_mov_b32 s6, 0x85d8a000
	s_mov_b32 s7, 0x43763457
	v_cmp_gt_f64_e32 vcc, s[6:7], v[1:2]
	v_mov_b32_e32 v5, 0
	v_mov_b32_e32 v6, 0
	s_and_saveexec_b64 s[6:7], vcc
	s_cbranch_execz .LBB7_195
; %bb.194:
	v_mul_f64 v[5:6], v[1:2], v[1:2]
	s_mov_b32 s10, 0x95995996
	s_mov_b32 s11, 0xbf959959
	;; [unrolled: 1-line block ×4, first 2 shown]
	v_div_scale_f64 v[7:8], s[8:9], v[5:6], v[5:6], 1.0
	v_div_scale_f64 v[14:15], vcc, 1.0, v[5:6], 1.0
	s_mov_b32 s8, 0x55555555
	s_mov_b32 s9, 0x3fb55555
	v_rcp_f64_e32 v[10:11], v[7:8]
	v_fma_f64 v[12:13], -v[7:8], v[10:11], 1.0
	v_fma_f64 v[10:11], v[10:11], v[12:13], v[10:11]
	v_fma_f64 v[12:13], -v[7:8], v[10:11], 1.0
	v_fma_f64 v[10:11], v[10:11], v[12:13], v[10:11]
	v_mul_f64 v[12:13], v[14:15], v[10:11]
	v_fma_f64 v[7:8], -v[7:8], v[12:13], v[14:15]
	v_div_fmas_f64 v[7:8], v[7:8], v[10:11], v[12:13]
	v_div_fixup_f64 v[5:6], v[7:8], v[5:6], 1.0
	v_fma_f64 v[7:8], v[5:6], 0, s[8:9]
	v_fma_f64 v[7:8], v[5:6], v[7:8], s[10:11]
	s_mov_b32 s10, 0xf07c1f08
	s_mov_b32 s11, 0x3f7f07c1
	v_fma_f64 v[7:8], v[5:6], v[7:8], s[10:11]
	s_mov_b32 s11, 0xbf711111
	s_mov_b32 s10, 0x11111111
	v_fma_f64 v[7:8], v[5:6], v[7:8], s[10:11]
	s_mov_b32 s11, 0xbf811111
	v_fma_f64 v[7:8], v[5:6], v[7:8], s[12:13]
	v_fma_f64 v[7:8], v[5:6], v[7:8], s[10:11]
	;; [unrolled: 1-line block ×3, first 2 shown]
	v_mul_f64 v[5:6], v[5:6], v[7:8]
.LBB7_195:
	s_or_b64 exec, exec, s[6:7]
	v_frexp_mant_f64_e32 v[7:8], v[1:2]
	s_mov_b32 s7, 0x3fe55555
	s_mov_b32 s6, 0x55555555
	;; [unrolled: 1-line block ×4, first 2 shown]
	v_cmp_gt_f64_e32 vcc, s[6:7], v[7:8]
	s_mov_b32 s6, 0x55555780
	v_cndmask_b32_e64 v10, 0, 1, vcc
	v_ldexp_f64 v[7:8], v[7:8], v10
	v_add_f64 v[10:11], v[7:8], 1.0
	v_add_f64 v[16:17], v[7:8], -1.0
	v_rcp_f64_e32 v[12:13], v[10:11]
	v_add_f64 v[18:19], v[10:11], -1.0
	v_add_f64 v[7:8], v[7:8], -v[18:19]
	v_fma_f64 v[14:15], -v[10:11], v[12:13], 1.0
	v_fma_f64 v[12:13], v[14:15], v[12:13], v[12:13]
	v_fma_f64 v[14:15], -v[10:11], v[12:13], 1.0
	v_fma_f64 v[12:13], v[14:15], v[12:13], v[12:13]
	v_mul_f64 v[14:15], v[16:17], v[12:13]
	v_mul_f64 v[20:21], v[10:11], v[14:15]
	v_fma_f64 v[10:11], v[14:15], v[10:11], -v[20:21]
	v_fma_f64 v[7:8], v[14:15], v[7:8], v[10:11]
	v_add_f64 v[10:11], v[20:21], v[7:8]
	v_add_f64 v[18:19], v[16:17], -v[10:11]
	v_add_f64 v[20:21], v[10:11], -v[20:21]
	;; [unrolled: 1-line block ×5, first 2 shown]
	v_mov_b32_e32 v16, 0x6b47b09a
	v_mov_b32_e32 v17, 0x3fc38538
	v_add_f64 v[7:8], v[7:8], v[10:11]
	v_add_f64 v[7:8], v[18:19], v[7:8]
	v_mul_f64 v[7:8], v[12:13], v[7:8]
	v_add_f64 v[10:11], v[14:15], v[7:8]
	v_mul_f64 v[12:13], v[10:11], v[10:11]
	v_fma_f64 v[16:17], v[12:13], s[8:9], v[16:17]
	s_mov_b32 s8, 0xd7f4df2e
	s_mov_b32 s9, 0x3fc7474d
	v_mul_f64 v[18:19], v[10:11], v[12:13]
	v_fma_f64 v[16:17], v[12:13], v[16:17], s[8:9]
	s_mov_b32 s8, 0x16291751
	s_mov_b32 s9, 0x3fcc71c0
	v_fma_f64 v[16:17], v[12:13], v[16:17], s[8:9]
	s_mov_b32 s8, 0x9b27acf1
	s_mov_b32 s9, 0x3fd24924
	v_fma_f64 v[16:17], v[12:13], v[16:17], s[8:9]
	s_mov_b32 s8, 0x998ef7b6
	s_mov_b32 s9, 0x3fd99999
	v_fma_f64 v[16:17], v[12:13], v[16:17], s[8:9]
	v_fma_f64 v[12:13], v[12:13], v[16:17], s[6:7]
	v_ldexp_f64 v[16:17], v[10:11], 1
	v_add_f64 v[10:11], v[10:11], -v[14:15]
	s_mov_b32 s6, 0xfefa39ef
	s_mov_b32 s7, 0x3fe62e42
	v_mul_f64 v[12:13], v[18:19], v[12:13]
	v_frexp_exp_i32_f64_e32 v18, v[1:2]
	v_add_f64 v[7:8], v[7:8], -v[10:11]
	v_add_f64 v[14:15], v[16:17], v[12:13]
	v_subbrev_co_u32_e32 v18, vcc, 0, v18, vcc
	v_cvt_f64_i32_e32 v[18:19], v18
	v_ldexp_f64 v[7:8], v[7:8], 1
	v_mul_f64 v[20:21], v[18:19], s[6:7]
	v_add_f64 v[10:11], v[14:15], -v[16:17]
	v_fma_f64 v[16:17], v[18:19], s[6:7], -v[20:21]
	v_add_f64 v[10:11], v[12:13], -v[10:11]
	s_mov_b32 s6, 0x3b39803f
	s_mov_b32 s7, 0x3c7abc9e
	v_fma_f64 v[12:13], v[18:19], s[6:7], v[16:17]
	v_add_f64 v[7:8], v[7:8], v[10:11]
	v_div_scale_f64 v[10:11], s[6:7], v[1:2], v[1:2], -0.5
	s_movk_i32 s6, 0x204
	v_add_f64 v[16:17], v[20:21], v[12:13]
	v_add_f64 v[18:19], v[14:15], v[7:8]
	v_add_f64 v[20:21], v[16:17], -v[20:21]
	v_add_f64 v[22:23], v[16:17], v[18:19]
	v_rcp_f64_e32 v[24:25], v[10:11]
	v_add_f64 v[14:15], v[18:19], -v[14:15]
	v_add_f64 v[12:13], v[12:13], -v[20:21]
	v_add_f64 v[26:27], v[22:23], -v[16:17]
	v_add_f64 v[7:8], v[7:8], -v[14:15]
	v_add_f64 v[28:29], v[22:23], -v[26:27]
	v_fma_f64 v[30:31], -v[10:11], v[24:25], 1.0
	v_add_f64 v[14:15], v[18:19], -v[26:27]
	v_add_f64 v[20:21], v[12:13], v[7:8]
	v_add_f64 v[16:17], v[16:17], -v[28:29]
	v_fma_f64 v[18:19], v[24:25], v[30:31], v[24:25]
	v_add_f64 v[26:27], v[20:21], -v[12:13]
	v_add_f64 v[14:15], v[14:15], v[16:17]
	v_div_scale_f64 v[16:17], vcc, -0.5, v[1:2], -0.5
	v_fma_f64 v[24:25], -v[10:11], v[18:19], 1.0
	v_add_f64 v[7:8], v[7:8], -v[26:27]
	v_add_f64 v[14:15], v[20:21], v[14:15]
	v_add_f64 v[20:21], v[20:21], -v[26:27]
	v_fma_f64 v[18:19], v[18:19], v[24:25], v[18:19]
	v_add_f64 v[24:25], v[22:23], v[14:15]
	v_add_f64 v[12:13], v[12:13], -v[20:21]
	v_mul_f64 v[28:29], v[16:17], v[18:19]
	v_add_f64 v[20:21], v[24:25], -v[22:23]
	v_add_f64 v[7:8], v[7:8], v[12:13]
	v_fma_f64 v[10:11], -v[10:11], v[28:29], v[16:17]
	v_add_f64 v[12:13], v[14:15], -v[20:21]
	v_div_fmas_f64 v[10:11], v[10:11], v[18:19], v[28:29]
	v_cmp_class_f64_e64 vcc, v[1:2], s6
	v_add_f64 v[7:8], v[7:8], v[12:13]
	v_add_f64 v[7:8], v[24:25], v[7:8]
	v_div_fixup_f64 v[10:11], v[10:11], v[1:2], -0.5
	v_cndmask_b32_e32 v2, v8, v2, vcc
	v_cndmask_b32_e32 v1, v7, v1, vcc
	v_add_f64 v[1:2], v[1:2], v[10:11]
	v_add_f64 v[1:2], v[1:2], -v[5:6]
	v_add_f64 v[5:6], v[3:4], v[1:2]
                                        ; implicit-def: $vgpr3_vgpr4
.LBB7_196:
	s_andn2_saveexec_b64 s[4:5], s[4:5]
	s_cbranch_execz .LBB7_198
; %bb.197:
	s_mov_b32 s6, 0xdc85cc95
	s_mov_b32 s7, 0x40020396
	v_add_f64 v[5:6], v[3:4], s[6:7]
.LBB7_198:
	s_or_b64 exec, exec, s[4:5]
.LBB7_199:
	s_or_b64 exec, exec, s[0:1]
                                        ; implicit-def: $vgpr1_vgpr2
.LBB7_200:
	s_andn2_saveexec_b64 s[0:1], s[2:3]
; %bb.201:
	v_xor_b32_e32 v1, 0x80000000, v2
	s_brev_b32 s2, -2
	v_mov_b32_e32 v2, 0x7ff00000
	v_bfi_b32 v6, s2, v2, v1
	v_mov_b32_e32 v5, 0
; %bb.202:
	s_or_b64 exec, exec, s[0:1]
	v_add_u32_e32 v9, 0x80, v9
	global_store_dwordx2 v0, v[5:6], s[16:17]
	s_or_b64 exec, exec, s[48:49]
	v_cmp_gt_i32_e32 vcc, s55, v9
	s_and_saveexec_b64 s[48:49], vcc
	s_cbranch_execnz .LBB7_15
.LBB7_203:
	s_or_b64 exec, exec, s[48:49]
	v_cmp_gt_i32_e32 vcc, s55, v9
	s_and_saveexec_b64 s[48:49], vcc
	s_cbranch_execz .LBB7_243
.LBB7_204:
	s_andn2_b64 vcc, exec, s[36:37]
	s_cbranch_vccnz .LBB7_209
; %bb.205:
	s_andn2_b64 vcc, exec, s[46:47]
	s_cbranch_vccnz .LBB7_210
; %bb.206:
	s_add_i32 s58, s56, 1
	s_cmp_eq_u32 s54, 2
	s_cbranch_scc1 .LBB7_246
; %bb.207:
	s_and_b32 s57, s58, 28
	v_mov_b32_e32 v2, 0
	s_mov_b32 s59, 0
	s_mov_b64 s[50:51], s[34:35]
	s_mov_b64 s[52:53], s[44:45]
	v_mov_b32_e32 v0, 0
	v_mov_b32_e32 v1, v9
.LBB7_208:                              ; =>This Inner Loop Header: Depth=1
	s_load_dwordx8 s[8:15], s[50:51], 0x4
	s_load_dwordx4 s[28:31], s[50:51], 0x24
	s_load_dwordx8 s[0:7], s[52:53], 0x0
	s_add_u32 s50, s50, 48
	s_addc_u32 s51, s51, 0
	s_waitcnt lgkmcnt(0)
	v_mul_hi_u32 v3, s9, v1
	s_add_i32 s59, s59, 4
	s_add_u32 s52, s52, 32
	s_addc_u32 s53, s53, 0
	v_add_u32_e32 v3, v1, v3
	v_lshrrev_b32_e32 v3, s10, v3
	v_mul_lo_u32 v4, v3, s8
	v_mul_hi_u32 v5, s12, v3
	s_cmp_eq_u32 s57, s59
	v_sub_u32_e32 v1, v1, v4
	v_add_u32_e32 v4, v3, v5
	v_mul_lo_u32 v5, v1, s0
	v_mul_lo_u32 v6, v1, s1
	v_lshrrev_b32_e32 v1, s13, v4
	v_mul_lo_u32 v4, v1, s11
	v_mul_hi_u32 v7, s15, v1
	v_sub_u32_e32 v3, v3, v4
	v_add_u32_e32 v4, v1, v7
	v_lshrrev_b32_e32 v4, s28, v4
	v_mul_hi_u32 v8, s30, v4
	v_mul_lo_u32 v10, v4, s14
	v_mul_lo_u32 v7, v3, s2
	;; [unrolled: 1-line block ×3, first 2 shown]
	v_sub_u32_e32 v10, v1, v10
	v_add_u32_e32 v1, v4, v8
	v_lshrrev_b32_e32 v1, s31, v1
	v_mul_lo_u32 v8, v1, s29
	v_mul_lo_u32 v11, v10, s4
	;; [unrolled: 1-line block ×3, first 2 shown]
	v_add3_u32 v0, v5, v0, v7
	v_sub_u32_e32 v4, v4, v8
	v_mul_lo_u32 v8, v4, s6
	v_mul_lo_u32 v4, v4, s7
	v_add3_u32 v2, v6, v2, v3
	v_add3_u32 v0, v11, v0, v8
	;; [unrolled: 1-line block ×3, first 2 shown]
	s_cbranch_scc0 .LBB7_208
	s_branch .LBB7_247
.LBB7_209:
                                        ; implicit-def: $vgpr0
                                        ; implicit-def: $vgpr2
	s_branch .LBB7_251
.LBB7_210:
	v_mov_b32_e32 v0, 0
	v_mov_b32_e32 v2, 0
	s_branch .LBB7_250
.LBB7_211:
	s_mov_b32 s57, 0
	v_mov_b32_e32 v0, 0
	v_mov_b32_e32 v2, 0
	v_mov_b32_e32 v1, v9
.LBB7_212:
	s_and_b32 s4, s58, 3
	s_cmp_eq_u32 s4, 0
	s_cbranch_scc1 .LBB7_215
; %bb.213:
	s_lshl_b32 s0, s57, 3
	s_add_u32 s0, s34, s0
	s_addc_u32 s1, s35, 0
	s_add_u32 s0, s0, 0xc4
	s_addc_u32 s1, s1, 0
	s_mul_i32 s2, s57, 12
	s_add_u32 s2, s34, s2
	s_addc_u32 s3, s35, 0
.LBB7_214:                              ; =>This Inner Loop Header: Depth=1
	s_load_dwordx2 s[6:7], s[2:3], 0x4
	s_load_dword s5, s[2:3], 0xc
	s_load_dwordx2 s[8:9], s[0:1], 0x0
	s_add_u32 s2, s2, 12
	s_addc_u32 s3, s3, 0
	s_waitcnt lgkmcnt(0)
	v_mul_hi_u32 v3, s7, v1
	s_add_u32 s0, s0, 8
	s_addc_u32 s1, s1, 0
	s_add_i32 s4, s4, -1
	v_add_u32_e32 v3, v1, v3
	v_lshrrev_b32_e32 v4, s5, v3
	v_mul_lo_u32 v3, v4, s6
	s_cmp_lg_u32 s4, 0
	v_sub_u32_e32 v3, v1, v3
	v_mad_u64_u32 v[0:1], s[6:7], v3, s8, v[0:1]
	v_mad_u64_u32 v[2:3], s[6:7], v3, s9, v[2:3]
	v_mov_b32_e32 v1, v4
	s_cbranch_scc1 .LBB7_214
.LBB7_215:
	s_cbranch_execnz .LBB7_218
.LBB7_216:
	s_waitcnt lgkmcnt(0)
	v_mul_hi_u32 v0, s25, v9
	s_andn2_b64 vcc, exec, s[42:43]
	v_add_u32_e32 v0, v9, v0
	v_lshrrev_b32_e32 v1, s26, v0
	v_mul_lo_u32 v0, v1, s24
	v_sub_u32_e32 v2, v9, v0
	v_mul_lo_u32 v0, v2, s20
	v_mul_lo_u32 v2, v2, s21
	s_cbranch_vccnz .LBB7_218
; %bb.217:
	v_mul_hi_u32 v3, s40, v1
	v_add_u32_e32 v3, v1, v3
	v_lshrrev_b32_e32 v3, s41, v3
	v_mul_lo_u32 v3, v3, s27
	v_sub_u32_e32 v3, v1, v3
	v_mad_u64_u32 v[0:1], s[0:1], v3, s22, v[0:1]
	v_mad_u64_u32 v[2:3], s[0:1], v3, s23, v[2:3]
.LBB7_218:
	s_waitcnt lgkmcnt(0)
	global_load_dwordx2 v[1:2], v2, s[18:19]
                                        ; implicit-def: $vgpr5_vgpr6
	s_waitcnt vmcnt(0)
	v_cmp_neq_f64_e32 vcc, 0, v[1:2]
	s_and_saveexec_b64 s[0:1], vcc
	s_xor_b64 s[2:3], exec, s[0:1]
	s_cbranch_execz .LBB7_240
; %bb.219:
	v_cmp_gt_f64_e32 vcc, 0, v[1:2]
	v_mov_b32_e32 v3, 0
	v_mov_b32_e32 v4, 0
	s_mov_b64 s[6:7], -1
	s_and_saveexec_b64 s[4:5], vcc
	s_cbranch_execz .LBB7_227
; %bb.220:
	v_trunc_f64_e32 v[5:6], v[1:2]
	v_mov_b32_e32 v3, 0
	v_mov_b32_e32 v4, 0
	s_mov_b64 s[8:9], 0
	v_cmp_neq_f64_e32 vcc, v[1:2], v[5:6]
	s_and_saveexec_b64 s[6:7], vcc
	s_cbranch_execz .LBB7_226
; %bb.221:
	v_add_f64 v[3:4], v[1:2], -v[5:6]
	s_mov_b32 s0, 0
	s_mov_b32 s9, 0xc00921fb
	;; [unrolled: 1-line block ×4, first 2 shown]
	v_cmp_neq_f64_e64 vcc, |v[1:2]|, s[0:1]
	v_bfrev_b32_e32 v5, 1
	s_mov_b32 s10, 0
	v_mul_f64 v[3:4], |v[3:4]|, s[8:9]
	s_mov_b32 s11, 0x41d00000
                                        ; implicit-def: $vgpr10
                                        ; implicit-def: $vgpr7_vgpr8
	v_cndmask_b32_e32 v4, v5, v4, vcc
	v_cndmask_b32_e32 v3, 0, v3, vcc
	v_cmp_nlt_f64_e64 s[10:11], |v[3:4]|, s[10:11]
                                        ; implicit-def: $vgpr5_vgpr6
	s_and_saveexec_b64 s[12:13], s[10:11]
	s_xor_b64 s[10:11], exec, s[12:13]
	s_cbranch_execz .LBB7_223
; %bb.222:
	v_trig_preop_f64 v[5:6], |v[3:4]|, 0
	s_mov_b32 s12, 0
	s_mov_b32 s13, 0x7b000000
	s_movk_i32 s9, 0xff80
	v_ldexp_f64 v[10:11], |v[3:4]|, s9
	v_cmp_ge_f64_e64 vcc, |v[3:4]|, s[12:13]
	v_trig_preop_f64 v[7:8], |v[3:4]|, 1
	v_and_b32_e32 v12, 0x7fffffff, v4
	v_trig_preop_f64 v[18:19], |v[3:4]|, 2
	v_mov_b32_e32 v29, 0x40100000
	v_mov_b32_e32 v28, 0
	s_mov_b32 s9, 0x3ff921fb
	v_cndmask_b32_e32 v11, v12, v11, vcc
	v_cndmask_b32_e32 v10, v3, v10, vcc
	v_mul_f64 v[12:13], v[5:6], v[10:11]
	v_mul_f64 v[14:15], v[7:8], v[10:11]
	;; [unrolled: 1-line block ×3, first 2 shown]
	v_fma_f64 v[5:6], v[5:6], v[10:11], -v[12:13]
	v_fma_f64 v[7:8], v[7:8], v[10:11], -v[14:15]
	;; [unrolled: 1-line block ×3, first 2 shown]
	v_add_f64 v[16:17], v[14:15], v[5:6]
	v_add_f64 v[20:21], v[16:17], -v[14:15]
	v_add_f64 v[26:27], v[12:13], v[16:17]
	v_add_f64 v[22:23], v[16:17], -v[20:21]
	v_add_f64 v[5:6], v[5:6], -v[20:21]
	v_add_f64 v[20:21], v[24:25], v[7:8]
	v_add_f64 v[12:13], v[26:27], -v[12:13]
	v_add_f64 v[14:15], v[14:15], -v[22:23]
	v_ldexp_f64 v[22:23], v[26:27], -2
	v_add_f64 v[30:31], v[20:21], -v[24:25]
	v_add_f64 v[12:13], v[16:17], -v[12:13]
	v_add_f64 v[5:6], v[5:6], v[14:15]
	v_fract_f64_e32 v[14:15], v[22:23]
	v_cmp_neq_f64_e64 vcc, |v[22:23]|, s[0:1]
	v_add_f64 v[7:8], v[7:8], -v[30:31]
	v_add_f64 v[16:17], v[20:21], v[5:6]
	v_ldexp_f64 v[14:15], v[14:15], 2
	v_add_f64 v[22:23], v[12:13], v[16:17]
	v_cndmask_b32_e32 v15, 0, v15, vcc
	v_cndmask_b32_e32 v14, 0, v14, vcc
	v_add_f64 v[32:33], v[16:17], -v[20:21]
	v_add_f64 v[26:27], v[22:23], v[14:15]
	v_add_f64 v[12:13], v[22:23], -v[12:13]
	v_add_f64 v[34:35], v[16:17], -v[32:33]
	;; [unrolled: 1-line block ×3, first 2 shown]
	v_cmp_gt_f64_e32 vcc, 0, v[26:27]
	v_add_f64 v[26:27], v[20:21], -v[30:31]
	v_add_f64 v[12:13], v[16:17], -v[12:13]
	;; [unrolled: 1-line block ×3, first 2 shown]
	v_cndmask_b32_e32 v29, 0, v29, vcc
	v_add_f64 v[14:15], v[14:15], v[28:29]
	v_add_f64 v[26:27], v[24:25], -v[26:27]
	v_add_f64 v[5:6], v[5:6], v[20:21]
	v_add_f64 v[36:37], v[22:23], v[14:15]
	;; [unrolled: 1-line block ×3, first 2 shown]
	v_cvt_i32_f64_e32 v31, v[36:37]
	v_add_f64 v[5:6], v[7:8], v[5:6]
	v_cvt_f64_i32_e32 v[29:30], v31
	v_add_f64 v[14:15], v[14:15], -v[29:30]
	v_add_f64 v[5:6], v[10:11], v[5:6]
	v_add_f64 v[7:8], v[22:23], v[14:15]
	;; [unrolled: 1-line block ×3, first 2 shown]
	v_mov_b32_e32 v13, 0x3ff00000
	v_add_f64 v[10:11], v[7:8], -v[14:15]
	v_cmp_le_f64_e32 vcc, 0.5, v[7:8]
	v_add_f64 v[11:12], v[22:23], -v[10:11]
	v_cndmask_b32_e32 v29, 0, v13, vcc
	v_add_f64 v[7:8], v[7:8], -v[28:29]
	v_addc_co_u32_e64 v10, s[0:1], 0, v31, vcc
	s_mov_b32 s0, 0x33145c07
	s_mov_b32 s1, 0x3c91a626
	v_add_f64 v[5:6], v[5:6], v[11:12]
	v_add_f64 v[11:12], v[7:8], v[5:6]
	v_mul_f64 v[13:14], v[11:12], s[8:9]
	v_add_f64 v[7:8], v[11:12], -v[7:8]
	v_fma_f64 v[15:16], v[11:12], s[8:9], -v[13:14]
	v_add_f64 v[5:6], v[5:6], -v[7:8]
	v_fma_f64 v[7:8], v[11:12], s[0:1], v[15:16]
	v_fma_f64 v[7:8], v[5:6], s[8:9], v[7:8]
	v_add_f64 v[5:6], v[13:14], v[7:8]
	v_add_f64 v[11:12], v[5:6], -v[13:14]
	v_add_f64 v[7:8], v[7:8], -v[11:12]
.LBB7_223:
	s_andn2_saveexec_b64 s[0:1], s[10:11]
	s_cbranch_execz .LBB7_225
; %bb.224:
	s_mov_b32 s8, 0x6dc9c883
	s_mov_b32 s9, 0x3fe45f30
	v_mul_f64 v[5:6], |v[3:4]|, s[8:9]
	s_mov_b32 s8, 0x54442d18
	s_mov_b32 s9, 0xbff921fb
	;; [unrolled: 1-line block ×4, first 2 shown]
	v_rndne_f64_e32 v[10:11], v[5:6]
	v_fma_f64 v[5:6], v[10:11], s[8:9], |v[3:4]|
	v_mul_f64 v[7:8], v[10:11], s[10:11]
	s_mov_b32 s8, 0x252049c0
	s_mov_b32 s9, 0xb97b839a
	v_fma_f64 v[16:17], v[10:11], s[10:11], v[5:6]
	v_add_f64 v[12:13], v[5:6], v[7:8]
	s_mov_b32 s11, 0x3c91a626
	v_add_f64 v[14:15], v[5:6], -v[12:13]
	v_add_f64 v[12:13], v[12:13], -v[16:17]
	v_add_f64 v[5:6], v[14:15], v[7:8]
	v_fma_f64 v[7:8], v[10:11], s[10:11], v[7:8]
	v_add_f64 v[5:6], v[12:13], v[5:6]
	v_add_f64 v[5:6], v[5:6], -v[7:8]
	v_fma_f64 v[7:8], v[10:11], s[8:9], v[5:6]
	v_cvt_i32_f64_e32 v10, v[10:11]
	v_add_f64 v[5:6], v[16:17], v[7:8]
	v_add_f64 v[12:13], v[5:6], -v[16:17]
	v_add_f64 v[7:8], v[7:8], -v[12:13]
.LBB7_225:
	s_or_b64 exec, exec, s[0:1]
	v_mul_f64 v[11:12], v[5:6], v[5:6]
	v_add_f64 v[13:14], v[7:8], v[7:8]
	s_mov_b32 s0, 0xc751c08c
	s_mov_b32 s1, 0x3ef5e089
	v_and_b32_e32 v10, 1, v10
	v_cmp_eq_u32_e32 vcc, 0, v10
	s_mov_b32 s10, 0x54442d18
	s_mov_b32 s11, 0xc00921fb
	v_fma_f64 v[15:16], v[5:6], v[5:6], -v[11:12]
	v_add_f64 v[1:2], -v[1:2], 1.0
	s_mov_b64 s[8:9], exec
	v_fma_f64 v[13:14], v[5:6], v[13:14], v[15:16]
	v_add_f64 v[11:12], v[11:12], v[13:14]
	v_mov_b32_e32 v13, 0xa9a29f71
	v_mov_b32_e32 v14, 0xbf078809
	v_fma_f64 v[13:14], v[11:12], s[0:1], v[13:14]
	s_mov_b32 s0, 0x90a8aae0
	s_mov_b32 s1, 0x3f17746f
	v_fma_f64 v[13:14], v[11:12], v[13:14], s[0:1]
	s_mov_b32 s0, 0xa6fbf144
	s_mov_b32 s1, 0xbefbb44d
	;; [unrolled: 3-line block ×12, first 2 shown]
	v_fma_f64 v[13:14], v[11:12], v[13:14], s[0:1]
	s_movk_i32 s0, 0x1f8
	v_cmp_class_f64_e64 s[0:1], v[3:4], s0
	v_mul_f64 v[11:12], v[11:12], v[13:14]
	v_mul_f64 v[13:14], v[5:6], v[11:12]
	v_add_f64 v[15:16], v[5:6], v[13:14]
	v_fma_f64 v[11:12], v[5:6], v[11:12], -v[13:14]
	v_add_f64 v[5:6], v[15:16], -v[5:6]
	v_add_f64 v[7:8], v[7:8], v[11:12]
	v_add_f64 v[5:6], v[13:14], -v[5:6]
	v_add_f64 v[5:6], v[7:8], v[5:6]
	v_add_f64 v[7:8], v[15:16], v[5:6]
	v_rcp_f64_e32 v[11:12], v[7:8]
	v_fma_f64 v[13:14], -v[7:8], v[11:12], 1.0
	v_fma_f64 v[11:12], v[13:14], v[11:12], v[11:12]
	v_fma_f64 v[13:14], -v[7:8], v[11:12], 1.0
	v_fma_f64 v[11:12], v[13:14], v[11:12], v[11:12]
	v_add_f64 v[13:14], v[7:8], -v[15:16]
	v_mul_f64 v[15:16], v[7:8], v[11:12]
	v_add_f64 v[5:6], v[5:6], -v[13:14]
	v_fma_f64 v[13:14], v[11:12], v[7:8], -v[15:16]
	v_fma_f64 v[5:6], v[11:12], v[5:6], v[13:14]
	v_add_f64 v[13:14], v[15:16], v[5:6]
	v_add_f64 v[17:18], -v[13:14], 1.0
	v_add_f64 v[15:16], v[13:14], -v[15:16]
	v_add_f64 v[19:20], -v[17:18], 1.0
	v_add_f64 v[5:6], v[15:16], -v[5:6]
	v_add_f64 v[13:14], v[19:20], -v[13:14]
	v_add_f64 v[5:6], v[5:6], v[13:14]
	v_add_f64 v[5:6], v[17:18], v[5:6]
	v_mul_f64 v[5:6], v[11:12], v[5:6]
	v_add_f64 v[5:6], v[11:12], v[5:6]
	v_and_b32_e32 v11, 0x80000000, v4
	v_mov_b32_e32 v4, 0x7ff80000
	v_xor_b32_e32 v3, 0x80000000, v6
	v_cndmask_b32_e32 v5, v5, v7, vcc
	v_cndmask_b32_e32 v6, v3, v8, vcc
	v_cndmask_b32_e64 v3, 0, v5, s[0:1]
	v_xor_b32_e32 v5, v6, v11
	v_cndmask_b32_e64 v4, v4, v5, s[0:1]
	v_div_scale_f64 v[5:6], s[0:1], v[3:4], v[3:4], s[10:11]
	v_rcp_f64_e32 v[7:8], v[5:6]
	v_fma_f64 v[10:11], -v[5:6], v[7:8], 1.0
	v_fma_f64 v[7:8], v[7:8], v[10:11], v[7:8]
	v_div_scale_f64 v[10:11], vcc, s[10:11], v[3:4], s[10:11]
	v_fma_f64 v[12:13], -v[5:6], v[7:8], 1.0
	v_fma_f64 v[7:8], v[7:8], v[12:13], v[7:8]
	v_mul_f64 v[12:13], v[10:11], v[7:8]
	v_fma_f64 v[5:6], -v[5:6], v[12:13], v[10:11]
	v_div_fmas_f64 v[5:6], v[5:6], v[7:8], v[12:13]
	v_div_fixup_f64 v[3:4], v[5:6], v[3:4], s[10:11]
.LBB7_226:
	s_or_b64 exec, exec, s[6:7]
	s_orn2_b64 s[6:7], s[8:9], exec
.LBB7_227:
	s_or_b64 exec, exec, s[4:5]
	v_mov_b32_e32 v5, 0
	v_mov_b32_e32 v6, 0x7ff80000
	s_and_saveexec_b64 s[0:1], s[6:7]
	s_cbranch_execz .LBB7_239
; %bb.228:
	s_mov_b32 s6, 0
	s_mov_b32 s7, 0x40240000
	v_cmp_gt_f64_e32 vcc, s[6:7], v[1:2]
	s_and_saveexec_b64 s[4:5], vcc
	s_cbranch_execz .LBB7_232
; %bb.229:
	s_mov_b64 s[8:9], 0
.LBB7_230:                              ; =>This Inner Loop Header: Depth=1
	v_div_scale_f64 v[5:6], s[10:11], v[1:2], v[1:2], 1.0
	v_rcp_f64_e32 v[7:8], v[5:6]
	v_fma_f64 v[10:11], -v[5:6], v[7:8], 1.0
	v_fma_f64 v[7:8], v[7:8], v[10:11], v[7:8]
	v_div_scale_f64 v[10:11], vcc, 1.0, v[1:2], 1.0
	v_fma_f64 v[12:13], -v[5:6], v[7:8], 1.0
	v_fma_f64 v[7:8], v[7:8], v[12:13], v[7:8]
	v_mul_f64 v[12:13], v[10:11], v[7:8]
	v_fma_f64 v[5:6], -v[5:6], v[12:13], v[10:11]
	v_div_fmas_f64 v[5:6], v[5:6], v[7:8], v[12:13]
	v_div_fixup_f64 v[5:6], v[5:6], v[1:2], 1.0
	v_add_f64 v[1:2], v[1:2], 1.0
	v_add_f64 v[3:4], v[3:4], -v[5:6]
	v_cmp_ngt_f64_e32 vcc, s[6:7], v[1:2]
	s_or_b64 s[8:9], vcc, s[8:9]
	s_andn2_b64 exec, exec, s[8:9]
	s_cbranch_execnz .LBB7_230
; %bb.231:
	s_or_b64 exec, exec, s[8:9]
.LBB7_232:
	s_or_b64 exec, exec, s[4:5]
	s_mov_b32 s4, 0
	s_mov_b32 s5, 0x40240000
	v_cmp_neq_f64_e32 vcc, s[4:5], v[1:2]
                                        ; implicit-def: $vgpr5_vgpr6
	s_and_saveexec_b64 s[4:5], vcc
	s_xor_b64 s[4:5], exec, s[4:5]
	s_cbranch_execz .LBB7_236
; %bb.233:
	s_mov_b32 s6, 0x85d8a000
	s_mov_b32 s7, 0x43763457
	v_cmp_gt_f64_e32 vcc, s[6:7], v[1:2]
	v_mov_b32_e32 v5, 0
	v_mov_b32_e32 v6, 0
	s_and_saveexec_b64 s[6:7], vcc
	s_cbranch_execz .LBB7_235
; %bb.234:
	v_mul_f64 v[5:6], v[1:2], v[1:2]
	s_mov_b32 s10, 0x95995996
	s_mov_b32 s11, 0xbf959959
	;; [unrolled: 1-line block ×4, first 2 shown]
	v_div_scale_f64 v[7:8], s[8:9], v[5:6], v[5:6], 1.0
	v_div_scale_f64 v[14:15], vcc, 1.0, v[5:6], 1.0
	s_mov_b32 s8, 0x55555555
	s_mov_b32 s9, 0x3fb55555
	v_rcp_f64_e32 v[10:11], v[7:8]
	v_fma_f64 v[12:13], -v[7:8], v[10:11], 1.0
	v_fma_f64 v[10:11], v[10:11], v[12:13], v[10:11]
	v_fma_f64 v[12:13], -v[7:8], v[10:11], 1.0
	v_fma_f64 v[10:11], v[10:11], v[12:13], v[10:11]
	v_mul_f64 v[12:13], v[14:15], v[10:11]
	v_fma_f64 v[7:8], -v[7:8], v[12:13], v[14:15]
	v_div_fmas_f64 v[7:8], v[7:8], v[10:11], v[12:13]
	v_div_fixup_f64 v[5:6], v[7:8], v[5:6], 1.0
	v_fma_f64 v[7:8], v[5:6], 0, s[8:9]
	v_fma_f64 v[7:8], v[5:6], v[7:8], s[10:11]
	s_mov_b32 s10, 0xf07c1f08
	s_mov_b32 s11, 0x3f7f07c1
	v_fma_f64 v[7:8], v[5:6], v[7:8], s[10:11]
	s_mov_b32 s11, 0xbf711111
	s_mov_b32 s10, 0x11111111
	v_fma_f64 v[7:8], v[5:6], v[7:8], s[10:11]
	s_mov_b32 s11, 0xbf811111
	v_fma_f64 v[7:8], v[5:6], v[7:8], s[12:13]
	v_fma_f64 v[7:8], v[5:6], v[7:8], s[10:11]
	;; [unrolled: 1-line block ×3, first 2 shown]
	v_mul_f64 v[5:6], v[5:6], v[7:8]
.LBB7_235:
	s_or_b64 exec, exec, s[6:7]
	v_frexp_mant_f64_e32 v[7:8], v[1:2]
	s_mov_b32 s7, 0x3fe55555
	s_mov_b32 s6, 0x55555555
	;; [unrolled: 1-line block ×4, first 2 shown]
	v_cmp_gt_f64_e32 vcc, s[6:7], v[7:8]
	s_mov_b32 s6, 0x55555780
	v_cndmask_b32_e64 v10, 0, 1, vcc
	v_ldexp_f64 v[7:8], v[7:8], v10
	v_add_f64 v[10:11], v[7:8], 1.0
	v_add_f64 v[16:17], v[7:8], -1.0
	v_rcp_f64_e32 v[12:13], v[10:11]
	v_add_f64 v[18:19], v[10:11], -1.0
	v_add_f64 v[7:8], v[7:8], -v[18:19]
	v_fma_f64 v[14:15], -v[10:11], v[12:13], 1.0
	v_fma_f64 v[12:13], v[14:15], v[12:13], v[12:13]
	v_fma_f64 v[14:15], -v[10:11], v[12:13], 1.0
	v_fma_f64 v[12:13], v[14:15], v[12:13], v[12:13]
	v_mul_f64 v[14:15], v[16:17], v[12:13]
	v_mul_f64 v[20:21], v[10:11], v[14:15]
	v_fma_f64 v[10:11], v[14:15], v[10:11], -v[20:21]
	v_fma_f64 v[7:8], v[14:15], v[7:8], v[10:11]
	v_add_f64 v[10:11], v[20:21], v[7:8]
	v_add_f64 v[18:19], v[16:17], -v[10:11]
	v_add_f64 v[20:21], v[10:11], -v[20:21]
	;; [unrolled: 1-line block ×5, first 2 shown]
	v_mov_b32_e32 v16, 0x6b47b09a
	v_mov_b32_e32 v17, 0x3fc38538
	v_add_f64 v[7:8], v[7:8], v[10:11]
	v_add_f64 v[7:8], v[18:19], v[7:8]
	v_mul_f64 v[7:8], v[12:13], v[7:8]
	v_add_f64 v[10:11], v[14:15], v[7:8]
	v_mul_f64 v[12:13], v[10:11], v[10:11]
	v_fma_f64 v[16:17], v[12:13], s[8:9], v[16:17]
	s_mov_b32 s8, 0xd7f4df2e
	s_mov_b32 s9, 0x3fc7474d
	v_mul_f64 v[18:19], v[10:11], v[12:13]
	v_fma_f64 v[16:17], v[12:13], v[16:17], s[8:9]
	s_mov_b32 s8, 0x16291751
	s_mov_b32 s9, 0x3fcc71c0
	v_fma_f64 v[16:17], v[12:13], v[16:17], s[8:9]
	s_mov_b32 s8, 0x9b27acf1
	s_mov_b32 s9, 0x3fd24924
	;; [unrolled: 3-line block ×3, first 2 shown]
	v_fma_f64 v[16:17], v[12:13], v[16:17], s[8:9]
	v_fma_f64 v[12:13], v[12:13], v[16:17], s[6:7]
	v_ldexp_f64 v[16:17], v[10:11], 1
	v_add_f64 v[10:11], v[10:11], -v[14:15]
	s_mov_b32 s6, 0xfefa39ef
	s_mov_b32 s7, 0x3fe62e42
	v_mul_f64 v[12:13], v[18:19], v[12:13]
	v_frexp_exp_i32_f64_e32 v18, v[1:2]
	v_add_f64 v[7:8], v[7:8], -v[10:11]
	v_add_f64 v[14:15], v[16:17], v[12:13]
	v_subbrev_co_u32_e32 v18, vcc, 0, v18, vcc
	v_cvt_f64_i32_e32 v[18:19], v18
	v_ldexp_f64 v[7:8], v[7:8], 1
	v_mul_f64 v[20:21], v[18:19], s[6:7]
	v_add_f64 v[10:11], v[14:15], -v[16:17]
	v_fma_f64 v[16:17], v[18:19], s[6:7], -v[20:21]
	v_add_f64 v[10:11], v[12:13], -v[10:11]
	s_mov_b32 s6, 0x3b39803f
	s_mov_b32 s7, 0x3c7abc9e
	v_fma_f64 v[12:13], v[18:19], s[6:7], v[16:17]
	v_add_f64 v[7:8], v[7:8], v[10:11]
	v_div_scale_f64 v[10:11], s[6:7], v[1:2], v[1:2], -0.5
	s_movk_i32 s6, 0x204
	v_add_f64 v[16:17], v[20:21], v[12:13]
	v_add_f64 v[18:19], v[14:15], v[7:8]
	v_add_f64 v[20:21], v[16:17], -v[20:21]
	v_add_f64 v[22:23], v[16:17], v[18:19]
	v_rcp_f64_e32 v[24:25], v[10:11]
	v_add_f64 v[14:15], v[18:19], -v[14:15]
	v_add_f64 v[12:13], v[12:13], -v[20:21]
	;; [unrolled: 1-line block ×5, first 2 shown]
	v_fma_f64 v[30:31], -v[10:11], v[24:25], 1.0
	v_add_f64 v[14:15], v[18:19], -v[26:27]
	v_add_f64 v[20:21], v[12:13], v[7:8]
	v_add_f64 v[16:17], v[16:17], -v[28:29]
	v_fma_f64 v[18:19], v[24:25], v[30:31], v[24:25]
	v_add_f64 v[26:27], v[20:21], -v[12:13]
	v_add_f64 v[14:15], v[14:15], v[16:17]
	v_div_scale_f64 v[16:17], vcc, -0.5, v[1:2], -0.5
	v_fma_f64 v[24:25], -v[10:11], v[18:19], 1.0
	v_add_f64 v[7:8], v[7:8], -v[26:27]
	v_add_f64 v[14:15], v[20:21], v[14:15]
	v_add_f64 v[20:21], v[20:21], -v[26:27]
	v_fma_f64 v[18:19], v[18:19], v[24:25], v[18:19]
	v_add_f64 v[24:25], v[22:23], v[14:15]
	v_add_f64 v[12:13], v[12:13], -v[20:21]
	v_mul_f64 v[28:29], v[16:17], v[18:19]
	v_add_f64 v[20:21], v[24:25], -v[22:23]
	v_add_f64 v[7:8], v[7:8], v[12:13]
	v_fma_f64 v[10:11], -v[10:11], v[28:29], v[16:17]
	v_add_f64 v[12:13], v[14:15], -v[20:21]
	v_div_fmas_f64 v[10:11], v[10:11], v[18:19], v[28:29]
	v_cmp_class_f64_e64 vcc, v[1:2], s6
	v_add_f64 v[7:8], v[7:8], v[12:13]
	v_add_f64 v[7:8], v[24:25], v[7:8]
	v_div_fixup_f64 v[10:11], v[10:11], v[1:2], -0.5
	v_cndmask_b32_e32 v2, v8, v2, vcc
	v_cndmask_b32_e32 v1, v7, v1, vcc
	v_add_f64 v[1:2], v[1:2], v[10:11]
	v_add_f64 v[1:2], v[1:2], -v[5:6]
	v_add_f64 v[5:6], v[3:4], v[1:2]
                                        ; implicit-def: $vgpr3_vgpr4
.LBB7_236:
	s_andn2_saveexec_b64 s[4:5], s[4:5]
	s_cbranch_execz .LBB7_238
; %bb.237:
	s_mov_b32 s6, 0xdc85cc95
	s_mov_b32 s7, 0x40020396
	v_add_f64 v[5:6], v[3:4], s[6:7]
.LBB7_238:
	s_or_b64 exec, exec, s[4:5]
.LBB7_239:
	s_or_b64 exec, exec, s[0:1]
                                        ; implicit-def: $vgpr1_vgpr2
.LBB7_240:
	s_andn2_saveexec_b64 s[0:1], s[2:3]
; %bb.241:
	v_xor_b32_e32 v1, 0x80000000, v2
	s_brev_b32 s2, -2
	v_mov_b32_e32 v2, 0x7ff00000
	v_bfi_b32 v6, s2, v2, v1
	v_mov_b32_e32 v5, 0
; %bb.242:
	s_or_b64 exec, exec, s[0:1]
	v_add_u32_e32 v9, 0x80, v9
	global_store_dwordx2 v0, v[5:6], s[16:17]
	s_or_b64 exec, exec, s[48:49]
	v_cmp_gt_i32_e32 vcc, s55, v9
	s_and_saveexec_b64 s[48:49], vcc
	s_cbranch_execnz .LBB7_204
.LBB7_243:
	s_or_b64 exec, exec, s[48:49]
	v_cmp_gt_i32_e32 vcc, s55, v9
	s_and_saveexec_b64 s[48:49], vcc
	s_cbranch_execnz .LBB7_278
.LBB7_244:
	s_or_b64 exec, exec, s[48:49]
                                        ; implicit-def: $vgpr12
                                        ; implicit-def: $vgpr9
	s_andn2_saveexec_b64 s[0:1], s[38:39]
	s_cbranch_execnz .LBB7_8
.LBB7_245:
	s_endpgm
.LBB7_246:
	s_mov_b32 s57, 0
	v_mov_b32_e32 v0, 0
	v_mov_b32_e32 v2, 0
	;; [unrolled: 1-line block ×3, first 2 shown]
.LBB7_247:
	s_and_b32 s4, s58, 3
	s_cmp_eq_u32 s4, 0
	s_cbranch_scc1 .LBB7_250
; %bb.248:
	s_lshl_b32 s0, s57, 3
	s_add_u32 s0, s34, s0
	s_addc_u32 s1, s35, 0
	s_add_u32 s0, s0, 0xc4
	s_addc_u32 s1, s1, 0
	s_mul_i32 s2, s57, 12
	s_add_u32 s2, s34, s2
	s_addc_u32 s3, s35, 0
.LBB7_249:                              ; =>This Inner Loop Header: Depth=1
	s_load_dwordx2 s[6:7], s[2:3], 0x4
	s_load_dword s5, s[2:3], 0xc
	s_load_dwordx2 s[8:9], s[0:1], 0x0
	s_add_u32 s2, s2, 12
	s_addc_u32 s3, s3, 0
	s_waitcnt lgkmcnt(0)
	v_mul_hi_u32 v3, s7, v1
	s_add_u32 s0, s0, 8
	s_addc_u32 s1, s1, 0
	s_add_i32 s4, s4, -1
	v_add_u32_e32 v3, v1, v3
	v_lshrrev_b32_e32 v4, s5, v3
	v_mul_lo_u32 v3, v4, s6
	s_cmp_lg_u32 s4, 0
	v_sub_u32_e32 v3, v1, v3
	v_mad_u64_u32 v[0:1], s[6:7], v3, s8, v[0:1]
	v_mad_u64_u32 v[2:3], s[6:7], v3, s9, v[2:3]
	v_mov_b32_e32 v1, v4
	s_cbranch_scc1 .LBB7_249
.LBB7_250:
	s_cbranch_execnz .LBB7_253
.LBB7_251:
	s_waitcnt lgkmcnt(0)
	v_mul_hi_u32 v0, s25, v9
	s_andn2_b64 vcc, exec, s[42:43]
	v_add_u32_e32 v0, v9, v0
	v_lshrrev_b32_e32 v1, s26, v0
	v_mul_lo_u32 v0, v1, s24
	v_sub_u32_e32 v2, v9, v0
	v_mul_lo_u32 v0, v2, s20
	v_mul_lo_u32 v2, v2, s21
	s_cbranch_vccnz .LBB7_253
; %bb.252:
	v_mul_hi_u32 v3, s40, v1
	v_add_u32_e32 v3, v1, v3
	v_lshrrev_b32_e32 v3, s41, v3
	v_mul_lo_u32 v3, v3, s27
	v_sub_u32_e32 v3, v1, v3
	v_mad_u64_u32 v[0:1], s[0:1], v3, s22, v[0:1]
	v_mad_u64_u32 v[2:3], s[0:1], v3, s23, v[2:3]
.LBB7_253:
	s_waitcnt lgkmcnt(0)
	global_load_dwordx2 v[1:2], v2, s[18:19]
                                        ; implicit-def: $vgpr5_vgpr6
	s_waitcnt vmcnt(0)
	v_cmp_neq_f64_e32 vcc, 0, v[1:2]
	s_and_saveexec_b64 s[0:1], vcc
	s_xor_b64 s[2:3], exec, s[0:1]
	s_cbranch_execz .LBB7_275
; %bb.254:
	v_cmp_gt_f64_e32 vcc, 0, v[1:2]
	v_mov_b32_e32 v3, 0
	v_mov_b32_e32 v4, 0
	s_mov_b64 s[6:7], -1
	s_and_saveexec_b64 s[4:5], vcc
	s_cbranch_execz .LBB7_262
; %bb.255:
	v_trunc_f64_e32 v[5:6], v[1:2]
	v_mov_b32_e32 v3, 0
	v_mov_b32_e32 v4, 0
	s_mov_b64 s[8:9], 0
	v_cmp_neq_f64_e32 vcc, v[1:2], v[5:6]
	s_and_saveexec_b64 s[6:7], vcc
	s_cbranch_execz .LBB7_261
; %bb.256:
	v_add_f64 v[3:4], v[1:2], -v[5:6]
	s_mov_b32 s0, 0
	s_mov_b32 s9, 0xc00921fb
	;; [unrolled: 1-line block ×4, first 2 shown]
	v_cmp_neq_f64_e64 vcc, |v[1:2]|, s[0:1]
	v_bfrev_b32_e32 v5, 1
	s_mov_b32 s10, 0
	v_mul_f64 v[3:4], |v[3:4]|, s[8:9]
	s_mov_b32 s11, 0x41d00000
                                        ; implicit-def: $vgpr10
                                        ; implicit-def: $vgpr7_vgpr8
	v_cndmask_b32_e32 v4, v5, v4, vcc
	v_cndmask_b32_e32 v3, 0, v3, vcc
	v_cmp_nlt_f64_e64 s[10:11], |v[3:4]|, s[10:11]
                                        ; implicit-def: $vgpr5_vgpr6
	s_and_saveexec_b64 s[12:13], s[10:11]
	s_xor_b64 s[10:11], exec, s[12:13]
	s_cbranch_execz .LBB7_258
; %bb.257:
	v_trig_preop_f64 v[5:6], |v[3:4]|, 0
	s_mov_b32 s12, 0
	s_mov_b32 s13, 0x7b000000
	s_movk_i32 s9, 0xff80
	v_ldexp_f64 v[10:11], |v[3:4]|, s9
	v_cmp_ge_f64_e64 vcc, |v[3:4]|, s[12:13]
	v_trig_preop_f64 v[7:8], |v[3:4]|, 1
	v_and_b32_e32 v12, 0x7fffffff, v4
	v_trig_preop_f64 v[18:19], |v[3:4]|, 2
	v_mov_b32_e32 v29, 0x40100000
	v_mov_b32_e32 v28, 0
	s_mov_b32 s9, 0x3ff921fb
	v_cndmask_b32_e32 v11, v12, v11, vcc
	v_cndmask_b32_e32 v10, v3, v10, vcc
	v_mul_f64 v[12:13], v[5:6], v[10:11]
	v_mul_f64 v[14:15], v[7:8], v[10:11]
	;; [unrolled: 1-line block ×3, first 2 shown]
	v_fma_f64 v[5:6], v[5:6], v[10:11], -v[12:13]
	v_fma_f64 v[7:8], v[7:8], v[10:11], -v[14:15]
	;; [unrolled: 1-line block ×3, first 2 shown]
	v_add_f64 v[16:17], v[14:15], v[5:6]
	v_add_f64 v[20:21], v[16:17], -v[14:15]
	v_add_f64 v[26:27], v[12:13], v[16:17]
	v_add_f64 v[22:23], v[16:17], -v[20:21]
	v_add_f64 v[5:6], v[5:6], -v[20:21]
	v_add_f64 v[20:21], v[24:25], v[7:8]
	v_add_f64 v[12:13], v[26:27], -v[12:13]
	v_add_f64 v[14:15], v[14:15], -v[22:23]
	v_ldexp_f64 v[22:23], v[26:27], -2
	v_add_f64 v[30:31], v[20:21], -v[24:25]
	v_add_f64 v[12:13], v[16:17], -v[12:13]
	v_add_f64 v[5:6], v[5:6], v[14:15]
	v_fract_f64_e32 v[14:15], v[22:23]
	v_cmp_neq_f64_e64 vcc, |v[22:23]|, s[0:1]
	v_add_f64 v[7:8], v[7:8], -v[30:31]
	v_add_f64 v[16:17], v[20:21], v[5:6]
	v_ldexp_f64 v[14:15], v[14:15], 2
	v_add_f64 v[22:23], v[12:13], v[16:17]
	v_cndmask_b32_e32 v15, 0, v15, vcc
	v_cndmask_b32_e32 v14, 0, v14, vcc
	v_add_f64 v[32:33], v[16:17], -v[20:21]
	v_add_f64 v[26:27], v[22:23], v[14:15]
	v_add_f64 v[12:13], v[22:23], -v[12:13]
	v_add_f64 v[34:35], v[16:17], -v[32:33]
	;; [unrolled: 1-line block ×3, first 2 shown]
	v_cmp_gt_f64_e32 vcc, 0, v[26:27]
	v_add_f64 v[26:27], v[20:21], -v[30:31]
	v_add_f64 v[12:13], v[16:17], -v[12:13]
	;; [unrolled: 1-line block ×3, first 2 shown]
	v_cndmask_b32_e32 v29, 0, v29, vcc
	v_add_f64 v[14:15], v[14:15], v[28:29]
	v_add_f64 v[26:27], v[24:25], -v[26:27]
	v_add_f64 v[5:6], v[5:6], v[20:21]
	v_add_f64 v[36:37], v[22:23], v[14:15]
	;; [unrolled: 1-line block ×3, first 2 shown]
	v_cvt_i32_f64_e32 v31, v[36:37]
	v_add_f64 v[5:6], v[7:8], v[5:6]
	v_cvt_f64_i32_e32 v[29:30], v31
	v_add_f64 v[14:15], v[14:15], -v[29:30]
	v_add_f64 v[5:6], v[10:11], v[5:6]
	v_add_f64 v[7:8], v[22:23], v[14:15]
	;; [unrolled: 1-line block ×3, first 2 shown]
	v_mov_b32_e32 v13, 0x3ff00000
	v_add_f64 v[10:11], v[7:8], -v[14:15]
	v_cmp_le_f64_e32 vcc, 0.5, v[7:8]
	v_add_f64 v[11:12], v[22:23], -v[10:11]
	v_cndmask_b32_e32 v29, 0, v13, vcc
	v_add_f64 v[7:8], v[7:8], -v[28:29]
	v_addc_co_u32_e64 v10, s[0:1], 0, v31, vcc
	s_mov_b32 s0, 0x33145c07
	s_mov_b32 s1, 0x3c91a626
	v_add_f64 v[5:6], v[5:6], v[11:12]
	v_add_f64 v[11:12], v[7:8], v[5:6]
	v_mul_f64 v[13:14], v[11:12], s[8:9]
	v_add_f64 v[7:8], v[11:12], -v[7:8]
	v_fma_f64 v[15:16], v[11:12], s[8:9], -v[13:14]
	v_add_f64 v[5:6], v[5:6], -v[7:8]
	v_fma_f64 v[7:8], v[11:12], s[0:1], v[15:16]
	v_fma_f64 v[7:8], v[5:6], s[8:9], v[7:8]
	v_add_f64 v[5:6], v[13:14], v[7:8]
	v_add_f64 v[11:12], v[5:6], -v[13:14]
	v_add_f64 v[7:8], v[7:8], -v[11:12]
.LBB7_258:
	s_andn2_saveexec_b64 s[0:1], s[10:11]
	s_cbranch_execz .LBB7_260
; %bb.259:
	s_mov_b32 s8, 0x6dc9c883
	s_mov_b32 s9, 0x3fe45f30
	v_mul_f64 v[5:6], |v[3:4]|, s[8:9]
	s_mov_b32 s8, 0x54442d18
	s_mov_b32 s9, 0xbff921fb
	;; [unrolled: 1-line block ×4, first 2 shown]
	v_rndne_f64_e32 v[10:11], v[5:6]
	v_fma_f64 v[5:6], v[10:11], s[8:9], |v[3:4]|
	v_mul_f64 v[7:8], v[10:11], s[10:11]
	s_mov_b32 s8, 0x252049c0
	s_mov_b32 s9, 0xb97b839a
	v_fma_f64 v[16:17], v[10:11], s[10:11], v[5:6]
	v_add_f64 v[12:13], v[5:6], v[7:8]
	s_mov_b32 s11, 0x3c91a626
	v_add_f64 v[14:15], v[5:6], -v[12:13]
	v_add_f64 v[12:13], v[12:13], -v[16:17]
	v_add_f64 v[5:6], v[14:15], v[7:8]
	v_fma_f64 v[7:8], v[10:11], s[10:11], v[7:8]
	v_add_f64 v[5:6], v[12:13], v[5:6]
	v_add_f64 v[5:6], v[5:6], -v[7:8]
	v_fma_f64 v[7:8], v[10:11], s[8:9], v[5:6]
	v_cvt_i32_f64_e32 v10, v[10:11]
	v_add_f64 v[5:6], v[16:17], v[7:8]
	v_add_f64 v[12:13], v[5:6], -v[16:17]
	v_add_f64 v[7:8], v[7:8], -v[12:13]
.LBB7_260:
	s_or_b64 exec, exec, s[0:1]
	v_mul_f64 v[11:12], v[5:6], v[5:6]
	v_add_f64 v[13:14], v[7:8], v[7:8]
	s_mov_b32 s0, 0xc751c08c
	s_mov_b32 s1, 0x3ef5e089
	v_and_b32_e32 v10, 1, v10
	v_cmp_eq_u32_e32 vcc, 0, v10
	s_mov_b32 s10, 0x54442d18
	s_mov_b32 s11, 0xc00921fb
	v_fma_f64 v[15:16], v[5:6], v[5:6], -v[11:12]
	v_add_f64 v[1:2], -v[1:2], 1.0
	s_mov_b64 s[8:9], exec
	v_fma_f64 v[13:14], v[5:6], v[13:14], v[15:16]
	v_add_f64 v[11:12], v[11:12], v[13:14]
	v_mov_b32_e32 v13, 0xa9a29f71
	v_mov_b32_e32 v14, 0xbf078809
	v_fma_f64 v[13:14], v[11:12], s[0:1], v[13:14]
	s_mov_b32 s0, 0x90a8aae0
	s_mov_b32 s1, 0x3f17746f
	v_fma_f64 v[13:14], v[11:12], v[13:14], s[0:1]
	s_mov_b32 s0, 0xa6fbf144
	s_mov_b32 s1, 0xbefbb44d
	;; [unrolled: 3-line block ×12, first 2 shown]
	v_fma_f64 v[13:14], v[11:12], v[13:14], s[0:1]
	s_movk_i32 s0, 0x1f8
	v_cmp_class_f64_e64 s[0:1], v[3:4], s0
	v_mul_f64 v[11:12], v[11:12], v[13:14]
	v_mul_f64 v[13:14], v[5:6], v[11:12]
	v_add_f64 v[15:16], v[5:6], v[13:14]
	v_fma_f64 v[11:12], v[5:6], v[11:12], -v[13:14]
	v_add_f64 v[5:6], v[15:16], -v[5:6]
	v_add_f64 v[7:8], v[7:8], v[11:12]
	v_add_f64 v[5:6], v[13:14], -v[5:6]
	v_add_f64 v[5:6], v[7:8], v[5:6]
	v_add_f64 v[7:8], v[15:16], v[5:6]
	v_rcp_f64_e32 v[11:12], v[7:8]
	v_fma_f64 v[13:14], -v[7:8], v[11:12], 1.0
	v_fma_f64 v[11:12], v[13:14], v[11:12], v[11:12]
	v_fma_f64 v[13:14], -v[7:8], v[11:12], 1.0
	v_fma_f64 v[11:12], v[13:14], v[11:12], v[11:12]
	v_add_f64 v[13:14], v[7:8], -v[15:16]
	v_mul_f64 v[15:16], v[7:8], v[11:12]
	v_add_f64 v[5:6], v[5:6], -v[13:14]
	v_fma_f64 v[13:14], v[11:12], v[7:8], -v[15:16]
	v_fma_f64 v[5:6], v[11:12], v[5:6], v[13:14]
	v_add_f64 v[13:14], v[15:16], v[5:6]
	v_add_f64 v[17:18], -v[13:14], 1.0
	v_add_f64 v[15:16], v[13:14], -v[15:16]
	v_add_f64 v[19:20], -v[17:18], 1.0
	v_add_f64 v[5:6], v[15:16], -v[5:6]
	v_add_f64 v[13:14], v[19:20], -v[13:14]
	v_add_f64 v[5:6], v[5:6], v[13:14]
	v_add_f64 v[5:6], v[17:18], v[5:6]
	v_mul_f64 v[5:6], v[11:12], v[5:6]
	v_add_f64 v[5:6], v[11:12], v[5:6]
	v_and_b32_e32 v11, 0x80000000, v4
	v_mov_b32_e32 v4, 0x7ff80000
	v_xor_b32_e32 v3, 0x80000000, v6
	v_cndmask_b32_e32 v5, v5, v7, vcc
	v_cndmask_b32_e32 v6, v3, v8, vcc
	v_cndmask_b32_e64 v3, 0, v5, s[0:1]
	v_xor_b32_e32 v5, v6, v11
	v_cndmask_b32_e64 v4, v4, v5, s[0:1]
	v_div_scale_f64 v[5:6], s[0:1], v[3:4], v[3:4], s[10:11]
	v_rcp_f64_e32 v[7:8], v[5:6]
	v_fma_f64 v[10:11], -v[5:6], v[7:8], 1.0
	v_fma_f64 v[7:8], v[7:8], v[10:11], v[7:8]
	v_div_scale_f64 v[10:11], vcc, s[10:11], v[3:4], s[10:11]
	v_fma_f64 v[12:13], -v[5:6], v[7:8], 1.0
	v_fma_f64 v[7:8], v[7:8], v[12:13], v[7:8]
	v_mul_f64 v[12:13], v[10:11], v[7:8]
	v_fma_f64 v[5:6], -v[5:6], v[12:13], v[10:11]
	v_div_fmas_f64 v[5:6], v[5:6], v[7:8], v[12:13]
	v_div_fixup_f64 v[3:4], v[5:6], v[3:4], s[10:11]
.LBB7_261:
	s_or_b64 exec, exec, s[6:7]
	s_orn2_b64 s[6:7], s[8:9], exec
.LBB7_262:
	s_or_b64 exec, exec, s[4:5]
	v_mov_b32_e32 v5, 0
	v_mov_b32_e32 v6, 0x7ff80000
	s_and_saveexec_b64 s[0:1], s[6:7]
	s_cbranch_execz .LBB7_274
; %bb.263:
	s_mov_b32 s6, 0
	s_mov_b32 s7, 0x40240000
	v_cmp_gt_f64_e32 vcc, s[6:7], v[1:2]
	s_and_saveexec_b64 s[4:5], vcc
	s_cbranch_execz .LBB7_267
; %bb.264:
	s_mov_b64 s[8:9], 0
.LBB7_265:                              ; =>This Inner Loop Header: Depth=1
	v_div_scale_f64 v[5:6], s[10:11], v[1:2], v[1:2], 1.0
	v_rcp_f64_e32 v[7:8], v[5:6]
	v_fma_f64 v[10:11], -v[5:6], v[7:8], 1.0
	v_fma_f64 v[7:8], v[7:8], v[10:11], v[7:8]
	v_div_scale_f64 v[10:11], vcc, 1.0, v[1:2], 1.0
	v_fma_f64 v[12:13], -v[5:6], v[7:8], 1.0
	v_fma_f64 v[7:8], v[7:8], v[12:13], v[7:8]
	v_mul_f64 v[12:13], v[10:11], v[7:8]
	v_fma_f64 v[5:6], -v[5:6], v[12:13], v[10:11]
	v_div_fmas_f64 v[5:6], v[5:6], v[7:8], v[12:13]
	v_div_fixup_f64 v[5:6], v[5:6], v[1:2], 1.0
	v_add_f64 v[1:2], v[1:2], 1.0
	v_add_f64 v[3:4], v[3:4], -v[5:6]
	v_cmp_ngt_f64_e32 vcc, s[6:7], v[1:2]
	s_or_b64 s[8:9], vcc, s[8:9]
	s_andn2_b64 exec, exec, s[8:9]
	s_cbranch_execnz .LBB7_265
; %bb.266:
	s_or_b64 exec, exec, s[8:9]
.LBB7_267:
	s_or_b64 exec, exec, s[4:5]
	s_mov_b32 s4, 0
	s_mov_b32 s5, 0x40240000
	v_cmp_neq_f64_e32 vcc, s[4:5], v[1:2]
                                        ; implicit-def: $vgpr5_vgpr6
	s_and_saveexec_b64 s[4:5], vcc
	s_xor_b64 s[4:5], exec, s[4:5]
	s_cbranch_execz .LBB7_271
; %bb.268:
	s_mov_b32 s6, 0x85d8a000
	s_mov_b32 s7, 0x43763457
	v_cmp_gt_f64_e32 vcc, s[6:7], v[1:2]
	v_mov_b32_e32 v5, 0
	v_mov_b32_e32 v6, 0
	s_and_saveexec_b64 s[6:7], vcc
	s_cbranch_execz .LBB7_270
; %bb.269:
	v_mul_f64 v[5:6], v[1:2], v[1:2]
	s_mov_b32 s10, 0x95995996
	s_mov_b32 s11, 0xbf959959
	;; [unrolled: 1-line block ×4, first 2 shown]
	v_div_scale_f64 v[7:8], s[8:9], v[5:6], v[5:6], 1.0
	v_div_scale_f64 v[14:15], vcc, 1.0, v[5:6], 1.0
	s_mov_b32 s8, 0x55555555
	s_mov_b32 s9, 0x3fb55555
	v_rcp_f64_e32 v[10:11], v[7:8]
	v_fma_f64 v[12:13], -v[7:8], v[10:11], 1.0
	v_fma_f64 v[10:11], v[10:11], v[12:13], v[10:11]
	v_fma_f64 v[12:13], -v[7:8], v[10:11], 1.0
	v_fma_f64 v[10:11], v[10:11], v[12:13], v[10:11]
	v_mul_f64 v[12:13], v[14:15], v[10:11]
	v_fma_f64 v[7:8], -v[7:8], v[12:13], v[14:15]
	v_div_fmas_f64 v[7:8], v[7:8], v[10:11], v[12:13]
	v_div_fixup_f64 v[5:6], v[7:8], v[5:6], 1.0
	v_fma_f64 v[7:8], v[5:6], 0, s[8:9]
	v_fma_f64 v[7:8], v[5:6], v[7:8], s[10:11]
	s_mov_b32 s10, 0xf07c1f08
	s_mov_b32 s11, 0x3f7f07c1
	v_fma_f64 v[7:8], v[5:6], v[7:8], s[10:11]
	s_mov_b32 s11, 0xbf711111
	s_mov_b32 s10, 0x11111111
	v_fma_f64 v[7:8], v[5:6], v[7:8], s[10:11]
	s_mov_b32 s11, 0xbf811111
	v_fma_f64 v[7:8], v[5:6], v[7:8], s[12:13]
	v_fma_f64 v[7:8], v[5:6], v[7:8], s[10:11]
	;; [unrolled: 1-line block ×3, first 2 shown]
	v_mul_f64 v[5:6], v[5:6], v[7:8]
.LBB7_270:
	s_or_b64 exec, exec, s[6:7]
	v_frexp_mant_f64_e32 v[7:8], v[1:2]
	s_mov_b32 s7, 0x3fe55555
	s_mov_b32 s6, 0x55555555
	;; [unrolled: 1-line block ×4, first 2 shown]
	v_cmp_gt_f64_e32 vcc, s[6:7], v[7:8]
	s_mov_b32 s6, 0x55555780
	v_cndmask_b32_e64 v10, 0, 1, vcc
	v_ldexp_f64 v[7:8], v[7:8], v10
	v_add_f64 v[10:11], v[7:8], 1.0
	v_add_f64 v[16:17], v[7:8], -1.0
	v_rcp_f64_e32 v[12:13], v[10:11]
	v_add_f64 v[18:19], v[10:11], -1.0
	v_add_f64 v[7:8], v[7:8], -v[18:19]
	v_fma_f64 v[14:15], -v[10:11], v[12:13], 1.0
	v_fma_f64 v[12:13], v[14:15], v[12:13], v[12:13]
	v_fma_f64 v[14:15], -v[10:11], v[12:13], 1.0
	v_fma_f64 v[12:13], v[14:15], v[12:13], v[12:13]
	v_mul_f64 v[14:15], v[16:17], v[12:13]
	v_mul_f64 v[20:21], v[10:11], v[14:15]
	v_fma_f64 v[10:11], v[14:15], v[10:11], -v[20:21]
	v_fma_f64 v[7:8], v[14:15], v[7:8], v[10:11]
	v_add_f64 v[10:11], v[20:21], v[7:8]
	v_add_f64 v[18:19], v[16:17], -v[10:11]
	v_add_f64 v[20:21], v[10:11], -v[20:21]
	v_add_f64 v[16:17], v[16:17], -v[18:19]
	v_add_f64 v[7:8], v[20:21], -v[7:8]
	v_add_f64 v[10:11], v[16:17], -v[10:11]
	v_mov_b32_e32 v16, 0x6b47b09a
	v_mov_b32_e32 v17, 0x3fc38538
	v_add_f64 v[7:8], v[7:8], v[10:11]
	v_add_f64 v[7:8], v[18:19], v[7:8]
	v_mul_f64 v[7:8], v[12:13], v[7:8]
	v_add_f64 v[10:11], v[14:15], v[7:8]
	v_mul_f64 v[12:13], v[10:11], v[10:11]
	v_fma_f64 v[16:17], v[12:13], s[8:9], v[16:17]
	s_mov_b32 s8, 0xd7f4df2e
	s_mov_b32 s9, 0x3fc7474d
	v_mul_f64 v[18:19], v[10:11], v[12:13]
	v_fma_f64 v[16:17], v[12:13], v[16:17], s[8:9]
	s_mov_b32 s8, 0x16291751
	s_mov_b32 s9, 0x3fcc71c0
	v_fma_f64 v[16:17], v[12:13], v[16:17], s[8:9]
	s_mov_b32 s8, 0x9b27acf1
	s_mov_b32 s9, 0x3fd24924
	;; [unrolled: 3-line block ×3, first 2 shown]
	v_fma_f64 v[16:17], v[12:13], v[16:17], s[8:9]
	v_fma_f64 v[12:13], v[12:13], v[16:17], s[6:7]
	v_ldexp_f64 v[16:17], v[10:11], 1
	v_add_f64 v[10:11], v[10:11], -v[14:15]
	s_mov_b32 s6, 0xfefa39ef
	s_mov_b32 s7, 0x3fe62e42
	v_mul_f64 v[12:13], v[18:19], v[12:13]
	v_frexp_exp_i32_f64_e32 v18, v[1:2]
	v_add_f64 v[7:8], v[7:8], -v[10:11]
	v_add_f64 v[14:15], v[16:17], v[12:13]
	v_subbrev_co_u32_e32 v18, vcc, 0, v18, vcc
	v_cvt_f64_i32_e32 v[18:19], v18
	v_ldexp_f64 v[7:8], v[7:8], 1
	v_mul_f64 v[20:21], v[18:19], s[6:7]
	v_add_f64 v[10:11], v[14:15], -v[16:17]
	v_fma_f64 v[16:17], v[18:19], s[6:7], -v[20:21]
	v_add_f64 v[10:11], v[12:13], -v[10:11]
	s_mov_b32 s6, 0x3b39803f
	s_mov_b32 s7, 0x3c7abc9e
	v_fma_f64 v[12:13], v[18:19], s[6:7], v[16:17]
	v_add_f64 v[7:8], v[7:8], v[10:11]
	v_div_scale_f64 v[10:11], s[6:7], v[1:2], v[1:2], -0.5
	s_movk_i32 s6, 0x204
	v_add_f64 v[16:17], v[20:21], v[12:13]
	v_add_f64 v[18:19], v[14:15], v[7:8]
	v_add_f64 v[20:21], v[16:17], -v[20:21]
	v_add_f64 v[22:23], v[16:17], v[18:19]
	v_rcp_f64_e32 v[24:25], v[10:11]
	v_add_f64 v[14:15], v[18:19], -v[14:15]
	v_add_f64 v[12:13], v[12:13], -v[20:21]
	;; [unrolled: 1-line block ×5, first 2 shown]
	v_fma_f64 v[30:31], -v[10:11], v[24:25], 1.0
	v_add_f64 v[14:15], v[18:19], -v[26:27]
	v_add_f64 v[20:21], v[12:13], v[7:8]
	v_add_f64 v[16:17], v[16:17], -v[28:29]
	v_fma_f64 v[18:19], v[24:25], v[30:31], v[24:25]
	v_add_f64 v[26:27], v[20:21], -v[12:13]
	v_add_f64 v[14:15], v[14:15], v[16:17]
	v_div_scale_f64 v[16:17], vcc, -0.5, v[1:2], -0.5
	v_fma_f64 v[24:25], -v[10:11], v[18:19], 1.0
	v_add_f64 v[7:8], v[7:8], -v[26:27]
	v_add_f64 v[14:15], v[20:21], v[14:15]
	v_add_f64 v[20:21], v[20:21], -v[26:27]
	v_fma_f64 v[18:19], v[18:19], v[24:25], v[18:19]
	v_add_f64 v[24:25], v[22:23], v[14:15]
	v_add_f64 v[12:13], v[12:13], -v[20:21]
	v_mul_f64 v[28:29], v[16:17], v[18:19]
	v_add_f64 v[20:21], v[24:25], -v[22:23]
	v_add_f64 v[7:8], v[7:8], v[12:13]
	v_fma_f64 v[10:11], -v[10:11], v[28:29], v[16:17]
	v_add_f64 v[12:13], v[14:15], -v[20:21]
	v_div_fmas_f64 v[10:11], v[10:11], v[18:19], v[28:29]
	v_cmp_class_f64_e64 vcc, v[1:2], s6
	v_add_f64 v[7:8], v[7:8], v[12:13]
	v_add_f64 v[7:8], v[24:25], v[7:8]
	v_div_fixup_f64 v[10:11], v[10:11], v[1:2], -0.5
	v_cndmask_b32_e32 v2, v8, v2, vcc
	v_cndmask_b32_e32 v1, v7, v1, vcc
	v_add_f64 v[1:2], v[1:2], v[10:11]
	v_add_f64 v[1:2], v[1:2], -v[5:6]
	v_add_f64 v[5:6], v[3:4], v[1:2]
                                        ; implicit-def: $vgpr3_vgpr4
.LBB7_271:
	s_andn2_saveexec_b64 s[4:5], s[4:5]
	s_cbranch_execz .LBB7_273
; %bb.272:
	s_mov_b32 s6, 0xdc85cc95
	s_mov_b32 s7, 0x40020396
	v_add_f64 v[5:6], v[3:4], s[6:7]
.LBB7_273:
	s_or_b64 exec, exec, s[4:5]
.LBB7_274:
	s_or_b64 exec, exec, s[0:1]
                                        ; implicit-def: $vgpr1_vgpr2
.LBB7_275:
	s_andn2_saveexec_b64 s[0:1], s[2:3]
; %bb.276:
	v_xor_b32_e32 v1, 0x80000000, v2
	s_brev_b32 s2, -2
	v_mov_b32_e32 v2, 0x7ff00000
	v_bfi_b32 v6, s2, v2, v1
	v_mov_b32_e32 v5, 0
; %bb.277:
	s_or_b64 exec, exec, s[0:1]
	v_add_u32_e32 v9, 0x80, v9
	global_store_dwordx2 v0, v[5:6], s[16:17]
	s_or_b64 exec, exec, s[48:49]
	v_cmp_gt_i32_e32 vcc, s55, v9
	s_and_saveexec_b64 s[48:49], vcc
	s_cbranch_execz .LBB7_244
.LBB7_278:
	s_andn2_b64 vcc, exec, s[36:37]
	s_cbranch_vccnz .LBB7_283
; %bb.279:
	s_andn2_b64 vcc, exec, s[46:47]
	s_cbranch_vccnz .LBB7_284
; %bb.280:
	s_add_i32 s56, s56, 1
	s_cmp_eq_u32 s54, 2
	s_cbranch_scc1 .LBB7_285
; %bb.281:
	s_and_b32 s50, s56, 28
	v_mov_b32_e32 v2, 0
	s_mov_b32 s51, 0
	s_mov_b64 s[46:47], s[34:35]
	v_mov_b32_e32 v0, 0
	v_mov_b32_e32 v1, v9
.LBB7_282:                              ; =>This Inner Loop Header: Depth=1
	s_load_dwordx8 s[8:15], s[46:47], 0x4
	s_load_dwordx4 s[28:31], s[46:47], 0x24
	s_load_dwordx8 s[0:7], s[44:45], 0x0
	s_add_u32 s46, s46, 48
	s_addc_u32 s47, s47, 0
	s_waitcnt lgkmcnt(0)
	v_mul_hi_u32 v3, s9, v1
	s_add_i32 s51, s51, 4
	s_add_u32 s44, s44, 32
	s_addc_u32 s45, s45, 0
	v_add_u32_e32 v3, v1, v3
	v_lshrrev_b32_e32 v3, s10, v3
	v_mul_lo_u32 v4, v3, s8
	v_mul_hi_u32 v5, s12, v3
	s_cmp_eq_u32 s50, s51
	v_sub_u32_e32 v1, v1, v4
	v_add_u32_e32 v4, v3, v5
	v_mul_lo_u32 v5, v1, s0
	v_mul_lo_u32 v6, v1, s1
	v_lshrrev_b32_e32 v1, s13, v4
	v_mul_lo_u32 v4, v1, s11
	v_mul_hi_u32 v7, s15, v1
	v_sub_u32_e32 v3, v3, v4
	v_add_u32_e32 v4, v1, v7
	v_lshrrev_b32_e32 v4, s28, v4
	v_mul_hi_u32 v8, s30, v4
	v_mul_lo_u32 v10, v4, s14
	v_mul_lo_u32 v7, v3, s2
	;; [unrolled: 1-line block ×3, first 2 shown]
	v_sub_u32_e32 v10, v1, v10
	v_add_u32_e32 v1, v4, v8
	v_lshrrev_b32_e32 v1, s31, v1
	v_mul_lo_u32 v8, v1, s29
	v_mul_lo_u32 v11, v10, s4
	;; [unrolled: 1-line block ×3, first 2 shown]
	v_add3_u32 v0, v5, v0, v7
	v_sub_u32_e32 v4, v4, v8
	v_mul_lo_u32 v8, v4, s6
	v_mul_lo_u32 v4, v4, s7
	v_add3_u32 v2, v6, v2, v3
	v_add3_u32 v0, v11, v0, v8
	;; [unrolled: 1-line block ×3, first 2 shown]
	s_cbranch_scc0 .LBB7_282
	s_branch .LBB7_286
.LBB7_283:
                                        ; implicit-def: $vgpr0
                                        ; implicit-def: $vgpr2
	s_branch .LBB7_290
.LBB7_284:
	v_mov_b32_e32 v0, 0
	v_mov_b32_e32 v2, 0
	s_branch .LBB7_289
.LBB7_285:
	s_mov_b32 s50, 0
	v_mov_b32_e32 v0, 0
	v_mov_b32_e32 v2, 0
	v_mov_b32_e32 v1, v9
.LBB7_286:
	s_and_b32 s4, s56, 3
	s_cmp_eq_u32 s4, 0
	s_cbranch_scc1 .LBB7_289
; %bb.287:
	s_lshl_b32 s0, s50, 3
	s_add_u32 s0, s34, s0
	s_addc_u32 s1, s35, 0
	s_add_u32 s0, s0, 0xc4
	s_addc_u32 s1, s1, 0
	s_mul_i32 s2, s50, 12
	s_add_u32 s2, s34, s2
	s_addc_u32 s3, s35, 0
.LBB7_288:                              ; =>This Inner Loop Header: Depth=1
	s_load_dwordx2 s[6:7], s[2:3], 0x4
	s_load_dword s5, s[2:3], 0xc
	s_load_dwordx2 s[8:9], s[0:1], 0x0
	s_add_u32 s2, s2, 12
	s_addc_u32 s3, s3, 0
	s_waitcnt lgkmcnt(0)
	v_mul_hi_u32 v3, s7, v1
	s_add_u32 s0, s0, 8
	s_addc_u32 s1, s1, 0
	s_add_i32 s4, s4, -1
	v_add_u32_e32 v3, v1, v3
	v_lshrrev_b32_e32 v4, s5, v3
	v_mul_lo_u32 v3, v4, s6
	s_cmp_lg_u32 s4, 0
	v_sub_u32_e32 v3, v1, v3
	v_mad_u64_u32 v[0:1], s[6:7], v3, s8, v[0:1]
	v_mad_u64_u32 v[2:3], s[6:7], v3, s9, v[2:3]
	v_mov_b32_e32 v1, v4
	s_cbranch_scc1 .LBB7_288
.LBB7_289:
	s_cbranch_execnz .LBB7_292
.LBB7_290:
	s_waitcnt lgkmcnt(0)
	v_mul_hi_u32 v0, s25, v9
	s_andn2_b64 vcc, exec, s[42:43]
	v_add_u32_e32 v0, v9, v0
	v_lshrrev_b32_e32 v1, s26, v0
	v_mul_lo_u32 v0, v1, s24
	v_sub_u32_e32 v2, v9, v0
	v_mul_lo_u32 v0, v2, s20
	v_mul_lo_u32 v2, v2, s21
	s_cbranch_vccnz .LBB7_292
; %bb.291:
	v_mul_hi_u32 v3, s40, v1
	v_add_u32_e32 v3, v1, v3
	v_lshrrev_b32_e32 v3, s41, v3
	v_mul_lo_u32 v3, v3, s27
	v_sub_u32_e32 v3, v1, v3
	v_mad_u64_u32 v[0:1], s[0:1], v3, s22, v[0:1]
	v_mad_u64_u32 v[2:3], s[0:1], v3, s23, v[2:3]
.LBB7_292:
	s_waitcnt lgkmcnt(0)
	global_load_dwordx2 v[1:2], v2, s[18:19]
                                        ; implicit-def: $vgpr5_vgpr6
	s_waitcnt vmcnt(0)
	v_cmp_neq_f64_e32 vcc, 0, v[1:2]
	s_and_saveexec_b64 s[0:1], vcc
	s_xor_b64 s[2:3], exec, s[0:1]
	s_cbranch_execz .LBB7_314
; %bb.293:
	v_cmp_gt_f64_e32 vcc, 0, v[1:2]
	v_mov_b32_e32 v3, 0
	v_mov_b32_e32 v4, 0
	s_mov_b64 s[6:7], -1
	s_and_saveexec_b64 s[4:5], vcc
	s_cbranch_execz .LBB7_301
; %bb.294:
	v_trunc_f64_e32 v[5:6], v[1:2]
	v_mov_b32_e32 v3, 0
	v_mov_b32_e32 v4, 0
	s_mov_b64 s[8:9], 0
	v_cmp_neq_f64_e32 vcc, v[1:2], v[5:6]
	s_and_saveexec_b64 s[6:7], vcc
	s_cbranch_execz .LBB7_300
; %bb.295:
	v_add_f64 v[3:4], v[1:2], -v[5:6]
	s_mov_b32 s0, 0
	s_mov_b32 s9, 0xc00921fb
	;; [unrolled: 1-line block ×4, first 2 shown]
	v_cmp_neq_f64_e64 vcc, |v[1:2]|, s[0:1]
	v_bfrev_b32_e32 v5, 1
	s_mov_b32 s10, 0
	v_mul_f64 v[3:4], |v[3:4]|, s[8:9]
	s_mov_b32 s11, 0x41d00000
                                        ; implicit-def: $vgpr9
                                        ; implicit-def: $vgpr7_vgpr8
	v_cndmask_b32_e32 v4, v5, v4, vcc
	v_cndmask_b32_e32 v3, 0, v3, vcc
	v_cmp_nlt_f64_e64 s[10:11], |v[3:4]|, s[10:11]
                                        ; implicit-def: $vgpr5_vgpr6
	s_and_saveexec_b64 s[12:13], s[10:11]
	s_xor_b64 s[10:11], exec, s[12:13]
	s_cbranch_execz .LBB7_297
; %bb.296:
	v_trig_preop_f64 v[5:6], |v[3:4]|, 0
	s_mov_b32 s12, 0
	s_mov_b32 s13, 0x7b000000
	s_movk_i32 s9, 0xff80
	v_ldexp_f64 v[9:10], |v[3:4]|, s9
	v_cmp_ge_f64_e64 vcc, |v[3:4]|, s[12:13]
	v_trig_preop_f64 v[7:8], |v[3:4]|, 1
	v_and_b32_e32 v11, 0x7fffffff, v4
	v_trig_preop_f64 v[17:18], |v[3:4]|, 2
	v_mov_b32_e32 v28, 0x40100000
	v_mov_b32_e32 v27, 0
	s_mov_b32 s9, 0x3ff921fb
	v_cndmask_b32_e32 v10, v11, v10, vcc
	v_cndmask_b32_e32 v9, v3, v9, vcc
	v_mul_f64 v[11:12], v[5:6], v[9:10]
	v_mul_f64 v[13:14], v[7:8], v[9:10]
	;; [unrolled: 1-line block ×3, first 2 shown]
	v_fma_f64 v[5:6], v[5:6], v[9:10], -v[11:12]
	v_fma_f64 v[7:8], v[7:8], v[9:10], -v[13:14]
	;; [unrolled: 1-line block ×3, first 2 shown]
	v_add_f64 v[15:16], v[13:14], v[5:6]
	v_add_f64 v[19:20], v[15:16], -v[13:14]
	v_add_f64 v[25:26], v[11:12], v[15:16]
	v_add_f64 v[21:22], v[15:16], -v[19:20]
	v_add_f64 v[5:6], v[5:6], -v[19:20]
	v_add_f64 v[19:20], v[23:24], v[7:8]
	v_add_f64 v[11:12], v[25:26], -v[11:12]
	v_add_f64 v[13:14], v[13:14], -v[21:22]
	v_ldexp_f64 v[21:22], v[25:26], -2
	v_add_f64 v[29:30], v[19:20], -v[23:24]
	v_add_f64 v[11:12], v[15:16], -v[11:12]
	v_add_f64 v[5:6], v[5:6], v[13:14]
	v_fract_f64_e32 v[13:14], v[21:22]
	v_cmp_neq_f64_e64 vcc, |v[21:22]|, s[0:1]
	v_add_f64 v[7:8], v[7:8], -v[29:30]
	v_add_f64 v[15:16], v[19:20], v[5:6]
	v_ldexp_f64 v[13:14], v[13:14], 2
	v_add_f64 v[21:22], v[11:12], v[15:16]
	v_cndmask_b32_e32 v14, 0, v14, vcc
	v_cndmask_b32_e32 v13, 0, v13, vcc
	v_add_f64 v[31:32], v[15:16], -v[19:20]
	v_add_f64 v[25:26], v[21:22], v[13:14]
	v_add_f64 v[11:12], v[21:22], -v[11:12]
	v_add_f64 v[33:34], v[15:16], -v[31:32]
	;; [unrolled: 1-line block ×3, first 2 shown]
	v_cmp_gt_f64_e32 vcc, 0, v[25:26]
	v_add_f64 v[25:26], v[19:20], -v[29:30]
	v_add_f64 v[11:12], v[15:16], -v[11:12]
	;; [unrolled: 1-line block ×3, first 2 shown]
	v_cndmask_b32_e32 v28, 0, v28, vcc
	v_add_f64 v[13:14], v[13:14], v[27:28]
	v_add_f64 v[25:26], v[23:24], -v[25:26]
	v_add_f64 v[5:6], v[5:6], v[19:20]
	v_add_f64 v[35:36], v[21:22], v[13:14]
	;; [unrolled: 1-line block ×3, first 2 shown]
	v_cvt_i32_f64_e32 v30, v[35:36]
	v_add_f64 v[5:6], v[7:8], v[5:6]
	v_cvt_f64_i32_e32 v[28:29], v30
	v_add_f64 v[13:14], v[13:14], -v[28:29]
	v_add_f64 v[5:6], v[9:10], v[5:6]
	v_add_f64 v[7:8], v[21:22], v[13:14]
	;; [unrolled: 1-line block ×3, first 2 shown]
	v_mov_b32_e32 v12, 0x3ff00000
	v_add_f64 v[9:10], v[7:8], -v[13:14]
	v_cmp_le_f64_e32 vcc, 0.5, v[7:8]
	v_add_f64 v[10:11], v[21:22], -v[9:10]
	v_cndmask_b32_e32 v28, 0, v12, vcc
	v_add_f64 v[7:8], v[7:8], -v[27:28]
	v_addc_co_u32_e64 v9, s[0:1], 0, v30, vcc
	s_mov_b32 s0, 0x33145c07
	s_mov_b32 s1, 0x3c91a626
	v_add_f64 v[5:6], v[5:6], v[10:11]
	v_add_f64 v[10:11], v[7:8], v[5:6]
	v_mul_f64 v[12:13], v[10:11], s[8:9]
	v_add_f64 v[7:8], v[10:11], -v[7:8]
	v_fma_f64 v[14:15], v[10:11], s[8:9], -v[12:13]
	v_add_f64 v[5:6], v[5:6], -v[7:8]
	v_fma_f64 v[7:8], v[10:11], s[0:1], v[14:15]
	v_fma_f64 v[7:8], v[5:6], s[8:9], v[7:8]
	v_add_f64 v[5:6], v[12:13], v[7:8]
	v_add_f64 v[10:11], v[5:6], -v[12:13]
	v_add_f64 v[7:8], v[7:8], -v[10:11]
.LBB7_297:
	s_andn2_saveexec_b64 s[0:1], s[10:11]
	s_cbranch_execz .LBB7_299
; %bb.298:
	s_mov_b32 s8, 0x6dc9c883
	s_mov_b32 s9, 0x3fe45f30
	v_mul_f64 v[5:6], |v[3:4]|, s[8:9]
	s_mov_b32 s8, 0x54442d18
	s_mov_b32 s9, 0xbff921fb
	;; [unrolled: 1-line block ×4, first 2 shown]
	v_rndne_f64_e32 v[9:10], v[5:6]
	v_fma_f64 v[5:6], v[9:10], s[8:9], |v[3:4]|
	v_mul_f64 v[7:8], v[9:10], s[10:11]
	s_mov_b32 s8, 0x252049c0
	s_mov_b32 s9, 0xb97b839a
	v_fma_f64 v[15:16], v[9:10], s[10:11], v[5:6]
	v_add_f64 v[11:12], v[5:6], v[7:8]
	s_mov_b32 s11, 0x3c91a626
	v_add_f64 v[13:14], v[5:6], -v[11:12]
	v_add_f64 v[11:12], v[11:12], -v[15:16]
	v_add_f64 v[5:6], v[13:14], v[7:8]
	v_fma_f64 v[7:8], v[9:10], s[10:11], v[7:8]
	v_add_f64 v[5:6], v[11:12], v[5:6]
	v_add_f64 v[5:6], v[5:6], -v[7:8]
	v_fma_f64 v[7:8], v[9:10], s[8:9], v[5:6]
	v_cvt_i32_f64_e32 v9, v[9:10]
	v_add_f64 v[5:6], v[15:16], v[7:8]
	v_add_f64 v[11:12], v[5:6], -v[15:16]
	v_add_f64 v[7:8], v[7:8], -v[11:12]
.LBB7_299:
	s_or_b64 exec, exec, s[0:1]
	v_mul_f64 v[10:11], v[5:6], v[5:6]
	v_add_f64 v[12:13], v[7:8], v[7:8]
	s_mov_b32 s0, 0xc751c08c
	s_mov_b32 s1, 0x3ef5e089
	v_and_b32_e32 v9, 1, v9
	v_cmp_eq_u32_e32 vcc, 0, v9
	s_mov_b32 s10, 0x54442d18
	s_mov_b32 s11, 0xc00921fb
	v_fma_f64 v[14:15], v[5:6], v[5:6], -v[10:11]
	v_add_f64 v[1:2], -v[1:2], 1.0
	s_mov_b64 s[8:9], exec
	v_fma_f64 v[12:13], v[5:6], v[12:13], v[14:15]
	v_add_f64 v[10:11], v[10:11], v[12:13]
	v_mov_b32_e32 v12, 0xa9a29f71
	v_mov_b32_e32 v13, 0xbf078809
	v_fma_f64 v[12:13], v[10:11], s[0:1], v[12:13]
	s_mov_b32 s0, 0x90a8aae0
	s_mov_b32 s1, 0x3f17746f
	v_fma_f64 v[12:13], v[10:11], v[12:13], s[0:1]
	s_mov_b32 s0, 0xa6fbf144
	s_mov_b32 s1, 0xbefbb44d
	;; [unrolled: 3-line block ×12, first 2 shown]
	v_fma_f64 v[12:13], v[10:11], v[12:13], s[0:1]
	s_movk_i32 s0, 0x1f8
	v_cmp_class_f64_e64 s[0:1], v[3:4], s0
	v_mul_f64 v[10:11], v[10:11], v[12:13]
	v_mul_f64 v[12:13], v[5:6], v[10:11]
	v_add_f64 v[14:15], v[5:6], v[12:13]
	v_fma_f64 v[10:11], v[5:6], v[10:11], -v[12:13]
	v_add_f64 v[5:6], v[14:15], -v[5:6]
	v_add_f64 v[7:8], v[7:8], v[10:11]
	v_add_f64 v[5:6], v[12:13], -v[5:6]
	v_add_f64 v[5:6], v[7:8], v[5:6]
	v_add_f64 v[7:8], v[14:15], v[5:6]
	v_rcp_f64_e32 v[10:11], v[7:8]
	v_fma_f64 v[12:13], -v[7:8], v[10:11], 1.0
	v_fma_f64 v[10:11], v[12:13], v[10:11], v[10:11]
	v_fma_f64 v[12:13], -v[7:8], v[10:11], 1.0
	v_fma_f64 v[10:11], v[12:13], v[10:11], v[10:11]
	v_add_f64 v[12:13], v[7:8], -v[14:15]
	v_mul_f64 v[14:15], v[7:8], v[10:11]
	v_add_f64 v[5:6], v[5:6], -v[12:13]
	v_fma_f64 v[12:13], v[10:11], v[7:8], -v[14:15]
	v_fma_f64 v[5:6], v[10:11], v[5:6], v[12:13]
	v_add_f64 v[12:13], v[14:15], v[5:6]
	v_add_f64 v[16:17], -v[12:13], 1.0
	v_add_f64 v[14:15], v[12:13], -v[14:15]
	v_add_f64 v[18:19], -v[16:17], 1.0
	v_add_f64 v[5:6], v[14:15], -v[5:6]
	v_add_f64 v[12:13], v[18:19], -v[12:13]
	v_add_f64 v[5:6], v[5:6], v[12:13]
	v_add_f64 v[5:6], v[16:17], v[5:6]
	v_mul_f64 v[5:6], v[10:11], v[5:6]
	v_add_f64 v[5:6], v[10:11], v[5:6]
	v_and_b32_e32 v10, 0x80000000, v4
	v_mov_b32_e32 v4, 0x7ff80000
	v_xor_b32_e32 v3, 0x80000000, v6
	v_cndmask_b32_e32 v5, v5, v7, vcc
	v_cndmask_b32_e32 v6, v3, v8, vcc
	v_cndmask_b32_e64 v3, 0, v5, s[0:1]
	v_xor_b32_e32 v5, v6, v10
	v_cndmask_b32_e64 v4, v4, v5, s[0:1]
	v_div_scale_f64 v[5:6], s[0:1], v[3:4], v[3:4], s[10:11]
	v_rcp_f64_e32 v[7:8], v[5:6]
	v_fma_f64 v[9:10], -v[5:6], v[7:8], 1.0
	v_fma_f64 v[7:8], v[7:8], v[9:10], v[7:8]
	v_div_scale_f64 v[9:10], vcc, s[10:11], v[3:4], s[10:11]
	v_fma_f64 v[11:12], -v[5:6], v[7:8], 1.0
	v_fma_f64 v[7:8], v[7:8], v[11:12], v[7:8]
	v_mul_f64 v[11:12], v[9:10], v[7:8]
	v_fma_f64 v[5:6], -v[5:6], v[11:12], v[9:10]
	v_div_fmas_f64 v[5:6], v[5:6], v[7:8], v[11:12]
	v_div_fixup_f64 v[3:4], v[5:6], v[3:4], s[10:11]
.LBB7_300:
	s_or_b64 exec, exec, s[6:7]
	s_orn2_b64 s[6:7], s[8:9], exec
.LBB7_301:
	s_or_b64 exec, exec, s[4:5]
	v_mov_b32_e32 v5, 0
	v_mov_b32_e32 v6, 0x7ff80000
	s_and_saveexec_b64 s[0:1], s[6:7]
	s_cbranch_execz .LBB7_313
; %bb.302:
	s_mov_b32 s6, 0
	s_mov_b32 s7, 0x40240000
	v_cmp_gt_f64_e32 vcc, s[6:7], v[1:2]
	s_and_saveexec_b64 s[4:5], vcc
	s_cbranch_execz .LBB7_306
; %bb.303:
	s_mov_b64 s[8:9], 0
.LBB7_304:                              ; =>This Inner Loop Header: Depth=1
	v_div_scale_f64 v[5:6], s[10:11], v[1:2], v[1:2], 1.0
	v_rcp_f64_e32 v[7:8], v[5:6]
	v_fma_f64 v[9:10], -v[5:6], v[7:8], 1.0
	v_fma_f64 v[7:8], v[7:8], v[9:10], v[7:8]
	v_div_scale_f64 v[9:10], vcc, 1.0, v[1:2], 1.0
	v_fma_f64 v[11:12], -v[5:6], v[7:8], 1.0
	v_fma_f64 v[7:8], v[7:8], v[11:12], v[7:8]
	v_mul_f64 v[11:12], v[9:10], v[7:8]
	v_fma_f64 v[5:6], -v[5:6], v[11:12], v[9:10]
	v_div_fmas_f64 v[5:6], v[5:6], v[7:8], v[11:12]
	v_div_fixup_f64 v[5:6], v[5:6], v[1:2], 1.0
	v_add_f64 v[1:2], v[1:2], 1.0
	v_add_f64 v[3:4], v[3:4], -v[5:6]
	v_cmp_ngt_f64_e32 vcc, s[6:7], v[1:2]
	s_or_b64 s[8:9], vcc, s[8:9]
	s_andn2_b64 exec, exec, s[8:9]
	s_cbranch_execnz .LBB7_304
; %bb.305:
	s_or_b64 exec, exec, s[8:9]
.LBB7_306:
	s_or_b64 exec, exec, s[4:5]
	s_mov_b32 s4, 0
	s_mov_b32 s5, 0x40240000
	v_cmp_neq_f64_e32 vcc, s[4:5], v[1:2]
                                        ; implicit-def: $vgpr5_vgpr6
	s_and_saveexec_b64 s[4:5], vcc
	s_xor_b64 s[4:5], exec, s[4:5]
	s_cbranch_execz .LBB7_310
; %bb.307:
	s_mov_b32 s6, 0x85d8a000
	s_mov_b32 s7, 0x43763457
	v_cmp_gt_f64_e32 vcc, s[6:7], v[1:2]
	v_mov_b32_e32 v5, 0
	v_mov_b32_e32 v6, 0
	s_and_saveexec_b64 s[6:7], vcc
	s_cbranch_execz .LBB7_309
; %bb.308:
	v_mul_f64 v[5:6], v[1:2], v[1:2]
	s_mov_b32 s10, 0x95995996
	s_mov_b32 s11, 0xbf959959
	;; [unrolled: 1-line block ×4, first 2 shown]
	v_div_scale_f64 v[7:8], s[8:9], v[5:6], v[5:6], 1.0
	v_div_scale_f64 v[13:14], vcc, 1.0, v[5:6], 1.0
	s_mov_b32 s8, 0x55555555
	s_mov_b32 s9, 0x3fb55555
	v_rcp_f64_e32 v[9:10], v[7:8]
	v_fma_f64 v[11:12], -v[7:8], v[9:10], 1.0
	v_fma_f64 v[9:10], v[9:10], v[11:12], v[9:10]
	v_fma_f64 v[11:12], -v[7:8], v[9:10], 1.0
	v_fma_f64 v[9:10], v[9:10], v[11:12], v[9:10]
	v_mul_f64 v[11:12], v[13:14], v[9:10]
	v_fma_f64 v[7:8], -v[7:8], v[11:12], v[13:14]
	v_div_fmas_f64 v[7:8], v[7:8], v[9:10], v[11:12]
	v_div_fixup_f64 v[5:6], v[7:8], v[5:6], 1.0
	v_fma_f64 v[7:8], v[5:6], 0, s[8:9]
	v_fma_f64 v[7:8], v[5:6], v[7:8], s[10:11]
	s_mov_b32 s10, 0xf07c1f08
	s_mov_b32 s11, 0x3f7f07c1
	v_fma_f64 v[7:8], v[5:6], v[7:8], s[10:11]
	s_mov_b32 s11, 0xbf711111
	s_mov_b32 s10, 0x11111111
	v_fma_f64 v[7:8], v[5:6], v[7:8], s[10:11]
	s_mov_b32 s11, 0xbf811111
	v_fma_f64 v[7:8], v[5:6], v[7:8], s[12:13]
	v_fma_f64 v[7:8], v[5:6], v[7:8], s[10:11]
	;; [unrolled: 1-line block ×3, first 2 shown]
	v_mul_f64 v[5:6], v[5:6], v[7:8]
.LBB7_309:
	s_or_b64 exec, exec, s[6:7]
	v_frexp_mant_f64_e32 v[7:8], v[1:2]
	s_mov_b32 s7, 0x3fe55555
	s_mov_b32 s6, 0x55555555
	;; [unrolled: 1-line block ×4, first 2 shown]
	v_cmp_gt_f64_e32 vcc, s[6:7], v[7:8]
	s_mov_b32 s6, 0x55555780
	v_cndmask_b32_e64 v9, 0, 1, vcc
	v_ldexp_f64 v[7:8], v[7:8], v9
	v_add_f64 v[9:10], v[7:8], 1.0
	v_add_f64 v[15:16], v[7:8], -1.0
	v_rcp_f64_e32 v[11:12], v[9:10]
	v_add_f64 v[17:18], v[9:10], -1.0
	v_add_f64 v[7:8], v[7:8], -v[17:18]
	v_fma_f64 v[13:14], -v[9:10], v[11:12], 1.0
	v_fma_f64 v[11:12], v[13:14], v[11:12], v[11:12]
	v_fma_f64 v[13:14], -v[9:10], v[11:12], 1.0
	v_fma_f64 v[11:12], v[13:14], v[11:12], v[11:12]
	v_mul_f64 v[13:14], v[15:16], v[11:12]
	v_mul_f64 v[19:20], v[9:10], v[13:14]
	v_fma_f64 v[9:10], v[13:14], v[9:10], -v[19:20]
	v_fma_f64 v[7:8], v[13:14], v[7:8], v[9:10]
	v_add_f64 v[9:10], v[19:20], v[7:8]
	v_add_f64 v[17:18], v[15:16], -v[9:10]
	v_add_f64 v[19:20], v[9:10], -v[19:20]
	;; [unrolled: 1-line block ×5, first 2 shown]
	v_mov_b32_e32 v15, 0x6b47b09a
	v_mov_b32_e32 v16, 0x3fc38538
	v_add_f64 v[7:8], v[7:8], v[9:10]
	v_add_f64 v[7:8], v[17:18], v[7:8]
	v_mul_f64 v[7:8], v[11:12], v[7:8]
	v_add_f64 v[9:10], v[13:14], v[7:8]
	v_mul_f64 v[11:12], v[9:10], v[9:10]
	v_fma_f64 v[15:16], v[11:12], s[8:9], v[15:16]
	s_mov_b32 s8, 0xd7f4df2e
	s_mov_b32 s9, 0x3fc7474d
	v_mul_f64 v[17:18], v[9:10], v[11:12]
	v_fma_f64 v[15:16], v[11:12], v[15:16], s[8:9]
	s_mov_b32 s8, 0x16291751
	s_mov_b32 s9, 0x3fcc71c0
	v_fma_f64 v[15:16], v[11:12], v[15:16], s[8:9]
	s_mov_b32 s8, 0x9b27acf1
	s_mov_b32 s9, 0x3fd24924
	;; [unrolled: 3-line block ×3, first 2 shown]
	v_fma_f64 v[15:16], v[11:12], v[15:16], s[8:9]
	v_fma_f64 v[11:12], v[11:12], v[15:16], s[6:7]
	v_ldexp_f64 v[15:16], v[9:10], 1
	v_add_f64 v[9:10], v[9:10], -v[13:14]
	s_mov_b32 s6, 0xfefa39ef
	s_mov_b32 s7, 0x3fe62e42
	v_mul_f64 v[11:12], v[17:18], v[11:12]
	v_frexp_exp_i32_f64_e32 v17, v[1:2]
	v_add_f64 v[7:8], v[7:8], -v[9:10]
	v_add_f64 v[13:14], v[15:16], v[11:12]
	v_subbrev_co_u32_e32 v17, vcc, 0, v17, vcc
	v_cvt_f64_i32_e32 v[17:18], v17
	v_ldexp_f64 v[7:8], v[7:8], 1
	v_mul_f64 v[19:20], v[17:18], s[6:7]
	v_add_f64 v[9:10], v[13:14], -v[15:16]
	v_fma_f64 v[15:16], v[17:18], s[6:7], -v[19:20]
	v_add_f64 v[9:10], v[11:12], -v[9:10]
	s_mov_b32 s6, 0x3b39803f
	s_mov_b32 s7, 0x3c7abc9e
	v_fma_f64 v[11:12], v[17:18], s[6:7], v[15:16]
	v_add_f64 v[7:8], v[7:8], v[9:10]
	v_div_scale_f64 v[9:10], s[6:7], v[1:2], v[1:2], -0.5
	s_movk_i32 s6, 0x204
	v_add_f64 v[15:16], v[19:20], v[11:12]
	v_add_f64 v[17:18], v[13:14], v[7:8]
	v_add_f64 v[19:20], v[15:16], -v[19:20]
	v_add_f64 v[21:22], v[15:16], v[17:18]
	v_rcp_f64_e32 v[23:24], v[9:10]
	v_add_f64 v[13:14], v[17:18], -v[13:14]
	v_add_f64 v[11:12], v[11:12], -v[19:20]
	;; [unrolled: 1-line block ×5, first 2 shown]
	v_fma_f64 v[29:30], -v[9:10], v[23:24], 1.0
	v_add_f64 v[13:14], v[17:18], -v[25:26]
	v_add_f64 v[19:20], v[11:12], v[7:8]
	v_add_f64 v[15:16], v[15:16], -v[27:28]
	v_fma_f64 v[17:18], v[23:24], v[29:30], v[23:24]
	v_add_f64 v[25:26], v[19:20], -v[11:12]
	v_add_f64 v[13:14], v[13:14], v[15:16]
	v_div_scale_f64 v[15:16], vcc, -0.5, v[1:2], -0.5
	v_fma_f64 v[23:24], -v[9:10], v[17:18], 1.0
	v_add_f64 v[7:8], v[7:8], -v[25:26]
	v_add_f64 v[13:14], v[19:20], v[13:14]
	v_add_f64 v[19:20], v[19:20], -v[25:26]
	v_fma_f64 v[17:18], v[17:18], v[23:24], v[17:18]
	v_add_f64 v[23:24], v[21:22], v[13:14]
	v_add_f64 v[11:12], v[11:12], -v[19:20]
	v_mul_f64 v[27:28], v[15:16], v[17:18]
	v_add_f64 v[19:20], v[23:24], -v[21:22]
	v_add_f64 v[7:8], v[7:8], v[11:12]
	v_fma_f64 v[9:10], -v[9:10], v[27:28], v[15:16]
	v_add_f64 v[11:12], v[13:14], -v[19:20]
	v_div_fmas_f64 v[9:10], v[9:10], v[17:18], v[27:28]
	v_cmp_class_f64_e64 vcc, v[1:2], s6
	v_add_f64 v[7:8], v[7:8], v[11:12]
	v_add_f64 v[7:8], v[23:24], v[7:8]
	v_div_fixup_f64 v[9:10], v[9:10], v[1:2], -0.5
	v_cndmask_b32_e32 v2, v8, v2, vcc
	v_cndmask_b32_e32 v1, v7, v1, vcc
	v_add_f64 v[1:2], v[1:2], v[9:10]
	v_add_f64 v[1:2], v[1:2], -v[5:6]
	v_add_f64 v[5:6], v[3:4], v[1:2]
                                        ; implicit-def: $vgpr3_vgpr4
.LBB7_310:
	s_andn2_saveexec_b64 s[4:5], s[4:5]
	s_cbranch_execz .LBB7_312
; %bb.311:
	s_mov_b32 s6, 0xdc85cc95
	s_mov_b32 s7, 0x40020396
	v_add_f64 v[5:6], v[3:4], s[6:7]
.LBB7_312:
	s_or_b64 exec, exec, s[4:5]
.LBB7_313:
	s_or_b64 exec, exec, s[0:1]
                                        ; implicit-def: $vgpr1_vgpr2
.LBB7_314:
	s_andn2_saveexec_b64 s[0:1], s[2:3]
; %bb.315:
	v_xor_b32_e32 v1, 0x80000000, v2
	s_brev_b32 s2, -2
	v_mov_b32_e32 v2, 0x7ff00000
	v_bfi_b32 v6, s2, v2, v1
	v_mov_b32_e32 v5, 0
; %bb.316:
	s_or_b64 exec, exec, s[0:1]
	global_store_dwordx2 v0, v[5:6], s[16:17]
	s_or_b64 exec, exec, s[48:49]
                                        ; implicit-def: $vgpr12
                                        ; implicit-def: $vgpr9
	s_andn2_saveexec_b64 s[0:1], s[38:39]
	s_cbranch_execz .LBB7_245
	s_branch .LBB7_8
	.section	.rodata,"a",@progbits
	.p2align	6, 0x0
	.amdhsa_kernel _ZN2at6native32elementwise_kernel_manual_unrollILi128ELi4EZNS0_22gpu_kernel_impl_nocastIZZZNS0_19digamma_kernel_cudaERNS_18TensorIteratorBaseEENKUlvE_clEvENKUlvE_clEvEUldE_EEvS4_RKT_EUlibE_EEviT1_
		.amdhsa_group_segment_fixed_size 0
		.amdhsa_private_segment_fixed_size 0
		.amdhsa_kernarg_size 360
		.amdhsa_user_sgpr_count 6
		.amdhsa_user_sgpr_private_segment_buffer 1
		.amdhsa_user_sgpr_dispatch_ptr 0
		.amdhsa_user_sgpr_queue_ptr 0
		.amdhsa_user_sgpr_kernarg_segment_ptr 1
		.amdhsa_user_sgpr_dispatch_id 0
		.amdhsa_user_sgpr_flat_scratch_init 0
		.amdhsa_user_sgpr_private_segment_size 0
		.amdhsa_uses_dynamic_stack 0
		.amdhsa_system_sgpr_private_segment_wavefront_offset 0
		.amdhsa_system_sgpr_workgroup_id_x 1
		.amdhsa_system_sgpr_workgroup_id_y 0
		.amdhsa_system_sgpr_workgroup_id_z 0
		.amdhsa_system_sgpr_workgroup_info 0
		.amdhsa_system_vgpr_workitem_id 0
		.amdhsa_next_free_vgpr 47
		.amdhsa_next_free_sgpr 60
		.amdhsa_reserve_vcc 1
		.amdhsa_reserve_flat_scratch 0
		.amdhsa_float_round_mode_32 0
		.amdhsa_float_round_mode_16_64 0
		.amdhsa_float_denorm_mode_32 3
		.amdhsa_float_denorm_mode_16_64 3
		.amdhsa_dx10_clamp 1
		.amdhsa_ieee_mode 1
		.amdhsa_fp16_overflow 0
		.amdhsa_exception_fp_ieee_invalid_op 0
		.amdhsa_exception_fp_denorm_src 0
		.amdhsa_exception_fp_ieee_div_zero 0
		.amdhsa_exception_fp_ieee_overflow 0
		.amdhsa_exception_fp_ieee_underflow 0
		.amdhsa_exception_fp_ieee_inexact 0
		.amdhsa_exception_int_div_zero 0
	.end_amdhsa_kernel
	.section	.text._ZN2at6native32elementwise_kernel_manual_unrollILi128ELi4EZNS0_22gpu_kernel_impl_nocastIZZZNS0_19digamma_kernel_cudaERNS_18TensorIteratorBaseEENKUlvE_clEvENKUlvE_clEvEUldE_EEvS4_RKT_EUlibE_EEviT1_,"axG",@progbits,_ZN2at6native32elementwise_kernel_manual_unrollILi128ELi4EZNS0_22gpu_kernel_impl_nocastIZZZNS0_19digamma_kernel_cudaERNS_18TensorIteratorBaseEENKUlvE_clEvENKUlvE_clEvEUldE_EEvS4_RKT_EUlibE_EEviT1_,comdat
.Lfunc_end7:
	.size	_ZN2at6native32elementwise_kernel_manual_unrollILi128ELi4EZNS0_22gpu_kernel_impl_nocastIZZZNS0_19digamma_kernel_cudaERNS_18TensorIteratorBaseEENKUlvE_clEvENKUlvE_clEvEUldE_EEvS4_RKT_EUlibE_EEviT1_, .Lfunc_end7-_ZN2at6native32elementwise_kernel_manual_unrollILi128ELi4EZNS0_22gpu_kernel_impl_nocastIZZZNS0_19digamma_kernel_cudaERNS_18TensorIteratorBaseEENKUlvE_clEvENKUlvE_clEvEUldE_EEvS4_RKT_EUlibE_EEviT1_
                                        ; -- End function
	.set _ZN2at6native32elementwise_kernel_manual_unrollILi128ELi4EZNS0_22gpu_kernel_impl_nocastIZZZNS0_19digamma_kernel_cudaERNS_18TensorIteratorBaseEENKUlvE_clEvENKUlvE_clEvEUldE_EEvS4_RKT_EUlibE_EEviT1_.num_vgpr, 47
	.set _ZN2at6native32elementwise_kernel_manual_unrollILi128ELi4EZNS0_22gpu_kernel_impl_nocastIZZZNS0_19digamma_kernel_cudaERNS_18TensorIteratorBaseEENKUlvE_clEvENKUlvE_clEvEUldE_EEvS4_RKT_EUlibE_EEviT1_.num_agpr, 0
	.set _ZN2at6native32elementwise_kernel_manual_unrollILi128ELi4EZNS0_22gpu_kernel_impl_nocastIZZZNS0_19digamma_kernel_cudaERNS_18TensorIteratorBaseEENKUlvE_clEvENKUlvE_clEvEUldE_EEvS4_RKT_EUlibE_EEviT1_.numbered_sgpr, 60
	.set _ZN2at6native32elementwise_kernel_manual_unrollILi128ELi4EZNS0_22gpu_kernel_impl_nocastIZZZNS0_19digamma_kernel_cudaERNS_18TensorIteratorBaseEENKUlvE_clEvENKUlvE_clEvEUldE_EEvS4_RKT_EUlibE_EEviT1_.num_named_barrier, 0
	.set _ZN2at6native32elementwise_kernel_manual_unrollILi128ELi4EZNS0_22gpu_kernel_impl_nocastIZZZNS0_19digamma_kernel_cudaERNS_18TensorIteratorBaseEENKUlvE_clEvENKUlvE_clEvEUldE_EEvS4_RKT_EUlibE_EEviT1_.private_seg_size, 0
	.set _ZN2at6native32elementwise_kernel_manual_unrollILi128ELi4EZNS0_22gpu_kernel_impl_nocastIZZZNS0_19digamma_kernel_cudaERNS_18TensorIteratorBaseEENKUlvE_clEvENKUlvE_clEvEUldE_EEvS4_RKT_EUlibE_EEviT1_.uses_vcc, 1
	.set _ZN2at6native32elementwise_kernel_manual_unrollILi128ELi4EZNS0_22gpu_kernel_impl_nocastIZZZNS0_19digamma_kernel_cudaERNS_18TensorIteratorBaseEENKUlvE_clEvENKUlvE_clEvEUldE_EEvS4_RKT_EUlibE_EEviT1_.uses_flat_scratch, 0
	.set _ZN2at6native32elementwise_kernel_manual_unrollILi128ELi4EZNS0_22gpu_kernel_impl_nocastIZZZNS0_19digamma_kernel_cudaERNS_18TensorIteratorBaseEENKUlvE_clEvENKUlvE_clEvEUldE_EEvS4_RKT_EUlibE_EEviT1_.has_dyn_sized_stack, 0
	.set _ZN2at6native32elementwise_kernel_manual_unrollILi128ELi4EZNS0_22gpu_kernel_impl_nocastIZZZNS0_19digamma_kernel_cudaERNS_18TensorIteratorBaseEENKUlvE_clEvENKUlvE_clEvEUldE_EEvS4_RKT_EUlibE_EEviT1_.has_recursion, 0
	.set _ZN2at6native32elementwise_kernel_manual_unrollILi128ELi4EZNS0_22gpu_kernel_impl_nocastIZZZNS0_19digamma_kernel_cudaERNS_18TensorIteratorBaseEENKUlvE_clEvENKUlvE_clEvEUldE_EEvS4_RKT_EUlibE_EEviT1_.has_indirect_call, 0
	.section	.AMDGPU.csdata,"",@progbits
; Kernel info:
; codeLenInByte = 31112
; TotalNumSgprs: 64
; NumVgprs: 47
; ScratchSize: 0
; MemoryBound: 0
; FloatMode: 240
; IeeeMode: 1
; LDSByteSize: 0 bytes/workgroup (compile time only)
; SGPRBlocks: 7
; VGPRBlocks: 11
; NumSGPRsForWavesPerEU: 64
; NumVGPRsForWavesPerEU: 47
; Occupancy: 5
; WaveLimiterHint : 1
; COMPUTE_PGM_RSRC2:SCRATCH_EN: 0
; COMPUTE_PGM_RSRC2:USER_SGPR: 6
; COMPUTE_PGM_RSRC2:TRAP_HANDLER: 0
; COMPUTE_PGM_RSRC2:TGID_X_EN: 1
; COMPUTE_PGM_RSRC2:TGID_Y_EN: 0
; COMPUTE_PGM_RSRC2:TGID_Z_EN: 0
; COMPUTE_PGM_RSRC2:TIDIG_COMP_CNT: 0
	.section	.text._ZN2at6native32elementwise_kernel_manual_unrollILi128ELi4EZNS0_15gpu_kernel_implIZZZNS0_19digamma_kernel_cudaERNS_18TensorIteratorBaseEENKUlvE_clEvENKUlvE_clEvEUldE_EEvS4_RKT_EUlibE_EEviT1_,"axG",@progbits,_ZN2at6native32elementwise_kernel_manual_unrollILi128ELi4EZNS0_15gpu_kernel_implIZZZNS0_19digamma_kernel_cudaERNS_18TensorIteratorBaseEENKUlvE_clEvENKUlvE_clEvEUldE_EEvS4_RKT_EUlibE_EEviT1_,comdat
	.globl	_ZN2at6native32elementwise_kernel_manual_unrollILi128ELi4EZNS0_15gpu_kernel_implIZZZNS0_19digamma_kernel_cudaERNS_18TensorIteratorBaseEENKUlvE_clEvENKUlvE_clEvEUldE_EEvS4_RKT_EUlibE_EEviT1_ ; -- Begin function _ZN2at6native32elementwise_kernel_manual_unrollILi128ELi4EZNS0_15gpu_kernel_implIZZZNS0_19digamma_kernel_cudaERNS_18TensorIteratorBaseEENKUlvE_clEvENKUlvE_clEvEUldE_EEvS4_RKT_EUlibE_EEviT1_
	.p2align	8
	.type	_ZN2at6native32elementwise_kernel_manual_unrollILi128ELi4EZNS0_15gpu_kernel_implIZZZNS0_19digamma_kernel_cudaERNS_18TensorIteratorBaseEENKUlvE_clEvENKUlvE_clEvEUldE_EEvS4_RKT_EUlibE_EEviT1_,@function
_ZN2at6native32elementwise_kernel_manual_unrollILi128ELi4EZNS0_15gpu_kernel_implIZZZNS0_19digamma_kernel_cudaERNS_18TensorIteratorBaseEENKUlvE_clEvENKUlvE_clEvEUldE_EEvS4_RKT_EUlibE_EEviT1_: ; @_ZN2at6native32elementwise_kernel_manual_unrollILi128ELi4EZNS0_15gpu_kernel_implIZZZNS0_19digamma_kernel_cudaERNS_18TensorIteratorBaseEENKUlvE_clEvENKUlvE_clEvEUldE_EEvS4_RKT_EUlibE_EEviT1_
; %bb.0:
	v_mov_b32_e32 v1, 0
	global_load_ushort v1, v1, s[4:5] offset:33
	s_load_dwordx4 s[8:11], s[4:5], 0x8
	s_load_dwordx2 s[2:3], s[4:5], 0x18
	s_load_dword s40, s[4:5], 0x0
	v_lshl_or_b32 v14, s6, 9, v0
	v_or_b32_e32 v0, 0x180, v14
	s_mov_b64 s[12:13], 0
	s_mov_b64 s[6:7], 0
	s_waitcnt lgkmcnt(0)
	v_cmp_le_i32_e32 vcc, s40, v0
	s_waitcnt vmcnt(0)
	v_readfirstlane_b32 s33, v1
	s_and_b32 s0, 0xffff, s33
	s_lshr_b32 s42, s0, 8
	s_and_saveexec_b64 s[0:1], vcc
	s_xor_b64 s[4:5], exec, s[0:1]
	s_cbranch_execz .LBB8_1123
; %bb.1:
	v_cmp_gt_i32_e32 vcc, s40, v14
	s_mov_b64 s[18:19], -1
	s_mov_b64 s[20:21], 0
	s_mov_b64 s[14:15], 0
	s_and_saveexec_b64 s[16:17], vcc
	s_cbranch_execz .LBB8_276
; %bb.2:
	v_mul_lo_u32 v0, v14, s3
	v_mov_b32_e32 v1, s11
	s_and_b32 s22, 0xffff, s42
	s_cmp_lt_i32 s22, 11
	v_ashrrev_i32_e32 v2, 31, v0
	v_add_co_u32_e32 v0, vcc, s10, v0
	v_addc_co_u32_e32 v1, vcc, v1, v2, vcc
	s_cbranch_scc1 .LBB8_9
; %bb.3:
	s_cmp_gt_i32 s22, 25
	s_cbranch_scc0 .LBB8_42
; %bb.4:
	s_cmp_gt_i32 s22, 28
	s_cbranch_scc0 .LBB8_46
	;; [unrolled: 3-line block ×4, first 2 shown]
; %bb.7:
	s_cmp_eq_u32 s22, 46
	s_cbranch_scc0 .LBB8_52
; %bb.8:
	global_load_dword v2, v[0:1], off
	s_mov_b64 s[0:1], -1
	s_waitcnt vmcnt(0)
	v_lshlrev_b32_e32 v2, 16, v2
	v_cvt_f64_f32_e32 v[2:3], v2
	s_branch .LBB8_54
.LBB8_9:
                                        ; implicit-def: $vgpr2_vgpr3
	s_mov_b64 s[0:1], 0
	s_cbranch_execnz .LBB8_227
.LBB8_10:
	s_andn2_b64 vcc, exec, s[0:1]
	s_cbranch_vccnz .LBB8_274
.LBB8_11:
	s_waitcnt vmcnt(0)
	v_cmp_neq_f64_e32 vcc, 0, v[2:3]
                                        ; implicit-def: $vgpr0_vgpr1
	s_and_saveexec_b64 s[0:1], vcc
	s_xor_b64 s[6:7], exec, s[0:1]
	s_cbranch_execz .LBB8_33
; %bb.12:
	v_cmp_gt_f64_e32 vcc, 0, v[2:3]
	v_mov_b32_e32 v4, 0
	v_mov_b32_e32 v5, 0
	s_mov_b64 s[22:23], -1
	s_and_saveexec_b64 s[18:19], vcc
	s_cbranch_execz .LBB8_20
; %bb.13:
	v_trunc_f64_e32 v[0:1], v[2:3]
	v_mov_b32_e32 v4, 0
	v_mov_b32_e32 v5, 0
	s_mov_b64 s[24:25], 0
	v_cmp_neq_f64_e32 vcc, v[2:3], v[0:1]
	s_and_saveexec_b64 s[22:23], vcc
	s_cbranch_execz .LBB8_19
; %bb.14:
	v_add_f64 v[0:1], v[2:3], -v[0:1]
	s_mov_b32 s0, 0
	s_mov_b32 s25, 0xc00921fb
	;; [unrolled: 1-line block ×4, first 2 shown]
	v_cmp_neq_f64_e64 vcc, |v[2:3]|, s[0:1]
	v_bfrev_b32_e32 v4, 1
	s_mov_b32 s26, 0
	v_mul_f64 v[0:1], |v[0:1]|, s[24:25]
	s_mov_b32 s27, 0x41d00000
                                        ; implicit-def: $vgpr8
                                        ; implicit-def: $vgpr6_vgpr7
	v_cndmask_b32_e32 v1, v4, v1, vcc
	v_cndmask_b32_e32 v0, 0, v0, vcc
	v_cmp_nlt_f64_e64 s[26:27], |v[0:1]|, s[26:27]
                                        ; implicit-def: $vgpr4_vgpr5
	s_and_saveexec_b64 s[28:29], s[26:27]
	s_xor_b64 s[26:27], exec, s[28:29]
	s_cbranch_execz .LBB8_16
; %bb.15:
	v_trig_preop_f64 v[4:5], |v[0:1]|, 0
	s_mov_b32 s28, 0
	s_mov_b32 s29, 0x7b000000
	s_movk_i32 s25, 0xff80
	v_ldexp_f64 v[8:9], |v[0:1]|, s25
	v_cmp_ge_f64_e64 vcc, |v[0:1]|, s[28:29]
	v_trig_preop_f64 v[6:7], |v[0:1]|, 1
	v_and_b32_e32 v10, 0x7fffffff, v1
	v_trig_preop_f64 v[17:18], |v[0:1]|, 2
	v_mov_b32_e32 v28, 0x40100000
	v_mov_b32_e32 v27, 0
	s_mov_b32 s25, 0x3ff921fb
	v_cndmask_b32_e32 v9, v10, v9, vcc
	v_cndmask_b32_e32 v8, v0, v8, vcc
	v_mul_f64 v[10:11], v[4:5], v[8:9]
	v_mul_f64 v[12:13], v[6:7], v[8:9]
	;; [unrolled: 1-line block ×3, first 2 shown]
	v_fma_f64 v[4:5], v[4:5], v[8:9], -v[10:11]
	v_fma_f64 v[6:7], v[6:7], v[8:9], -v[12:13]
	;; [unrolled: 1-line block ×3, first 2 shown]
	v_add_f64 v[15:16], v[12:13], v[4:5]
	v_add_f64 v[19:20], v[15:16], -v[12:13]
	v_add_f64 v[25:26], v[10:11], v[15:16]
	v_add_f64 v[21:22], v[15:16], -v[19:20]
	v_add_f64 v[4:5], v[4:5], -v[19:20]
	v_add_f64 v[19:20], v[23:24], v[6:7]
	v_add_f64 v[10:11], v[25:26], -v[10:11]
	v_add_f64 v[12:13], v[12:13], -v[21:22]
	v_ldexp_f64 v[21:22], v[25:26], -2
	v_add_f64 v[29:30], v[19:20], -v[23:24]
	v_add_f64 v[10:11], v[15:16], -v[10:11]
	v_add_f64 v[4:5], v[4:5], v[12:13]
	v_fract_f64_e32 v[12:13], v[21:22]
	v_cmp_neq_f64_e64 vcc, |v[21:22]|, s[0:1]
	v_add_f64 v[6:7], v[6:7], -v[29:30]
	v_add_f64 v[15:16], v[19:20], v[4:5]
	v_ldexp_f64 v[12:13], v[12:13], 2
	v_add_f64 v[21:22], v[10:11], v[15:16]
	v_cndmask_b32_e32 v13, 0, v13, vcc
	v_cndmask_b32_e32 v12, 0, v12, vcc
	v_add_f64 v[31:32], v[15:16], -v[19:20]
	v_add_f64 v[25:26], v[21:22], v[12:13]
	v_add_f64 v[10:11], v[21:22], -v[10:11]
	v_add_f64 v[33:34], v[15:16], -v[31:32]
	;; [unrolled: 1-line block ×3, first 2 shown]
	v_cmp_gt_f64_e32 vcc, 0, v[25:26]
	v_add_f64 v[25:26], v[19:20], -v[29:30]
	v_add_f64 v[10:11], v[15:16], -v[10:11]
	;; [unrolled: 1-line block ×3, first 2 shown]
	v_cndmask_b32_e32 v28, 0, v28, vcc
	v_add_f64 v[12:13], v[12:13], v[27:28]
	v_add_f64 v[25:26], v[23:24], -v[25:26]
	v_add_f64 v[4:5], v[4:5], v[19:20]
	v_add_f64 v[35:36], v[21:22], v[12:13]
	;; [unrolled: 1-line block ×3, first 2 shown]
	v_cvt_i32_f64_e32 v30, v[35:36]
	v_add_f64 v[4:5], v[6:7], v[4:5]
	v_cvt_f64_i32_e32 v[28:29], v30
	v_add_f64 v[12:13], v[12:13], -v[28:29]
	v_add_f64 v[4:5], v[8:9], v[4:5]
	v_add_f64 v[6:7], v[21:22], v[12:13]
	;; [unrolled: 1-line block ×3, first 2 shown]
	v_mov_b32_e32 v11, 0x3ff00000
	v_add_f64 v[8:9], v[6:7], -v[12:13]
	v_cmp_le_f64_e32 vcc, 0.5, v[6:7]
	v_add_f64 v[9:10], v[21:22], -v[8:9]
	v_cndmask_b32_e32 v28, 0, v11, vcc
	v_add_f64 v[6:7], v[6:7], -v[27:28]
	v_addc_co_u32_e64 v8, s[0:1], 0, v30, vcc
	s_mov_b32 s0, 0x33145c07
	s_mov_b32 s1, 0x3c91a626
	v_add_f64 v[4:5], v[4:5], v[9:10]
	v_add_f64 v[9:10], v[6:7], v[4:5]
	v_mul_f64 v[11:12], v[9:10], s[24:25]
	v_add_f64 v[6:7], v[9:10], -v[6:7]
	v_fma_f64 v[15:16], v[9:10], s[24:25], -v[11:12]
	v_add_f64 v[4:5], v[4:5], -v[6:7]
	v_fma_f64 v[6:7], v[9:10], s[0:1], v[15:16]
	v_fma_f64 v[6:7], v[4:5], s[24:25], v[6:7]
	v_add_f64 v[4:5], v[11:12], v[6:7]
	v_add_f64 v[9:10], v[4:5], -v[11:12]
	v_add_f64 v[6:7], v[6:7], -v[9:10]
.LBB8_16:
	s_andn2_saveexec_b64 s[0:1], s[26:27]
	s_cbranch_execz .LBB8_18
; %bb.17:
	s_mov_b32 s24, 0x6dc9c883
	s_mov_b32 s25, 0x3fe45f30
	v_mul_f64 v[4:5], |v[0:1]|, s[24:25]
	s_mov_b32 s24, 0x54442d18
	s_mov_b32 s25, 0xbff921fb
	s_mov_b32 s27, 0xbc91a626
	s_mov_b32 s26, 0x33145c00
	v_rndne_f64_e32 v[8:9], v[4:5]
	v_fma_f64 v[4:5], v[8:9], s[24:25], |v[0:1]|
	v_mul_f64 v[6:7], v[8:9], s[26:27]
	s_mov_b32 s24, 0x252049c0
	s_mov_b32 s25, 0xb97b839a
	v_fma_f64 v[15:16], v[8:9], s[26:27], v[4:5]
	v_add_f64 v[10:11], v[4:5], v[6:7]
	s_mov_b32 s27, 0x3c91a626
	v_add_f64 v[12:13], v[4:5], -v[10:11]
	v_add_f64 v[10:11], v[10:11], -v[15:16]
	v_add_f64 v[4:5], v[12:13], v[6:7]
	v_fma_f64 v[6:7], v[8:9], s[26:27], v[6:7]
	v_add_f64 v[4:5], v[10:11], v[4:5]
	v_add_f64 v[4:5], v[4:5], -v[6:7]
	v_fma_f64 v[6:7], v[8:9], s[24:25], v[4:5]
	v_cvt_i32_f64_e32 v8, v[8:9]
	v_add_f64 v[4:5], v[15:16], v[6:7]
	v_add_f64 v[10:11], v[4:5], -v[15:16]
	v_add_f64 v[6:7], v[6:7], -v[10:11]
.LBB8_18:
	s_or_b64 exec, exec, s[0:1]
	v_mul_f64 v[9:10], v[4:5], v[4:5]
	v_add_f64 v[11:12], v[6:7], v[6:7]
	s_mov_b32 s0, 0xc751c08c
	s_mov_b32 s1, 0x3ef5e089
	v_and_b32_e32 v8, 1, v8
	v_cmp_eq_u32_e32 vcc, 0, v8
	s_mov_b32 s26, 0x54442d18
	s_mov_b32 s27, 0xc00921fb
	v_fma_f64 v[15:16], v[4:5], v[4:5], -v[9:10]
	v_add_f64 v[2:3], -v[2:3], 1.0
	s_mov_b64 s[24:25], exec
	v_fma_f64 v[11:12], v[4:5], v[11:12], v[15:16]
	v_add_f64 v[9:10], v[9:10], v[11:12]
	v_mov_b32_e32 v11, 0xa9a29f71
	v_mov_b32_e32 v12, 0xbf078809
	v_fma_f64 v[11:12], v[9:10], s[0:1], v[11:12]
	s_mov_b32 s0, 0x90a8aae0
	s_mov_b32 s1, 0x3f17746f
	v_fma_f64 v[11:12], v[9:10], v[11:12], s[0:1]
	s_mov_b32 s0, 0xa6fbf144
	s_mov_b32 s1, 0xbefbb44d
	;; [unrolled: 3-line block ×12, first 2 shown]
	v_fma_f64 v[11:12], v[9:10], v[11:12], s[0:1]
	s_movk_i32 s0, 0x1f8
	v_cmp_class_f64_e64 s[0:1], v[0:1], s0
	v_mul_f64 v[9:10], v[9:10], v[11:12]
	v_mul_f64 v[11:12], v[4:5], v[9:10]
	v_add_f64 v[15:16], v[4:5], v[11:12]
	v_fma_f64 v[9:10], v[4:5], v[9:10], -v[11:12]
	v_add_f64 v[4:5], v[15:16], -v[4:5]
	v_add_f64 v[6:7], v[6:7], v[9:10]
	v_add_f64 v[4:5], v[11:12], -v[4:5]
	v_add_f64 v[4:5], v[6:7], v[4:5]
	v_add_f64 v[6:7], v[15:16], v[4:5]
	v_rcp_f64_e32 v[9:10], v[6:7]
	v_fma_f64 v[11:12], -v[6:7], v[9:10], 1.0
	v_fma_f64 v[9:10], v[11:12], v[9:10], v[9:10]
	v_fma_f64 v[11:12], -v[6:7], v[9:10], 1.0
	v_fma_f64 v[9:10], v[11:12], v[9:10], v[9:10]
	v_add_f64 v[11:12], v[6:7], -v[15:16]
	v_mul_f64 v[15:16], v[6:7], v[9:10]
	v_add_f64 v[4:5], v[4:5], -v[11:12]
	v_fma_f64 v[11:12], v[9:10], v[6:7], -v[15:16]
	v_fma_f64 v[4:5], v[9:10], v[4:5], v[11:12]
	v_add_f64 v[11:12], v[15:16], v[4:5]
	v_add_f64 v[17:18], -v[11:12], 1.0
	v_add_f64 v[15:16], v[11:12], -v[15:16]
	v_add_f64 v[19:20], -v[17:18], 1.0
	v_add_f64 v[4:5], v[15:16], -v[4:5]
	v_add_f64 v[11:12], v[19:20], -v[11:12]
	v_add_f64 v[4:5], v[4:5], v[11:12]
	v_add_f64 v[4:5], v[17:18], v[4:5]
	v_mul_f64 v[4:5], v[9:10], v[4:5]
	v_add_f64 v[4:5], v[9:10], v[4:5]
	v_and_b32_e32 v9, 0x80000000, v1
	v_mov_b32_e32 v1, 0x7ff80000
	v_xor_b32_e32 v0, 0x80000000, v5
	v_cndmask_b32_e32 v4, v4, v6, vcc
	v_cndmask_b32_e32 v5, v0, v7, vcc
	v_cndmask_b32_e64 v0, 0, v4, s[0:1]
	v_xor_b32_e32 v4, v5, v9
	v_cndmask_b32_e64 v1, v1, v4, s[0:1]
	v_div_scale_f64 v[4:5], s[0:1], v[0:1], v[0:1], s[26:27]
	v_rcp_f64_e32 v[6:7], v[4:5]
	v_fma_f64 v[8:9], -v[4:5], v[6:7], 1.0
	v_fma_f64 v[6:7], v[6:7], v[8:9], v[6:7]
	v_div_scale_f64 v[8:9], vcc, s[26:27], v[0:1], s[26:27]
	v_fma_f64 v[10:11], -v[4:5], v[6:7], 1.0
	v_fma_f64 v[6:7], v[6:7], v[10:11], v[6:7]
	v_mul_f64 v[10:11], v[8:9], v[6:7]
	v_fma_f64 v[4:5], -v[4:5], v[10:11], v[8:9]
	v_div_fmas_f64 v[4:5], v[4:5], v[6:7], v[10:11]
	v_div_fixup_f64 v[4:5], v[4:5], v[0:1], s[26:27]
.LBB8_19:
	s_or_b64 exec, exec, s[22:23]
	s_orn2_b64 s[22:23], s[24:25], exec
.LBB8_20:
	s_or_b64 exec, exec, s[18:19]
	v_mov_b32_e32 v0, 0
	v_mov_b32_e32 v1, 0x7ff80000
	s_and_saveexec_b64 s[0:1], s[22:23]
	s_cbranch_execz .LBB8_32
; %bb.21:
	s_mov_b32 s22, 0
	s_mov_b32 s23, 0x40240000
	v_cmp_gt_f64_e32 vcc, s[22:23], v[2:3]
	s_and_saveexec_b64 s[18:19], vcc
	s_cbranch_execz .LBB8_25
; %bb.22:
	s_mov_b64 s[24:25], 0
.LBB8_23:                               ; =>This Inner Loop Header: Depth=1
	v_div_scale_f64 v[0:1], s[26:27], v[2:3], v[2:3], 1.0
	v_rcp_f64_e32 v[6:7], v[0:1]
	v_fma_f64 v[8:9], -v[0:1], v[6:7], 1.0
	v_fma_f64 v[6:7], v[6:7], v[8:9], v[6:7]
	v_div_scale_f64 v[8:9], vcc, 1.0, v[2:3], 1.0
	v_fma_f64 v[10:11], -v[0:1], v[6:7], 1.0
	v_fma_f64 v[6:7], v[6:7], v[10:11], v[6:7]
	v_mul_f64 v[10:11], v[8:9], v[6:7]
	v_fma_f64 v[0:1], -v[0:1], v[10:11], v[8:9]
	v_div_fmas_f64 v[0:1], v[0:1], v[6:7], v[10:11]
	v_div_fixup_f64 v[0:1], v[0:1], v[2:3], 1.0
	v_add_f64 v[2:3], v[2:3], 1.0
	v_add_f64 v[4:5], v[4:5], -v[0:1]
	v_cmp_ngt_f64_e32 vcc, s[22:23], v[2:3]
	s_or_b64 s[24:25], vcc, s[24:25]
	s_andn2_b64 exec, exec, s[24:25]
	s_cbranch_execnz .LBB8_23
; %bb.24:
	s_or_b64 exec, exec, s[24:25]
.LBB8_25:
	s_or_b64 exec, exec, s[18:19]
	s_mov_b32 s18, 0
	s_mov_b32 s19, 0x40240000
	v_cmp_neq_f64_e32 vcc, s[18:19], v[2:3]
                                        ; implicit-def: $vgpr0_vgpr1
	s_and_saveexec_b64 s[18:19], vcc
	s_xor_b64 s[18:19], exec, s[18:19]
	s_cbranch_execz .LBB8_29
; %bb.26:
	s_mov_b32 s22, 0x85d8a000
	s_mov_b32 s23, 0x43763457
	v_cmp_gt_f64_e32 vcc, s[22:23], v[2:3]
	v_mov_b32_e32 v0, 0
	v_mov_b32_e32 v1, 0
	s_and_saveexec_b64 s[22:23], vcc
	s_cbranch_execz .LBB8_28
; %bb.27:
	v_mul_f64 v[0:1], v[2:3], v[2:3]
	s_mov_b32 s26, 0x95995996
	s_mov_b32 s27, 0xbf959959
	;; [unrolled: 1-line block ×4, first 2 shown]
	v_div_scale_f64 v[6:7], s[24:25], v[0:1], v[0:1], 1.0
	v_div_scale_f64 v[12:13], vcc, 1.0, v[0:1], 1.0
	s_mov_b32 s24, 0x55555555
	s_mov_b32 s25, 0x3fb55555
	v_rcp_f64_e32 v[8:9], v[6:7]
	v_fma_f64 v[10:11], -v[6:7], v[8:9], 1.0
	v_fma_f64 v[8:9], v[8:9], v[10:11], v[8:9]
	v_fma_f64 v[10:11], -v[6:7], v[8:9], 1.0
	v_fma_f64 v[8:9], v[8:9], v[10:11], v[8:9]
	v_mul_f64 v[10:11], v[12:13], v[8:9]
	v_fma_f64 v[6:7], -v[6:7], v[10:11], v[12:13]
	v_div_fmas_f64 v[6:7], v[6:7], v[8:9], v[10:11]
	v_div_fixup_f64 v[0:1], v[6:7], v[0:1], 1.0
	v_fma_f64 v[6:7], v[0:1], 0, s[24:25]
	v_fma_f64 v[6:7], v[0:1], v[6:7], s[26:27]
	s_mov_b32 s26, 0xf07c1f08
	s_mov_b32 s27, 0x3f7f07c1
	v_fma_f64 v[6:7], v[0:1], v[6:7], s[26:27]
	s_mov_b32 s27, 0xbf711111
	s_mov_b32 s26, 0x11111111
	v_fma_f64 v[6:7], v[0:1], v[6:7], s[26:27]
	s_mov_b32 s27, 0xbf811111
	v_fma_f64 v[6:7], v[0:1], v[6:7], s[28:29]
	v_fma_f64 v[6:7], v[0:1], v[6:7], s[26:27]
	v_fma_f64 v[6:7], v[0:1], v[6:7], s[24:25]
	v_mul_f64 v[0:1], v[0:1], v[6:7]
.LBB8_28:
	s_or_b64 exec, exec, s[22:23]
	v_frexp_mant_f64_e32 v[6:7], v[2:3]
	s_mov_b32 s23, 0x3fe55555
	s_mov_b32 s22, 0x55555555
	;; [unrolled: 1-line block ×4, first 2 shown]
	v_cmp_gt_f64_e32 vcc, s[22:23], v[6:7]
	s_mov_b32 s22, 0x55555780
	v_cndmask_b32_e64 v8, 0, 1, vcc
	v_ldexp_f64 v[6:7], v[6:7], v8
	v_add_f64 v[8:9], v[6:7], 1.0
	v_add_f64 v[15:16], v[6:7], -1.0
	v_rcp_f64_e32 v[10:11], v[8:9]
	v_add_f64 v[17:18], v[8:9], -1.0
	v_add_f64 v[6:7], v[6:7], -v[17:18]
	v_fma_f64 v[12:13], -v[8:9], v[10:11], 1.0
	v_fma_f64 v[10:11], v[12:13], v[10:11], v[10:11]
	v_fma_f64 v[12:13], -v[8:9], v[10:11], 1.0
	v_fma_f64 v[10:11], v[12:13], v[10:11], v[10:11]
	v_mul_f64 v[12:13], v[15:16], v[10:11]
	v_mul_f64 v[19:20], v[8:9], v[12:13]
	v_fma_f64 v[8:9], v[12:13], v[8:9], -v[19:20]
	v_fma_f64 v[6:7], v[12:13], v[6:7], v[8:9]
	v_add_f64 v[8:9], v[19:20], v[6:7]
	v_add_f64 v[17:18], v[15:16], -v[8:9]
	v_add_f64 v[19:20], v[8:9], -v[19:20]
	;; [unrolled: 1-line block ×5, first 2 shown]
	v_mov_b32_e32 v15, 0x6b47b09a
	v_mov_b32_e32 v16, 0x3fc38538
	v_add_f64 v[6:7], v[6:7], v[8:9]
	v_add_f64 v[6:7], v[17:18], v[6:7]
	v_mul_f64 v[6:7], v[10:11], v[6:7]
	v_add_f64 v[8:9], v[12:13], v[6:7]
	v_mul_f64 v[10:11], v[8:9], v[8:9]
	v_fma_f64 v[15:16], v[10:11], s[24:25], v[15:16]
	s_mov_b32 s24, 0xd7f4df2e
	s_mov_b32 s25, 0x3fc7474d
	v_mul_f64 v[17:18], v[8:9], v[10:11]
	v_fma_f64 v[15:16], v[10:11], v[15:16], s[24:25]
	s_mov_b32 s24, 0x16291751
	s_mov_b32 s25, 0x3fcc71c0
	v_fma_f64 v[15:16], v[10:11], v[15:16], s[24:25]
	s_mov_b32 s24, 0x9b27acf1
	s_mov_b32 s25, 0x3fd24924
	;; [unrolled: 3-line block ×3, first 2 shown]
	v_fma_f64 v[15:16], v[10:11], v[15:16], s[24:25]
	v_fma_f64 v[10:11], v[10:11], v[15:16], s[22:23]
	v_ldexp_f64 v[15:16], v[8:9], 1
	v_add_f64 v[8:9], v[8:9], -v[12:13]
	s_mov_b32 s22, 0xfefa39ef
	s_mov_b32 s23, 0x3fe62e42
	v_mul_f64 v[10:11], v[17:18], v[10:11]
	v_frexp_exp_i32_f64_e32 v17, v[2:3]
	v_add_f64 v[6:7], v[6:7], -v[8:9]
	v_add_f64 v[12:13], v[15:16], v[10:11]
	v_subbrev_co_u32_e32 v17, vcc, 0, v17, vcc
	v_cvt_f64_i32_e32 v[17:18], v17
	v_ldexp_f64 v[6:7], v[6:7], 1
	v_mul_f64 v[19:20], v[17:18], s[22:23]
	v_add_f64 v[8:9], v[12:13], -v[15:16]
	v_fma_f64 v[15:16], v[17:18], s[22:23], -v[19:20]
	v_add_f64 v[8:9], v[10:11], -v[8:9]
	s_mov_b32 s22, 0x3b39803f
	s_mov_b32 s23, 0x3c7abc9e
	v_fma_f64 v[10:11], v[17:18], s[22:23], v[15:16]
	v_add_f64 v[6:7], v[6:7], v[8:9]
	v_div_scale_f64 v[8:9], s[22:23], v[2:3], v[2:3], -0.5
	s_movk_i32 s22, 0x204
	v_add_f64 v[15:16], v[19:20], v[10:11]
	v_add_f64 v[17:18], v[12:13], v[6:7]
	v_add_f64 v[19:20], v[15:16], -v[19:20]
	v_add_f64 v[21:22], v[15:16], v[17:18]
	v_rcp_f64_e32 v[23:24], v[8:9]
	v_add_f64 v[12:13], v[17:18], -v[12:13]
	v_add_f64 v[10:11], v[10:11], -v[19:20]
	;; [unrolled: 1-line block ×5, first 2 shown]
	v_fma_f64 v[29:30], -v[8:9], v[23:24], 1.0
	v_add_f64 v[12:13], v[17:18], -v[25:26]
	v_add_f64 v[19:20], v[10:11], v[6:7]
	v_add_f64 v[15:16], v[15:16], -v[27:28]
	v_fma_f64 v[17:18], v[23:24], v[29:30], v[23:24]
	v_add_f64 v[25:26], v[19:20], -v[10:11]
	v_add_f64 v[12:13], v[12:13], v[15:16]
	v_div_scale_f64 v[15:16], vcc, -0.5, v[2:3], -0.5
	v_fma_f64 v[23:24], -v[8:9], v[17:18], 1.0
	v_add_f64 v[6:7], v[6:7], -v[25:26]
	v_add_f64 v[12:13], v[19:20], v[12:13]
	v_add_f64 v[19:20], v[19:20], -v[25:26]
	v_fma_f64 v[17:18], v[17:18], v[23:24], v[17:18]
	v_add_f64 v[23:24], v[21:22], v[12:13]
	v_add_f64 v[10:11], v[10:11], -v[19:20]
	v_mul_f64 v[27:28], v[15:16], v[17:18]
	v_add_f64 v[19:20], v[23:24], -v[21:22]
	v_add_f64 v[6:7], v[6:7], v[10:11]
	v_fma_f64 v[8:9], -v[8:9], v[27:28], v[15:16]
	v_add_f64 v[10:11], v[12:13], -v[19:20]
	v_div_fmas_f64 v[8:9], v[8:9], v[17:18], v[27:28]
	v_cmp_class_f64_e64 vcc, v[2:3], s22
	v_add_f64 v[6:7], v[6:7], v[10:11]
	v_add_f64 v[6:7], v[23:24], v[6:7]
	v_div_fixup_f64 v[8:9], v[8:9], v[2:3], -0.5
	v_cndmask_b32_e32 v3, v7, v3, vcc
	v_cndmask_b32_e32 v2, v6, v2, vcc
	v_add_f64 v[2:3], v[2:3], v[8:9]
	v_add_f64 v[0:1], v[2:3], -v[0:1]
	v_add_f64 v[0:1], v[4:5], v[0:1]
                                        ; implicit-def: $vgpr4_vgpr5
.LBB8_29:
	s_andn2_saveexec_b64 s[18:19], s[18:19]
	s_cbranch_execz .LBB8_31
; %bb.30:
	s_mov_b32 s22, 0xdc85cc95
	s_mov_b32 s23, 0x40020396
	v_add_f64 v[0:1], v[4:5], s[22:23]
.LBB8_31:
	s_or_b64 exec, exec, s[18:19]
.LBB8_32:
	s_or_b64 exec, exec, s[0:1]
                                        ; implicit-def: $vgpr2_vgpr3
.LBB8_33:
	s_andn2_saveexec_b64 s[0:1], s[6:7]
; %bb.34:
	v_xor_b32_e32 v0, 0x80000000, v3
	s_brev_b32 s6, -2
	v_mov_b32_e32 v1, 0x7ff00000
	v_bfi_b32 v1, s6, v1, v0
	v_mov_b32_e32 v0, 0
; %bb.35:
	s_or_b64 exec, exec, s[0:1]
	v_mul_lo_u32 v2, v14, s2
	v_mov_b32_e32 v3, s9
	s_and_b32 s24, s33, 0xff
	s_cmp_lt_i32 s24, 11
	v_ashrrev_i32_e32 v5, 31, v2
	v_add_co_u32_e32 v4, vcc, s8, v2
	v_addc_co_u32_e32 v5, vcc, v3, v5, vcc
	s_cbranch_scc1 .LBB8_43
; %bb.36:
	s_and_b32 s25, 0xffff, s24
	s_cmp_gt_i32 s25, 25
	s_cbranch_scc0 .LBB8_47
; %bb.37:
	s_cmp_gt_i32 s25, 28
	s_cbranch_scc0 .LBB8_49
; %bb.38:
	;; [unrolled: 3-line block ×4, first 2 shown]
	s_mov_b64 s[18:19], 0
	s_mov_b64 s[0:1], -1
	s_cmp_eq_u32 s25, 46
	s_mov_b64 s[6:7], 0
	s_cbranch_scc0 .LBB8_58
; %bb.41:
	v_cvt_f32_f64_e32 v2, v[0:1]
	s_movk_i32 s0, 0x7fff
	v_mov_b32_e32 v3, 0x7fc0
	s_mov_b64 s[6:7], -1
	v_bfe_u32 v6, v2, 16, 1
	v_cmp_o_f32_e32 vcc, v2, v2
	v_add3_u32 v2, v2, v6, s0
	v_cndmask_b32_sdwa v2, v3, v2, vcc dst_sel:DWORD dst_unused:UNUSED_PAD src0_sel:DWORD src1_sel:WORD_1
	global_store_dword v[4:5], v2, off
	s_mov_b64 s[0:1], 0
	s_branch .LBB8_58
.LBB8_42:
	s_mov_b64 s[0:1], 0
                                        ; implicit-def: $vgpr2_vgpr3
	s_cbranch_execnz .LBB8_194
	s_branch .LBB8_226
.LBB8_43:
	s_mov_b64 s[0:1], 0
	s_mov_b64 s[6:7], 0
	s_cbranch_execnz .LBB8_127
.LBB8_44:
	s_andn2_b64 vcc, exec, s[6:7]
	s_cbranch_vccnz .LBB8_165
.LBB8_45:
	v_add_u32_e32 v14, 0x80, v14
	s_mov_b64 s[18:19], -1
	s_branch .LBB8_275
.LBB8_46:
	s_mov_b64 s[6:7], -1
	s_mov_b64 s[0:1], 0
                                        ; implicit-def: $vgpr2_vgpr3
	s_branch .LBB8_173
.LBB8_47:
	s_mov_b64 s[18:19], -1
	s_mov_b64 s[0:1], 0
	s_mov_b64 s[6:7], 0
	s_branch .LBB8_85
.LBB8_48:
	s_mov_b64 s[6:7], -1
	s_mov_b64 s[0:1], 0
                                        ; implicit-def: $vgpr2_vgpr3
	s_branch .LBB8_168
.LBB8_49:
	s_mov_b64 s[18:19], -1
	s_mov_b64 s[0:1], 0
	s_mov_b64 s[6:7], 0
	s_branch .LBB8_68
.LBB8_50:
	s_mov_b64 s[6:7], -1
	s_branch .LBB8_53
.LBB8_51:
	s_mov_b64 s[18:19], -1
	s_mov_b64 s[0:1], 0
	s_mov_b64 s[6:7], 0
	s_branch .LBB8_64
.LBB8_52:
	s_mov_b64 s[14:15], -1
.LBB8_53:
	s_mov_b64 s[0:1], 0
                                        ; implicit-def: $vgpr2_vgpr3
.LBB8_54:
	s_and_b64 vcc, exec, s[6:7]
	s_cbranch_vccz .LBB8_167
; %bb.55:
	s_cmp_eq_u32 s22, 44
	s_cbranch_scc0 .LBB8_166
; %bb.56:
	global_load_ubyte v4, v[0:1], off
	s_movk_i32 s6, 0xff
	v_bfrev_b32_e32 v5, 4
	v_mov_b32_e32 v6, 0x7ff80000
	v_bfrev_b32_e32 v7, 28
	s_mov_b64 s[0:1], -1
	s_mov_b64 s[14:15], 0
	s_waitcnt vmcnt(0)
	v_lshlrev_b32_e32 v2, 23, v4
	v_cvt_f64_f32_e32 v[2:3], v2
	v_cmp_ne_u32_e32 vcc, s6, v4
	v_cndmask_b32_e32 v2, v5, v2, vcc
	v_cndmask_b32_e32 v3, v6, v3, vcc
	v_cmp_ne_u32_e32 vcc, 0, v4
	v_cndmask_b32_e32 v3, v7, v3, vcc
	v_cndmask_b32_e32 v2, 0, v2, vcc
	s_branch .LBB8_167
.LBB8_57:
	s_mov_b64 s[18:19], -1
	s_mov_b64 s[0:1], 0
	s_mov_b64 s[6:7], 0
.LBB8_58:
	s_and_b64 vcc, exec, s[18:19]
	s_cbranch_vccz .LBB8_63
; %bb.59:
	s_cmp_eq_u32 s25, 44
	s_mov_b64 s[0:1], -1
	s_cbranch_scc0 .LBB8_63
; %bb.60:
	v_cvt_f32_f64_e32 v2, v[0:1]
	s_movk_i32 s0, 0xff
	v_mov_b32_e32 v6, 0xff
	v_bfe_u32 v3, v2, 23, 8
	v_cmp_ne_u32_e32 vcc, s0, v3
	s_and_saveexec_b64 s[6:7], vcc
; %bb.61:
	s_mov_b32 s0, 0x3fffff
	v_lshrrev_b32_e32 v6, 23, v2
	v_and_b32_e32 v7, 0x400000, v2
	v_and_or_b32 v2, v2, s0, v3
	v_cmp_ne_u32_e32 vcc, 0, v7
	v_cmp_ne_u32_e64 s[0:1], 0, v2
	s_and_b64 s[0:1], vcc, s[0:1]
	v_cndmask_b32_e64 v2, 0, 1, s[0:1]
	v_add_u32_e32 v6, v6, v2
; %bb.62:
	s_or_b64 exec, exec, s[6:7]
	s_mov_b64 s[6:7], -1
	s_mov_b64 s[0:1], 0
	global_store_byte v[4:5], v6, off
.LBB8_63:
	s_mov_b64 s[18:19], 0
.LBB8_64:
	s_and_b64 vcc, exec, s[18:19]
	s_cbranch_vccz .LBB8_67
; %bb.65:
	s_cmp_eq_u32 s25, 29
	s_mov_b64 s[0:1], -1
	s_cbranch_scc0 .LBB8_67
; %bb.66:
	v_trunc_f64_e32 v[2:3], v[0:1]
	s_movk_i32 s0, 0xffe0
	s_mov_b64 s[6:7], -1
	s_mov_b64 s[18:19], 0
	v_ldexp_f64 v[6:7], v[2:3], s0
	s_mov_b32 s0, 0
	s_mov_b32 s1, 0xc1f00000
	v_floor_f64_e32 v[6:7], v[6:7]
	v_fma_f64 v[2:3], v[6:7], s[0:1], v[2:3]
	v_cvt_u32_f64_e32 v7, v[6:7]
	s_mov_b64 s[0:1], 0
	v_cvt_u32_f64_e32 v6, v[2:3]
	global_store_dwordx2 v[4:5], v[6:7], off
	s_branch .LBB8_68
.LBB8_67:
	s_mov_b64 s[18:19], 0
.LBB8_68:
	s_and_b64 vcc, exec, s[18:19]
	s_cbranch_vccz .LBB8_84
; %bb.69:
	s_cmp_lt_i32 s25, 27
	s_mov_b64 s[6:7], -1
	s_cbranch_scc1 .LBB8_75
; %bb.70:
	v_cvt_u32_f64_e32 v2, v[0:1]
	s_cmp_gt_i32 s25, 27
	s_cbranch_scc0 .LBB8_72
; %bb.71:
	s_mov_b64 s[6:7], 0
	global_store_dword v[4:5], v2, off
.LBB8_72:
	s_andn2_b64 vcc, exec, s[6:7]
	s_cbranch_vccnz .LBB8_74
; %bb.73:
	global_store_short v[4:5], v2, off
.LBB8_74:
	s_mov_b64 s[6:7], 0
.LBB8_75:
	s_andn2_b64 vcc, exec, s[6:7]
	s_cbranch_vccnz .LBB8_83
; %bb.76:
	v_cvt_f32_f64_e32 v2, v[0:1]
	s_mov_b32 s6, 0x43800000
	v_mov_b32_e32 v6, 0x80
	v_and_b32_e32 v3, 0x7fffffff, v2
	v_cmp_gt_u32_e32 vcc, s6, v3
	s_and_saveexec_b64 s[6:7], vcc
	s_cbranch_execz .LBB8_82
; %bb.77:
	s_mov_b32 s18, 0x3bffffff
	v_cmp_lt_u32_e32 vcc, s18, v3
	s_mov_b64 s[18:19], 0
                                        ; implicit-def: $vgpr3
	s_and_saveexec_b64 s[22:23], vcc
	s_xor_b64 s[22:23], exec, s[22:23]
	s_cbranch_execz .LBB8_327
; %bb.78:
	v_bfe_u32 v3, v2, 20, 1
	s_mov_b32 s26, 0x487ffff
	v_add3_u32 v3, v2, v3, s26
	s_mov_b64 s[18:19], exec
	v_lshrrev_b32_e32 v3, 20, v3
	s_andn2_saveexec_b64 s[22:23], s[22:23]
	s_cbranch_execnz .LBB8_328
.LBB8_79:
	s_or_b64 exec, exec, s[22:23]
	v_mov_b32_e32 v6, 0
	s_and_saveexec_b64 s[22:23], s[18:19]
.LBB8_80:
	v_lshrrev_b32_e32 v2, 24, v2
	s_movk_i32 s18, 0x80
	v_and_or_b32 v6, v2, s18, v3
.LBB8_81:
	s_or_b64 exec, exec, s[22:23]
.LBB8_82:
	s_or_b64 exec, exec, s[6:7]
	global_store_byte v[4:5], v6, off
.LBB8_83:
	s_mov_b64 s[6:7], -1
.LBB8_84:
	s_mov_b64 s[18:19], 0
.LBB8_85:
	s_and_b64 vcc, exec, s[18:19]
	s_cbranch_vccz .LBB8_126
; %bb.86:
	s_cmp_gt_i32 s25, 22
	s_mov_b64 s[18:19], -1
	s_cbranch_scc0 .LBB8_118
; %bb.87:
	s_cmp_lt_i32 s25, 24
	s_mov_b64 s[6:7], -1
	s_cbranch_scc1 .LBB8_107
; %bb.88:
	s_cmp_gt_i32 s25, 24
	s_cbranch_scc0 .LBB8_96
; %bb.89:
	v_cvt_f32_f64_e32 v2, v[0:1]
	s_mov_b32 s6, 0x47800000
	v_mov_b32_e32 v6, 0x80
	v_and_b32_e32 v3, 0x7fffffff, v2
	v_cmp_gt_u32_e32 vcc, s6, v3
	s_and_saveexec_b64 s[6:7], vcc
	s_cbranch_execz .LBB8_95
; %bb.90:
	s_mov_b32 s18, 0x37ffffff
	v_cmp_lt_u32_e32 vcc, s18, v3
	s_mov_b64 s[18:19], 0
                                        ; implicit-def: $vgpr3
	s_and_saveexec_b64 s[22:23], vcc
	s_xor_b64 s[22:23], exec, s[22:23]
	s_cbranch_execz .LBB8_331
; %bb.91:
	v_bfe_u32 v3, v2, 21, 1
	s_mov_b32 s26, 0x88fffff
	v_add3_u32 v3, v2, v3, s26
	s_mov_b64 s[18:19], exec
	v_lshrrev_b32_e32 v3, 21, v3
	s_andn2_saveexec_b64 s[22:23], s[22:23]
	s_cbranch_execnz .LBB8_332
.LBB8_92:
	s_or_b64 exec, exec, s[22:23]
	v_mov_b32_e32 v6, 0
	s_and_saveexec_b64 s[22:23], s[18:19]
.LBB8_93:
	v_lshrrev_b32_e32 v2, 24, v2
	s_movk_i32 s18, 0x80
	v_and_or_b32 v6, v2, s18, v3
.LBB8_94:
	s_or_b64 exec, exec, s[22:23]
.LBB8_95:
	s_or_b64 exec, exec, s[6:7]
	s_mov_b64 s[6:7], 0
	global_store_byte v[4:5], v6, off
.LBB8_96:
	s_and_b64 vcc, exec, s[6:7]
	s_cbranch_vccz .LBB8_106
; %bb.97:
	v_cvt_f32_f64_e32 v2, v[0:1]
	s_mov_b32 s6, 0x43f00000
                                        ; implicit-def: $vgpr3
	v_and_b32_e32 v6, 0x7fffffff, v2
	v_cmp_gt_u32_e32 vcc, s6, v6
	s_and_saveexec_b64 s[6:7], vcc
	s_xor_b64 s[6:7], exec, s[6:7]
	s_cbranch_execz .LBB8_103
; %bb.98:
	s_mov_b32 s18, 0x3c7fffff
	v_cmp_lt_u32_e32 vcc, s18, v6
                                        ; implicit-def: $vgpr3
	s_and_saveexec_b64 s[18:19], vcc
	s_xor_b64 s[18:19], exec, s[18:19]
; %bb.99:
	v_bfe_u32 v3, v2, 20, 1
	s_mov_b32 s22, 0x407ffff
	v_add3_u32 v3, v2, v3, s22
	v_lshrrev_b32_e32 v6, 20, v3
	v_and_b32_e32 v3, 0xff00000, v3
	s_mov_b32 s22, 0x7f00000
	v_mov_b32_e32 v7, 0x7e
	v_cmp_ne_u32_e32 vcc, s22, v3
	v_cndmask_b32_e32 v3, v7, v6, vcc
; %bb.100:
	s_andn2_saveexec_b64 s[18:19], s[18:19]
; %bb.101:
	s_mov_b32 s22, 0x46800000
	v_add_f32_e64 v3, |v2|, s22
; %bb.102:
	s_or_b64 exec, exec, s[18:19]
                                        ; implicit-def: $vgpr6
.LBB8_103:
	s_andn2_saveexec_b64 s[6:7], s[6:7]
; %bb.104:
	s_mov_b32 s18, 0x7f800000
	v_mov_b32_e32 v3, 0x7e
	v_mov_b32_e32 v7, 0x7f
	v_cmp_lt_u32_e32 vcc, s18, v6
	v_cndmask_b32_e32 v3, v3, v7, vcc
; %bb.105:
	s_or_b64 exec, exec, s[6:7]
	v_lshrrev_b32_e32 v2, 24, v2
	s_movk_i32 s6, 0x80
	v_and_or_b32 v2, v2, s6, v3
	global_store_byte v[4:5], v2, off
.LBB8_106:
	s_mov_b64 s[6:7], 0
.LBB8_107:
	s_andn2_b64 vcc, exec, s[6:7]
	s_cbranch_vccnz .LBB8_117
; %bb.108:
	v_cvt_f32_f64_e32 v2, v[0:1]
	s_mov_b32 s6, 0x47800000
                                        ; implicit-def: $vgpr3
	v_and_b32_e32 v6, 0x7fffffff, v2
	v_cmp_gt_u32_e32 vcc, s6, v6
	s_and_saveexec_b64 s[6:7], vcc
	s_xor_b64 s[6:7], exec, s[6:7]
	s_cbranch_execz .LBB8_114
; %bb.109:
	s_mov_b32 s18, 0x387fffff
	v_cmp_lt_u32_e32 vcc, s18, v6
                                        ; implicit-def: $vgpr3
	s_and_saveexec_b64 s[18:19], vcc
	s_xor_b64 s[18:19], exec, s[18:19]
; %bb.110:
	v_bfe_u32 v3, v2, 21, 1
	s_mov_b32 s22, 0x80fffff
	v_add3_u32 v3, v2, v3, s22
	v_lshrrev_b32_e32 v3, 21, v3
; %bb.111:
	s_andn2_saveexec_b64 s[18:19], s[18:19]
; %bb.112:
	s_mov_b32 s22, 0x43000000
	v_add_f32_e64 v3, |v2|, s22
; %bb.113:
	s_or_b64 exec, exec, s[18:19]
                                        ; implicit-def: $vgpr6
.LBB8_114:
	s_andn2_saveexec_b64 s[6:7], s[6:7]
; %bb.115:
	s_mov_b32 s18, 0x7f800000
	v_mov_b32_e32 v3, 0x7c
	v_mov_b32_e32 v7, 0x7f
	v_cmp_lt_u32_e32 vcc, s18, v6
	v_cndmask_b32_e32 v3, v3, v7, vcc
; %bb.116:
	s_or_b64 exec, exec, s[6:7]
	v_lshrrev_b32_e32 v2, 24, v2
	s_movk_i32 s6, 0x80
	v_and_or_b32 v2, v2, s6, v3
	global_store_byte v[4:5], v2, off
.LBB8_117:
	s_mov_b64 s[18:19], 0
	s_mov_b64 s[6:7], -1
.LBB8_118:
	s_andn2_b64 vcc, exec, s[18:19]
	s_cbranch_vccnz .LBB8_126
; %bb.119:
	s_cmp_gt_i32 s25, 14
	s_mov_b64 s[18:19], -1
	s_cbranch_scc0 .LBB8_123
; %bb.120:
	s_cmp_eq_u32 s25, 15
	s_mov_b64 s[0:1], -1
	s_cbranch_scc0 .LBB8_122
; %bb.121:
	v_cvt_f32_f64_e32 v2, v[0:1]
	s_movk_i32 s0, 0x7fff
	v_mov_b32_e32 v3, 0x7fc0
	s_mov_b64 s[6:7], -1
	v_bfe_u32 v6, v2, 16, 1
	v_cmp_o_f32_e32 vcc, v2, v2
	v_add3_u32 v2, v2, v6, s0
	v_cndmask_b32_sdwa v2, v3, v2, vcc dst_sel:DWORD dst_unused:UNUSED_PAD src0_sel:DWORD src1_sel:WORD_1
	global_store_short v[4:5], v2, off
	s_mov_b64 s[0:1], 0
.LBB8_122:
	s_mov_b64 s[18:19], 0
.LBB8_123:
	s_and_b64 vcc, exec, s[18:19]
	s_cbranch_vccz .LBB8_126
; %bb.124:
	s_cmp_eq_u32 s25, 11
	s_mov_b64 s[0:1], -1
	s_cbranch_scc0 .LBB8_126
; %bb.125:
	v_cmp_neq_f64_e32 vcc, 0, v[0:1]
	s_mov_b64 s[0:1], 0
	s_mov_b64 s[6:7], -1
	v_cndmask_b32_e64 v2, 0, 1, vcc
	global_store_byte v[4:5], v2, off
.LBB8_126:
	s_branch .LBB8_44
.LBB8_127:
	s_and_b32 s18, 0xffff, s24
	s_cmp_lt_i32 s18, 5
	s_mov_b64 s[6:7], -1
	s_cbranch_scc1 .LBB8_148
; %bb.128:
	s_cmp_lt_i32 s18, 8
	s_cbranch_scc1 .LBB8_138
; %bb.129:
	s_cmp_lt_i32 s18, 9
	s_cbranch_scc1 .LBB8_135
; %bb.130:
	s_cmp_gt_i32 s18, 9
	s_cbranch_scc0 .LBB8_132
; %bb.131:
	v_mov_b32_e32 v2, 0
	v_mov_b32_e32 v3, v2
	global_store_dwordx4 v[4:5], v[0:3], off
	s_mov_b64 s[6:7], 0
.LBB8_132:
	s_andn2_b64 vcc, exec, s[6:7]
	s_cbranch_vccnz .LBB8_134
; %bb.133:
	v_cvt_f32_f64_e32 v2, v[0:1]
	v_mov_b32_e32 v3, 0
	global_store_dwordx2 v[4:5], v[2:3], off
.LBB8_134:
	s_mov_b64 s[6:7], 0
.LBB8_135:
	s_andn2_b64 vcc, exec, s[6:7]
	s_cbranch_vccnz .LBB8_137
; %bb.136:
	s_movk_i32 s6, 0x1ff
	v_and_or_b32 v2, v1, s6, v0
	v_cmp_ne_u32_e32 vcc, 0, v2
	v_cndmask_b32_e64 v2, 0, 1, vcc
	v_lshrrev_b32_e32 v3, 8, v1
	s_movk_i32 s6, 0xffe
	v_bfe_u32 v6, v1, 20, 11
	v_and_or_b32 v2, v3, s6, v2
	v_sub_u32_e32 v7, 0x3f1, v6
	v_or_b32_e32 v3, 0x1000, v2
	v_med3_i32 v7, v7, 0, 13
	v_lshrrev_b32_e32 v8, v7, v3
	v_lshlrev_b32_e32 v7, v7, v8
	v_cmp_ne_u32_e32 vcc, v7, v3
	v_cndmask_b32_e64 v3, 0, 1, vcc
	v_add_u32_e32 v6, 0xfffffc10, v6
	v_or_b32_e32 v3, v8, v3
	v_lshl_or_b32 v7, v6, 12, v2
	v_cmp_gt_i32_e32 vcc, 1, v6
	v_cndmask_b32_e32 v3, v7, v3, vcc
	v_and_b32_e32 v7, 7, v3
	v_cmp_lt_i32_e32 vcc, 5, v7
	v_cndmask_b32_e64 v8, 0, 1, vcc
	v_cmp_eq_u32_e32 vcc, 3, v7
	v_cndmask_b32_e64 v7, 0, 1, vcc
	v_or_b32_e32 v7, v7, v8
	v_lshrrev_b32_e32 v3, 2, v3
	v_add_u32_e32 v3, v3, v7
	v_mov_b32_e32 v7, 0x7c00
	v_cmp_gt_i32_e32 vcc, 31, v6
	v_cndmask_b32_e32 v3, v7, v3, vcc
	v_mov_b32_e32 v8, 0x7e00
	v_cmp_ne_u32_e32 vcc, 0, v2
	s_movk_i32 s6, 0x40f
	v_cndmask_b32_e32 v2, v7, v8, vcc
	v_cmp_eq_u32_e32 vcc, s6, v6
	v_cndmask_b32_e32 v2, v3, v2, vcc
	v_lshrrev_b32_e32 v3, 16, v1
	s_mov_b32 s6, 0x8000
	v_and_or_b32 v2, v3, s6, v2
	v_and_b32_e32 v2, 0xffff, v2
	global_store_dword v[4:5], v2, off
.LBB8_137:
	s_mov_b64 s[6:7], 0
.LBB8_138:
	s_andn2_b64 vcc, exec, s[6:7]
	s_cbranch_vccnz .LBB8_147
; %bb.139:
	s_cmp_lt_i32 s18, 6
	s_mov_b64 s[6:7], -1
	s_cbranch_scc1 .LBB8_145
; %bb.140:
	s_cmp_gt_i32 s18, 6
	s_cbranch_scc0 .LBB8_142
; %bb.141:
	global_store_dwordx2 v[4:5], v[0:1], off
	s_mov_b64 s[6:7], 0
.LBB8_142:
	s_andn2_b64 vcc, exec, s[6:7]
	s_cbranch_vccnz .LBB8_144
; %bb.143:
	v_cvt_f32_f64_e32 v2, v[0:1]
	global_store_dword v[4:5], v2, off
.LBB8_144:
	s_mov_b64 s[6:7], 0
.LBB8_145:
	s_andn2_b64 vcc, exec, s[6:7]
	s_cbranch_vccnz .LBB8_147
; %bb.146:
	s_movk_i32 s6, 0x1ff
	v_and_or_b32 v2, v1, s6, v0
	v_cmp_ne_u32_e32 vcc, 0, v2
	v_cndmask_b32_e64 v2, 0, 1, vcc
	v_lshrrev_b32_e32 v3, 8, v1
	s_movk_i32 s6, 0xffe
	v_bfe_u32 v6, v1, 20, 11
	v_and_or_b32 v2, v3, s6, v2
	v_sub_u32_e32 v7, 0x3f1, v6
	v_or_b32_e32 v3, 0x1000, v2
	v_med3_i32 v7, v7, 0, 13
	v_lshrrev_b32_e32 v8, v7, v3
	v_lshlrev_b32_e32 v7, v7, v8
	v_cmp_ne_u32_e32 vcc, v7, v3
	v_cndmask_b32_e64 v3, 0, 1, vcc
	v_add_u32_e32 v6, 0xfffffc10, v6
	v_or_b32_e32 v3, v8, v3
	v_lshl_or_b32 v7, v6, 12, v2
	v_cmp_gt_i32_e32 vcc, 1, v6
	v_cndmask_b32_e32 v3, v7, v3, vcc
	v_and_b32_e32 v7, 7, v3
	v_cmp_lt_i32_e32 vcc, 5, v7
	v_cndmask_b32_e64 v8, 0, 1, vcc
	v_cmp_eq_u32_e32 vcc, 3, v7
	v_cndmask_b32_e64 v7, 0, 1, vcc
	v_or_b32_e32 v7, v7, v8
	v_lshrrev_b32_e32 v3, 2, v3
	v_add_u32_e32 v3, v3, v7
	v_mov_b32_e32 v7, 0x7c00
	v_cmp_gt_i32_e32 vcc, 31, v6
	v_cndmask_b32_e32 v3, v7, v3, vcc
	v_mov_b32_e32 v8, 0x7e00
	v_cmp_ne_u32_e32 vcc, 0, v2
	s_movk_i32 s6, 0x40f
	v_cndmask_b32_e32 v2, v7, v8, vcc
	v_cmp_eq_u32_e32 vcc, s6, v6
	v_cndmask_b32_e32 v2, v3, v2, vcc
	v_lshrrev_b32_e32 v3, 16, v1
	s_mov_b32 s6, 0x8000
	v_and_or_b32 v2, v3, s6, v2
	global_store_short v[4:5], v2, off
.LBB8_147:
	s_mov_b64 s[6:7], 0
.LBB8_148:
	s_andn2_b64 vcc, exec, s[6:7]
	s_cbranch_vccnz .LBB8_164
; %bb.149:
	s_cmp_lt_i32 s18, 2
	s_mov_b64 s[6:7], -1
	s_cbranch_scc1 .LBB8_159
; %bb.150:
	s_cmp_lt_i32 s18, 3
	s_cbranch_scc1 .LBB8_156
; %bb.151:
	s_cmp_gt_i32 s18, 3
	s_cbranch_scc0 .LBB8_153
; %bb.152:
	v_trunc_f64_e32 v[2:3], v[0:1]
	s_movk_i32 s6, 0xffe0
	v_ldexp_f64 v[6:7], v[2:3], s6
	s_mov_b32 s6, 0
	s_mov_b32 s7, 0xc1f00000
	v_floor_f64_e32 v[6:7], v[6:7]
	v_fma_f64 v[2:3], v[6:7], s[6:7], v[2:3]
	v_cvt_i32_f64_e32 v7, v[6:7]
	s_mov_b64 s[6:7], 0
	v_cvt_u32_f64_e32 v6, v[2:3]
	global_store_dwordx2 v[4:5], v[6:7], off
.LBB8_153:
	s_andn2_b64 vcc, exec, s[6:7]
	s_cbranch_vccnz .LBB8_155
; %bb.154:
	v_cvt_i32_f64_e32 v2, v[0:1]
	global_store_dword v[4:5], v2, off
.LBB8_155:
	s_mov_b64 s[6:7], 0
.LBB8_156:
	s_andn2_b64 vcc, exec, s[6:7]
	s_cbranch_vccnz .LBB8_158
; %bb.157:
	v_cvt_i32_f64_e32 v2, v[0:1]
	global_store_short v[4:5], v2, off
.LBB8_158:
	s_mov_b64 s[6:7], 0
.LBB8_159:
	s_andn2_b64 vcc, exec, s[6:7]
	s_cbranch_vccnz .LBB8_164
; %bb.160:
	s_cmp_gt_i32 s18, 0
	s_mov_b64 s[6:7], -1
	s_cbranch_scc0 .LBB8_162
; %bb.161:
	v_cvt_i32_f64_e32 v2, v[0:1]
	s_mov_b64 s[6:7], 0
	global_store_byte v[4:5], v2, off
.LBB8_162:
	s_andn2_b64 vcc, exec, s[6:7]
	s_cbranch_vccnz .LBB8_164
; %bb.163:
	v_trunc_f64_e32 v[0:1], v[0:1]
	s_movk_i32 s6, 0xffe0
	v_ldexp_f64 v[2:3], v[0:1], s6
	s_mov_b32 s6, 0
	s_mov_b32 s7, 0xc1f00000
	v_floor_f64_e32 v[2:3], v[2:3]
	v_fma_f64 v[0:1], v[2:3], s[6:7], v[0:1]
	v_cvt_u32_f64_e32 v0, v[0:1]
	global_store_byte v[4:5], v0, off
.LBB8_164:
	s_branch .LBB8_45
.LBB8_165:
	s_mov_b64 s[18:19], 0
                                        ; implicit-def: $vgpr14
	s_branch .LBB8_275
.LBB8_166:
	s_mov_b64 s[14:15], -1
                                        ; implicit-def: $vgpr2_vgpr3
.LBB8_167:
	s_mov_b64 s[6:7], 0
.LBB8_168:
	s_and_b64 vcc, exec, s[6:7]
	s_cbranch_vccz .LBB8_172
; %bb.169:
	s_cmp_eq_u32 s22, 29
	s_cbranch_scc0 .LBB8_171
; %bb.170:
	global_load_dwordx2 v[2:3], v[0:1], off
	s_mov_b64 s[0:1], -1
	s_mov_b64 s[14:15], 0
	s_mov_b64 s[6:7], 0
	s_waitcnt vmcnt(0)
	v_cvt_f64_u32_e32 v[3:4], v3
	v_cvt_f64_u32_e32 v[5:6], v2
	v_ldexp_f64 v[3:4], v[3:4], 32
	v_add_f64 v[2:3], v[3:4], v[5:6]
	s_branch .LBB8_173
.LBB8_171:
	s_mov_b64 s[14:15], -1
                                        ; implicit-def: $vgpr2_vgpr3
.LBB8_172:
	s_mov_b64 s[6:7], 0
.LBB8_173:
	s_and_b64 vcc, exec, s[6:7]
	s_cbranch_vccz .LBB8_193
; %bb.174:
	s_cmp_lt_i32 s22, 27
	s_cbranch_scc1 .LBB8_177
; %bb.175:
	s_cmp_gt_i32 s22, 27
	s_cbranch_scc0 .LBB8_178
; %bb.176:
	global_load_dword v2, v[0:1], off
	s_mov_b64 s[0:1], 0
	s_waitcnt vmcnt(0)
	v_cvt_f64_u32_e32 v[2:3], v2
	s_branch .LBB8_179
.LBB8_177:
	s_mov_b64 s[0:1], -1
                                        ; implicit-def: $vgpr2_vgpr3
	s_branch .LBB8_182
.LBB8_178:
	s_mov_b64 s[0:1], -1
                                        ; implicit-def: $vgpr2_vgpr3
.LBB8_179:
	s_andn2_b64 vcc, exec, s[0:1]
	s_cbranch_vccnz .LBB8_181
; %bb.180:
	global_load_ushort v2, v[0:1], off
	s_waitcnt vmcnt(0)
	v_cvt_f64_u32_e32 v[2:3], v2
.LBB8_181:
	s_mov_b64 s[0:1], 0
.LBB8_182:
	s_andn2_b64 vcc, exec, s[0:1]
	s_cbranch_vccnz .LBB8_192
; %bb.183:
	global_load_ubyte v4, v[0:1], off
	s_movk_i32 s0, 0x7f
	s_waitcnt vmcnt(0)
	v_cmp_lt_i16_e32 vcc, s0, v4
	s_mov_b64 s[0:1], 0
	s_and_saveexec_b64 s[6:7], vcc
	s_xor_b64 s[6:7], exec, s[6:7]
	s_cbranch_execz .LBB8_187
; %bb.184:
	s_movk_i32 s0, 0x80
	v_cmp_eq_u16_e32 vcc, s0, v4
	s_mov_b64 s[0:1], -1
	s_and_saveexec_b64 s[18:19], vcc
; %bb.185:
	s_xor_b64 s[0:1], exec, -1
; %bb.186:
	s_or_b64 exec, exec, s[18:19]
	s_and_b64 s[0:1], s[0:1], exec
.LBB8_187:
	s_or_saveexec_b64 s[6:7], s[6:7]
	v_bfrev_b32_e32 v2, 4
	v_mov_b32_e32 v3, 0x7ff80000
	s_xor_b64 exec, exec, s[6:7]
; %bb.188:
	v_cmp_ne_u16_e32 vcc, 0, v4
	v_mov_b32_e32 v2, 0
	s_andn2_b64 s[0:1], s[0:1], exec
	s_and_b64 s[18:19], vcc, exec
	v_mov_b32_e32 v3, 0
	s_or_b64 s[0:1], s[0:1], s[18:19]
; %bb.189:
	s_or_b64 exec, exec, s[6:7]
	s_and_saveexec_b64 s[6:7], s[0:1]
	s_cbranch_execz .LBB8_191
; %bb.190:
	v_and_b32_e32 v3, 0xffff, v4
	v_lshlrev_b32_e32 v2, 24, v4
	v_and_b32_e32 v4, 7, v3
	v_ffbh_u32_e32 v6, v4
	v_min_u32_e32 v6, 32, v6
	v_subrev_u32_e32 v7, 28, v6
	v_bfe_u32 v5, v3, 3, 4
	v_lshlrev_b32_e32 v3, v7, v3
	v_sub_u32_e32 v6, 29, v6
	v_and_b32_e32 v3, 7, v3
	v_cmp_eq_u32_e32 vcc, 0, v5
	v_cndmask_b32_e32 v5, v5, v6, vcc
	v_cndmask_b32_e32 v3, v4, v3, vcc
	v_mov_b32_e32 v4, 0x3b800000
	v_lshlrev_b32_e32 v3, 20, v3
	v_and_b32_e32 v2, 0x80000000, v2
	v_lshl_add_u32 v4, v5, 23, v4
	v_or3_b32 v2, v2, v4, v3
	v_cvt_f64_f32_e32 v[2:3], v2
.LBB8_191:
	s_or_b64 exec, exec, s[6:7]
.LBB8_192:
	s_mov_b64 s[0:1], -1
.LBB8_193:
	s_branch .LBB8_226
.LBB8_194:
	s_cmp_gt_i32 s22, 22
	s_cbranch_scc0 .LBB8_206
; %bb.195:
	s_cmp_lt_i32 s22, 24
	s_cbranch_scc1 .LBB8_207
; %bb.196:
	s_cmp_gt_i32 s22, 24
	s_cbranch_scc0 .LBB8_208
; %bb.197:
	global_load_ubyte v4, v[0:1], off
	s_movk_i32 s0, 0x7f
	s_waitcnt vmcnt(0)
	v_cmp_lt_i16_e32 vcc, s0, v4
	s_mov_b64 s[0:1], 0
	s_and_saveexec_b64 s[6:7], vcc
	s_xor_b64 s[6:7], exec, s[6:7]
	s_cbranch_execz .LBB8_201
; %bb.198:
	s_movk_i32 s0, 0x80
	v_cmp_eq_u16_e32 vcc, s0, v4
	s_mov_b64 s[0:1], -1
	s_and_saveexec_b64 s[18:19], vcc
; %bb.199:
	s_xor_b64 s[0:1], exec, -1
; %bb.200:
	s_or_b64 exec, exec, s[18:19]
	s_and_b64 s[0:1], s[0:1], exec
.LBB8_201:
	s_or_saveexec_b64 s[6:7], s[6:7]
	v_bfrev_b32_e32 v2, 4
	v_mov_b32_e32 v3, 0x7ff80000
	s_xor_b64 exec, exec, s[6:7]
; %bb.202:
	v_cmp_ne_u16_e32 vcc, 0, v4
	v_mov_b32_e32 v2, 0
	s_andn2_b64 s[0:1], s[0:1], exec
	s_and_b64 s[18:19], vcc, exec
	v_mov_b32_e32 v3, 0
	s_or_b64 s[0:1], s[0:1], s[18:19]
; %bb.203:
	s_or_b64 exec, exec, s[6:7]
	s_and_saveexec_b64 s[6:7], s[0:1]
	s_cbranch_execz .LBB8_205
; %bb.204:
	v_and_b32_e32 v3, 0xffff, v4
	v_lshlrev_b32_e32 v2, 24, v4
	v_and_b32_e32 v4, 3, v3
	v_ffbh_u32_e32 v6, v4
	v_min_u32_e32 v6, 32, v6
	v_subrev_u32_e32 v7, 29, v6
	v_bfe_u32 v5, v3, 2, 5
	v_lshlrev_b32_e32 v3, v7, v3
	v_sub_u32_e32 v6, 30, v6
	v_and_b32_e32 v3, 3, v3
	v_cmp_eq_u32_e32 vcc, 0, v5
	v_cndmask_b32_e32 v5, v5, v6, vcc
	v_cndmask_b32_e32 v3, v4, v3, vcc
	v_mov_b32_e32 v4, 0x37800000
	v_lshlrev_b32_e32 v3, 21, v3
	v_and_b32_e32 v2, 0x80000000, v2
	v_lshl_add_u32 v4, v5, 23, v4
	v_or3_b32 v2, v2, v4, v3
	v_cvt_f64_f32_e32 v[2:3], v2
.LBB8_205:
	s_or_b64 exec, exec, s[6:7]
	s_mov_b64 s[0:1], 0
	s_branch .LBB8_209
.LBB8_206:
	s_mov_b64 s[6:7], -1
                                        ; implicit-def: $vgpr2_vgpr3
	s_branch .LBB8_215
.LBB8_207:
	s_mov_b64 s[0:1], -1
                                        ; implicit-def: $vgpr2_vgpr3
	s_branch .LBB8_212
.LBB8_208:
	s_mov_b64 s[0:1], -1
                                        ; implicit-def: $vgpr2_vgpr3
.LBB8_209:
	s_and_b64 vcc, exec, s[0:1]
	s_cbranch_vccz .LBB8_211
; %bb.210:
	global_load_ubyte v2, v[0:1], off
	s_mov_b32 s0, 0x7f800000
	s_waitcnt vmcnt(0)
	v_lshlrev_b32_e32 v2, 24, v2
	v_and_b32_e32 v3, 0x7f000000, v2
	v_ffbh_u32_e32 v4, v3
	v_min_u32_e32 v4, 32, v4
	v_sub_u32_e64 v4, v4, 4 clamp
	v_lshlrev_b32_e32 v6, v4, v3
	v_lshlrev_b32_e32 v4, 23, v4
	v_lshrrev_b32_e32 v6, 4, v6
	v_add_u32_e32 v5, 0x1000000, v3
	v_sub_u32_e32 v4, v6, v4
	v_ashrrev_i32_e32 v5, 8, v5
	v_add_u32_e32 v4, 0x3c000000, v4
	v_and_or_b32 v4, v5, s0, v4
	v_cmp_ne_u32_e32 vcc, 0, v3
	v_cndmask_b32_e32 v3, 0, v4, vcc
	s_brev_b32 s0, 1
	v_and_or_b32 v2, v2, s0, v3
	v_cvt_f64_f32_e32 v[2:3], v2
.LBB8_211:
	s_mov_b64 s[0:1], 0
.LBB8_212:
	s_andn2_b64 vcc, exec, s[0:1]
	s_cbranch_vccnz .LBB8_214
; %bb.213:
	global_load_ubyte v2, v[0:1], off
	s_movk_i32 s0, 0x7f00
	s_brev_b32 s1, 16
	s_waitcnt vmcnt(0)
	v_lshlrev_b16_e32 v3, 8, v2
	v_lshlrev_b32_e32 v2, 25, v2
	v_lshrrev_b32_e32 v4, 4, v2
	v_and_or_b32 v5, v3, s0, 0.5
	v_or_b32_e32 v4, 0x70000000, v4
	v_add_f32_e32 v5, -0.5, v5
	v_mul_f32_e32 v4, 0x7800000, v4
	v_cmp_gt_u32_e32 vcc, s1, v2
	v_bfe_i32 v3, v3, 0, 16
	v_cndmask_b32_e32 v2, v4, v5, vcc
	s_brev_b32 s0, 1
	v_and_or_b32 v2, v3, s0, v2
	v_cvt_f64_f32_e32 v[2:3], v2
.LBB8_214:
	s_mov_b64 s[6:7], 0
	s_mov_b64 s[0:1], -1
.LBB8_215:
	s_andn2_b64 vcc, exec, s[6:7]
	s_cbranch_vccnz .LBB8_226
; %bb.216:
	s_cmp_gt_i32 s22, 14
	s_cbranch_scc0 .LBB8_219
; %bb.217:
	s_cmp_eq_u32 s22, 15
	s_cbranch_scc0 .LBB8_220
; %bb.218:
	global_load_ushort v2, v[0:1], off
	s_mov_b64 s[0:1], -1
	s_mov_b64 s[14:15], 0
	s_waitcnt vmcnt(0)
	v_lshlrev_b32_e32 v2, 16, v2
	v_cvt_f64_f32_e32 v[2:3], v2
	s_branch .LBB8_221
.LBB8_219:
	s_mov_b64 s[6:7], -1
                                        ; implicit-def: $vgpr2_vgpr3
	s_branch .LBB8_222
.LBB8_220:
	s_mov_b64 s[14:15], -1
                                        ; implicit-def: $vgpr2_vgpr3
.LBB8_221:
	s_mov_b64 s[6:7], 0
.LBB8_222:
	s_and_b64 vcc, exec, s[6:7]
	s_cbranch_vccz .LBB8_226
; %bb.223:
	s_cmp_eq_u32 s22, 11
	s_cbranch_scc0 .LBB8_225
; %bb.224:
	global_load_ubyte v3, v[0:1], off
	v_mov_b32_e32 v4, 0x3ff00000
	v_mov_b32_e32 v2, 0
	s_mov_b64 s[0:1], -1
	s_mov_b64 s[14:15], 0
	s_waitcnt vmcnt(0)
	v_cmp_ne_u16_e32 vcc, 0, v3
	v_cndmask_b32_e32 v3, 0, v4, vcc
	s_branch .LBB8_226
.LBB8_225:
	s_mov_b64 s[14:15], -1
                                        ; implicit-def: $vgpr2_vgpr3
.LBB8_226:
	s_branch .LBB8_10
.LBB8_227:
	s_cmp_lt_i32 s22, 5
	s_cbranch_scc1 .LBB8_232
; %bb.228:
	s_cmp_lt_i32 s22, 8
	s_cbranch_scc1 .LBB8_233
; %bb.229:
	s_cmp_lt_i32 s22, 9
	s_cbranch_scc1 .LBB8_234
; %bb.230:
	s_cmp_gt_i32 s22, 9
	s_cbranch_scc0 .LBB8_235
; %bb.231:
	global_load_dwordx2 v[2:3], v[0:1], off
	s_mov_b64 s[0:1], 0
	s_branch .LBB8_236
.LBB8_232:
                                        ; implicit-def: $vgpr2_vgpr3
	s_branch .LBB8_254
.LBB8_233:
	s_mov_b64 s[0:1], -1
                                        ; implicit-def: $vgpr2_vgpr3
	s_branch .LBB8_242
.LBB8_234:
	s_mov_b64 s[0:1], -1
                                        ; implicit-def: $vgpr2_vgpr3
	s_branch .LBB8_239
.LBB8_235:
	s_mov_b64 s[0:1], -1
                                        ; implicit-def: $vgpr2_vgpr3
.LBB8_236:
	s_andn2_b64 vcc, exec, s[0:1]
	s_cbranch_vccnz .LBB8_238
; %bb.237:
	global_load_dword v2, v[0:1], off
	s_waitcnt vmcnt(0)
	v_cvt_f64_f32_e32 v[2:3], v2
.LBB8_238:
	s_mov_b64 s[0:1], 0
.LBB8_239:
	s_andn2_b64 vcc, exec, s[0:1]
	s_cbranch_vccnz .LBB8_241
; %bb.240:
	global_load_dword v2, v[0:1], off
	s_waitcnt vmcnt(0)
	v_cvt_f32_f16_e32 v2, v2
	v_cvt_f64_f32_e32 v[2:3], v2
.LBB8_241:
	s_mov_b64 s[0:1], 0
.LBB8_242:
	s_andn2_b64 vcc, exec, s[0:1]
	s_cbranch_vccnz .LBB8_253
; %bb.243:
	s_cmp_lt_i32 s22, 6
	s_cbranch_scc1 .LBB8_246
; %bb.244:
	s_cmp_gt_i32 s22, 6
	s_cbranch_scc0 .LBB8_247
; %bb.245:
	global_load_dwordx2 v[2:3], v[0:1], off
	s_mov_b64 s[0:1], 0
	s_branch .LBB8_248
.LBB8_246:
	s_mov_b64 s[0:1], -1
                                        ; implicit-def: $vgpr2_vgpr3
	s_branch .LBB8_251
.LBB8_247:
	s_mov_b64 s[0:1], -1
                                        ; implicit-def: $vgpr2_vgpr3
.LBB8_248:
	s_andn2_b64 vcc, exec, s[0:1]
	s_cbranch_vccnz .LBB8_250
; %bb.249:
	global_load_dword v2, v[0:1], off
	s_waitcnt vmcnt(0)
	v_cvt_f64_f32_e32 v[2:3], v2
.LBB8_250:
	s_mov_b64 s[0:1], 0
.LBB8_251:
	s_andn2_b64 vcc, exec, s[0:1]
	s_cbranch_vccnz .LBB8_253
; %bb.252:
	global_load_ushort v2, v[0:1], off
	s_waitcnt vmcnt(0)
	v_cvt_f32_f16_e32 v2, v2
	v_cvt_f64_f32_e32 v[2:3], v2
.LBB8_253:
	s_cbranch_execnz .LBB8_273
.LBB8_254:
	s_cmp_lt_i32 s22, 2
	s_cbranch_scc1 .LBB8_258
; %bb.255:
	s_cmp_lt_i32 s22, 3
	s_cbranch_scc1 .LBB8_259
; %bb.256:
	s_cmp_gt_i32 s22, 3
	s_cbranch_scc0 .LBB8_260
; %bb.257:
	global_load_dwordx2 v[2:3], v[0:1], off
	s_mov_b64 s[0:1], 0
	s_waitcnt vmcnt(0)
	v_cvt_f64_i32_e32 v[3:4], v3
	v_cvt_f64_u32_e32 v[5:6], v2
	v_ldexp_f64 v[3:4], v[3:4], 32
	v_add_f64 v[2:3], v[3:4], v[5:6]
	s_branch .LBB8_261
.LBB8_258:
	s_mov_b64 s[0:1], -1
                                        ; implicit-def: $vgpr2_vgpr3
	s_branch .LBB8_267
.LBB8_259:
	s_mov_b64 s[0:1], -1
                                        ; implicit-def: $vgpr2_vgpr3
	s_branch .LBB8_264
.LBB8_260:
	s_mov_b64 s[0:1], -1
                                        ; implicit-def: $vgpr2_vgpr3
.LBB8_261:
	s_andn2_b64 vcc, exec, s[0:1]
	s_cbranch_vccnz .LBB8_263
; %bb.262:
	global_load_dword v2, v[0:1], off
	s_waitcnt vmcnt(0)
	v_cvt_f64_i32_e32 v[2:3], v2
.LBB8_263:
	s_mov_b64 s[0:1], 0
.LBB8_264:
	s_andn2_b64 vcc, exec, s[0:1]
	s_cbranch_vccnz .LBB8_266
; %bb.265:
	global_load_sshort v2, v[0:1], off
	s_waitcnt vmcnt(0)
	v_cvt_f64_i32_e32 v[2:3], v2
.LBB8_266:
	s_mov_b64 s[0:1], 0
.LBB8_267:
	s_andn2_b64 vcc, exec, s[0:1]
	s_cbranch_vccnz .LBB8_273
; %bb.268:
	s_cmp_gt_i32 s22, 0
	s_cbranch_scc0 .LBB8_270
; %bb.269:
	global_load_sbyte v2, v[0:1], off
	s_mov_b64 s[0:1], 0
	s_waitcnt vmcnt(0)
	v_cvt_f64_i32_e32 v[2:3], v2
	s_branch .LBB8_271
.LBB8_270:
	s_mov_b64 s[0:1], -1
                                        ; implicit-def: $vgpr2_vgpr3
.LBB8_271:
	s_andn2_b64 vcc, exec, s[0:1]
	s_cbranch_vccnz .LBB8_273
; %bb.272:
	global_load_ubyte v0, v[0:1], off
	s_waitcnt vmcnt(0)
	v_cvt_f64_u32_e32 v[2:3], v0
.LBB8_273:
	s_branch .LBB8_11
.LBB8_274:
	s_mov_b64 s[0:1], 0
                                        ; implicit-def: $vgpr14
	s_mov_b64 s[18:19], 0
.LBB8_275:
	s_and_b64 s[6:7], s[0:1], exec
	s_and_b64 s[14:15], s[14:15], exec
	s_orn2_b64 s[18:19], s[18:19], exec
.LBB8_276:
	s_or_b64 exec, exec, s[16:17]
	s_mov_b64 s[22:23], 0
	s_mov_b64 s[0:1], 0
                                        ; implicit-def: $vgpr0_vgpr1
                                        ; implicit-def: $vgpr2_vgpr3
	s_and_saveexec_b64 s[16:17], s[18:19]
	s_cbranch_execz .LBB8_285
; %bb.277:
	v_cmp_gt_i32_e32 vcc, s40, v14
	s_mov_b64 s[0:1], -1
	s_mov_b64 s[18:19], s[14:15]
	s_mov_b64 s[20:21], s[6:7]
	s_and_saveexec_b64 s[22:23], vcc
	s_cbranch_execz .LBB8_561
; %bb.278:
	v_mul_lo_u32 v0, v14, s3
	v_mov_b32_e32 v1, s11
	s_and_b32 s26, 0xffff, s42
	s_cmp_lt_i32 s26, 11
	s_waitcnt vmcnt(0)
	v_ashrrev_i32_e32 v2, 31, v0
	v_add_co_u32_e32 v0, vcc, s10, v0
	v_addc_co_u32_e32 v1, vcc, v1, v2, vcc
	s_cbranch_scc1 .LBB8_288
; %bb.279:
	s_cmp_gt_i32 s26, 25
	s_cbranch_scc0 .LBB8_321
; %bb.280:
	s_cmp_gt_i32 s26, 28
	s_cbranch_scc0 .LBB8_323
	;; [unrolled: 3-line block ×4, first 2 shown]
; %bb.283:
	s_cmp_eq_u32 s26, 46
	s_mov_b64 s[20:21], 0
	s_cbranch_scc0 .LBB8_333
; %bb.284:
	global_load_dword v2, v[0:1], off
	s_mov_b64 s[18:19], 0
	s_waitcnt vmcnt(0)
	v_lshlrev_b32_e32 v2, 16, v2
	v_cvt_f64_f32_e32 v[2:3], v2
	s_branch .LBB8_334
.LBB8_285:
	s_or_b64 exec, exec, s[16:17]
	s_mov_b64 s[16:17], 0
	s_and_saveexec_b64 s[18:19], s[14:15]
	s_cbranch_execnz .LBB8_931
.LBB8_286:
	s_or_b64 exec, exec, s[18:19]
	s_and_saveexec_b64 s[14:15], s[20:21]
	s_xor_b64 s[14:15], exec, s[14:15]
	s_cbranch_execz .LBB8_932
.LBB8_287:
	global_load_ubyte v3, v[0:1], off
	v_mov_b32_e32 v4, 0x3ff00000
	s_waitcnt vmcnt(1)
	v_mov_b32_e32 v2, 0
	s_or_b64 s[0:1], s[0:1], exec
	s_waitcnt vmcnt(0)
	v_cmp_ne_u16_e32 vcc, 0, v3
	v_cndmask_b32_e32 v3, 0, v4, vcc
	s_or_b64 exec, exec, s[14:15]
	s_and_saveexec_b64 s[14:15], s[22:23]
	s_cbranch_execz .LBB8_978
	s_branch .LBB8_933
.LBB8_288:
	s_mov_b64 s[0:1], 0
                                        ; implicit-def: $vgpr2_vgpr3
	s_mov_b64 s[18:19], s[14:15]
	s_cbranch_execnz .LBB8_511
.LBB8_289:
	s_andn2_b64 vcc, exec, s[0:1]
	s_cbranch_vccnz .LBB8_559
.LBB8_290:
	s_waitcnt vmcnt(0)
	v_cmp_neq_f64_e32 vcc, 0, v[2:3]
                                        ; implicit-def: $vgpr0_vgpr1
	s_and_saveexec_b64 s[0:1], vcc
	s_xor_b64 s[20:21], exec, s[0:1]
	s_cbranch_execz .LBB8_312
; %bb.291:
	v_cmp_gt_f64_e32 vcc, 0, v[2:3]
	v_mov_b32_e32 v4, 0
	v_mov_b32_e32 v5, 0
	s_mov_b64 s[26:27], -1
	s_and_saveexec_b64 s[24:25], vcc
	s_cbranch_execz .LBB8_299
; %bb.292:
	v_trunc_f64_e32 v[0:1], v[2:3]
	v_mov_b32_e32 v4, 0
	v_mov_b32_e32 v5, 0
	s_mov_b64 s[28:29], 0
	v_cmp_neq_f64_e32 vcc, v[2:3], v[0:1]
	s_and_saveexec_b64 s[26:27], vcc
	s_cbranch_execz .LBB8_298
; %bb.293:
	v_add_f64 v[0:1], v[2:3], -v[0:1]
	s_mov_b32 s0, 0
	s_mov_b32 s29, 0xc00921fb
	;; [unrolled: 1-line block ×4, first 2 shown]
	v_cmp_neq_f64_e64 vcc, |v[2:3]|, s[0:1]
	v_bfrev_b32_e32 v4, 1
	s_mov_b32 s30, 0
	v_mul_f64 v[0:1], |v[0:1]|, s[28:29]
	s_mov_b32 s31, 0x41d00000
                                        ; implicit-def: $vgpr8
                                        ; implicit-def: $vgpr6_vgpr7
	v_cndmask_b32_e32 v1, v4, v1, vcc
	v_cndmask_b32_e32 v0, 0, v0, vcc
	v_cmp_nlt_f64_e64 s[30:31], |v[0:1]|, s[30:31]
                                        ; implicit-def: $vgpr4_vgpr5
	s_and_saveexec_b64 s[34:35], s[30:31]
	s_xor_b64 s[30:31], exec, s[34:35]
	s_cbranch_execz .LBB8_295
; %bb.294:
	v_trig_preop_f64 v[4:5], |v[0:1]|, 0
	s_mov_b32 s34, 0
	s_mov_b32 s35, 0x7b000000
	s_movk_i32 s29, 0xff80
	v_ldexp_f64 v[8:9], |v[0:1]|, s29
	v_cmp_ge_f64_e64 vcc, |v[0:1]|, s[34:35]
	v_trig_preop_f64 v[6:7], |v[0:1]|, 1
	v_and_b32_e32 v10, 0x7fffffff, v1
	v_trig_preop_f64 v[17:18], |v[0:1]|, 2
	v_mov_b32_e32 v28, 0x40100000
	v_mov_b32_e32 v27, 0
	s_mov_b32 s29, 0x3ff921fb
	v_cndmask_b32_e32 v9, v10, v9, vcc
	v_cndmask_b32_e32 v8, v0, v8, vcc
	v_mul_f64 v[10:11], v[4:5], v[8:9]
	v_mul_f64 v[12:13], v[6:7], v[8:9]
	;; [unrolled: 1-line block ×3, first 2 shown]
	v_fma_f64 v[4:5], v[4:5], v[8:9], -v[10:11]
	v_fma_f64 v[6:7], v[6:7], v[8:9], -v[12:13]
	;; [unrolled: 1-line block ×3, first 2 shown]
	v_add_f64 v[15:16], v[12:13], v[4:5]
	v_add_f64 v[19:20], v[15:16], -v[12:13]
	v_add_f64 v[25:26], v[10:11], v[15:16]
	v_add_f64 v[21:22], v[15:16], -v[19:20]
	v_add_f64 v[4:5], v[4:5], -v[19:20]
	v_add_f64 v[19:20], v[23:24], v[6:7]
	v_add_f64 v[10:11], v[25:26], -v[10:11]
	v_add_f64 v[12:13], v[12:13], -v[21:22]
	v_ldexp_f64 v[21:22], v[25:26], -2
	v_add_f64 v[29:30], v[19:20], -v[23:24]
	v_add_f64 v[10:11], v[15:16], -v[10:11]
	v_add_f64 v[4:5], v[4:5], v[12:13]
	v_fract_f64_e32 v[12:13], v[21:22]
	v_cmp_neq_f64_e64 vcc, |v[21:22]|, s[0:1]
	v_add_f64 v[6:7], v[6:7], -v[29:30]
	v_add_f64 v[15:16], v[19:20], v[4:5]
	v_ldexp_f64 v[12:13], v[12:13], 2
	v_add_f64 v[21:22], v[10:11], v[15:16]
	v_cndmask_b32_e32 v13, 0, v13, vcc
	v_cndmask_b32_e32 v12, 0, v12, vcc
	v_add_f64 v[31:32], v[15:16], -v[19:20]
	v_add_f64 v[25:26], v[21:22], v[12:13]
	v_add_f64 v[10:11], v[21:22], -v[10:11]
	v_add_f64 v[33:34], v[15:16], -v[31:32]
	;; [unrolled: 1-line block ×3, first 2 shown]
	v_cmp_gt_f64_e32 vcc, 0, v[25:26]
	v_add_f64 v[25:26], v[19:20], -v[29:30]
	v_add_f64 v[10:11], v[15:16], -v[10:11]
	;; [unrolled: 1-line block ×3, first 2 shown]
	v_cndmask_b32_e32 v28, 0, v28, vcc
	v_add_f64 v[12:13], v[12:13], v[27:28]
	v_add_f64 v[25:26], v[23:24], -v[25:26]
	v_add_f64 v[4:5], v[4:5], v[19:20]
	v_add_f64 v[35:36], v[21:22], v[12:13]
	;; [unrolled: 1-line block ×3, first 2 shown]
	v_cvt_i32_f64_e32 v30, v[35:36]
	v_add_f64 v[4:5], v[6:7], v[4:5]
	v_cvt_f64_i32_e32 v[28:29], v30
	v_add_f64 v[12:13], v[12:13], -v[28:29]
	v_add_f64 v[4:5], v[8:9], v[4:5]
	v_add_f64 v[6:7], v[21:22], v[12:13]
	;; [unrolled: 1-line block ×3, first 2 shown]
	v_mov_b32_e32 v11, 0x3ff00000
	v_add_f64 v[8:9], v[6:7], -v[12:13]
	v_cmp_le_f64_e32 vcc, 0.5, v[6:7]
	v_add_f64 v[9:10], v[21:22], -v[8:9]
	v_cndmask_b32_e32 v28, 0, v11, vcc
	v_add_f64 v[6:7], v[6:7], -v[27:28]
	v_addc_co_u32_e64 v8, s[0:1], 0, v30, vcc
	s_mov_b32 s0, 0x33145c07
	s_mov_b32 s1, 0x3c91a626
	v_add_f64 v[4:5], v[4:5], v[9:10]
	v_add_f64 v[9:10], v[6:7], v[4:5]
	v_mul_f64 v[11:12], v[9:10], s[28:29]
	v_add_f64 v[6:7], v[9:10], -v[6:7]
	v_fma_f64 v[15:16], v[9:10], s[28:29], -v[11:12]
	v_add_f64 v[4:5], v[4:5], -v[6:7]
	v_fma_f64 v[6:7], v[9:10], s[0:1], v[15:16]
	v_fma_f64 v[6:7], v[4:5], s[28:29], v[6:7]
	v_add_f64 v[4:5], v[11:12], v[6:7]
	v_add_f64 v[9:10], v[4:5], -v[11:12]
	v_add_f64 v[6:7], v[6:7], -v[9:10]
.LBB8_295:
	s_andn2_saveexec_b64 s[0:1], s[30:31]
	s_cbranch_execz .LBB8_297
; %bb.296:
	s_mov_b32 s28, 0x6dc9c883
	s_mov_b32 s29, 0x3fe45f30
	v_mul_f64 v[4:5], |v[0:1]|, s[28:29]
	s_mov_b32 s28, 0x54442d18
	s_mov_b32 s29, 0xbff921fb
	;; [unrolled: 1-line block ×4, first 2 shown]
	v_rndne_f64_e32 v[8:9], v[4:5]
	v_fma_f64 v[4:5], v[8:9], s[28:29], |v[0:1]|
	v_mul_f64 v[6:7], v[8:9], s[30:31]
	s_mov_b32 s28, 0x252049c0
	s_mov_b32 s29, 0xb97b839a
	v_fma_f64 v[15:16], v[8:9], s[30:31], v[4:5]
	v_add_f64 v[10:11], v[4:5], v[6:7]
	s_mov_b32 s31, 0x3c91a626
	v_add_f64 v[12:13], v[4:5], -v[10:11]
	v_add_f64 v[10:11], v[10:11], -v[15:16]
	v_add_f64 v[4:5], v[12:13], v[6:7]
	v_fma_f64 v[6:7], v[8:9], s[30:31], v[6:7]
	v_add_f64 v[4:5], v[10:11], v[4:5]
	v_add_f64 v[4:5], v[4:5], -v[6:7]
	v_fma_f64 v[6:7], v[8:9], s[28:29], v[4:5]
	v_cvt_i32_f64_e32 v8, v[8:9]
	v_add_f64 v[4:5], v[15:16], v[6:7]
	v_add_f64 v[10:11], v[4:5], -v[15:16]
	v_add_f64 v[6:7], v[6:7], -v[10:11]
.LBB8_297:
	s_or_b64 exec, exec, s[0:1]
	v_mul_f64 v[9:10], v[4:5], v[4:5]
	v_add_f64 v[11:12], v[6:7], v[6:7]
	s_mov_b32 s0, 0xc751c08c
	s_mov_b32 s1, 0x3ef5e089
	v_and_b32_e32 v8, 1, v8
	v_cmp_eq_u32_e32 vcc, 0, v8
	s_mov_b32 s30, 0x54442d18
	s_mov_b32 s31, 0xc00921fb
	v_fma_f64 v[15:16], v[4:5], v[4:5], -v[9:10]
	v_add_f64 v[2:3], -v[2:3], 1.0
	s_mov_b64 s[28:29], exec
	v_fma_f64 v[11:12], v[4:5], v[11:12], v[15:16]
	v_add_f64 v[9:10], v[9:10], v[11:12]
	v_mov_b32_e32 v11, 0xa9a29f71
	v_mov_b32_e32 v12, 0xbf078809
	v_fma_f64 v[11:12], v[9:10], s[0:1], v[11:12]
	s_mov_b32 s0, 0x90a8aae0
	s_mov_b32 s1, 0x3f17746f
	v_fma_f64 v[11:12], v[9:10], v[11:12], s[0:1]
	s_mov_b32 s0, 0xa6fbf144
	s_mov_b32 s1, 0xbefbb44d
	;; [unrolled: 3-line block ×12, first 2 shown]
	v_fma_f64 v[11:12], v[9:10], v[11:12], s[0:1]
	s_movk_i32 s0, 0x1f8
	v_cmp_class_f64_e64 s[0:1], v[0:1], s0
	v_mul_f64 v[9:10], v[9:10], v[11:12]
	v_mul_f64 v[11:12], v[4:5], v[9:10]
	v_add_f64 v[15:16], v[4:5], v[11:12]
	v_fma_f64 v[9:10], v[4:5], v[9:10], -v[11:12]
	v_add_f64 v[4:5], v[15:16], -v[4:5]
	v_add_f64 v[6:7], v[6:7], v[9:10]
	v_add_f64 v[4:5], v[11:12], -v[4:5]
	v_add_f64 v[4:5], v[6:7], v[4:5]
	v_add_f64 v[6:7], v[15:16], v[4:5]
	v_rcp_f64_e32 v[9:10], v[6:7]
	v_fma_f64 v[11:12], -v[6:7], v[9:10], 1.0
	v_fma_f64 v[9:10], v[11:12], v[9:10], v[9:10]
	v_fma_f64 v[11:12], -v[6:7], v[9:10], 1.0
	v_fma_f64 v[9:10], v[11:12], v[9:10], v[9:10]
	v_add_f64 v[11:12], v[6:7], -v[15:16]
	v_mul_f64 v[15:16], v[6:7], v[9:10]
	v_add_f64 v[4:5], v[4:5], -v[11:12]
	v_fma_f64 v[11:12], v[9:10], v[6:7], -v[15:16]
	v_fma_f64 v[4:5], v[9:10], v[4:5], v[11:12]
	v_add_f64 v[11:12], v[15:16], v[4:5]
	v_add_f64 v[17:18], -v[11:12], 1.0
	v_add_f64 v[15:16], v[11:12], -v[15:16]
	v_add_f64 v[19:20], -v[17:18], 1.0
	v_add_f64 v[4:5], v[15:16], -v[4:5]
	v_add_f64 v[11:12], v[19:20], -v[11:12]
	v_add_f64 v[4:5], v[4:5], v[11:12]
	v_add_f64 v[4:5], v[17:18], v[4:5]
	v_mul_f64 v[4:5], v[9:10], v[4:5]
	v_add_f64 v[4:5], v[9:10], v[4:5]
	v_and_b32_e32 v9, 0x80000000, v1
	v_mov_b32_e32 v1, 0x7ff80000
	v_xor_b32_e32 v0, 0x80000000, v5
	v_cndmask_b32_e32 v4, v4, v6, vcc
	v_cndmask_b32_e32 v5, v0, v7, vcc
	v_cndmask_b32_e64 v0, 0, v4, s[0:1]
	v_xor_b32_e32 v4, v5, v9
	v_cndmask_b32_e64 v1, v1, v4, s[0:1]
	v_div_scale_f64 v[4:5], s[0:1], v[0:1], v[0:1], s[30:31]
	v_rcp_f64_e32 v[6:7], v[4:5]
	v_fma_f64 v[8:9], -v[4:5], v[6:7], 1.0
	v_fma_f64 v[6:7], v[6:7], v[8:9], v[6:7]
	v_div_scale_f64 v[8:9], vcc, s[30:31], v[0:1], s[30:31]
	v_fma_f64 v[10:11], -v[4:5], v[6:7], 1.0
	v_fma_f64 v[6:7], v[6:7], v[10:11], v[6:7]
	v_mul_f64 v[10:11], v[8:9], v[6:7]
	v_fma_f64 v[4:5], -v[4:5], v[10:11], v[8:9]
	v_div_fmas_f64 v[4:5], v[4:5], v[6:7], v[10:11]
	v_div_fixup_f64 v[4:5], v[4:5], v[0:1], s[30:31]
.LBB8_298:
	s_or_b64 exec, exec, s[26:27]
	s_orn2_b64 s[26:27], s[28:29], exec
.LBB8_299:
	s_or_b64 exec, exec, s[24:25]
	v_mov_b32_e32 v0, 0
	v_mov_b32_e32 v1, 0x7ff80000
	s_and_saveexec_b64 s[0:1], s[26:27]
	s_cbranch_execz .LBB8_311
; %bb.300:
	s_mov_b32 s26, 0
	s_mov_b32 s27, 0x40240000
	v_cmp_gt_f64_e32 vcc, s[26:27], v[2:3]
	s_and_saveexec_b64 s[24:25], vcc
	s_cbranch_execz .LBB8_304
; %bb.301:
	s_mov_b64 s[28:29], 0
.LBB8_302:                              ; =>This Inner Loop Header: Depth=1
	v_div_scale_f64 v[0:1], s[30:31], v[2:3], v[2:3], 1.0
	v_rcp_f64_e32 v[6:7], v[0:1]
	v_fma_f64 v[8:9], -v[0:1], v[6:7], 1.0
	v_fma_f64 v[6:7], v[6:7], v[8:9], v[6:7]
	v_div_scale_f64 v[8:9], vcc, 1.0, v[2:3], 1.0
	v_fma_f64 v[10:11], -v[0:1], v[6:7], 1.0
	v_fma_f64 v[6:7], v[6:7], v[10:11], v[6:7]
	v_mul_f64 v[10:11], v[8:9], v[6:7]
	v_fma_f64 v[0:1], -v[0:1], v[10:11], v[8:9]
	v_div_fmas_f64 v[0:1], v[0:1], v[6:7], v[10:11]
	v_div_fixup_f64 v[0:1], v[0:1], v[2:3], 1.0
	v_add_f64 v[2:3], v[2:3], 1.0
	v_add_f64 v[4:5], v[4:5], -v[0:1]
	v_cmp_ngt_f64_e32 vcc, s[26:27], v[2:3]
	s_or_b64 s[28:29], vcc, s[28:29]
	s_andn2_b64 exec, exec, s[28:29]
	s_cbranch_execnz .LBB8_302
; %bb.303:
	s_or_b64 exec, exec, s[28:29]
.LBB8_304:
	s_or_b64 exec, exec, s[24:25]
	s_mov_b32 s24, 0
	s_mov_b32 s25, 0x40240000
	v_cmp_neq_f64_e32 vcc, s[24:25], v[2:3]
                                        ; implicit-def: $vgpr0_vgpr1
	s_and_saveexec_b64 s[24:25], vcc
	s_xor_b64 s[24:25], exec, s[24:25]
	s_cbranch_execz .LBB8_308
; %bb.305:
	s_mov_b32 s26, 0x85d8a000
	s_mov_b32 s27, 0x43763457
	v_cmp_gt_f64_e32 vcc, s[26:27], v[2:3]
	v_mov_b32_e32 v0, 0
	v_mov_b32_e32 v1, 0
	s_and_saveexec_b64 s[26:27], vcc
	s_cbranch_execz .LBB8_307
; %bb.306:
	v_mul_f64 v[0:1], v[2:3], v[2:3]
	s_mov_b32 s30, 0x95995996
	s_mov_b32 s31, 0xbf959959
	s_mov_b32 s34, 0x10410410
	s_mov_b32 s35, 0x3f704104
	v_div_scale_f64 v[6:7], s[28:29], v[0:1], v[0:1], 1.0
	v_div_scale_f64 v[12:13], vcc, 1.0, v[0:1], 1.0
	s_mov_b32 s28, 0x55555555
	s_mov_b32 s29, 0x3fb55555
	v_rcp_f64_e32 v[8:9], v[6:7]
	v_fma_f64 v[10:11], -v[6:7], v[8:9], 1.0
	v_fma_f64 v[8:9], v[8:9], v[10:11], v[8:9]
	v_fma_f64 v[10:11], -v[6:7], v[8:9], 1.0
	v_fma_f64 v[8:9], v[8:9], v[10:11], v[8:9]
	v_mul_f64 v[10:11], v[12:13], v[8:9]
	v_fma_f64 v[6:7], -v[6:7], v[10:11], v[12:13]
	v_div_fmas_f64 v[6:7], v[6:7], v[8:9], v[10:11]
	v_div_fixup_f64 v[0:1], v[6:7], v[0:1], 1.0
	v_fma_f64 v[6:7], v[0:1], 0, s[28:29]
	v_fma_f64 v[6:7], v[0:1], v[6:7], s[30:31]
	s_mov_b32 s30, 0xf07c1f08
	s_mov_b32 s31, 0x3f7f07c1
	v_fma_f64 v[6:7], v[0:1], v[6:7], s[30:31]
	s_mov_b32 s31, 0xbf711111
	s_mov_b32 s30, 0x11111111
	v_fma_f64 v[6:7], v[0:1], v[6:7], s[30:31]
	s_mov_b32 s31, 0xbf811111
	v_fma_f64 v[6:7], v[0:1], v[6:7], s[34:35]
	v_fma_f64 v[6:7], v[0:1], v[6:7], s[30:31]
	;; [unrolled: 1-line block ×3, first 2 shown]
	v_mul_f64 v[0:1], v[0:1], v[6:7]
.LBB8_307:
	s_or_b64 exec, exec, s[26:27]
	v_frexp_mant_f64_e32 v[6:7], v[2:3]
	s_mov_b32 s27, 0x3fe55555
	s_mov_b32 s26, 0x55555555
	;; [unrolled: 1-line block ×4, first 2 shown]
	v_cmp_gt_f64_e32 vcc, s[26:27], v[6:7]
	s_mov_b32 s26, 0x55555780
	v_cndmask_b32_e64 v8, 0, 1, vcc
	v_ldexp_f64 v[6:7], v[6:7], v8
	v_add_f64 v[8:9], v[6:7], 1.0
	v_add_f64 v[15:16], v[6:7], -1.0
	v_rcp_f64_e32 v[10:11], v[8:9]
	v_add_f64 v[17:18], v[8:9], -1.0
	v_add_f64 v[6:7], v[6:7], -v[17:18]
	v_fma_f64 v[12:13], -v[8:9], v[10:11], 1.0
	v_fma_f64 v[10:11], v[12:13], v[10:11], v[10:11]
	v_fma_f64 v[12:13], -v[8:9], v[10:11], 1.0
	v_fma_f64 v[10:11], v[12:13], v[10:11], v[10:11]
	v_mul_f64 v[12:13], v[15:16], v[10:11]
	v_mul_f64 v[19:20], v[8:9], v[12:13]
	v_fma_f64 v[8:9], v[12:13], v[8:9], -v[19:20]
	v_fma_f64 v[6:7], v[12:13], v[6:7], v[8:9]
	v_add_f64 v[8:9], v[19:20], v[6:7]
	v_add_f64 v[17:18], v[15:16], -v[8:9]
	v_add_f64 v[19:20], v[8:9], -v[19:20]
	;; [unrolled: 1-line block ×5, first 2 shown]
	v_mov_b32_e32 v15, 0x6b47b09a
	v_mov_b32_e32 v16, 0x3fc38538
	v_add_f64 v[6:7], v[6:7], v[8:9]
	v_add_f64 v[6:7], v[17:18], v[6:7]
	v_mul_f64 v[6:7], v[10:11], v[6:7]
	v_add_f64 v[8:9], v[12:13], v[6:7]
	v_mul_f64 v[10:11], v[8:9], v[8:9]
	v_fma_f64 v[15:16], v[10:11], s[28:29], v[15:16]
	s_mov_b32 s28, 0xd7f4df2e
	s_mov_b32 s29, 0x3fc7474d
	v_mul_f64 v[17:18], v[8:9], v[10:11]
	v_fma_f64 v[15:16], v[10:11], v[15:16], s[28:29]
	s_mov_b32 s28, 0x16291751
	s_mov_b32 s29, 0x3fcc71c0
	v_fma_f64 v[15:16], v[10:11], v[15:16], s[28:29]
	s_mov_b32 s28, 0x9b27acf1
	s_mov_b32 s29, 0x3fd24924
	;; [unrolled: 3-line block ×3, first 2 shown]
	v_fma_f64 v[15:16], v[10:11], v[15:16], s[28:29]
	v_fma_f64 v[10:11], v[10:11], v[15:16], s[26:27]
	v_ldexp_f64 v[15:16], v[8:9], 1
	v_add_f64 v[8:9], v[8:9], -v[12:13]
	s_mov_b32 s26, 0xfefa39ef
	s_mov_b32 s27, 0x3fe62e42
	v_mul_f64 v[10:11], v[17:18], v[10:11]
	v_frexp_exp_i32_f64_e32 v17, v[2:3]
	v_add_f64 v[6:7], v[6:7], -v[8:9]
	v_add_f64 v[12:13], v[15:16], v[10:11]
	v_subbrev_co_u32_e32 v17, vcc, 0, v17, vcc
	v_cvt_f64_i32_e32 v[17:18], v17
	v_ldexp_f64 v[6:7], v[6:7], 1
	v_mul_f64 v[19:20], v[17:18], s[26:27]
	v_add_f64 v[8:9], v[12:13], -v[15:16]
	v_fma_f64 v[15:16], v[17:18], s[26:27], -v[19:20]
	v_add_f64 v[8:9], v[10:11], -v[8:9]
	s_mov_b32 s26, 0x3b39803f
	s_mov_b32 s27, 0x3c7abc9e
	v_fma_f64 v[10:11], v[17:18], s[26:27], v[15:16]
	v_add_f64 v[6:7], v[6:7], v[8:9]
	v_div_scale_f64 v[8:9], s[26:27], v[2:3], v[2:3], -0.5
	s_movk_i32 s26, 0x204
	v_add_f64 v[15:16], v[19:20], v[10:11]
	v_add_f64 v[17:18], v[12:13], v[6:7]
	v_add_f64 v[19:20], v[15:16], -v[19:20]
	v_add_f64 v[21:22], v[15:16], v[17:18]
	v_rcp_f64_e32 v[23:24], v[8:9]
	v_add_f64 v[12:13], v[17:18], -v[12:13]
	v_add_f64 v[10:11], v[10:11], -v[19:20]
	;; [unrolled: 1-line block ×5, first 2 shown]
	v_fma_f64 v[29:30], -v[8:9], v[23:24], 1.0
	v_add_f64 v[12:13], v[17:18], -v[25:26]
	v_add_f64 v[19:20], v[10:11], v[6:7]
	v_add_f64 v[15:16], v[15:16], -v[27:28]
	v_fma_f64 v[17:18], v[23:24], v[29:30], v[23:24]
	v_add_f64 v[25:26], v[19:20], -v[10:11]
	v_add_f64 v[12:13], v[12:13], v[15:16]
	v_div_scale_f64 v[15:16], vcc, -0.5, v[2:3], -0.5
	v_fma_f64 v[23:24], -v[8:9], v[17:18], 1.0
	v_add_f64 v[6:7], v[6:7], -v[25:26]
	v_add_f64 v[12:13], v[19:20], v[12:13]
	v_add_f64 v[19:20], v[19:20], -v[25:26]
	v_fma_f64 v[17:18], v[17:18], v[23:24], v[17:18]
	v_add_f64 v[23:24], v[21:22], v[12:13]
	v_add_f64 v[10:11], v[10:11], -v[19:20]
	v_mul_f64 v[27:28], v[15:16], v[17:18]
	v_add_f64 v[19:20], v[23:24], -v[21:22]
	v_add_f64 v[6:7], v[6:7], v[10:11]
	v_fma_f64 v[8:9], -v[8:9], v[27:28], v[15:16]
	v_add_f64 v[10:11], v[12:13], -v[19:20]
	v_div_fmas_f64 v[8:9], v[8:9], v[17:18], v[27:28]
	v_cmp_class_f64_e64 vcc, v[2:3], s26
	v_add_f64 v[6:7], v[6:7], v[10:11]
	v_add_f64 v[6:7], v[23:24], v[6:7]
	v_div_fixup_f64 v[8:9], v[8:9], v[2:3], -0.5
	v_cndmask_b32_e32 v3, v7, v3, vcc
	v_cndmask_b32_e32 v2, v6, v2, vcc
	v_add_f64 v[2:3], v[2:3], v[8:9]
	v_add_f64 v[0:1], v[2:3], -v[0:1]
	v_add_f64 v[0:1], v[4:5], v[0:1]
                                        ; implicit-def: $vgpr4_vgpr5
.LBB8_308:
	s_andn2_saveexec_b64 s[24:25], s[24:25]
	s_cbranch_execz .LBB8_310
; %bb.309:
	s_mov_b32 s26, 0xdc85cc95
	s_mov_b32 s27, 0x40020396
	v_add_f64 v[0:1], v[4:5], s[26:27]
.LBB8_310:
	s_or_b64 exec, exec, s[24:25]
.LBB8_311:
	s_or_b64 exec, exec, s[0:1]
                                        ; implicit-def: $vgpr2_vgpr3
.LBB8_312:
	s_andn2_saveexec_b64 s[0:1], s[20:21]
; %bb.313:
	v_xor_b32_e32 v0, 0x80000000, v3
	s_brev_b32 s20, -2
	v_mov_b32_e32 v1, 0x7ff00000
	v_bfi_b32 v1, s20, v1, v0
	v_mov_b32_e32 v0, 0
; %bb.314:
	s_or_b64 exec, exec, s[0:1]
	v_mul_lo_u32 v2, v14, s2
	v_mov_b32_e32 v3, s9
	s_and_b32 s28, s33, 0xff
	s_cmp_lt_i32 s28, 11
	v_ashrrev_i32_e32 v5, 31, v2
	v_add_co_u32_e32 v4, vcc, s8, v2
	v_addc_co_u32_e32 v5, vcc, v3, v5, vcc
	s_cbranch_scc1 .LBB8_322
; %bb.315:
	s_and_b32 s29, 0xffff, s28
	s_cmp_gt_i32 s29, 25
	s_cbranch_scc0 .LBB8_324
; %bb.316:
	s_cmp_gt_i32 s29, 28
	s_cbranch_scc0 .LBB8_326
; %bb.317:
	;; [unrolled: 3-line block ×4, first 2 shown]
	s_mov_b64 s[24:25], 0
	s_mov_b64 s[0:1], -1
	s_cmp_eq_u32 s29, 46
	s_mov_b64 s[20:21], 0
	s_cbranch_scc0 .LBB8_338
; %bb.320:
	v_cvt_f32_f64_e32 v2, v[0:1]
	s_movk_i32 s0, 0x7fff
	v_mov_b32_e32 v3, 0x7fc0
	s_mov_b64 s[20:21], -1
	v_bfe_u32 v6, v2, 16, 1
	v_cmp_o_f32_e32 vcc, v2, v2
	v_add3_u32 v2, v2, v6, s0
	v_cndmask_b32_sdwa v2, v3, v2, vcc dst_sel:DWORD dst_unused:UNUSED_PAD src0_sel:DWORD src1_sel:WORD_1
	global_store_dword v[4:5], v2, off
	s_mov_b64 s[0:1], 0
	s_branch .LBB8_338
.LBB8_321:
	s_mov_b64 s[20:21], -1
	s_mov_b64 s[0:1], 0
	s_mov_b64 s[18:19], s[14:15]
                                        ; implicit-def: $vgpr2_vgpr3
	s_branch .LBB8_477
.LBB8_322:
	s_mov_b64 s[24:25], -1
	s_mov_b64 s[20:21], 0
	s_mov_b64 s[0:1], s[6:7]
	s_branch .LBB8_407
.LBB8_323:
	s_mov_b64 s[20:21], -1
	s_mov_b64 s[0:1], 0
	s_mov_b64 s[18:19], s[14:15]
                                        ; implicit-def: $vgpr2_vgpr3
	s_branch .LBB8_456
.LBB8_324:
	s_mov_b64 s[24:25], -1
	s_mov_b64 s[20:21], 0
	s_mov_b64 s[0:1], s[6:7]
	s_branch .LBB8_365
.LBB8_325:
	s_mov_b64 s[20:21], -1
	s_mov_b64 s[0:1], 0
	s_mov_b64 s[18:19], s[14:15]
                                        ; implicit-def: $vgpr2_vgpr3
	s_branch .LBB8_451
.LBB8_326:
	s_mov_b64 s[24:25], -1
	s_mov_b64 s[20:21], 0
	s_mov_b64 s[0:1], s[6:7]
	s_branch .LBB8_348
.LBB8_327:
	s_andn2_saveexec_b64 s[22:23], s[22:23]
	s_cbranch_execz .LBB8_79
.LBB8_328:
	s_mov_b32 s26, 0x46000000
	v_add_f32_e64 v3, |v2|, s26
	v_and_b32_e32 v3, 0xff, v3
	v_cmp_ne_u32_e32 vcc, 0, v3
	s_andn2_b64 s[18:19], s[18:19], exec
	s_and_b64 s[26:27], vcc, exec
	s_or_b64 s[18:19], s[18:19], s[26:27]
	s_or_b64 exec, exec, s[22:23]
	v_mov_b32_e32 v6, 0
	s_and_saveexec_b64 s[22:23], s[18:19]
	s_cbranch_execnz .LBB8_80
	s_branch .LBB8_81
.LBB8_329:
	s_mov_b64 s[20:21], -1
	s_mov_b64 s[0:1], 0
	s_mov_b64 s[18:19], s[14:15]
                                        ; implicit-def: $vgpr2_vgpr3
	s_branch .LBB8_334
.LBB8_330:
	s_mov_b64 s[24:25], -1
	s_mov_b64 s[20:21], 0
	s_mov_b64 s[0:1], s[6:7]
	s_branch .LBB8_344
.LBB8_331:
	s_andn2_saveexec_b64 s[22:23], s[22:23]
	s_cbranch_execz .LBB8_92
.LBB8_332:
	s_mov_b32 s26, 0x42800000
	v_add_f32_e64 v3, |v2|, s26
	v_and_b32_e32 v3, 0xff, v3
	v_cmp_ne_u32_e32 vcc, 0, v3
	s_andn2_b64 s[18:19], s[18:19], exec
	s_and_b64 s[26:27], vcc, exec
	s_or_b64 s[18:19], s[18:19], s[26:27]
	s_or_b64 exec, exec, s[22:23]
	v_mov_b32_e32 v6, 0
	s_and_saveexec_b64 s[22:23], s[18:19]
	s_cbranch_execnz .LBB8_93
	s_branch .LBB8_94
.LBB8_333:
	s_mov_b64 s[18:19], -1
                                        ; implicit-def: $vgpr2_vgpr3
	s_mov_b64 s[0:1], 0
.LBB8_334:
	s_and_b64 vcc, exec, s[20:21]
	s_cbranch_vccz .LBB8_450
; %bb.335:
	s_cmp_eq_u32 s26, 44
	s_cbranch_scc0 .LBB8_449
; %bb.336:
	global_load_ubyte v4, v[0:1], off
	s_movk_i32 s18, 0xff
	v_bfrev_b32_e32 v5, 4
	v_mov_b32_e32 v6, 0x7ff80000
	v_bfrev_b32_e32 v7, 28
	s_mov_b64 s[0:1], -1
	s_waitcnt vmcnt(0)
	v_lshlrev_b32_e32 v2, 23, v4
	v_cvt_f64_f32_e32 v[2:3], v2
	v_cmp_ne_u32_e32 vcc, s18, v4
	s_mov_b64 s[18:19], 0
	v_cndmask_b32_e32 v2, v5, v2, vcc
	v_cndmask_b32_e32 v3, v6, v3, vcc
	v_cmp_ne_u32_e32 vcc, 0, v4
	v_cndmask_b32_e32 v3, v7, v3, vcc
	v_cndmask_b32_e32 v2, 0, v2, vcc
	s_branch .LBB8_450
.LBB8_337:
	s_mov_b64 s[24:25], -1
	s_mov_b64 s[20:21], 0
	s_mov_b64 s[0:1], s[6:7]
.LBB8_338:
	s_and_b64 vcc, exec, s[24:25]
	s_cbranch_vccz .LBB8_343
; %bb.339:
	s_cmp_eq_u32 s29, 44
	s_mov_b64 s[0:1], -1
	s_cbranch_scc0 .LBB8_343
; %bb.340:
	v_cvt_f32_f64_e32 v2, v[0:1]
	s_movk_i32 s0, 0xff
	v_mov_b32_e32 v6, 0xff
	v_bfe_u32 v3, v2, 23, 8
	v_cmp_ne_u32_e32 vcc, s0, v3
	s_and_saveexec_b64 s[20:21], vcc
; %bb.341:
	s_mov_b32 s0, 0x3fffff
	v_lshrrev_b32_e32 v6, 23, v2
	v_and_b32_e32 v7, 0x400000, v2
	v_and_or_b32 v2, v2, s0, v3
	v_cmp_ne_u32_e32 vcc, 0, v7
	v_cmp_ne_u32_e64 s[0:1], 0, v2
	s_and_b64 s[0:1], vcc, s[0:1]
	v_cndmask_b32_e64 v2, 0, 1, s[0:1]
	v_add_u32_e32 v6, v6, v2
; %bb.342:
	s_or_b64 exec, exec, s[20:21]
	s_mov_b64 s[20:21], -1
	s_mov_b64 s[0:1], 0
	global_store_byte v[4:5], v6, off
.LBB8_343:
	s_mov_b64 s[24:25], 0
.LBB8_344:
	s_and_b64 vcc, exec, s[24:25]
	s_cbranch_vccz .LBB8_347
; %bb.345:
	s_cmp_eq_u32 s29, 29
	s_mov_b64 s[0:1], -1
	s_cbranch_scc0 .LBB8_347
; %bb.346:
	v_trunc_f64_e32 v[2:3], v[0:1]
	s_movk_i32 s0, 0xffe0
	s_mov_b64 s[20:21], -1
	s_mov_b64 s[24:25], 0
	v_ldexp_f64 v[6:7], v[2:3], s0
	s_mov_b32 s0, 0
	s_mov_b32 s1, 0xc1f00000
	v_floor_f64_e32 v[6:7], v[6:7]
	v_fma_f64 v[2:3], v[6:7], s[0:1], v[2:3]
	v_cvt_u32_f64_e32 v7, v[6:7]
	s_mov_b64 s[0:1], 0
	v_cvt_u32_f64_e32 v6, v[2:3]
	global_store_dwordx2 v[4:5], v[6:7], off
	s_branch .LBB8_348
.LBB8_347:
	s_mov_b64 s[24:25], 0
.LBB8_348:
	s_and_b64 vcc, exec, s[24:25]
	s_cbranch_vccz .LBB8_364
; %bb.349:
	s_cmp_lt_i32 s29, 27
	s_mov_b64 s[20:21], -1
	s_cbranch_scc1 .LBB8_355
; %bb.350:
	v_cvt_u32_f64_e32 v2, v[0:1]
	s_cmp_gt_i32 s29, 27
	s_cbranch_scc0 .LBB8_352
; %bb.351:
	s_mov_b64 s[20:21], 0
	global_store_dword v[4:5], v2, off
.LBB8_352:
	s_andn2_b64 vcc, exec, s[20:21]
	s_cbranch_vccnz .LBB8_354
; %bb.353:
	global_store_short v[4:5], v2, off
.LBB8_354:
	s_mov_b64 s[20:21], 0
.LBB8_355:
	s_andn2_b64 vcc, exec, s[20:21]
	s_cbranch_vccnz .LBB8_363
; %bb.356:
	v_cvt_f32_f64_e32 v2, v[0:1]
	s_mov_b32 s20, 0x43800000
	v_mov_b32_e32 v6, 0x80
	v_and_b32_e32 v3, 0x7fffffff, v2
	v_cmp_gt_u32_e32 vcc, s20, v3
	s_and_saveexec_b64 s[20:21], vcc
	s_cbranch_execz .LBB8_362
; %bb.357:
	s_mov_b32 s24, 0x3bffffff
	v_cmp_lt_u32_e32 vcc, s24, v3
	s_mov_b64 s[24:25], 0
                                        ; implicit-def: $vgpr3
	s_and_saveexec_b64 s[26:27], vcc
	s_xor_b64 s[26:27], exec, s[26:27]
	s_cbranch_execz .LBB8_574
; %bb.358:
	v_bfe_u32 v3, v2, 20, 1
	s_mov_b32 s30, 0x487ffff
	v_add3_u32 v3, v2, v3, s30
	s_mov_b64 s[24:25], exec
	v_lshrrev_b32_e32 v3, 20, v3
	s_andn2_saveexec_b64 s[26:27], s[26:27]
	s_cbranch_execnz .LBB8_575
.LBB8_359:
	s_or_b64 exec, exec, s[26:27]
	v_mov_b32_e32 v6, 0
	s_and_saveexec_b64 s[26:27], s[24:25]
.LBB8_360:
	v_lshrrev_b32_e32 v2, 24, v2
	s_movk_i32 s24, 0x80
	v_and_or_b32 v6, v2, s24, v3
.LBB8_361:
	s_or_b64 exec, exec, s[26:27]
.LBB8_362:
	s_or_b64 exec, exec, s[20:21]
	global_store_byte v[4:5], v6, off
.LBB8_363:
	s_mov_b64 s[20:21], -1
.LBB8_364:
	s_mov_b64 s[24:25], 0
.LBB8_365:
	s_and_b64 vcc, exec, s[24:25]
	s_cbranch_vccz .LBB8_406
; %bb.366:
	s_cmp_gt_i32 s29, 22
	s_mov_b64 s[24:25], -1
	s_cbranch_scc0 .LBB8_398
; %bb.367:
	s_cmp_lt_i32 s29, 24
	s_mov_b64 s[20:21], -1
	s_cbranch_scc1 .LBB8_387
; %bb.368:
	s_cmp_gt_i32 s29, 24
	s_cbranch_scc0 .LBB8_376
; %bb.369:
	v_cvt_f32_f64_e32 v2, v[0:1]
	s_mov_b32 s20, 0x47800000
	v_mov_b32_e32 v6, 0x80
	v_and_b32_e32 v3, 0x7fffffff, v2
	v_cmp_gt_u32_e32 vcc, s20, v3
	s_and_saveexec_b64 s[20:21], vcc
	s_cbranch_execz .LBB8_375
; %bb.370:
	s_mov_b32 s24, 0x37ffffff
	v_cmp_lt_u32_e32 vcc, s24, v3
	s_mov_b64 s[24:25], 0
                                        ; implicit-def: $vgpr3
	s_and_saveexec_b64 s[26:27], vcc
	s_xor_b64 s[26:27], exec, s[26:27]
	s_cbranch_execz .LBB8_577
; %bb.371:
	v_bfe_u32 v3, v2, 21, 1
	s_mov_b32 s30, 0x88fffff
	v_add3_u32 v3, v2, v3, s30
	s_mov_b64 s[24:25], exec
	v_lshrrev_b32_e32 v3, 21, v3
	s_andn2_saveexec_b64 s[26:27], s[26:27]
	s_cbranch_execnz .LBB8_578
.LBB8_372:
	s_or_b64 exec, exec, s[26:27]
	v_mov_b32_e32 v6, 0
	s_and_saveexec_b64 s[26:27], s[24:25]
.LBB8_373:
	v_lshrrev_b32_e32 v2, 24, v2
	s_movk_i32 s24, 0x80
	v_and_or_b32 v6, v2, s24, v3
.LBB8_374:
	s_or_b64 exec, exec, s[26:27]
.LBB8_375:
	s_or_b64 exec, exec, s[20:21]
	s_mov_b64 s[20:21], 0
	global_store_byte v[4:5], v6, off
.LBB8_376:
	s_and_b64 vcc, exec, s[20:21]
	s_cbranch_vccz .LBB8_386
; %bb.377:
	v_cvt_f32_f64_e32 v2, v[0:1]
	s_mov_b32 s20, 0x43f00000
                                        ; implicit-def: $vgpr3
	v_and_b32_e32 v6, 0x7fffffff, v2
	v_cmp_gt_u32_e32 vcc, s20, v6
	s_and_saveexec_b64 s[20:21], vcc
	s_xor_b64 s[20:21], exec, s[20:21]
	s_cbranch_execz .LBB8_383
; %bb.378:
	s_mov_b32 s24, 0x3c7fffff
	v_cmp_lt_u32_e32 vcc, s24, v6
                                        ; implicit-def: $vgpr3
	s_and_saveexec_b64 s[24:25], vcc
	s_xor_b64 s[24:25], exec, s[24:25]
; %bb.379:
	v_bfe_u32 v3, v2, 20, 1
	s_mov_b32 s26, 0x407ffff
	v_add3_u32 v3, v2, v3, s26
	v_lshrrev_b32_e32 v6, 20, v3
	v_and_b32_e32 v3, 0xff00000, v3
	s_mov_b32 s26, 0x7f00000
	v_mov_b32_e32 v7, 0x7e
	v_cmp_ne_u32_e32 vcc, s26, v3
	v_cndmask_b32_e32 v3, v7, v6, vcc
; %bb.380:
	s_andn2_saveexec_b64 s[24:25], s[24:25]
; %bb.381:
	s_mov_b32 s26, 0x46800000
	v_add_f32_e64 v3, |v2|, s26
; %bb.382:
	s_or_b64 exec, exec, s[24:25]
                                        ; implicit-def: $vgpr6
.LBB8_383:
	s_andn2_saveexec_b64 s[20:21], s[20:21]
; %bb.384:
	s_mov_b32 s24, 0x7f800000
	v_mov_b32_e32 v3, 0x7e
	v_mov_b32_e32 v7, 0x7f
	v_cmp_lt_u32_e32 vcc, s24, v6
	v_cndmask_b32_e32 v3, v3, v7, vcc
; %bb.385:
	s_or_b64 exec, exec, s[20:21]
	v_lshrrev_b32_e32 v2, 24, v2
	s_movk_i32 s20, 0x80
	v_and_or_b32 v2, v2, s20, v3
	global_store_byte v[4:5], v2, off
.LBB8_386:
	s_mov_b64 s[20:21], 0
.LBB8_387:
	s_andn2_b64 vcc, exec, s[20:21]
	s_cbranch_vccnz .LBB8_397
; %bb.388:
	v_cvt_f32_f64_e32 v2, v[0:1]
	s_mov_b32 s20, 0x47800000
                                        ; implicit-def: $vgpr3
	v_and_b32_e32 v6, 0x7fffffff, v2
	v_cmp_gt_u32_e32 vcc, s20, v6
	s_and_saveexec_b64 s[20:21], vcc
	s_xor_b64 s[20:21], exec, s[20:21]
	s_cbranch_execz .LBB8_394
; %bb.389:
	s_mov_b32 s24, 0x387fffff
	v_cmp_lt_u32_e32 vcc, s24, v6
                                        ; implicit-def: $vgpr3
	s_and_saveexec_b64 s[24:25], vcc
	s_xor_b64 s[24:25], exec, s[24:25]
; %bb.390:
	v_bfe_u32 v3, v2, 21, 1
	s_mov_b32 s26, 0x80fffff
	v_add3_u32 v3, v2, v3, s26
	v_lshrrev_b32_e32 v3, 21, v3
; %bb.391:
	s_andn2_saveexec_b64 s[24:25], s[24:25]
; %bb.392:
	s_mov_b32 s26, 0x43000000
	v_add_f32_e64 v3, |v2|, s26
; %bb.393:
	s_or_b64 exec, exec, s[24:25]
                                        ; implicit-def: $vgpr6
.LBB8_394:
	s_andn2_saveexec_b64 s[20:21], s[20:21]
; %bb.395:
	s_mov_b32 s24, 0x7f800000
	v_mov_b32_e32 v3, 0x7c
	v_mov_b32_e32 v7, 0x7f
	v_cmp_lt_u32_e32 vcc, s24, v6
	v_cndmask_b32_e32 v3, v3, v7, vcc
; %bb.396:
	s_or_b64 exec, exec, s[20:21]
	v_lshrrev_b32_e32 v2, 24, v2
	s_movk_i32 s20, 0x80
	v_and_or_b32 v2, v2, s20, v3
	global_store_byte v[4:5], v2, off
.LBB8_397:
	s_mov_b64 s[24:25], 0
	s_mov_b64 s[20:21], -1
.LBB8_398:
	s_andn2_b64 vcc, exec, s[24:25]
	s_cbranch_vccnz .LBB8_406
; %bb.399:
	s_cmp_gt_i32 s29, 14
	s_mov_b64 s[24:25], -1
	s_cbranch_scc0 .LBB8_403
; %bb.400:
	s_cmp_eq_u32 s29, 15
	s_mov_b64 s[0:1], -1
	s_cbranch_scc0 .LBB8_402
; %bb.401:
	v_cvt_f32_f64_e32 v2, v[0:1]
	s_movk_i32 s0, 0x7fff
	v_mov_b32_e32 v3, 0x7fc0
	s_mov_b64 s[20:21], -1
	v_bfe_u32 v6, v2, 16, 1
	v_cmp_o_f32_e32 vcc, v2, v2
	v_add3_u32 v2, v2, v6, s0
	v_cndmask_b32_sdwa v2, v3, v2, vcc dst_sel:DWORD dst_unused:UNUSED_PAD src0_sel:DWORD src1_sel:WORD_1
	global_store_short v[4:5], v2, off
	s_mov_b64 s[0:1], 0
.LBB8_402:
	s_mov_b64 s[24:25], 0
.LBB8_403:
	s_and_b64 vcc, exec, s[24:25]
	s_cbranch_vccz .LBB8_406
; %bb.404:
	s_cmp_eq_u32 s29, 11
	s_mov_b64 s[0:1], -1
	s_cbranch_scc0 .LBB8_406
; %bb.405:
	v_cmp_neq_f64_e32 vcc, 0, v[0:1]
	s_mov_b64 s[0:1], 0
	s_mov_b64 s[20:21], -1
	v_cndmask_b32_e64 v2, 0, 1, vcc
	global_store_byte v[4:5], v2, off
.LBB8_406:
	s_mov_b64 s[24:25], 0
.LBB8_407:
	s_and_b64 vcc, exec, s[24:25]
	s_cbranch_vccz .LBB8_446
; %bb.408:
	s_and_b32 s24, 0xffff, s28
	s_cmp_lt_i32 s24, 5
	s_mov_b64 s[20:21], -1
	s_cbranch_scc1 .LBB8_429
; %bb.409:
	s_cmp_lt_i32 s24, 8
	s_cbranch_scc1 .LBB8_419
; %bb.410:
	s_cmp_lt_i32 s24, 9
	s_cbranch_scc1 .LBB8_416
; %bb.411:
	s_cmp_gt_i32 s24, 9
	s_cbranch_scc0 .LBB8_413
; %bb.412:
	v_mov_b32_e32 v2, 0
	v_mov_b32_e32 v3, v2
	s_mov_b64 s[20:21], 0
	global_store_dwordx4 v[4:5], v[0:3], off
.LBB8_413:
	s_andn2_b64 vcc, exec, s[20:21]
	s_cbranch_vccnz .LBB8_415
; %bb.414:
	v_cvt_f32_f64_e32 v2, v[0:1]
	v_mov_b32_e32 v3, 0
	global_store_dwordx2 v[4:5], v[2:3], off
.LBB8_415:
	s_mov_b64 s[20:21], 0
.LBB8_416:
	s_andn2_b64 vcc, exec, s[20:21]
	s_cbranch_vccnz .LBB8_418
; %bb.417:
	s_movk_i32 s20, 0x1ff
	v_and_or_b32 v2, v1, s20, v0
	v_cmp_ne_u32_e32 vcc, 0, v2
	v_cndmask_b32_e64 v2, 0, 1, vcc
	v_lshrrev_b32_e32 v3, 8, v1
	s_movk_i32 s20, 0xffe
	v_bfe_u32 v6, v1, 20, 11
	v_and_or_b32 v2, v3, s20, v2
	v_sub_u32_e32 v7, 0x3f1, v6
	v_or_b32_e32 v3, 0x1000, v2
	v_med3_i32 v7, v7, 0, 13
	v_lshrrev_b32_e32 v8, v7, v3
	v_lshlrev_b32_e32 v7, v7, v8
	v_cmp_ne_u32_e32 vcc, v7, v3
	v_cndmask_b32_e64 v3, 0, 1, vcc
	v_add_u32_e32 v6, 0xfffffc10, v6
	v_or_b32_e32 v3, v8, v3
	v_lshl_or_b32 v7, v6, 12, v2
	v_cmp_gt_i32_e32 vcc, 1, v6
	v_cndmask_b32_e32 v3, v7, v3, vcc
	v_and_b32_e32 v7, 7, v3
	v_cmp_lt_i32_e32 vcc, 5, v7
	v_cndmask_b32_e64 v8, 0, 1, vcc
	v_cmp_eq_u32_e32 vcc, 3, v7
	v_cndmask_b32_e64 v7, 0, 1, vcc
	v_or_b32_e32 v7, v7, v8
	v_lshrrev_b32_e32 v3, 2, v3
	v_add_u32_e32 v3, v3, v7
	v_mov_b32_e32 v7, 0x7c00
	v_cmp_gt_i32_e32 vcc, 31, v6
	v_cndmask_b32_e32 v3, v7, v3, vcc
	v_mov_b32_e32 v8, 0x7e00
	v_cmp_ne_u32_e32 vcc, 0, v2
	s_movk_i32 s20, 0x40f
	v_cndmask_b32_e32 v2, v7, v8, vcc
	v_cmp_eq_u32_e32 vcc, s20, v6
	v_cndmask_b32_e32 v2, v3, v2, vcc
	v_lshrrev_b32_e32 v3, 16, v1
	s_mov_b32 s20, 0x8000
	v_and_or_b32 v2, v3, s20, v2
	v_and_b32_e32 v2, 0xffff, v2
	global_store_dword v[4:5], v2, off
.LBB8_418:
	s_mov_b64 s[20:21], 0
.LBB8_419:
	s_andn2_b64 vcc, exec, s[20:21]
	s_cbranch_vccnz .LBB8_428
; %bb.420:
	s_cmp_lt_i32 s24, 6
	s_mov_b64 s[20:21], -1
	s_cbranch_scc1 .LBB8_426
; %bb.421:
	s_cmp_gt_i32 s24, 6
	s_cbranch_scc0 .LBB8_423
; %bb.422:
	s_mov_b64 s[20:21], 0
	global_store_dwordx2 v[4:5], v[0:1], off
.LBB8_423:
	s_andn2_b64 vcc, exec, s[20:21]
	s_cbranch_vccnz .LBB8_425
; %bb.424:
	v_cvt_f32_f64_e32 v2, v[0:1]
	global_store_dword v[4:5], v2, off
.LBB8_425:
	s_mov_b64 s[20:21], 0
.LBB8_426:
	s_andn2_b64 vcc, exec, s[20:21]
	s_cbranch_vccnz .LBB8_428
; %bb.427:
	s_movk_i32 s20, 0x1ff
	v_and_or_b32 v2, v1, s20, v0
	v_cmp_ne_u32_e32 vcc, 0, v2
	v_cndmask_b32_e64 v2, 0, 1, vcc
	v_lshrrev_b32_e32 v3, 8, v1
	s_movk_i32 s20, 0xffe
	v_bfe_u32 v6, v1, 20, 11
	v_and_or_b32 v2, v3, s20, v2
	v_sub_u32_e32 v7, 0x3f1, v6
	v_or_b32_e32 v3, 0x1000, v2
	v_med3_i32 v7, v7, 0, 13
	v_lshrrev_b32_e32 v8, v7, v3
	v_lshlrev_b32_e32 v7, v7, v8
	v_cmp_ne_u32_e32 vcc, v7, v3
	v_cndmask_b32_e64 v3, 0, 1, vcc
	v_add_u32_e32 v6, 0xfffffc10, v6
	v_or_b32_e32 v3, v8, v3
	v_lshl_or_b32 v7, v6, 12, v2
	v_cmp_gt_i32_e32 vcc, 1, v6
	v_cndmask_b32_e32 v3, v7, v3, vcc
	v_and_b32_e32 v7, 7, v3
	v_cmp_lt_i32_e32 vcc, 5, v7
	v_cndmask_b32_e64 v8, 0, 1, vcc
	v_cmp_eq_u32_e32 vcc, 3, v7
	v_cndmask_b32_e64 v7, 0, 1, vcc
	v_or_b32_e32 v7, v7, v8
	v_lshrrev_b32_e32 v3, 2, v3
	v_add_u32_e32 v3, v3, v7
	v_mov_b32_e32 v7, 0x7c00
	v_cmp_gt_i32_e32 vcc, 31, v6
	v_cndmask_b32_e32 v3, v7, v3, vcc
	v_mov_b32_e32 v8, 0x7e00
	v_cmp_ne_u32_e32 vcc, 0, v2
	s_movk_i32 s20, 0x40f
	v_cndmask_b32_e32 v2, v7, v8, vcc
	v_cmp_eq_u32_e32 vcc, s20, v6
	v_cndmask_b32_e32 v2, v3, v2, vcc
	v_lshrrev_b32_e32 v3, 16, v1
	s_mov_b32 s20, 0x8000
	v_and_or_b32 v2, v3, s20, v2
	global_store_short v[4:5], v2, off
.LBB8_428:
	s_mov_b64 s[20:21], 0
.LBB8_429:
	s_andn2_b64 vcc, exec, s[20:21]
	s_cbranch_vccnz .LBB8_445
; %bb.430:
	s_cmp_lt_i32 s24, 2
	s_mov_b64 s[20:21], -1
	s_cbranch_scc1 .LBB8_440
; %bb.431:
	s_cmp_lt_i32 s24, 3
	s_cbranch_scc1 .LBB8_437
; %bb.432:
	s_cmp_gt_i32 s24, 3
	s_cbranch_scc0 .LBB8_434
; %bb.433:
	v_trunc_f64_e32 v[2:3], v[0:1]
	s_movk_i32 s20, 0xffe0
	v_ldexp_f64 v[6:7], v[2:3], s20
	s_mov_b32 s20, 0
	s_mov_b32 s21, 0xc1f00000
	v_floor_f64_e32 v[6:7], v[6:7]
	v_fma_f64 v[2:3], v[6:7], s[20:21], v[2:3]
	v_cvt_i32_f64_e32 v7, v[6:7]
	s_mov_b64 s[20:21], 0
	v_cvt_u32_f64_e32 v6, v[2:3]
	global_store_dwordx2 v[4:5], v[6:7], off
.LBB8_434:
	s_andn2_b64 vcc, exec, s[20:21]
	s_cbranch_vccnz .LBB8_436
; %bb.435:
	v_cvt_i32_f64_e32 v2, v[0:1]
	global_store_dword v[4:5], v2, off
.LBB8_436:
	s_mov_b64 s[20:21], 0
.LBB8_437:
	s_andn2_b64 vcc, exec, s[20:21]
	s_cbranch_vccnz .LBB8_439
; %bb.438:
	v_cvt_i32_f64_e32 v2, v[0:1]
	global_store_short v[4:5], v2, off
.LBB8_439:
	s_mov_b64 s[20:21], 0
.LBB8_440:
	s_andn2_b64 vcc, exec, s[20:21]
	s_cbranch_vccnz .LBB8_445
; %bb.441:
	s_cmp_gt_i32 s24, 0
	s_mov_b64 s[20:21], -1
	s_cbranch_scc0 .LBB8_443
; %bb.442:
	v_cvt_i32_f64_e32 v2, v[0:1]
	s_mov_b64 s[20:21], 0
	global_store_byte v[4:5], v2, off
.LBB8_443:
	s_andn2_b64 vcc, exec, s[20:21]
	s_cbranch_vccnz .LBB8_445
; %bb.444:
	v_trunc_f64_e32 v[0:1], v[0:1]
	s_movk_i32 s20, 0xffe0
	v_ldexp_f64 v[2:3], v[0:1], s20
	s_mov_b32 s20, 0
	s_mov_b32 s21, 0xc1f00000
	v_floor_f64_e32 v[2:3], v[2:3]
	v_fma_f64 v[0:1], v[2:3], s[20:21], v[0:1]
	v_cvt_u32_f64_e32 v0, v[0:1]
	global_store_byte v[4:5], v0, off
.LBB8_445:
	s_mov_b64 s[20:21], -1
.LBB8_446:
	s_andn2_b64 vcc, exec, s[20:21]
	s_cbranch_vccnz .LBB8_448
; %bb.447:
	v_add_u32_e32 v14, 0x80, v14
	s_mov_b64 s[24:25], -1
	s_branch .LBB8_560
.LBB8_448:
	s_mov_b64 s[24:25], 0
                                        ; implicit-def: $vgpr14
	s_branch .LBB8_560
.LBB8_449:
	s_mov_b64 s[18:19], -1
                                        ; implicit-def: $vgpr2_vgpr3
.LBB8_450:
	s_mov_b64 s[20:21], 0
.LBB8_451:
	s_and_b64 vcc, exec, s[20:21]
	s_cbranch_vccz .LBB8_455
; %bb.452:
	s_cmp_eq_u32 s26, 29
	s_cbranch_scc0 .LBB8_454
; %bb.453:
	global_load_dwordx2 v[2:3], v[0:1], off
	s_mov_b64 s[0:1], -1
	s_mov_b64 s[18:19], 0
	s_mov_b64 s[20:21], 0
	s_waitcnt vmcnt(0)
	v_cvt_f64_u32_e32 v[3:4], v3
	v_cvt_f64_u32_e32 v[5:6], v2
	v_ldexp_f64 v[3:4], v[3:4], 32
	v_add_f64 v[2:3], v[3:4], v[5:6]
	s_branch .LBB8_456
.LBB8_454:
	s_mov_b64 s[18:19], -1
                                        ; implicit-def: $vgpr2_vgpr3
.LBB8_455:
	s_mov_b64 s[20:21], 0
.LBB8_456:
	s_and_b64 vcc, exec, s[20:21]
	s_cbranch_vccz .LBB8_476
; %bb.457:
	s_cmp_lt_i32 s26, 27
	s_cbranch_scc1 .LBB8_460
; %bb.458:
	s_cmp_gt_i32 s26, 27
	s_cbranch_scc0 .LBB8_461
; %bb.459:
	global_load_dword v2, v[0:1], off
	s_mov_b64 s[0:1], 0
	s_waitcnt vmcnt(0)
	v_cvt_f64_u32_e32 v[2:3], v2
	s_branch .LBB8_462
.LBB8_460:
	s_mov_b64 s[0:1], -1
                                        ; implicit-def: $vgpr2_vgpr3
	s_branch .LBB8_465
.LBB8_461:
	s_mov_b64 s[0:1], -1
                                        ; implicit-def: $vgpr2_vgpr3
.LBB8_462:
	s_andn2_b64 vcc, exec, s[0:1]
	s_cbranch_vccnz .LBB8_464
; %bb.463:
	global_load_ushort v2, v[0:1], off
	s_waitcnt vmcnt(0)
	v_cvt_f64_u32_e32 v[2:3], v2
.LBB8_464:
	s_mov_b64 s[0:1], 0
.LBB8_465:
	s_andn2_b64 vcc, exec, s[0:1]
	s_cbranch_vccnz .LBB8_475
; %bb.466:
	global_load_ubyte v4, v[0:1], off
	s_movk_i32 s0, 0x7f
	s_waitcnt vmcnt(0)
	v_cmp_lt_i16_e32 vcc, s0, v4
	s_mov_b64 s[0:1], 0
	s_and_saveexec_b64 s[20:21], vcc
	s_xor_b64 s[20:21], exec, s[20:21]
	s_cbranch_execz .LBB8_470
; %bb.467:
	s_movk_i32 s0, 0x80
	v_cmp_eq_u16_e32 vcc, s0, v4
	s_mov_b64 s[0:1], -1
	s_and_saveexec_b64 s[24:25], vcc
; %bb.468:
	s_xor_b64 s[0:1], exec, -1
; %bb.469:
	s_or_b64 exec, exec, s[24:25]
	s_and_b64 s[0:1], s[0:1], exec
.LBB8_470:
	s_or_saveexec_b64 s[20:21], s[20:21]
	v_bfrev_b32_e32 v2, 4
	v_mov_b32_e32 v3, 0x7ff80000
	s_xor_b64 exec, exec, s[20:21]
; %bb.471:
	v_cmp_ne_u16_e32 vcc, 0, v4
	v_mov_b32_e32 v2, 0
	s_andn2_b64 s[0:1], s[0:1], exec
	s_and_b64 s[24:25], vcc, exec
	v_mov_b32_e32 v3, 0
	s_or_b64 s[0:1], s[0:1], s[24:25]
; %bb.472:
	s_or_b64 exec, exec, s[20:21]
	s_and_saveexec_b64 s[20:21], s[0:1]
	s_cbranch_execz .LBB8_474
; %bb.473:
	v_and_b32_e32 v3, 0xffff, v4
	v_lshlrev_b32_e32 v2, 24, v4
	v_and_b32_e32 v4, 7, v3
	v_ffbh_u32_e32 v6, v4
	v_min_u32_e32 v6, 32, v6
	v_subrev_u32_e32 v7, 28, v6
	v_bfe_u32 v5, v3, 3, 4
	v_lshlrev_b32_e32 v3, v7, v3
	v_sub_u32_e32 v6, 29, v6
	v_and_b32_e32 v3, 7, v3
	v_cmp_eq_u32_e32 vcc, 0, v5
	v_cndmask_b32_e32 v5, v5, v6, vcc
	v_cndmask_b32_e32 v3, v4, v3, vcc
	v_mov_b32_e32 v4, 0x3b800000
	v_lshlrev_b32_e32 v3, 20, v3
	v_and_b32_e32 v2, 0x80000000, v2
	v_lshl_add_u32 v4, v5, 23, v4
	v_or3_b32 v2, v2, v4, v3
	v_cvt_f64_f32_e32 v[2:3], v2
.LBB8_474:
	s_or_b64 exec, exec, s[20:21]
.LBB8_475:
	s_mov_b64 s[0:1], -1
.LBB8_476:
	s_mov_b64 s[20:21], 0
.LBB8_477:
	s_and_b64 vcc, exec, s[20:21]
	s_cbranch_vccz .LBB8_510
; %bb.478:
	s_cmp_gt_i32 s26, 22
	s_cbranch_scc0 .LBB8_490
; %bb.479:
	s_cmp_lt_i32 s26, 24
	s_cbranch_scc1 .LBB8_491
; %bb.480:
	s_cmp_gt_i32 s26, 24
	s_cbranch_scc0 .LBB8_492
; %bb.481:
	global_load_ubyte v4, v[0:1], off
	s_movk_i32 s0, 0x7f
	s_waitcnt vmcnt(0)
	v_cmp_lt_i16_e32 vcc, s0, v4
	s_mov_b64 s[0:1], 0
	s_and_saveexec_b64 s[20:21], vcc
	s_xor_b64 s[20:21], exec, s[20:21]
	s_cbranch_execz .LBB8_485
; %bb.482:
	s_movk_i32 s0, 0x80
	v_cmp_eq_u16_e32 vcc, s0, v4
	s_mov_b64 s[0:1], -1
	s_and_saveexec_b64 s[24:25], vcc
; %bb.483:
	s_xor_b64 s[0:1], exec, -1
; %bb.484:
	s_or_b64 exec, exec, s[24:25]
	s_and_b64 s[0:1], s[0:1], exec
.LBB8_485:
	s_or_saveexec_b64 s[20:21], s[20:21]
	v_bfrev_b32_e32 v2, 4
	v_mov_b32_e32 v3, 0x7ff80000
	s_xor_b64 exec, exec, s[20:21]
; %bb.486:
	v_cmp_ne_u16_e32 vcc, 0, v4
	v_mov_b32_e32 v2, 0
	s_andn2_b64 s[0:1], s[0:1], exec
	s_and_b64 s[24:25], vcc, exec
	v_mov_b32_e32 v3, 0
	s_or_b64 s[0:1], s[0:1], s[24:25]
; %bb.487:
	s_or_b64 exec, exec, s[20:21]
	s_and_saveexec_b64 s[20:21], s[0:1]
	s_cbranch_execz .LBB8_489
; %bb.488:
	v_and_b32_e32 v3, 0xffff, v4
	v_lshlrev_b32_e32 v2, 24, v4
	v_and_b32_e32 v4, 3, v3
	v_ffbh_u32_e32 v6, v4
	v_min_u32_e32 v6, 32, v6
	v_subrev_u32_e32 v7, 29, v6
	v_bfe_u32 v5, v3, 2, 5
	v_lshlrev_b32_e32 v3, v7, v3
	v_sub_u32_e32 v6, 30, v6
	v_and_b32_e32 v3, 3, v3
	v_cmp_eq_u32_e32 vcc, 0, v5
	v_cndmask_b32_e32 v5, v5, v6, vcc
	v_cndmask_b32_e32 v3, v4, v3, vcc
	v_mov_b32_e32 v4, 0x37800000
	v_lshlrev_b32_e32 v3, 21, v3
	v_and_b32_e32 v2, 0x80000000, v2
	v_lshl_add_u32 v4, v5, 23, v4
	v_or3_b32 v2, v2, v4, v3
	v_cvt_f64_f32_e32 v[2:3], v2
.LBB8_489:
	s_or_b64 exec, exec, s[20:21]
	s_mov_b64 s[0:1], 0
	s_branch .LBB8_493
.LBB8_490:
	s_mov_b64 s[20:21], -1
                                        ; implicit-def: $vgpr2_vgpr3
	s_branch .LBB8_499
.LBB8_491:
	s_mov_b64 s[0:1], -1
                                        ; implicit-def: $vgpr2_vgpr3
	s_branch .LBB8_496
.LBB8_492:
	s_mov_b64 s[0:1], -1
                                        ; implicit-def: $vgpr2_vgpr3
.LBB8_493:
	s_and_b64 vcc, exec, s[0:1]
	s_cbranch_vccz .LBB8_495
; %bb.494:
	global_load_ubyte v2, v[0:1], off
	s_mov_b32 s0, 0x7f800000
	s_waitcnt vmcnt(0)
	v_lshlrev_b32_e32 v2, 24, v2
	v_and_b32_e32 v3, 0x7f000000, v2
	v_ffbh_u32_e32 v4, v3
	v_min_u32_e32 v4, 32, v4
	v_sub_u32_e64 v4, v4, 4 clamp
	v_lshlrev_b32_e32 v6, v4, v3
	v_lshlrev_b32_e32 v4, 23, v4
	v_lshrrev_b32_e32 v6, 4, v6
	v_add_u32_e32 v5, 0x1000000, v3
	v_sub_u32_e32 v4, v6, v4
	v_ashrrev_i32_e32 v5, 8, v5
	v_add_u32_e32 v4, 0x3c000000, v4
	v_and_or_b32 v4, v5, s0, v4
	v_cmp_ne_u32_e32 vcc, 0, v3
	v_cndmask_b32_e32 v3, 0, v4, vcc
	s_brev_b32 s0, 1
	v_and_or_b32 v2, v2, s0, v3
	v_cvt_f64_f32_e32 v[2:3], v2
.LBB8_495:
	s_mov_b64 s[0:1], 0
.LBB8_496:
	s_andn2_b64 vcc, exec, s[0:1]
	s_cbranch_vccnz .LBB8_498
; %bb.497:
	global_load_ubyte v2, v[0:1], off
	s_movk_i32 s0, 0x7f00
	s_brev_b32 s1, 16
	s_waitcnt vmcnt(0)
	v_lshlrev_b16_e32 v3, 8, v2
	v_lshlrev_b32_e32 v2, 25, v2
	v_lshrrev_b32_e32 v4, 4, v2
	v_and_or_b32 v5, v3, s0, 0.5
	v_or_b32_e32 v4, 0x70000000, v4
	v_add_f32_e32 v5, -0.5, v5
	v_mul_f32_e32 v4, 0x7800000, v4
	v_cmp_gt_u32_e32 vcc, s1, v2
	v_bfe_i32 v3, v3, 0, 16
	v_cndmask_b32_e32 v2, v4, v5, vcc
	s_brev_b32 s0, 1
	v_and_or_b32 v2, v3, s0, v2
	v_cvt_f64_f32_e32 v[2:3], v2
.LBB8_498:
	s_mov_b64 s[20:21], 0
	s_mov_b64 s[0:1], -1
.LBB8_499:
	s_andn2_b64 vcc, exec, s[20:21]
	s_cbranch_vccnz .LBB8_510
; %bb.500:
	s_cmp_gt_i32 s26, 14
	s_cbranch_scc0 .LBB8_503
; %bb.501:
	s_cmp_eq_u32 s26, 15
	s_cbranch_scc0 .LBB8_504
; %bb.502:
	global_load_ushort v2, v[0:1], off
	s_mov_b64 s[0:1], -1
	s_mov_b64 s[18:19], 0
	s_waitcnt vmcnt(0)
	v_lshlrev_b32_e32 v2, 16, v2
	v_cvt_f64_f32_e32 v[2:3], v2
	s_branch .LBB8_505
.LBB8_503:
	s_mov_b64 s[20:21], -1
                                        ; implicit-def: $vgpr2_vgpr3
	s_branch .LBB8_506
.LBB8_504:
	s_mov_b64 s[18:19], -1
                                        ; implicit-def: $vgpr2_vgpr3
.LBB8_505:
	s_mov_b64 s[20:21], 0
.LBB8_506:
	s_and_b64 vcc, exec, s[20:21]
	s_cbranch_vccz .LBB8_510
; %bb.507:
	s_cmp_eq_u32 s26, 11
	s_cbranch_scc0 .LBB8_509
; %bb.508:
	global_load_ubyte v3, v[0:1], off
	v_mov_b32_e32 v4, 0x3ff00000
	v_mov_b32_e32 v2, 0
	s_mov_b64 s[0:1], -1
	s_mov_b64 s[18:19], 0
	s_waitcnt vmcnt(0)
	v_cmp_ne_u16_e32 vcc, 0, v3
	v_cndmask_b32_e32 v3, 0, v4, vcc
	s_branch .LBB8_510
.LBB8_509:
	s_mov_b64 s[18:19], -1
                                        ; implicit-def: $vgpr2_vgpr3
.LBB8_510:
	s_branch .LBB8_289
.LBB8_511:
	s_cmp_lt_i32 s26, 5
	s_cbranch_scc1 .LBB8_516
; %bb.512:
	s_cmp_lt_i32 s26, 8
	s_cbranch_scc1 .LBB8_517
; %bb.513:
	;; [unrolled: 3-line block ×3, first 2 shown]
	s_cmp_gt_i32 s26, 9
	s_cbranch_scc0 .LBB8_519
; %bb.515:
	global_load_dwordx2 v[2:3], v[0:1], off
	s_mov_b64 s[0:1], 0
	s_branch .LBB8_520
.LBB8_516:
	s_mov_b64 s[0:1], -1
                                        ; implicit-def: $vgpr2_vgpr3
	s_branch .LBB8_538
.LBB8_517:
	s_mov_b64 s[0:1], -1
                                        ; implicit-def: $vgpr2_vgpr3
	s_branch .LBB8_526
.LBB8_518:
	s_mov_b64 s[0:1], -1
                                        ; implicit-def: $vgpr2_vgpr3
	s_branch .LBB8_523
.LBB8_519:
	s_mov_b64 s[0:1], -1
                                        ; implicit-def: $vgpr2_vgpr3
.LBB8_520:
	s_andn2_b64 vcc, exec, s[0:1]
	s_cbranch_vccnz .LBB8_522
; %bb.521:
	global_load_dword v2, v[0:1], off
	s_waitcnt vmcnt(0)
	v_cvt_f64_f32_e32 v[2:3], v2
.LBB8_522:
	s_mov_b64 s[0:1], 0
.LBB8_523:
	s_andn2_b64 vcc, exec, s[0:1]
	s_cbranch_vccnz .LBB8_525
; %bb.524:
	global_load_dword v2, v[0:1], off
	s_waitcnt vmcnt(0)
	v_cvt_f32_f16_e32 v2, v2
	v_cvt_f64_f32_e32 v[2:3], v2
.LBB8_525:
	s_mov_b64 s[0:1], 0
.LBB8_526:
	s_andn2_b64 vcc, exec, s[0:1]
	s_cbranch_vccnz .LBB8_537
; %bb.527:
	s_cmp_lt_i32 s26, 6
	s_cbranch_scc1 .LBB8_530
; %bb.528:
	s_cmp_gt_i32 s26, 6
	s_cbranch_scc0 .LBB8_531
; %bb.529:
	global_load_dwordx2 v[2:3], v[0:1], off
	s_mov_b64 s[0:1], 0
	s_branch .LBB8_532
.LBB8_530:
	s_mov_b64 s[0:1], -1
                                        ; implicit-def: $vgpr2_vgpr3
	s_branch .LBB8_535
.LBB8_531:
	s_mov_b64 s[0:1], -1
                                        ; implicit-def: $vgpr2_vgpr3
.LBB8_532:
	s_andn2_b64 vcc, exec, s[0:1]
	s_cbranch_vccnz .LBB8_534
; %bb.533:
	global_load_dword v2, v[0:1], off
	s_waitcnt vmcnt(0)
	v_cvt_f64_f32_e32 v[2:3], v2
.LBB8_534:
	s_mov_b64 s[0:1], 0
.LBB8_535:
	s_andn2_b64 vcc, exec, s[0:1]
	s_cbranch_vccnz .LBB8_537
; %bb.536:
	global_load_ushort v2, v[0:1], off
	s_waitcnt vmcnt(0)
	v_cvt_f32_f16_e32 v2, v2
	v_cvt_f64_f32_e32 v[2:3], v2
.LBB8_537:
	s_mov_b64 s[0:1], 0
.LBB8_538:
	s_andn2_b64 vcc, exec, s[0:1]
	s_cbranch_vccnz .LBB8_558
; %bb.539:
	s_cmp_lt_i32 s26, 2
	s_cbranch_scc1 .LBB8_543
; %bb.540:
	s_cmp_lt_i32 s26, 3
	s_cbranch_scc1 .LBB8_544
; %bb.541:
	s_cmp_gt_i32 s26, 3
	s_cbranch_scc0 .LBB8_545
; %bb.542:
	global_load_dwordx2 v[2:3], v[0:1], off
	s_mov_b64 s[0:1], 0
	s_waitcnt vmcnt(0)
	v_cvt_f64_i32_e32 v[3:4], v3
	v_cvt_f64_u32_e32 v[5:6], v2
	v_ldexp_f64 v[3:4], v[3:4], 32
	v_add_f64 v[2:3], v[3:4], v[5:6]
	s_branch .LBB8_546
.LBB8_543:
	s_mov_b64 s[0:1], -1
                                        ; implicit-def: $vgpr2_vgpr3
	s_branch .LBB8_552
.LBB8_544:
	s_mov_b64 s[0:1], -1
                                        ; implicit-def: $vgpr2_vgpr3
	s_branch .LBB8_549
.LBB8_545:
	s_mov_b64 s[0:1], -1
                                        ; implicit-def: $vgpr2_vgpr3
.LBB8_546:
	s_andn2_b64 vcc, exec, s[0:1]
	s_cbranch_vccnz .LBB8_548
; %bb.547:
	global_load_dword v2, v[0:1], off
	s_waitcnt vmcnt(0)
	v_cvt_f64_i32_e32 v[2:3], v2
.LBB8_548:
	s_mov_b64 s[0:1], 0
.LBB8_549:
	s_andn2_b64 vcc, exec, s[0:1]
	s_cbranch_vccnz .LBB8_551
; %bb.550:
	global_load_sshort v2, v[0:1], off
	s_waitcnt vmcnt(0)
	v_cvt_f64_i32_e32 v[2:3], v2
.LBB8_551:
	s_mov_b64 s[0:1], 0
.LBB8_552:
	s_andn2_b64 vcc, exec, s[0:1]
	s_cbranch_vccnz .LBB8_558
; %bb.553:
	s_cmp_gt_i32 s26, 0
	s_cbranch_scc0 .LBB8_555
; %bb.554:
	global_load_sbyte v2, v[0:1], off
	s_mov_b64 s[0:1], 0
	s_waitcnt vmcnt(0)
	v_cvt_f64_i32_e32 v[2:3], v2
	s_branch .LBB8_556
.LBB8_555:
	s_mov_b64 s[0:1], -1
                                        ; implicit-def: $vgpr2_vgpr3
.LBB8_556:
	s_andn2_b64 vcc, exec, s[0:1]
	s_cbranch_vccnz .LBB8_558
; %bb.557:
	global_load_ubyte v0, v[0:1], off
	s_waitcnt vmcnt(0)
	v_cvt_f64_u32_e32 v[2:3], v0
.LBB8_558:
	s_branch .LBB8_290
.LBB8_559:
	s_mov_b64 s[24:25], 0
                                        ; implicit-def: $vgpr14
	s_mov_b64 s[0:1], s[6:7]
.LBB8_560:
	s_andn2_b64 s[20:21], s[6:7], exec
	s_and_b64 s[0:1], s[0:1], exec
	s_or_b64 s[20:21], s[20:21], s[0:1]
	s_andn2_b64 s[0:1], s[14:15], exec
	s_and_b64 s[18:19], s[18:19], exec
	s_or_b64 s[18:19], s[0:1], s[18:19]
	s_orn2_b64 s[0:1], s[24:25], exec
.LBB8_561:
	s_or_b64 exec, exec, s[22:23]
	s_mov_b64 s[24:25], 0
	s_mov_b64 s[26:27], 0
	;; [unrolled: 1-line block ×3, first 2 shown]
                                        ; implicit-def: $vgpr0_vgpr1
                                        ; implicit-def: $vgpr2_vgpr3
	s_and_saveexec_b64 s[22:23], s[0:1]
	s_cbranch_execz .LBB8_930
; %bb.562:
	v_cmp_gt_i32_e32 vcc, s40, v14
	s_mov_b64 s[34:35], -1
	s_mov_b64 s[0:1], s[18:19]
	s_mov_b64 s[28:29], s[20:21]
	s_and_saveexec_b64 s[24:25], vcc
	s_cbranch_execz .LBB8_844
; %bb.563:
	v_mul_lo_u32 v0, v14, s3
	v_mov_b32_e32 v1, s11
	s_and_b32 s34, 0xffff, s42
	s_cmp_lt_i32 s34, 11
	s_waitcnt vmcnt(0)
	v_ashrrev_i32_e32 v2, 31, v0
	v_add_co_u32_e32 v0, vcc, s10, v0
	v_addc_co_u32_e32 v1, vcc, v1, v2, vcc
	s_cbranch_scc1 .LBB8_570
; %bb.564:
	s_cmp_gt_i32 s34, 25
	s_cbranch_scc0 .LBB8_571
; %bb.565:
	s_cmp_gt_i32 s34, 28
	s_cbranch_scc0 .LBB8_572
; %bb.566:
	s_cmp_gt_i32 s34, 43
	s_cbranch_scc0 .LBB8_573
; %bb.567:
	s_cmp_gt_i32 s34, 45
	s_cbranch_scc0 .LBB8_576
; %bb.568:
	s_cmp_eq_u32 s34, 46
	s_mov_b64 s[28:29], 0
	s_cbranch_scc0 .LBB8_579
; %bb.569:
	global_load_dword v2, v[0:1], off
	s_mov_b64 s[0:1], -1
	s_waitcnt vmcnt(0)
	v_lshlrev_b32_e32 v2, 16, v2
	v_cvt_f64_f32_e32 v[2:3], v2
	s_branch .LBB8_580
.LBB8_570:
	s_mov_b64 s[28:29], -1
	s_mov_b64 s[0:1], 0
                                        ; implicit-def: $vgpr2_vgpr3
	s_mov_b64 s[26:27], s[18:19]
	s_branch .LBB8_645
.LBB8_571:
	s_mov_b64 s[28:29], -1
	s_mov_b64 s[0:1], 0
	s_mov_b64 s[26:27], s[18:19]
                                        ; implicit-def: $vgpr2_vgpr3
	s_branch .LBB8_611
.LBB8_572:
	s_mov_b64 s[28:29], -1
	s_mov_b64 s[0:1], 0
	s_mov_b64 s[26:27], s[18:19]
                                        ; implicit-def: $vgpr2_vgpr3
	s_branch .LBB8_590
.LBB8_573:
	s_mov_b64 s[28:29], -1
	s_mov_b64 s[0:1], 0
	s_mov_b64 s[26:27], s[18:19]
                                        ; implicit-def: $vgpr2_vgpr3
	s_branch .LBB8_585
.LBB8_574:
	s_andn2_saveexec_b64 s[26:27], s[26:27]
	s_cbranch_execz .LBB8_359
.LBB8_575:
	s_mov_b32 s30, 0x46000000
	v_add_f32_e64 v3, |v2|, s30
	v_and_b32_e32 v3, 0xff, v3
	v_cmp_ne_u32_e32 vcc, 0, v3
	s_andn2_b64 s[24:25], s[24:25], exec
	s_and_b64 s[30:31], vcc, exec
	s_or_b64 s[24:25], s[24:25], s[30:31]
	s_or_b64 exec, exec, s[26:27]
	v_mov_b32_e32 v6, 0
	s_and_saveexec_b64 s[26:27], s[24:25]
	s_cbranch_execnz .LBB8_360
	s_branch .LBB8_361
.LBB8_576:
	s_mov_b64 s[28:29], -1
	s_mov_b64 s[0:1], 0
	s_mov_b64 s[26:27], s[18:19]
                                        ; implicit-def: $vgpr2_vgpr3
	s_branch .LBB8_580
.LBB8_577:
	s_andn2_saveexec_b64 s[26:27], s[26:27]
	s_cbranch_execz .LBB8_372
.LBB8_578:
	s_mov_b32 s30, 0x42800000
	v_add_f32_e64 v3, |v2|, s30
	v_and_b32_e32 v3, 0xff, v3
	v_cmp_ne_u32_e32 vcc, 0, v3
	s_andn2_b64 s[24:25], s[24:25], exec
	s_and_b64 s[30:31], vcc, exec
	s_or_b64 s[24:25], s[24:25], s[30:31]
	s_or_b64 exec, exec, s[26:27]
	v_mov_b32_e32 v6, 0
	s_and_saveexec_b64 s[26:27], s[24:25]
	s_cbranch_execnz .LBB8_373
	s_branch .LBB8_374
.LBB8_579:
	s_mov_b64 s[26:27], -1
                                        ; implicit-def: $vgpr2_vgpr3
	s_mov_b64 s[0:1], 0
.LBB8_580:
	s_and_b64 vcc, exec, s[28:29]
	s_cbranch_vccz .LBB8_584
; %bb.581:
	s_cmp_eq_u32 s34, 44
	s_cbranch_scc0 .LBB8_583
; %bb.582:
	global_load_ubyte v4, v[0:1], off
	s_movk_i32 s26, 0xff
	v_bfrev_b32_e32 v5, 4
	v_mov_b32_e32 v6, 0x7ff80000
	v_bfrev_b32_e32 v7, 28
	s_mov_b64 s[0:1], -1
	s_waitcnt vmcnt(0)
	v_lshlrev_b32_e32 v2, 23, v4
	v_cvt_f64_f32_e32 v[2:3], v2
	v_cmp_ne_u32_e32 vcc, s26, v4
	s_mov_b64 s[26:27], 0
	v_cndmask_b32_e32 v2, v5, v2, vcc
	v_cndmask_b32_e32 v3, v6, v3, vcc
	v_cmp_ne_u32_e32 vcc, 0, v4
	v_cndmask_b32_e32 v3, v7, v3, vcc
	v_cndmask_b32_e32 v2, 0, v2, vcc
	s_branch .LBB8_584
.LBB8_583:
	s_mov_b64 s[26:27], -1
                                        ; implicit-def: $vgpr2_vgpr3
.LBB8_584:
	s_mov_b64 s[28:29], 0
.LBB8_585:
	s_and_b64 vcc, exec, s[28:29]
	s_cbranch_vccz .LBB8_589
; %bb.586:
	s_cmp_eq_u32 s34, 29
	s_cbranch_scc0 .LBB8_588
; %bb.587:
	global_load_dwordx2 v[2:3], v[0:1], off
	s_mov_b64 s[0:1], -1
	s_mov_b64 s[26:27], 0
	s_mov_b64 s[28:29], 0
	s_waitcnt vmcnt(0)
	v_cvt_f64_u32_e32 v[3:4], v3
	v_cvt_f64_u32_e32 v[5:6], v2
	v_ldexp_f64 v[3:4], v[3:4], 32
	v_add_f64 v[2:3], v[3:4], v[5:6]
	s_branch .LBB8_590
.LBB8_588:
	s_mov_b64 s[26:27], -1
                                        ; implicit-def: $vgpr2_vgpr3
.LBB8_589:
	s_mov_b64 s[28:29], 0
.LBB8_590:
	s_and_b64 vcc, exec, s[28:29]
	s_cbranch_vccz .LBB8_610
; %bb.591:
	s_cmp_lt_i32 s34, 27
	s_cbranch_scc1 .LBB8_594
; %bb.592:
	s_cmp_gt_i32 s34, 27
	s_cbranch_scc0 .LBB8_595
; %bb.593:
	global_load_dword v2, v[0:1], off
	s_mov_b64 s[0:1], 0
	s_waitcnt vmcnt(0)
	v_cvt_f64_u32_e32 v[2:3], v2
	s_branch .LBB8_596
.LBB8_594:
	s_mov_b64 s[0:1], -1
                                        ; implicit-def: $vgpr2_vgpr3
	s_branch .LBB8_599
.LBB8_595:
	s_mov_b64 s[0:1], -1
                                        ; implicit-def: $vgpr2_vgpr3
.LBB8_596:
	s_andn2_b64 vcc, exec, s[0:1]
	s_cbranch_vccnz .LBB8_598
; %bb.597:
	global_load_ushort v2, v[0:1], off
	s_waitcnt vmcnt(0)
	v_cvt_f64_u32_e32 v[2:3], v2
.LBB8_598:
	s_mov_b64 s[0:1], 0
.LBB8_599:
	s_andn2_b64 vcc, exec, s[0:1]
	s_cbranch_vccnz .LBB8_609
; %bb.600:
	global_load_ubyte v4, v[0:1], off
	s_movk_i32 s0, 0x7f
	s_waitcnt vmcnt(0)
	v_cmp_lt_i16_e32 vcc, s0, v4
	s_mov_b64 s[0:1], 0
	s_and_saveexec_b64 s[28:29], vcc
	s_xor_b64 s[28:29], exec, s[28:29]
	s_cbranch_execz .LBB8_604
; %bb.601:
	s_movk_i32 s0, 0x80
	v_cmp_eq_u16_e32 vcc, s0, v4
	s_mov_b64 s[0:1], -1
	s_and_saveexec_b64 s[30:31], vcc
; %bb.602:
	s_xor_b64 s[0:1], exec, -1
; %bb.603:
	s_or_b64 exec, exec, s[30:31]
	s_and_b64 s[0:1], s[0:1], exec
.LBB8_604:
	s_or_saveexec_b64 s[28:29], s[28:29]
	v_bfrev_b32_e32 v2, 4
	v_mov_b32_e32 v3, 0x7ff80000
	s_xor_b64 exec, exec, s[28:29]
; %bb.605:
	v_cmp_ne_u16_e32 vcc, 0, v4
	v_mov_b32_e32 v2, 0
	s_andn2_b64 s[0:1], s[0:1], exec
	s_and_b64 s[30:31], vcc, exec
	v_mov_b32_e32 v3, 0
	s_or_b64 s[0:1], s[0:1], s[30:31]
; %bb.606:
	s_or_b64 exec, exec, s[28:29]
	s_and_saveexec_b64 s[28:29], s[0:1]
	s_cbranch_execz .LBB8_608
; %bb.607:
	v_and_b32_e32 v3, 0xffff, v4
	v_lshlrev_b32_e32 v2, 24, v4
	v_and_b32_e32 v4, 7, v3
	v_ffbh_u32_e32 v6, v4
	v_min_u32_e32 v6, 32, v6
	v_subrev_u32_e32 v7, 28, v6
	v_bfe_u32 v5, v3, 3, 4
	v_lshlrev_b32_e32 v3, v7, v3
	v_sub_u32_e32 v6, 29, v6
	v_and_b32_e32 v3, 7, v3
	v_cmp_eq_u32_e32 vcc, 0, v5
	v_cndmask_b32_e32 v5, v5, v6, vcc
	v_cndmask_b32_e32 v3, v4, v3, vcc
	v_mov_b32_e32 v4, 0x3b800000
	v_lshlrev_b32_e32 v3, 20, v3
	v_and_b32_e32 v2, 0x80000000, v2
	v_lshl_add_u32 v4, v5, 23, v4
	v_or3_b32 v2, v2, v4, v3
	v_cvt_f64_f32_e32 v[2:3], v2
.LBB8_608:
	s_or_b64 exec, exec, s[28:29]
.LBB8_609:
	s_mov_b64 s[0:1], -1
.LBB8_610:
	s_mov_b64 s[28:29], 0
.LBB8_611:
	s_and_b64 vcc, exec, s[28:29]
	s_cbranch_vccz .LBB8_644
; %bb.612:
	s_cmp_gt_i32 s34, 22
	s_cbranch_scc0 .LBB8_624
; %bb.613:
	s_cmp_lt_i32 s34, 24
	s_cbranch_scc1 .LBB8_625
; %bb.614:
	s_cmp_gt_i32 s34, 24
	s_cbranch_scc0 .LBB8_626
; %bb.615:
	global_load_ubyte v4, v[0:1], off
	s_movk_i32 s0, 0x7f
	s_waitcnt vmcnt(0)
	v_cmp_lt_i16_e32 vcc, s0, v4
	s_mov_b64 s[0:1], 0
	s_and_saveexec_b64 s[28:29], vcc
	s_xor_b64 s[28:29], exec, s[28:29]
	s_cbranch_execz .LBB8_619
; %bb.616:
	s_movk_i32 s0, 0x80
	v_cmp_eq_u16_e32 vcc, s0, v4
	s_mov_b64 s[0:1], -1
	s_and_saveexec_b64 s[30:31], vcc
; %bb.617:
	s_xor_b64 s[0:1], exec, -1
; %bb.618:
	s_or_b64 exec, exec, s[30:31]
	s_and_b64 s[0:1], s[0:1], exec
.LBB8_619:
	s_or_saveexec_b64 s[28:29], s[28:29]
	v_bfrev_b32_e32 v2, 4
	v_mov_b32_e32 v3, 0x7ff80000
	s_xor_b64 exec, exec, s[28:29]
; %bb.620:
	v_cmp_ne_u16_e32 vcc, 0, v4
	v_mov_b32_e32 v2, 0
	s_andn2_b64 s[0:1], s[0:1], exec
	s_and_b64 s[30:31], vcc, exec
	v_mov_b32_e32 v3, 0
	s_or_b64 s[0:1], s[0:1], s[30:31]
; %bb.621:
	s_or_b64 exec, exec, s[28:29]
	s_and_saveexec_b64 s[28:29], s[0:1]
	s_cbranch_execz .LBB8_623
; %bb.622:
	v_and_b32_e32 v3, 0xffff, v4
	v_lshlrev_b32_e32 v2, 24, v4
	v_and_b32_e32 v4, 3, v3
	v_ffbh_u32_e32 v6, v4
	v_min_u32_e32 v6, 32, v6
	v_subrev_u32_e32 v7, 29, v6
	v_bfe_u32 v5, v3, 2, 5
	v_lshlrev_b32_e32 v3, v7, v3
	v_sub_u32_e32 v6, 30, v6
	v_and_b32_e32 v3, 3, v3
	v_cmp_eq_u32_e32 vcc, 0, v5
	v_cndmask_b32_e32 v5, v5, v6, vcc
	v_cndmask_b32_e32 v3, v4, v3, vcc
	v_mov_b32_e32 v4, 0x37800000
	v_lshlrev_b32_e32 v3, 21, v3
	v_and_b32_e32 v2, 0x80000000, v2
	v_lshl_add_u32 v4, v5, 23, v4
	v_or3_b32 v2, v2, v4, v3
	v_cvt_f64_f32_e32 v[2:3], v2
.LBB8_623:
	s_or_b64 exec, exec, s[28:29]
	s_mov_b64 s[0:1], 0
	s_branch .LBB8_627
.LBB8_624:
	s_mov_b64 s[28:29], -1
                                        ; implicit-def: $vgpr2_vgpr3
	s_branch .LBB8_633
.LBB8_625:
	s_mov_b64 s[0:1], -1
                                        ; implicit-def: $vgpr2_vgpr3
	s_branch .LBB8_630
.LBB8_626:
	s_mov_b64 s[0:1], -1
                                        ; implicit-def: $vgpr2_vgpr3
.LBB8_627:
	s_and_b64 vcc, exec, s[0:1]
	s_cbranch_vccz .LBB8_629
; %bb.628:
	global_load_ubyte v2, v[0:1], off
	s_mov_b32 s0, 0x7f800000
	s_waitcnt vmcnt(0)
	v_lshlrev_b32_e32 v2, 24, v2
	v_and_b32_e32 v3, 0x7f000000, v2
	v_ffbh_u32_e32 v4, v3
	v_min_u32_e32 v4, 32, v4
	v_sub_u32_e64 v4, v4, 4 clamp
	v_lshlrev_b32_e32 v6, v4, v3
	v_lshlrev_b32_e32 v4, 23, v4
	v_lshrrev_b32_e32 v6, 4, v6
	v_add_u32_e32 v5, 0x1000000, v3
	v_sub_u32_e32 v4, v6, v4
	v_ashrrev_i32_e32 v5, 8, v5
	v_add_u32_e32 v4, 0x3c000000, v4
	v_and_or_b32 v4, v5, s0, v4
	v_cmp_ne_u32_e32 vcc, 0, v3
	v_cndmask_b32_e32 v3, 0, v4, vcc
	s_brev_b32 s0, 1
	v_and_or_b32 v2, v2, s0, v3
	v_cvt_f64_f32_e32 v[2:3], v2
.LBB8_629:
	s_mov_b64 s[0:1], 0
.LBB8_630:
	s_andn2_b64 vcc, exec, s[0:1]
	s_cbranch_vccnz .LBB8_632
; %bb.631:
	global_load_ubyte v2, v[0:1], off
	s_movk_i32 s0, 0x7f00
	s_brev_b32 s1, 16
	s_waitcnt vmcnt(0)
	v_lshlrev_b16_e32 v3, 8, v2
	v_lshlrev_b32_e32 v2, 25, v2
	v_lshrrev_b32_e32 v4, 4, v2
	v_and_or_b32 v5, v3, s0, 0.5
	v_or_b32_e32 v4, 0x70000000, v4
	v_add_f32_e32 v5, -0.5, v5
	v_mul_f32_e32 v4, 0x7800000, v4
	v_cmp_gt_u32_e32 vcc, s1, v2
	v_bfe_i32 v3, v3, 0, 16
	v_cndmask_b32_e32 v2, v4, v5, vcc
	s_brev_b32 s0, 1
	v_and_or_b32 v2, v3, s0, v2
	v_cvt_f64_f32_e32 v[2:3], v2
.LBB8_632:
	s_mov_b64 s[28:29], 0
	s_mov_b64 s[0:1], -1
.LBB8_633:
	s_andn2_b64 vcc, exec, s[28:29]
	s_cbranch_vccnz .LBB8_644
; %bb.634:
	s_cmp_gt_i32 s34, 14
	s_cbranch_scc0 .LBB8_637
; %bb.635:
	s_cmp_eq_u32 s34, 15
	s_cbranch_scc0 .LBB8_638
; %bb.636:
	global_load_ushort v2, v[0:1], off
	s_mov_b64 s[0:1], -1
	s_mov_b64 s[26:27], 0
	s_waitcnt vmcnt(0)
	v_lshlrev_b32_e32 v2, 16, v2
	v_cvt_f64_f32_e32 v[2:3], v2
	s_branch .LBB8_639
.LBB8_637:
	s_mov_b64 s[28:29], -1
                                        ; implicit-def: $vgpr2_vgpr3
	s_branch .LBB8_640
.LBB8_638:
	s_mov_b64 s[26:27], -1
                                        ; implicit-def: $vgpr2_vgpr3
.LBB8_639:
	s_mov_b64 s[28:29], 0
.LBB8_640:
	s_and_b64 vcc, exec, s[28:29]
	s_cbranch_vccz .LBB8_644
; %bb.641:
	s_cmp_eq_u32 s34, 11
	s_cbranch_scc0 .LBB8_643
; %bb.642:
	global_load_ubyte v3, v[0:1], off
	v_mov_b32_e32 v4, 0x3ff00000
	v_mov_b32_e32 v2, 0
	s_mov_b64 s[0:1], -1
	s_mov_b64 s[26:27], 0
	s_waitcnt vmcnt(0)
	v_cmp_ne_u16_e32 vcc, 0, v3
	v_cndmask_b32_e32 v3, 0, v4, vcc
	s_branch .LBB8_644
.LBB8_643:
	s_mov_b64 s[26:27], -1
                                        ; implicit-def: $vgpr2_vgpr3
.LBB8_644:
	s_mov_b64 s[28:29], 0
.LBB8_645:
	s_and_b64 vcc, exec, s[28:29]
	s_cbranch_vccz .LBB8_694
; %bb.646:
	s_cmp_lt_i32 s34, 5
	s_cbranch_scc1 .LBB8_651
; %bb.647:
	s_cmp_lt_i32 s34, 8
	s_cbranch_scc1 .LBB8_652
	;; [unrolled: 3-line block ×3, first 2 shown]
; %bb.649:
	s_cmp_gt_i32 s34, 9
	s_cbranch_scc0 .LBB8_654
; %bb.650:
	global_load_dwordx2 v[2:3], v[0:1], off
	s_mov_b64 s[0:1], 0
	s_branch .LBB8_655
.LBB8_651:
	s_mov_b64 s[0:1], -1
                                        ; implicit-def: $vgpr2_vgpr3
	s_branch .LBB8_673
.LBB8_652:
	s_mov_b64 s[0:1], -1
                                        ; implicit-def: $vgpr2_vgpr3
	s_branch .LBB8_661
.LBB8_653:
	s_mov_b64 s[0:1], -1
                                        ; implicit-def: $vgpr2_vgpr3
	s_branch .LBB8_658
.LBB8_654:
	s_mov_b64 s[0:1], -1
                                        ; implicit-def: $vgpr2_vgpr3
.LBB8_655:
	s_andn2_b64 vcc, exec, s[0:1]
	s_cbranch_vccnz .LBB8_657
; %bb.656:
	global_load_dword v2, v[0:1], off
	s_waitcnt vmcnt(0)
	v_cvt_f64_f32_e32 v[2:3], v2
.LBB8_657:
	s_mov_b64 s[0:1], 0
.LBB8_658:
	s_andn2_b64 vcc, exec, s[0:1]
	s_cbranch_vccnz .LBB8_660
; %bb.659:
	global_load_dword v2, v[0:1], off
	s_waitcnt vmcnt(0)
	v_cvt_f32_f16_e32 v2, v2
	v_cvt_f64_f32_e32 v[2:3], v2
.LBB8_660:
	s_mov_b64 s[0:1], 0
.LBB8_661:
	s_andn2_b64 vcc, exec, s[0:1]
	s_cbranch_vccnz .LBB8_672
; %bb.662:
	s_cmp_lt_i32 s34, 6
	s_cbranch_scc1 .LBB8_665
; %bb.663:
	s_cmp_gt_i32 s34, 6
	s_cbranch_scc0 .LBB8_666
; %bb.664:
	global_load_dwordx2 v[2:3], v[0:1], off
	s_mov_b64 s[0:1], 0
	s_branch .LBB8_667
.LBB8_665:
	s_mov_b64 s[0:1], -1
                                        ; implicit-def: $vgpr2_vgpr3
	s_branch .LBB8_670
.LBB8_666:
	s_mov_b64 s[0:1], -1
                                        ; implicit-def: $vgpr2_vgpr3
.LBB8_667:
	s_andn2_b64 vcc, exec, s[0:1]
	s_cbranch_vccnz .LBB8_669
; %bb.668:
	global_load_dword v2, v[0:1], off
	s_waitcnt vmcnt(0)
	v_cvt_f64_f32_e32 v[2:3], v2
.LBB8_669:
	s_mov_b64 s[0:1], 0
.LBB8_670:
	s_andn2_b64 vcc, exec, s[0:1]
	s_cbranch_vccnz .LBB8_672
; %bb.671:
	global_load_ushort v2, v[0:1], off
	s_waitcnt vmcnt(0)
	v_cvt_f32_f16_e32 v2, v2
	v_cvt_f64_f32_e32 v[2:3], v2
.LBB8_672:
	s_mov_b64 s[0:1], 0
.LBB8_673:
	s_andn2_b64 vcc, exec, s[0:1]
	s_cbranch_vccnz .LBB8_693
; %bb.674:
	s_cmp_lt_i32 s34, 2
	s_cbranch_scc1 .LBB8_678
; %bb.675:
	s_cmp_lt_i32 s34, 3
	s_cbranch_scc1 .LBB8_679
; %bb.676:
	s_cmp_gt_i32 s34, 3
	s_cbranch_scc0 .LBB8_680
; %bb.677:
	global_load_dwordx2 v[2:3], v[0:1], off
	s_mov_b64 s[0:1], 0
	s_waitcnt vmcnt(0)
	v_cvt_f64_i32_e32 v[3:4], v3
	v_cvt_f64_u32_e32 v[5:6], v2
	v_ldexp_f64 v[3:4], v[3:4], 32
	v_add_f64 v[2:3], v[3:4], v[5:6]
	s_branch .LBB8_681
.LBB8_678:
	s_mov_b64 s[0:1], -1
                                        ; implicit-def: $vgpr2_vgpr3
	s_branch .LBB8_687
.LBB8_679:
	s_mov_b64 s[0:1], -1
                                        ; implicit-def: $vgpr2_vgpr3
	s_branch .LBB8_684
.LBB8_680:
	s_mov_b64 s[0:1], -1
                                        ; implicit-def: $vgpr2_vgpr3
.LBB8_681:
	s_andn2_b64 vcc, exec, s[0:1]
	s_cbranch_vccnz .LBB8_683
; %bb.682:
	global_load_dword v2, v[0:1], off
	s_waitcnt vmcnt(0)
	v_cvt_f64_i32_e32 v[2:3], v2
.LBB8_683:
	s_mov_b64 s[0:1], 0
.LBB8_684:
	s_andn2_b64 vcc, exec, s[0:1]
	s_cbranch_vccnz .LBB8_686
; %bb.685:
	global_load_sshort v2, v[0:1], off
	s_waitcnt vmcnt(0)
	v_cvt_f64_i32_e32 v[2:3], v2
.LBB8_686:
	s_mov_b64 s[0:1], 0
.LBB8_687:
	s_andn2_b64 vcc, exec, s[0:1]
	s_cbranch_vccnz .LBB8_693
; %bb.688:
	s_cmp_gt_i32 s34, 0
	s_cbranch_scc0 .LBB8_690
; %bb.689:
	global_load_sbyte v2, v[0:1], off
	s_mov_b64 s[0:1], 0
	s_waitcnt vmcnt(0)
	v_cvt_f64_i32_e32 v[2:3], v2
	s_branch .LBB8_691
.LBB8_690:
	s_mov_b64 s[0:1], -1
                                        ; implicit-def: $vgpr2_vgpr3
.LBB8_691:
	s_andn2_b64 vcc, exec, s[0:1]
	s_cbranch_vccnz .LBB8_693
; %bb.692:
	global_load_ubyte v0, v[0:1], off
	s_waitcnt vmcnt(0)
	v_cvt_f64_u32_e32 v[2:3], v0
.LBB8_693:
	s_mov_b64 s[0:1], -1
.LBB8_694:
	s_andn2_b64 vcc, exec, s[0:1]
	s_cbranch_vccnz .LBB8_726
; %bb.695:
	s_waitcnt vmcnt(0)
	v_cmp_neq_f64_e32 vcc, 0, v[2:3]
                                        ; implicit-def: $vgpr0_vgpr1
	s_and_saveexec_b64 s[0:1], vcc
	s_xor_b64 s[28:29], exec, s[0:1]
	s_cbranch_execz .LBB8_717
; %bb.696:
	v_cmp_gt_f64_e32 vcc, 0, v[2:3]
	v_mov_b32_e32 v4, 0
	v_mov_b32_e32 v5, 0
	s_mov_b64 s[34:35], -1
	s_and_saveexec_b64 s[30:31], vcc
	s_cbranch_execz .LBB8_704
; %bb.697:
	v_trunc_f64_e32 v[0:1], v[2:3]
	v_mov_b32_e32 v4, 0
	v_mov_b32_e32 v5, 0
	s_mov_b64 s[36:37], 0
	v_cmp_neq_f64_e32 vcc, v[2:3], v[0:1]
	s_and_saveexec_b64 s[34:35], vcc
	s_cbranch_execz .LBB8_703
; %bb.698:
	v_add_f64 v[0:1], v[2:3], -v[0:1]
	s_mov_b32 s0, 0
	s_mov_b32 s37, 0xc00921fb
	;; [unrolled: 1-line block ×4, first 2 shown]
	v_cmp_neq_f64_e64 vcc, |v[2:3]|, s[0:1]
	v_bfrev_b32_e32 v4, 1
	s_mov_b32 s38, 0
	v_mul_f64 v[0:1], |v[0:1]|, s[36:37]
	s_mov_b32 s39, 0x41d00000
                                        ; implicit-def: $vgpr8
                                        ; implicit-def: $vgpr6_vgpr7
	v_cndmask_b32_e32 v1, v4, v1, vcc
	v_cndmask_b32_e32 v0, 0, v0, vcc
	v_cmp_nlt_f64_e64 s[38:39], |v[0:1]|, s[38:39]
                                        ; implicit-def: $vgpr4_vgpr5
	s_and_saveexec_b64 s[44:45], s[38:39]
	s_xor_b64 s[38:39], exec, s[44:45]
	s_cbranch_execz .LBB8_700
; %bb.699:
	v_trig_preop_f64 v[4:5], |v[0:1]|, 0
	s_mov_b32 s44, 0
	s_mov_b32 s45, 0x7b000000
	s_movk_i32 s37, 0xff80
	v_ldexp_f64 v[8:9], |v[0:1]|, s37
	v_cmp_ge_f64_e64 vcc, |v[0:1]|, s[44:45]
	v_trig_preop_f64 v[6:7], |v[0:1]|, 1
	v_and_b32_e32 v10, 0x7fffffff, v1
	v_trig_preop_f64 v[17:18], |v[0:1]|, 2
	v_mov_b32_e32 v28, 0x40100000
	v_mov_b32_e32 v27, 0
	s_mov_b32 s37, 0x3ff921fb
	v_cndmask_b32_e32 v9, v10, v9, vcc
	v_cndmask_b32_e32 v8, v0, v8, vcc
	v_mul_f64 v[10:11], v[4:5], v[8:9]
	v_mul_f64 v[12:13], v[6:7], v[8:9]
	;; [unrolled: 1-line block ×3, first 2 shown]
	v_fma_f64 v[4:5], v[4:5], v[8:9], -v[10:11]
	v_fma_f64 v[6:7], v[6:7], v[8:9], -v[12:13]
	;; [unrolled: 1-line block ×3, first 2 shown]
	v_add_f64 v[15:16], v[12:13], v[4:5]
	v_add_f64 v[19:20], v[15:16], -v[12:13]
	v_add_f64 v[25:26], v[10:11], v[15:16]
	v_add_f64 v[21:22], v[15:16], -v[19:20]
	v_add_f64 v[4:5], v[4:5], -v[19:20]
	v_add_f64 v[19:20], v[23:24], v[6:7]
	v_add_f64 v[10:11], v[25:26], -v[10:11]
	v_add_f64 v[12:13], v[12:13], -v[21:22]
	v_ldexp_f64 v[21:22], v[25:26], -2
	v_add_f64 v[29:30], v[19:20], -v[23:24]
	v_add_f64 v[10:11], v[15:16], -v[10:11]
	v_add_f64 v[4:5], v[4:5], v[12:13]
	v_fract_f64_e32 v[12:13], v[21:22]
	v_cmp_neq_f64_e64 vcc, |v[21:22]|, s[0:1]
	v_add_f64 v[6:7], v[6:7], -v[29:30]
	v_add_f64 v[15:16], v[19:20], v[4:5]
	v_ldexp_f64 v[12:13], v[12:13], 2
	v_add_f64 v[21:22], v[10:11], v[15:16]
	v_cndmask_b32_e32 v13, 0, v13, vcc
	v_cndmask_b32_e32 v12, 0, v12, vcc
	v_add_f64 v[31:32], v[15:16], -v[19:20]
	v_add_f64 v[25:26], v[21:22], v[12:13]
	v_add_f64 v[10:11], v[21:22], -v[10:11]
	v_add_f64 v[33:34], v[15:16], -v[31:32]
	;; [unrolled: 1-line block ×3, first 2 shown]
	v_cmp_gt_f64_e32 vcc, 0, v[25:26]
	v_add_f64 v[25:26], v[19:20], -v[29:30]
	v_add_f64 v[10:11], v[15:16], -v[10:11]
	;; [unrolled: 1-line block ×3, first 2 shown]
	v_cndmask_b32_e32 v28, 0, v28, vcc
	v_add_f64 v[12:13], v[12:13], v[27:28]
	v_add_f64 v[25:26], v[23:24], -v[25:26]
	v_add_f64 v[4:5], v[4:5], v[19:20]
	v_add_f64 v[35:36], v[21:22], v[12:13]
	;; [unrolled: 1-line block ×3, first 2 shown]
	v_cvt_i32_f64_e32 v30, v[35:36]
	v_add_f64 v[4:5], v[6:7], v[4:5]
	v_cvt_f64_i32_e32 v[28:29], v30
	v_add_f64 v[12:13], v[12:13], -v[28:29]
	v_add_f64 v[4:5], v[8:9], v[4:5]
	v_add_f64 v[6:7], v[21:22], v[12:13]
	;; [unrolled: 1-line block ×3, first 2 shown]
	v_mov_b32_e32 v11, 0x3ff00000
	v_add_f64 v[8:9], v[6:7], -v[12:13]
	v_cmp_le_f64_e32 vcc, 0.5, v[6:7]
	v_add_f64 v[9:10], v[21:22], -v[8:9]
	v_cndmask_b32_e32 v28, 0, v11, vcc
	v_add_f64 v[6:7], v[6:7], -v[27:28]
	v_addc_co_u32_e64 v8, s[0:1], 0, v30, vcc
	s_mov_b32 s0, 0x33145c07
	s_mov_b32 s1, 0x3c91a626
	v_add_f64 v[4:5], v[4:5], v[9:10]
	v_add_f64 v[9:10], v[6:7], v[4:5]
	v_mul_f64 v[11:12], v[9:10], s[36:37]
	v_add_f64 v[6:7], v[9:10], -v[6:7]
	v_fma_f64 v[15:16], v[9:10], s[36:37], -v[11:12]
	v_add_f64 v[4:5], v[4:5], -v[6:7]
	v_fma_f64 v[6:7], v[9:10], s[0:1], v[15:16]
	v_fma_f64 v[6:7], v[4:5], s[36:37], v[6:7]
	v_add_f64 v[4:5], v[11:12], v[6:7]
	v_add_f64 v[9:10], v[4:5], -v[11:12]
	v_add_f64 v[6:7], v[6:7], -v[9:10]
.LBB8_700:
	s_andn2_saveexec_b64 s[0:1], s[38:39]
	s_cbranch_execz .LBB8_702
; %bb.701:
	s_mov_b32 s36, 0x6dc9c883
	s_mov_b32 s37, 0x3fe45f30
	v_mul_f64 v[4:5], |v[0:1]|, s[36:37]
	s_mov_b32 s36, 0x54442d18
	s_mov_b32 s37, 0xbff921fb
	s_mov_b32 s39, 0xbc91a626
	s_mov_b32 s38, 0x33145c00
	v_rndne_f64_e32 v[8:9], v[4:5]
	v_fma_f64 v[4:5], v[8:9], s[36:37], |v[0:1]|
	v_mul_f64 v[6:7], v[8:9], s[38:39]
	s_mov_b32 s36, 0x252049c0
	s_mov_b32 s37, 0xb97b839a
	v_fma_f64 v[15:16], v[8:9], s[38:39], v[4:5]
	v_add_f64 v[10:11], v[4:5], v[6:7]
	s_mov_b32 s39, 0x3c91a626
	v_add_f64 v[12:13], v[4:5], -v[10:11]
	v_add_f64 v[10:11], v[10:11], -v[15:16]
	v_add_f64 v[4:5], v[12:13], v[6:7]
	v_fma_f64 v[6:7], v[8:9], s[38:39], v[6:7]
	v_add_f64 v[4:5], v[10:11], v[4:5]
	v_add_f64 v[4:5], v[4:5], -v[6:7]
	v_fma_f64 v[6:7], v[8:9], s[36:37], v[4:5]
	v_cvt_i32_f64_e32 v8, v[8:9]
	v_add_f64 v[4:5], v[15:16], v[6:7]
	v_add_f64 v[10:11], v[4:5], -v[15:16]
	v_add_f64 v[6:7], v[6:7], -v[10:11]
.LBB8_702:
	s_or_b64 exec, exec, s[0:1]
	v_mul_f64 v[9:10], v[4:5], v[4:5]
	v_add_f64 v[11:12], v[6:7], v[6:7]
	s_mov_b32 s0, 0xc751c08c
	s_mov_b32 s1, 0x3ef5e089
	v_and_b32_e32 v8, 1, v8
	v_cmp_eq_u32_e32 vcc, 0, v8
	s_mov_b32 s38, 0x54442d18
	s_mov_b32 s39, 0xc00921fb
	v_fma_f64 v[15:16], v[4:5], v[4:5], -v[9:10]
	v_add_f64 v[2:3], -v[2:3], 1.0
	s_mov_b64 s[36:37], exec
	v_fma_f64 v[11:12], v[4:5], v[11:12], v[15:16]
	v_add_f64 v[9:10], v[9:10], v[11:12]
	v_mov_b32_e32 v11, 0xa9a29f71
	v_mov_b32_e32 v12, 0xbf078809
	v_fma_f64 v[11:12], v[9:10], s[0:1], v[11:12]
	s_mov_b32 s0, 0x90a8aae0
	s_mov_b32 s1, 0x3f17746f
	v_fma_f64 v[11:12], v[9:10], v[11:12], s[0:1]
	s_mov_b32 s0, 0xa6fbf144
	s_mov_b32 s1, 0xbefbb44d
	;; [unrolled: 3-line block ×12, first 2 shown]
	v_fma_f64 v[11:12], v[9:10], v[11:12], s[0:1]
	s_movk_i32 s0, 0x1f8
	v_cmp_class_f64_e64 s[0:1], v[0:1], s0
	v_mul_f64 v[9:10], v[9:10], v[11:12]
	v_mul_f64 v[11:12], v[4:5], v[9:10]
	v_add_f64 v[15:16], v[4:5], v[11:12]
	v_fma_f64 v[9:10], v[4:5], v[9:10], -v[11:12]
	v_add_f64 v[4:5], v[15:16], -v[4:5]
	v_add_f64 v[6:7], v[6:7], v[9:10]
	v_add_f64 v[4:5], v[11:12], -v[4:5]
	v_add_f64 v[4:5], v[6:7], v[4:5]
	v_add_f64 v[6:7], v[15:16], v[4:5]
	v_rcp_f64_e32 v[9:10], v[6:7]
	v_fma_f64 v[11:12], -v[6:7], v[9:10], 1.0
	v_fma_f64 v[9:10], v[11:12], v[9:10], v[9:10]
	v_fma_f64 v[11:12], -v[6:7], v[9:10], 1.0
	v_fma_f64 v[9:10], v[11:12], v[9:10], v[9:10]
	v_add_f64 v[11:12], v[6:7], -v[15:16]
	v_mul_f64 v[15:16], v[6:7], v[9:10]
	v_add_f64 v[4:5], v[4:5], -v[11:12]
	v_fma_f64 v[11:12], v[9:10], v[6:7], -v[15:16]
	v_fma_f64 v[4:5], v[9:10], v[4:5], v[11:12]
	v_add_f64 v[11:12], v[15:16], v[4:5]
	v_add_f64 v[17:18], -v[11:12], 1.0
	v_add_f64 v[15:16], v[11:12], -v[15:16]
	v_add_f64 v[19:20], -v[17:18], 1.0
	v_add_f64 v[4:5], v[15:16], -v[4:5]
	v_add_f64 v[11:12], v[19:20], -v[11:12]
	v_add_f64 v[4:5], v[4:5], v[11:12]
	v_add_f64 v[4:5], v[17:18], v[4:5]
	v_mul_f64 v[4:5], v[9:10], v[4:5]
	v_add_f64 v[4:5], v[9:10], v[4:5]
	v_and_b32_e32 v9, 0x80000000, v1
	v_mov_b32_e32 v1, 0x7ff80000
	v_xor_b32_e32 v0, 0x80000000, v5
	v_cndmask_b32_e32 v4, v4, v6, vcc
	v_cndmask_b32_e32 v5, v0, v7, vcc
	v_cndmask_b32_e64 v0, 0, v4, s[0:1]
	v_xor_b32_e32 v4, v5, v9
	v_cndmask_b32_e64 v1, v1, v4, s[0:1]
	v_div_scale_f64 v[4:5], s[0:1], v[0:1], v[0:1], s[38:39]
	v_rcp_f64_e32 v[6:7], v[4:5]
	v_fma_f64 v[8:9], -v[4:5], v[6:7], 1.0
	v_fma_f64 v[6:7], v[6:7], v[8:9], v[6:7]
	v_div_scale_f64 v[8:9], vcc, s[38:39], v[0:1], s[38:39]
	v_fma_f64 v[10:11], -v[4:5], v[6:7], 1.0
	v_fma_f64 v[6:7], v[6:7], v[10:11], v[6:7]
	v_mul_f64 v[10:11], v[8:9], v[6:7]
	v_fma_f64 v[4:5], -v[4:5], v[10:11], v[8:9]
	v_div_fmas_f64 v[4:5], v[4:5], v[6:7], v[10:11]
	v_div_fixup_f64 v[4:5], v[4:5], v[0:1], s[38:39]
.LBB8_703:
	s_or_b64 exec, exec, s[34:35]
	s_orn2_b64 s[34:35], s[36:37], exec
.LBB8_704:
	s_or_b64 exec, exec, s[30:31]
	v_mov_b32_e32 v0, 0
	v_mov_b32_e32 v1, 0x7ff80000
	s_and_saveexec_b64 s[0:1], s[34:35]
	s_cbranch_execz .LBB8_716
; %bb.705:
	s_mov_b32 s34, 0
	s_mov_b32 s35, 0x40240000
	v_cmp_gt_f64_e32 vcc, s[34:35], v[2:3]
	s_and_saveexec_b64 s[30:31], vcc
	s_cbranch_execz .LBB8_709
; %bb.706:
	s_mov_b64 s[36:37], 0
.LBB8_707:                              ; =>This Inner Loop Header: Depth=1
	v_div_scale_f64 v[0:1], s[38:39], v[2:3], v[2:3], 1.0
	v_rcp_f64_e32 v[6:7], v[0:1]
	v_fma_f64 v[8:9], -v[0:1], v[6:7], 1.0
	v_fma_f64 v[6:7], v[6:7], v[8:9], v[6:7]
	v_div_scale_f64 v[8:9], vcc, 1.0, v[2:3], 1.0
	v_fma_f64 v[10:11], -v[0:1], v[6:7], 1.0
	v_fma_f64 v[6:7], v[6:7], v[10:11], v[6:7]
	v_mul_f64 v[10:11], v[8:9], v[6:7]
	v_fma_f64 v[0:1], -v[0:1], v[10:11], v[8:9]
	v_div_fmas_f64 v[0:1], v[0:1], v[6:7], v[10:11]
	v_div_fixup_f64 v[0:1], v[0:1], v[2:3], 1.0
	v_add_f64 v[2:3], v[2:3], 1.0
	v_add_f64 v[4:5], v[4:5], -v[0:1]
	v_cmp_ngt_f64_e32 vcc, s[34:35], v[2:3]
	s_or_b64 s[36:37], vcc, s[36:37]
	s_andn2_b64 exec, exec, s[36:37]
	s_cbranch_execnz .LBB8_707
; %bb.708:
	s_or_b64 exec, exec, s[36:37]
.LBB8_709:
	s_or_b64 exec, exec, s[30:31]
	s_mov_b32 s30, 0
	s_mov_b32 s31, 0x40240000
	v_cmp_neq_f64_e32 vcc, s[30:31], v[2:3]
                                        ; implicit-def: $vgpr0_vgpr1
	s_and_saveexec_b64 s[30:31], vcc
	s_xor_b64 s[30:31], exec, s[30:31]
	s_cbranch_execz .LBB8_713
; %bb.710:
	s_mov_b32 s34, 0x85d8a000
	s_mov_b32 s35, 0x43763457
	v_cmp_gt_f64_e32 vcc, s[34:35], v[2:3]
	v_mov_b32_e32 v0, 0
	v_mov_b32_e32 v1, 0
	s_and_saveexec_b64 s[34:35], vcc
	s_cbranch_execz .LBB8_712
; %bb.711:
	v_mul_f64 v[0:1], v[2:3], v[2:3]
	s_mov_b32 s38, 0x95995996
	s_mov_b32 s39, 0xbf959959
	;; [unrolled: 1-line block ×4, first 2 shown]
	v_div_scale_f64 v[6:7], s[36:37], v[0:1], v[0:1], 1.0
	v_div_scale_f64 v[12:13], vcc, 1.0, v[0:1], 1.0
	s_mov_b32 s36, 0x55555555
	s_mov_b32 s37, 0x3fb55555
	v_rcp_f64_e32 v[8:9], v[6:7]
	v_fma_f64 v[10:11], -v[6:7], v[8:9], 1.0
	v_fma_f64 v[8:9], v[8:9], v[10:11], v[8:9]
	v_fma_f64 v[10:11], -v[6:7], v[8:9], 1.0
	v_fma_f64 v[8:9], v[8:9], v[10:11], v[8:9]
	v_mul_f64 v[10:11], v[12:13], v[8:9]
	v_fma_f64 v[6:7], -v[6:7], v[10:11], v[12:13]
	v_div_fmas_f64 v[6:7], v[6:7], v[8:9], v[10:11]
	v_div_fixup_f64 v[0:1], v[6:7], v[0:1], 1.0
	v_fma_f64 v[6:7], v[0:1], 0, s[36:37]
	v_fma_f64 v[6:7], v[0:1], v[6:7], s[38:39]
	s_mov_b32 s38, 0xf07c1f08
	s_mov_b32 s39, 0x3f7f07c1
	v_fma_f64 v[6:7], v[0:1], v[6:7], s[38:39]
	s_mov_b32 s39, 0xbf711111
	s_mov_b32 s38, 0x11111111
	v_fma_f64 v[6:7], v[0:1], v[6:7], s[38:39]
	s_mov_b32 s39, 0xbf811111
	v_fma_f64 v[6:7], v[0:1], v[6:7], s[44:45]
	v_fma_f64 v[6:7], v[0:1], v[6:7], s[38:39]
	v_fma_f64 v[6:7], v[0:1], v[6:7], s[36:37]
	v_mul_f64 v[0:1], v[0:1], v[6:7]
.LBB8_712:
	s_or_b64 exec, exec, s[34:35]
	v_frexp_mant_f64_e32 v[6:7], v[2:3]
	s_mov_b32 s35, 0x3fe55555
	s_mov_b32 s34, 0x55555555
	;; [unrolled: 1-line block ×4, first 2 shown]
	v_cmp_gt_f64_e32 vcc, s[34:35], v[6:7]
	s_mov_b32 s34, 0x55555780
	v_cndmask_b32_e64 v8, 0, 1, vcc
	v_ldexp_f64 v[6:7], v[6:7], v8
	v_add_f64 v[8:9], v[6:7], 1.0
	v_add_f64 v[15:16], v[6:7], -1.0
	v_rcp_f64_e32 v[10:11], v[8:9]
	v_add_f64 v[17:18], v[8:9], -1.0
	v_add_f64 v[6:7], v[6:7], -v[17:18]
	v_fma_f64 v[12:13], -v[8:9], v[10:11], 1.0
	v_fma_f64 v[10:11], v[12:13], v[10:11], v[10:11]
	v_fma_f64 v[12:13], -v[8:9], v[10:11], 1.0
	v_fma_f64 v[10:11], v[12:13], v[10:11], v[10:11]
	v_mul_f64 v[12:13], v[15:16], v[10:11]
	v_mul_f64 v[19:20], v[8:9], v[12:13]
	v_fma_f64 v[8:9], v[12:13], v[8:9], -v[19:20]
	v_fma_f64 v[6:7], v[12:13], v[6:7], v[8:9]
	v_add_f64 v[8:9], v[19:20], v[6:7]
	v_add_f64 v[17:18], v[15:16], -v[8:9]
	v_add_f64 v[19:20], v[8:9], -v[19:20]
	v_add_f64 v[15:16], v[15:16], -v[17:18]
	v_add_f64 v[6:7], v[19:20], -v[6:7]
	v_add_f64 v[8:9], v[15:16], -v[8:9]
	v_mov_b32_e32 v15, 0x6b47b09a
	v_mov_b32_e32 v16, 0x3fc38538
	v_add_f64 v[6:7], v[6:7], v[8:9]
	v_add_f64 v[6:7], v[17:18], v[6:7]
	v_mul_f64 v[6:7], v[10:11], v[6:7]
	v_add_f64 v[8:9], v[12:13], v[6:7]
	v_mul_f64 v[10:11], v[8:9], v[8:9]
	v_fma_f64 v[15:16], v[10:11], s[36:37], v[15:16]
	s_mov_b32 s36, 0xd7f4df2e
	s_mov_b32 s37, 0x3fc7474d
	v_mul_f64 v[17:18], v[8:9], v[10:11]
	v_fma_f64 v[15:16], v[10:11], v[15:16], s[36:37]
	s_mov_b32 s36, 0x16291751
	s_mov_b32 s37, 0x3fcc71c0
	v_fma_f64 v[15:16], v[10:11], v[15:16], s[36:37]
	s_mov_b32 s36, 0x9b27acf1
	s_mov_b32 s37, 0x3fd24924
	;; [unrolled: 3-line block ×3, first 2 shown]
	v_fma_f64 v[15:16], v[10:11], v[15:16], s[36:37]
	v_fma_f64 v[10:11], v[10:11], v[15:16], s[34:35]
	v_ldexp_f64 v[15:16], v[8:9], 1
	v_add_f64 v[8:9], v[8:9], -v[12:13]
	s_mov_b32 s34, 0xfefa39ef
	s_mov_b32 s35, 0x3fe62e42
	v_mul_f64 v[10:11], v[17:18], v[10:11]
	v_frexp_exp_i32_f64_e32 v17, v[2:3]
	v_add_f64 v[6:7], v[6:7], -v[8:9]
	v_add_f64 v[12:13], v[15:16], v[10:11]
	v_subbrev_co_u32_e32 v17, vcc, 0, v17, vcc
	v_cvt_f64_i32_e32 v[17:18], v17
	v_ldexp_f64 v[6:7], v[6:7], 1
	v_mul_f64 v[19:20], v[17:18], s[34:35]
	v_add_f64 v[8:9], v[12:13], -v[15:16]
	v_fma_f64 v[15:16], v[17:18], s[34:35], -v[19:20]
	v_add_f64 v[8:9], v[10:11], -v[8:9]
	s_mov_b32 s34, 0x3b39803f
	s_mov_b32 s35, 0x3c7abc9e
	v_fma_f64 v[10:11], v[17:18], s[34:35], v[15:16]
	v_add_f64 v[6:7], v[6:7], v[8:9]
	v_div_scale_f64 v[8:9], s[34:35], v[2:3], v[2:3], -0.5
	s_movk_i32 s34, 0x204
	v_add_f64 v[15:16], v[19:20], v[10:11]
	v_add_f64 v[17:18], v[12:13], v[6:7]
	v_add_f64 v[19:20], v[15:16], -v[19:20]
	v_add_f64 v[21:22], v[15:16], v[17:18]
	v_rcp_f64_e32 v[23:24], v[8:9]
	v_add_f64 v[12:13], v[17:18], -v[12:13]
	v_add_f64 v[10:11], v[10:11], -v[19:20]
	;; [unrolled: 1-line block ×5, first 2 shown]
	v_fma_f64 v[29:30], -v[8:9], v[23:24], 1.0
	v_add_f64 v[12:13], v[17:18], -v[25:26]
	v_add_f64 v[19:20], v[10:11], v[6:7]
	v_add_f64 v[15:16], v[15:16], -v[27:28]
	v_fma_f64 v[17:18], v[23:24], v[29:30], v[23:24]
	v_add_f64 v[25:26], v[19:20], -v[10:11]
	v_add_f64 v[12:13], v[12:13], v[15:16]
	v_div_scale_f64 v[15:16], vcc, -0.5, v[2:3], -0.5
	v_fma_f64 v[23:24], -v[8:9], v[17:18], 1.0
	v_add_f64 v[6:7], v[6:7], -v[25:26]
	v_add_f64 v[12:13], v[19:20], v[12:13]
	v_add_f64 v[19:20], v[19:20], -v[25:26]
	v_fma_f64 v[17:18], v[17:18], v[23:24], v[17:18]
	v_add_f64 v[23:24], v[21:22], v[12:13]
	v_add_f64 v[10:11], v[10:11], -v[19:20]
	v_mul_f64 v[27:28], v[15:16], v[17:18]
	v_add_f64 v[19:20], v[23:24], -v[21:22]
	v_add_f64 v[6:7], v[6:7], v[10:11]
	v_fma_f64 v[8:9], -v[8:9], v[27:28], v[15:16]
	v_add_f64 v[10:11], v[12:13], -v[19:20]
	v_div_fmas_f64 v[8:9], v[8:9], v[17:18], v[27:28]
	v_cmp_class_f64_e64 vcc, v[2:3], s34
	v_add_f64 v[6:7], v[6:7], v[10:11]
	v_add_f64 v[6:7], v[23:24], v[6:7]
	v_div_fixup_f64 v[8:9], v[8:9], v[2:3], -0.5
	v_cndmask_b32_e32 v3, v7, v3, vcc
	v_cndmask_b32_e32 v2, v6, v2, vcc
	v_add_f64 v[2:3], v[2:3], v[8:9]
	v_add_f64 v[0:1], v[2:3], -v[0:1]
	v_add_f64 v[0:1], v[4:5], v[0:1]
                                        ; implicit-def: $vgpr4_vgpr5
.LBB8_713:
	s_andn2_saveexec_b64 s[30:31], s[30:31]
	s_cbranch_execz .LBB8_715
; %bb.714:
	s_mov_b32 s34, 0xdc85cc95
	s_mov_b32 s35, 0x40020396
	v_add_f64 v[0:1], v[4:5], s[34:35]
.LBB8_715:
	s_or_b64 exec, exec, s[30:31]
.LBB8_716:
	s_or_b64 exec, exec, s[0:1]
                                        ; implicit-def: $vgpr2_vgpr3
.LBB8_717:
	s_andn2_saveexec_b64 s[0:1], s[28:29]
; %bb.718:
	v_xor_b32_e32 v0, 0x80000000, v3
	s_brev_b32 s28, -2
	v_mov_b32_e32 v1, 0x7ff00000
	v_bfi_b32 v1, s28, v1, v0
	v_mov_b32_e32 v0, 0
; %bb.719:
	s_or_b64 exec, exec, s[0:1]
	v_mul_lo_u32 v2, v14, s2
	v_mov_b32_e32 v3, s9
	s_and_b32 s36, s33, 0xff
	s_cmp_lt_i32 s36, 11
	v_ashrrev_i32_e32 v5, 31, v2
	v_add_co_u32_e32 v4, vcc, s8, v2
	v_addc_co_u32_e32 v5, vcc, v3, v5, vcc
	s_cbranch_scc1 .LBB8_727
; %bb.720:
	s_and_b32 s37, 0xffff, s36
	s_cmp_gt_i32 s37, 25
	s_cbranch_scc0 .LBB8_728
; %bb.721:
	s_cmp_gt_i32 s37, 28
	s_cbranch_scc0 .LBB8_729
; %bb.722:
	;; [unrolled: 3-line block ×4, first 2 shown]
	s_mov_b64 s[30:31], 0
	s_mov_b64 s[0:1], -1
	s_cmp_eq_u32 s37, 46
	s_mov_b64 s[28:29], 0
	s_cbranch_scc0 .LBB8_732
; %bb.725:
	v_cvt_f32_f64_e32 v2, v[0:1]
	s_movk_i32 s0, 0x7fff
	v_mov_b32_e32 v3, 0x7fc0
	s_mov_b64 s[28:29], -1
	v_bfe_u32 v6, v2, 16, 1
	v_cmp_o_f32_e32 vcc, v2, v2
	v_add3_u32 v2, v2, v6, s0
	v_cndmask_b32_sdwa v2, v3, v2, vcc dst_sel:DWORD dst_unused:UNUSED_PAD src0_sel:DWORD src1_sel:WORD_1
	global_store_dword v[4:5], v2, off
	s_mov_b64 s[0:1], 0
	s_branch .LBB8_732
.LBB8_726:
	s_mov_b64 s[30:31], 0
                                        ; implicit-def: $vgpr14
	s_mov_b64 s[0:1], s[20:21]
	s_branch .LBB8_843
.LBB8_727:
	s_mov_b64 s[30:31], -1
	s_mov_b64 s[28:29], 0
	s_mov_b64 s[0:1], s[20:21]
	s_branch .LBB8_801
.LBB8_728:
	s_mov_b64 s[30:31], -1
	s_mov_b64 s[28:29], 0
	s_mov_b64 s[0:1], s[20:21]
	s_branch .LBB8_759
.LBB8_729:
	s_mov_b64 s[30:31], -1
	s_mov_b64 s[28:29], 0
	s_mov_b64 s[0:1], s[20:21]
	s_branch .LBB8_742
.LBB8_730:
	s_mov_b64 s[30:31], -1
	s_mov_b64 s[28:29], 0
	s_mov_b64 s[0:1], s[20:21]
	s_branch .LBB8_738
.LBB8_731:
	s_mov_b64 s[30:31], -1
	s_mov_b64 s[28:29], 0
	s_mov_b64 s[0:1], s[20:21]
.LBB8_732:
	s_and_b64 vcc, exec, s[30:31]
	s_cbranch_vccz .LBB8_737
; %bb.733:
	s_cmp_eq_u32 s37, 44
	s_mov_b64 s[0:1], -1
	s_cbranch_scc0 .LBB8_737
; %bb.734:
	v_cvt_f32_f64_e32 v2, v[0:1]
	s_movk_i32 s0, 0xff
	v_mov_b32_e32 v6, 0xff
	v_bfe_u32 v3, v2, 23, 8
	v_cmp_ne_u32_e32 vcc, s0, v3
	s_and_saveexec_b64 s[28:29], vcc
; %bb.735:
	s_mov_b32 s0, 0x3fffff
	v_lshrrev_b32_e32 v6, 23, v2
	v_and_b32_e32 v7, 0x400000, v2
	v_and_or_b32 v2, v2, s0, v3
	v_cmp_ne_u32_e32 vcc, 0, v7
	v_cmp_ne_u32_e64 s[0:1], 0, v2
	s_and_b64 s[0:1], vcc, s[0:1]
	v_cndmask_b32_e64 v2, 0, 1, s[0:1]
	v_add_u32_e32 v6, v6, v2
; %bb.736:
	s_or_b64 exec, exec, s[28:29]
	s_mov_b64 s[28:29], -1
	s_mov_b64 s[0:1], 0
	global_store_byte v[4:5], v6, off
.LBB8_737:
	s_mov_b64 s[30:31], 0
.LBB8_738:
	s_and_b64 vcc, exec, s[30:31]
	s_cbranch_vccz .LBB8_741
; %bb.739:
	s_cmp_eq_u32 s37, 29
	s_mov_b64 s[0:1], -1
	s_cbranch_scc0 .LBB8_741
; %bb.740:
	v_trunc_f64_e32 v[2:3], v[0:1]
	s_movk_i32 s0, 0xffe0
	s_mov_b64 s[28:29], -1
	s_mov_b64 s[30:31], 0
	v_ldexp_f64 v[6:7], v[2:3], s0
	s_mov_b32 s0, 0
	s_mov_b32 s1, 0xc1f00000
	v_floor_f64_e32 v[6:7], v[6:7]
	v_fma_f64 v[2:3], v[6:7], s[0:1], v[2:3]
	v_cvt_u32_f64_e32 v7, v[6:7]
	s_mov_b64 s[0:1], 0
	v_cvt_u32_f64_e32 v6, v[2:3]
	global_store_dwordx2 v[4:5], v[6:7], off
	s_branch .LBB8_742
.LBB8_741:
	s_mov_b64 s[30:31], 0
.LBB8_742:
	s_and_b64 vcc, exec, s[30:31]
	s_cbranch_vccz .LBB8_758
; %bb.743:
	s_cmp_lt_i32 s37, 27
	s_mov_b64 s[28:29], -1
	s_cbranch_scc1 .LBB8_749
; %bb.744:
	v_cvt_u32_f64_e32 v2, v[0:1]
	s_cmp_gt_i32 s37, 27
	s_cbranch_scc0 .LBB8_746
; %bb.745:
	s_mov_b64 s[28:29], 0
	global_store_dword v[4:5], v2, off
.LBB8_746:
	s_andn2_b64 vcc, exec, s[28:29]
	s_cbranch_vccnz .LBB8_748
; %bb.747:
	global_store_short v[4:5], v2, off
.LBB8_748:
	s_mov_b64 s[28:29], 0
.LBB8_749:
	s_andn2_b64 vcc, exec, s[28:29]
	s_cbranch_vccnz .LBB8_757
; %bb.750:
	v_cvt_f32_f64_e32 v2, v[0:1]
	s_mov_b32 s28, 0x43800000
	v_mov_b32_e32 v6, 0x80
	v_and_b32_e32 v3, 0x7fffffff, v2
	v_cmp_gt_u32_e32 vcc, s28, v3
	s_and_saveexec_b64 s[28:29], vcc
	s_cbranch_execz .LBB8_756
; %bb.751:
	s_mov_b32 s30, 0x3bffffff
	v_cmp_lt_u32_e32 vcc, s30, v3
	s_mov_b64 s[30:31], 0
                                        ; implicit-def: $vgpr3
	s_and_saveexec_b64 s[34:35], vcc
	s_xor_b64 s[34:35], exec, s[34:35]
	s_cbranch_execz .LBB8_857
; %bb.752:
	v_bfe_u32 v3, v2, 20, 1
	s_mov_b32 s38, 0x487ffff
	v_add3_u32 v3, v2, v3, s38
	s_mov_b64 s[30:31], exec
	v_lshrrev_b32_e32 v3, 20, v3
	s_andn2_saveexec_b64 s[34:35], s[34:35]
	s_cbranch_execnz .LBB8_858
.LBB8_753:
	s_or_b64 exec, exec, s[34:35]
	v_mov_b32_e32 v6, 0
	s_and_saveexec_b64 s[34:35], s[30:31]
.LBB8_754:
	v_lshrrev_b32_e32 v2, 24, v2
	s_movk_i32 s30, 0x80
	v_and_or_b32 v6, v2, s30, v3
.LBB8_755:
	s_or_b64 exec, exec, s[34:35]
.LBB8_756:
	s_or_b64 exec, exec, s[28:29]
	global_store_byte v[4:5], v6, off
.LBB8_757:
	s_mov_b64 s[28:29], -1
.LBB8_758:
	s_mov_b64 s[30:31], 0
.LBB8_759:
	s_and_b64 vcc, exec, s[30:31]
	s_cbranch_vccz .LBB8_800
; %bb.760:
	s_cmp_gt_i32 s37, 22
	s_mov_b64 s[30:31], -1
	s_cbranch_scc0 .LBB8_792
; %bb.761:
	s_cmp_lt_i32 s37, 24
	s_mov_b64 s[28:29], -1
	s_cbranch_scc1 .LBB8_781
; %bb.762:
	s_cmp_gt_i32 s37, 24
	s_cbranch_scc0 .LBB8_770
; %bb.763:
	v_cvt_f32_f64_e32 v2, v[0:1]
	s_mov_b32 s28, 0x47800000
	v_mov_b32_e32 v6, 0x80
	v_and_b32_e32 v3, 0x7fffffff, v2
	v_cmp_gt_u32_e32 vcc, s28, v3
	s_and_saveexec_b64 s[28:29], vcc
	s_cbranch_execz .LBB8_769
; %bb.764:
	s_mov_b32 s30, 0x37ffffff
	v_cmp_lt_u32_e32 vcc, s30, v3
	s_mov_b64 s[30:31], 0
                                        ; implicit-def: $vgpr3
	s_and_saveexec_b64 s[34:35], vcc
	s_xor_b64 s[34:35], exec, s[34:35]
	s_cbranch_execz .LBB8_860
; %bb.765:
	v_bfe_u32 v3, v2, 21, 1
	s_mov_b32 s38, 0x88fffff
	v_add3_u32 v3, v2, v3, s38
	s_mov_b64 s[30:31], exec
	v_lshrrev_b32_e32 v3, 21, v3
	s_andn2_saveexec_b64 s[34:35], s[34:35]
	s_cbranch_execnz .LBB8_861
.LBB8_766:
	s_or_b64 exec, exec, s[34:35]
	v_mov_b32_e32 v6, 0
	s_and_saveexec_b64 s[34:35], s[30:31]
.LBB8_767:
	v_lshrrev_b32_e32 v2, 24, v2
	s_movk_i32 s30, 0x80
	v_and_or_b32 v6, v2, s30, v3
.LBB8_768:
	s_or_b64 exec, exec, s[34:35]
.LBB8_769:
	s_or_b64 exec, exec, s[28:29]
	s_mov_b64 s[28:29], 0
	global_store_byte v[4:5], v6, off
.LBB8_770:
	s_and_b64 vcc, exec, s[28:29]
	s_cbranch_vccz .LBB8_780
; %bb.771:
	v_cvt_f32_f64_e32 v2, v[0:1]
	s_mov_b32 s28, 0x43f00000
                                        ; implicit-def: $vgpr3
	v_and_b32_e32 v6, 0x7fffffff, v2
	v_cmp_gt_u32_e32 vcc, s28, v6
	s_and_saveexec_b64 s[28:29], vcc
	s_xor_b64 s[28:29], exec, s[28:29]
	s_cbranch_execz .LBB8_777
; %bb.772:
	s_mov_b32 s30, 0x3c7fffff
	v_cmp_lt_u32_e32 vcc, s30, v6
                                        ; implicit-def: $vgpr3
	s_and_saveexec_b64 s[30:31], vcc
	s_xor_b64 s[30:31], exec, s[30:31]
; %bb.773:
	v_bfe_u32 v3, v2, 20, 1
	s_mov_b32 s34, 0x407ffff
	v_add3_u32 v3, v2, v3, s34
	v_lshrrev_b32_e32 v6, 20, v3
	v_and_b32_e32 v3, 0xff00000, v3
	s_mov_b32 s34, 0x7f00000
	v_mov_b32_e32 v7, 0x7e
	v_cmp_ne_u32_e32 vcc, s34, v3
	v_cndmask_b32_e32 v3, v7, v6, vcc
; %bb.774:
	s_andn2_saveexec_b64 s[30:31], s[30:31]
; %bb.775:
	s_mov_b32 s34, 0x46800000
	v_add_f32_e64 v3, |v2|, s34
; %bb.776:
	s_or_b64 exec, exec, s[30:31]
                                        ; implicit-def: $vgpr6
.LBB8_777:
	s_andn2_saveexec_b64 s[28:29], s[28:29]
; %bb.778:
	s_mov_b32 s30, 0x7f800000
	v_mov_b32_e32 v3, 0x7e
	v_mov_b32_e32 v7, 0x7f
	v_cmp_lt_u32_e32 vcc, s30, v6
	v_cndmask_b32_e32 v3, v3, v7, vcc
; %bb.779:
	s_or_b64 exec, exec, s[28:29]
	v_lshrrev_b32_e32 v2, 24, v2
	s_movk_i32 s28, 0x80
	v_and_or_b32 v2, v2, s28, v3
	global_store_byte v[4:5], v2, off
.LBB8_780:
	s_mov_b64 s[28:29], 0
.LBB8_781:
	s_andn2_b64 vcc, exec, s[28:29]
	s_cbranch_vccnz .LBB8_791
; %bb.782:
	v_cvt_f32_f64_e32 v2, v[0:1]
	s_mov_b32 s28, 0x47800000
                                        ; implicit-def: $vgpr3
	v_and_b32_e32 v6, 0x7fffffff, v2
	v_cmp_gt_u32_e32 vcc, s28, v6
	s_and_saveexec_b64 s[28:29], vcc
	s_xor_b64 s[28:29], exec, s[28:29]
	s_cbranch_execz .LBB8_788
; %bb.783:
	s_mov_b32 s30, 0x387fffff
	v_cmp_lt_u32_e32 vcc, s30, v6
                                        ; implicit-def: $vgpr3
	s_and_saveexec_b64 s[30:31], vcc
	s_xor_b64 s[30:31], exec, s[30:31]
; %bb.784:
	v_bfe_u32 v3, v2, 21, 1
	s_mov_b32 s34, 0x80fffff
	v_add3_u32 v3, v2, v3, s34
	v_lshrrev_b32_e32 v3, 21, v3
; %bb.785:
	s_andn2_saveexec_b64 s[30:31], s[30:31]
; %bb.786:
	s_mov_b32 s34, 0x43000000
	v_add_f32_e64 v3, |v2|, s34
; %bb.787:
	s_or_b64 exec, exec, s[30:31]
                                        ; implicit-def: $vgpr6
.LBB8_788:
	s_andn2_saveexec_b64 s[28:29], s[28:29]
; %bb.789:
	s_mov_b32 s30, 0x7f800000
	v_mov_b32_e32 v3, 0x7c
	v_mov_b32_e32 v7, 0x7f
	v_cmp_lt_u32_e32 vcc, s30, v6
	v_cndmask_b32_e32 v3, v3, v7, vcc
; %bb.790:
	s_or_b64 exec, exec, s[28:29]
	v_lshrrev_b32_e32 v2, 24, v2
	s_movk_i32 s28, 0x80
	v_and_or_b32 v2, v2, s28, v3
	global_store_byte v[4:5], v2, off
.LBB8_791:
	s_mov_b64 s[30:31], 0
	s_mov_b64 s[28:29], -1
.LBB8_792:
	s_andn2_b64 vcc, exec, s[30:31]
	s_cbranch_vccnz .LBB8_800
; %bb.793:
	s_cmp_gt_i32 s37, 14
	s_mov_b64 s[30:31], -1
	s_cbranch_scc0 .LBB8_797
; %bb.794:
	s_cmp_eq_u32 s37, 15
	s_mov_b64 s[0:1], -1
	s_cbranch_scc0 .LBB8_796
; %bb.795:
	v_cvt_f32_f64_e32 v2, v[0:1]
	s_movk_i32 s0, 0x7fff
	v_mov_b32_e32 v3, 0x7fc0
	s_mov_b64 s[28:29], -1
	v_bfe_u32 v6, v2, 16, 1
	v_cmp_o_f32_e32 vcc, v2, v2
	v_add3_u32 v2, v2, v6, s0
	v_cndmask_b32_sdwa v2, v3, v2, vcc dst_sel:DWORD dst_unused:UNUSED_PAD src0_sel:DWORD src1_sel:WORD_1
	global_store_short v[4:5], v2, off
	s_mov_b64 s[0:1], 0
.LBB8_796:
	s_mov_b64 s[30:31], 0
.LBB8_797:
	s_and_b64 vcc, exec, s[30:31]
	s_cbranch_vccz .LBB8_800
; %bb.798:
	s_cmp_eq_u32 s37, 11
	s_mov_b64 s[0:1], -1
	s_cbranch_scc0 .LBB8_800
; %bb.799:
	v_cmp_neq_f64_e32 vcc, 0, v[0:1]
	s_mov_b64 s[0:1], 0
	s_mov_b64 s[28:29], -1
	v_cndmask_b32_e64 v2, 0, 1, vcc
	global_store_byte v[4:5], v2, off
.LBB8_800:
	s_mov_b64 s[30:31], 0
.LBB8_801:
	s_and_b64 vcc, exec, s[30:31]
	s_cbranch_vccz .LBB8_840
; %bb.802:
	s_and_b32 s30, 0xffff, s36
	s_cmp_lt_i32 s30, 5
	s_mov_b64 s[28:29], -1
	s_cbranch_scc1 .LBB8_823
; %bb.803:
	s_cmp_lt_i32 s30, 8
	s_cbranch_scc1 .LBB8_813
; %bb.804:
	s_cmp_lt_i32 s30, 9
	s_cbranch_scc1 .LBB8_810
; %bb.805:
	s_cmp_gt_i32 s30, 9
	s_cbranch_scc0 .LBB8_807
; %bb.806:
	v_mov_b32_e32 v2, 0
	v_mov_b32_e32 v3, v2
	s_mov_b64 s[28:29], 0
	global_store_dwordx4 v[4:5], v[0:3], off
.LBB8_807:
	s_andn2_b64 vcc, exec, s[28:29]
	s_cbranch_vccnz .LBB8_809
; %bb.808:
	v_cvt_f32_f64_e32 v2, v[0:1]
	v_mov_b32_e32 v3, 0
	global_store_dwordx2 v[4:5], v[2:3], off
.LBB8_809:
	s_mov_b64 s[28:29], 0
.LBB8_810:
	s_andn2_b64 vcc, exec, s[28:29]
	s_cbranch_vccnz .LBB8_812
; %bb.811:
	s_movk_i32 s28, 0x1ff
	v_and_or_b32 v2, v1, s28, v0
	v_cmp_ne_u32_e32 vcc, 0, v2
	v_cndmask_b32_e64 v2, 0, 1, vcc
	v_lshrrev_b32_e32 v3, 8, v1
	s_movk_i32 s28, 0xffe
	v_bfe_u32 v6, v1, 20, 11
	v_and_or_b32 v2, v3, s28, v2
	v_sub_u32_e32 v7, 0x3f1, v6
	v_or_b32_e32 v3, 0x1000, v2
	v_med3_i32 v7, v7, 0, 13
	v_lshrrev_b32_e32 v8, v7, v3
	v_lshlrev_b32_e32 v7, v7, v8
	v_cmp_ne_u32_e32 vcc, v7, v3
	v_cndmask_b32_e64 v3, 0, 1, vcc
	v_add_u32_e32 v6, 0xfffffc10, v6
	v_or_b32_e32 v3, v8, v3
	v_lshl_or_b32 v7, v6, 12, v2
	v_cmp_gt_i32_e32 vcc, 1, v6
	v_cndmask_b32_e32 v3, v7, v3, vcc
	v_and_b32_e32 v7, 7, v3
	v_cmp_lt_i32_e32 vcc, 5, v7
	v_cndmask_b32_e64 v8, 0, 1, vcc
	v_cmp_eq_u32_e32 vcc, 3, v7
	v_cndmask_b32_e64 v7, 0, 1, vcc
	v_or_b32_e32 v7, v7, v8
	v_lshrrev_b32_e32 v3, 2, v3
	v_add_u32_e32 v3, v3, v7
	v_mov_b32_e32 v7, 0x7c00
	v_cmp_gt_i32_e32 vcc, 31, v6
	v_cndmask_b32_e32 v3, v7, v3, vcc
	v_mov_b32_e32 v8, 0x7e00
	v_cmp_ne_u32_e32 vcc, 0, v2
	s_movk_i32 s28, 0x40f
	v_cndmask_b32_e32 v2, v7, v8, vcc
	v_cmp_eq_u32_e32 vcc, s28, v6
	v_cndmask_b32_e32 v2, v3, v2, vcc
	v_lshrrev_b32_e32 v3, 16, v1
	s_mov_b32 s28, 0x8000
	v_and_or_b32 v2, v3, s28, v2
	v_and_b32_e32 v2, 0xffff, v2
	global_store_dword v[4:5], v2, off
.LBB8_812:
	s_mov_b64 s[28:29], 0
.LBB8_813:
	s_andn2_b64 vcc, exec, s[28:29]
	s_cbranch_vccnz .LBB8_822
; %bb.814:
	s_cmp_lt_i32 s30, 6
	s_mov_b64 s[28:29], -1
	s_cbranch_scc1 .LBB8_820
; %bb.815:
	s_cmp_gt_i32 s30, 6
	s_cbranch_scc0 .LBB8_817
; %bb.816:
	s_mov_b64 s[28:29], 0
	global_store_dwordx2 v[4:5], v[0:1], off
.LBB8_817:
	s_andn2_b64 vcc, exec, s[28:29]
	s_cbranch_vccnz .LBB8_819
; %bb.818:
	v_cvt_f32_f64_e32 v2, v[0:1]
	global_store_dword v[4:5], v2, off
.LBB8_819:
	s_mov_b64 s[28:29], 0
.LBB8_820:
	s_andn2_b64 vcc, exec, s[28:29]
	s_cbranch_vccnz .LBB8_822
; %bb.821:
	s_movk_i32 s28, 0x1ff
	v_and_or_b32 v2, v1, s28, v0
	v_cmp_ne_u32_e32 vcc, 0, v2
	v_cndmask_b32_e64 v2, 0, 1, vcc
	v_lshrrev_b32_e32 v3, 8, v1
	s_movk_i32 s28, 0xffe
	v_bfe_u32 v6, v1, 20, 11
	v_and_or_b32 v2, v3, s28, v2
	v_sub_u32_e32 v7, 0x3f1, v6
	v_or_b32_e32 v3, 0x1000, v2
	v_med3_i32 v7, v7, 0, 13
	v_lshrrev_b32_e32 v8, v7, v3
	v_lshlrev_b32_e32 v7, v7, v8
	v_cmp_ne_u32_e32 vcc, v7, v3
	v_cndmask_b32_e64 v3, 0, 1, vcc
	v_add_u32_e32 v6, 0xfffffc10, v6
	v_or_b32_e32 v3, v8, v3
	v_lshl_or_b32 v7, v6, 12, v2
	v_cmp_gt_i32_e32 vcc, 1, v6
	v_cndmask_b32_e32 v3, v7, v3, vcc
	v_and_b32_e32 v7, 7, v3
	v_cmp_lt_i32_e32 vcc, 5, v7
	v_cndmask_b32_e64 v8, 0, 1, vcc
	v_cmp_eq_u32_e32 vcc, 3, v7
	v_cndmask_b32_e64 v7, 0, 1, vcc
	v_or_b32_e32 v7, v7, v8
	v_lshrrev_b32_e32 v3, 2, v3
	v_add_u32_e32 v3, v3, v7
	v_mov_b32_e32 v7, 0x7c00
	v_cmp_gt_i32_e32 vcc, 31, v6
	v_cndmask_b32_e32 v3, v7, v3, vcc
	v_mov_b32_e32 v8, 0x7e00
	v_cmp_ne_u32_e32 vcc, 0, v2
	s_movk_i32 s28, 0x40f
	v_cndmask_b32_e32 v2, v7, v8, vcc
	v_cmp_eq_u32_e32 vcc, s28, v6
	v_cndmask_b32_e32 v2, v3, v2, vcc
	v_lshrrev_b32_e32 v3, 16, v1
	s_mov_b32 s28, 0x8000
	v_and_or_b32 v2, v3, s28, v2
	global_store_short v[4:5], v2, off
.LBB8_822:
	s_mov_b64 s[28:29], 0
.LBB8_823:
	s_andn2_b64 vcc, exec, s[28:29]
	s_cbranch_vccnz .LBB8_839
; %bb.824:
	s_cmp_lt_i32 s30, 2
	s_mov_b64 s[28:29], -1
	s_cbranch_scc1 .LBB8_834
; %bb.825:
	s_cmp_lt_i32 s30, 3
	s_cbranch_scc1 .LBB8_831
; %bb.826:
	s_cmp_gt_i32 s30, 3
	s_cbranch_scc0 .LBB8_828
; %bb.827:
	v_trunc_f64_e32 v[2:3], v[0:1]
	s_movk_i32 s28, 0xffe0
	v_ldexp_f64 v[6:7], v[2:3], s28
	s_mov_b32 s28, 0
	s_mov_b32 s29, 0xc1f00000
	v_floor_f64_e32 v[6:7], v[6:7]
	v_fma_f64 v[2:3], v[6:7], s[28:29], v[2:3]
	v_cvt_i32_f64_e32 v7, v[6:7]
	s_mov_b64 s[28:29], 0
	v_cvt_u32_f64_e32 v6, v[2:3]
	global_store_dwordx2 v[4:5], v[6:7], off
.LBB8_828:
	s_andn2_b64 vcc, exec, s[28:29]
	s_cbranch_vccnz .LBB8_830
; %bb.829:
	v_cvt_i32_f64_e32 v2, v[0:1]
	global_store_dword v[4:5], v2, off
.LBB8_830:
	s_mov_b64 s[28:29], 0
.LBB8_831:
	s_andn2_b64 vcc, exec, s[28:29]
	s_cbranch_vccnz .LBB8_833
; %bb.832:
	v_cvt_i32_f64_e32 v2, v[0:1]
	global_store_short v[4:5], v2, off
.LBB8_833:
	s_mov_b64 s[28:29], 0
.LBB8_834:
	s_andn2_b64 vcc, exec, s[28:29]
	s_cbranch_vccnz .LBB8_839
; %bb.835:
	s_cmp_gt_i32 s30, 0
	s_mov_b64 s[28:29], -1
	s_cbranch_scc0 .LBB8_837
; %bb.836:
	v_cvt_i32_f64_e32 v2, v[0:1]
	s_mov_b64 s[28:29], 0
	global_store_byte v[4:5], v2, off
.LBB8_837:
	s_andn2_b64 vcc, exec, s[28:29]
	s_cbranch_vccnz .LBB8_839
; %bb.838:
	v_trunc_f64_e32 v[0:1], v[0:1]
	s_movk_i32 s28, 0xffe0
	v_ldexp_f64 v[2:3], v[0:1], s28
	s_mov_b32 s28, 0
	s_mov_b32 s29, 0xc1f00000
	v_floor_f64_e32 v[2:3], v[2:3]
	v_fma_f64 v[0:1], v[2:3], s[28:29], v[0:1]
	v_cvt_u32_f64_e32 v0, v[0:1]
	global_store_byte v[4:5], v0, off
.LBB8_839:
	s_mov_b64 s[28:29], -1
.LBB8_840:
	s_andn2_b64 vcc, exec, s[28:29]
	s_cbranch_vccnz .LBB8_842
; %bb.841:
	v_add_u32_e32 v14, 0x80, v14
	s_mov_b64 s[30:31], -1
	s_branch .LBB8_843
.LBB8_842:
	s_mov_b64 s[30:31], 0
                                        ; implicit-def: $vgpr14
.LBB8_843:
	s_andn2_b64 s[28:29], s[20:21], exec
	s_and_b64 s[0:1], s[0:1], exec
	s_or_b64 s[28:29], s[28:29], s[0:1]
	s_andn2_b64 s[0:1], s[18:19], exec
	s_and_b64 s[26:27], s[26:27], exec
	s_or_b64 s[0:1], s[0:1], s[26:27]
	s_orn2_b64 s[34:35], s[30:31], exec
.LBB8_844:
	s_or_b64 exec, exec, s[24:25]
	s_mov_b64 s[30:31], 0
	s_mov_b64 s[26:27], 0
	;; [unrolled: 1-line block ×3, first 2 shown]
                                        ; implicit-def: $vgpr0_vgpr1
                                        ; implicit-def: $vgpr2_vgpr3
	s_and_saveexec_b64 s[24:25], s[34:35]
	s_cbranch_execz .LBB8_929
; %bb.845:
	v_cmp_gt_i32_e32 vcc, s40, v14
	s_mov_b64 s[34:35], 0
	s_mov_b64 s[38:39], s[0:1]
	;; [unrolled: 1-line block ×3, first 2 shown]
                                        ; implicit-def: $vgpr0_vgpr1
                                        ; implicit-def: $vgpr2_vgpr3
	s_and_saveexec_b64 s[26:27], vcc
	s_cbranch_execz .LBB8_928
; %bb.846:
	v_mul_lo_u32 v0, v14, s3
	v_mov_b32_e32 v1, s11
	s_and_b32 s43, 0xffff, s42
	s_cmp_lt_i32 s43, 11
	s_waitcnt vmcnt(0)
	v_ashrrev_i32_e32 v2, 31, v0
	v_add_co_u32_e32 v0, vcc, s10, v0
	v_addc_co_u32_e32 v1, vcc, v1, v2, vcc
	s_cbranch_scc1 .LBB8_853
; %bb.847:
	s_cmp_gt_i32 s43, 25
	s_cbranch_scc0 .LBB8_854
; %bb.848:
	s_cmp_gt_i32 s43, 28
	s_cbranch_scc0 .LBB8_855
; %bb.849:
	s_cmp_gt_i32 s43, 43
	s_cbranch_scc0 .LBB8_856
; %bb.850:
	s_cmp_gt_i32 s43, 45
	s_cbranch_scc0 .LBB8_859
; %bb.851:
	s_cmp_eq_u32 s43, 46
	s_mov_b64 s[38:39], 0
	s_cbranch_scc0 .LBB8_862
; %bb.852:
	global_load_dword v2, v[0:1], off
	s_mov_b64 s[36:37], -1
	s_waitcnt vmcnt(0)
	v_lshlrev_b32_e32 v2, 16, v2
	v_cvt_f64_f32_e32 v[2:3], v2
	s_branch .LBB8_864
.LBB8_853:
	s_mov_b64 s[38:39], -1
                                        ; implicit-def: $vgpr2_vgpr3
	s_mov_b64 s[30:31], s[0:1]
	s_branch .LBB8_927
.LBB8_854:
	s_mov_b64 s[38:39], -1
	s_mov_b64 s[30:31], s[0:1]
                                        ; implicit-def: $vgpr2_vgpr3
	s_branch .LBB8_895
.LBB8_855:
	s_mov_b64 s[38:39], -1
	s_mov_b64 s[30:31], s[0:1]
                                        ; implicit-def: $vgpr2_vgpr3
	s_branch .LBB8_874
.LBB8_856:
	s_mov_b64 s[38:39], -1
	s_mov_b64 s[30:31], s[0:1]
                                        ; implicit-def: $vgpr2_vgpr3
	s_branch .LBB8_869
.LBB8_857:
	s_andn2_saveexec_b64 s[34:35], s[34:35]
	s_cbranch_execz .LBB8_753
.LBB8_858:
	s_mov_b32 s38, 0x46000000
	v_add_f32_e64 v3, |v2|, s38
	v_and_b32_e32 v3, 0xff, v3
	v_cmp_ne_u32_e32 vcc, 0, v3
	s_andn2_b64 s[30:31], s[30:31], exec
	s_and_b64 s[38:39], vcc, exec
	s_or_b64 s[30:31], s[30:31], s[38:39]
	s_or_b64 exec, exec, s[34:35]
	v_mov_b32_e32 v6, 0
	s_and_saveexec_b64 s[34:35], s[30:31]
	s_cbranch_execnz .LBB8_754
	s_branch .LBB8_755
.LBB8_859:
	s_mov_b64 s[38:39], -1
	s_mov_b64 s[30:31], s[0:1]
	s_branch .LBB8_863
.LBB8_860:
	s_andn2_saveexec_b64 s[34:35], s[34:35]
	s_cbranch_execz .LBB8_766
.LBB8_861:
	s_mov_b32 s38, 0x42800000
	v_add_f32_e64 v3, |v2|, s38
	v_and_b32_e32 v3, 0xff, v3
	v_cmp_ne_u32_e32 vcc, 0, v3
	s_andn2_b64 s[30:31], s[30:31], exec
	s_and_b64 s[38:39], vcc, exec
	s_or_b64 s[30:31], s[30:31], s[38:39]
	s_or_b64 exec, exec, s[34:35]
	v_mov_b32_e32 v6, 0
	s_and_saveexec_b64 s[34:35], s[30:31]
	s_cbranch_execnz .LBB8_767
	s_branch .LBB8_768
.LBB8_862:
	s_mov_b64 s[30:31], -1
.LBB8_863:
                                        ; implicit-def: $vgpr2_vgpr3
.LBB8_864:
	s_and_b64 vcc, exec, s[38:39]
	s_cbranch_vccz .LBB8_868
; %bb.865:
	s_cmp_eq_u32 s43, 44
	s_cbranch_scc0 .LBB8_867
; %bb.866:
	global_load_ubyte v4, v[0:1], off
	s_movk_i32 s36, 0xff
	v_bfrev_b32_e32 v5, 4
	v_mov_b32_e32 v6, 0x7ff80000
	v_bfrev_b32_e32 v7, 28
	s_mov_b64 s[30:31], 0
	s_waitcnt vmcnt(0)
	v_lshlrev_b32_e32 v2, 23, v4
	v_cvt_f64_f32_e32 v[2:3], v2
	v_cmp_ne_u32_e32 vcc, s36, v4
	s_mov_b64 s[36:37], -1
	v_cndmask_b32_e32 v2, v5, v2, vcc
	v_cndmask_b32_e32 v3, v6, v3, vcc
	v_cmp_ne_u32_e32 vcc, 0, v4
	v_cndmask_b32_e32 v3, v7, v3, vcc
	v_cndmask_b32_e32 v2, 0, v2, vcc
	s_branch .LBB8_868
.LBB8_867:
	s_mov_b64 s[30:31], -1
                                        ; implicit-def: $vgpr2_vgpr3
.LBB8_868:
	s_mov_b64 s[38:39], 0
.LBB8_869:
	s_and_b64 vcc, exec, s[38:39]
	s_cbranch_vccz .LBB8_873
; %bb.870:
	s_cmp_eq_u32 s43, 29
	s_cbranch_scc0 .LBB8_872
; %bb.871:
	global_load_dwordx2 v[2:3], v[0:1], off
	s_mov_b64 s[30:31], 0
	s_mov_b64 s[36:37], -1
	s_mov_b64 s[38:39], 0
	s_waitcnt vmcnt(0)
	v_cvt_f64_u32_e32 v[3:4], v3
	v_cvt_f64_u32_e32 v[5:6], v2
	v_ldexp_f64 v[3:4], v[3:4], 32
	v_add_f64 v[2:3], v[3:4], v[5:6]
	s_branch .LBB8_874
.LBB8_872:
	s_mov_b64 s[30:31], -1
                                        ; implicit-def: $vgpr2_vgpr3
.LBB8_873:
	s_mov_b64 s[38:39], 0
.LBB8_874:
	s_and_b64 vcc, exec, s[38:39]
	s_cbranch_vccz .LBB8_894
; %bb.875:
	s_cmp_lt_i32 s43, 27
	s_cbranch_scc1 .LBB8_878
; %bb.876:
	s_cmp_gt_i32 s43, 27
	s_cbranch_scc0 .LBB8_879
; %bb.877:
	global_load_dword v2, v[0:1], off
	s_mov_b64 s[36:37], 0
	s_waitcnt vmcnt(0)
	v_cvt_f64_u32_e32 v[2:3], v2
	s_branch .LBB8_880
.LBB8_878:
	s_mov_b64 s[36:37], -1
                                        ; implicit-def: $vgpr2_vgpr3
	s_branch .LBB8_883
.LBB8_879:
	s_mov_b64 s[36:37], -1
                                        ; implicit-def: $vgpr2_vgpr3
.LBB8_880:
	s_andn2_b64 vcc, exec, s[36:37]
	s_cbranch_vccnz .LBB8_882
; %bb.881:
	global_load_ushort v2, v[0:1], off
	s_waitcnt vmcnt(0)
	v_cvt_f64_u32_e32 v[2:3], v2
.LBB8_882:
	s_mov_b64 s[36:37], 0
.LBB8_883:
	s_andn2_b64 vcc, exec, s[36:37]
	s_cbranch_vccnz .LBB8_893
; %bb.884:
	global_load_ubyte v4, v[0:1], off
	s_movk_i32 s36, 0x7f
	s_waitcnt vmcnt(0)
	v_cmp_lt_i16_e32 vcc, s36, v4
	s_mov_b64 s[36:37], 0
	s_and_saveexec_b64 s[38:39], vcc
	s_xor_b64 s[38:39], exec, s[38:39]
	s_cbranch_execz .LBB8_888
; %bb.885:
	s_movk_i32 s36, 0x80
	v_cmp_eq_u16_e32 vcc, s36, v4
	s_mov_b64 s[36:37], -1
	s_and_saveexec_b64 s[40:41], vcc
; %bb.886:
	s_xor_b64 s[36:37], exec, -1
; %bb.887:
	s_or_b64 exec, exec, s[40:41]
	s_and_b64 s[36:37], s[36:37], exec
.LBB8_888:
	s_or_saveexec_b64 s[38:39], s[38:39]
	v_bfrev_b32_e32 v2, 4
	v_mov_b32_e32 v3, 0x7ff80000
	s_xor_b64 exec, exec, s[38:39]
; %bb.889:
	v_cmp_ne_u16_e32 vcc, 0, v4
	v_mov_b32_e32 v2, 0
	s_andn2_b64 s[36:37], s[36:37], exec
	s_and_b64 s[40:41], vcc, exec
	v_mov_b32_e32 v3, 0
	s_or_b64 s[36:37], s[36:37], s[40:41]
; %bb.890:
	s_or_b64 exec, exec, s[38:39]
	s_and_saveexec_b64 s[38:39], s[36:37]
	s_cbranch_execz .LBB8_892
; %bb.891:
	v_and_b32_e32 v3, 0xffff, v4
	v_lshlrev_b32_e32 v2, 24, v4
	v_and_b32_e32 v4, 7, v3
	v_ffbh_u32_e32 v6, v4
	v_min_u32_e32 v6, 32, v6
	v_subrev_u32_e32 v7, 28, v6
	v_bfe_u32 v5, v3, 3, 4
	v_lshlrev_b32_e32 v3, v7, v3
	v_sub_u32_e32 v6, 29, v6
	v_and_b32_e32 v3, 7, v3
	v_cmp_eq_u32_e32 vcc, 0, v5
	v_cndmask_b32_e32 v5, v5, v6, vcc
	v_cndmask_b32_e32 v3, v4, v3, vcc
	v_mov_b32_e32 v4, 0x3b800000
	v_lshlrev_b32_e32 v3, 20, v3
	v_and_b32_e32 v2, 0x80000000, v2
	v_lshl_add_u32 v4, v5, 23, v4
	v_or3_b32 v2, v2, v4, v3
	v_cvt_f64_f32_e32 v[2:3], v2
.LBB8_892:
	s_or_b64 exec, exec, s[38:39]
.LBB8_893:
	s_mov_b64 s[36:37], -1
.LBB8_894:
	s_mov_b64 s[38:39], 0
.LBB8_895:
	s_and_b64 vcc, exec, s[38:39]
	s_cbranch_vccz .LBB8_926
; %bb.896:
	s_cmp_gt_i32 s43, 22
	s_cbranch_scc0 .LBB8_908
; %bb.897:
	s_cmp_lt_i32 s43, 24
	s_cbranch_scc1 .LBB8_909
; %bb.898:
	s_cmp_gt_i32 s43, 24
	s_cbranch_scc0 .LBB8_910
; %bb.899:
	global_load_ubyte v4, v[0:1], off
	s_movk_i32 s34, 0x7f
	s_waitcnt vmcnt(0)
	v_cmp_lt_i16_e32 vcc, s34, v4
	s_mov_b64 s[34:35], 0
	s_and_saveexec_b64 s[36:37], vcc
	s_xor_b64 s[36:37], exec, s[36:37]
	s_cbranch_execz .LBB8_903
; %bb.900:
	s_movk_i32 s34, 0x80
	v_cmp_eq_u16_e32 vcc, s34, v4
	s_mov_b64 s[34:35], -1
	s_and_saveexec_b64 s[38:39], vcc
; %bb.901:
	s_xor_b64 s[34:35], exec, -1
; %bb.902:
	s_or_b64 exec, exec, s[38:39]
	s_and_b64 s[34:35], s[34:35], exec
.LBB8_903:
	s_or_saveexec_b64 s[36:37], s[36:37]
	v_bfrev_b32_e32 v2, 4
	v_mov_b32_e32 v3, 0x7ff80000
	s_xor_b64 exec, exec, s[36:37]
; %bb.904:
	v_cmp_ne_u16_e32 vcc, 0, v4
	v_mov_b32_e32 v2, 0
	s_andn2_b64 s[34:35], s[34:35], exec
	s_and_b64 s[38:39], vcc, exec
	v_mov_b32_e32 v3, 0
	s_or_b64 s[34:35], s[34:35], s[38:39]
; %bb.905:
	s_or_b64 exec, exec, s[36:37]
	s_and_saveexec_b64 s[36:37], s[34:35]
	s_cbranch_execz .LBB8_907
; %bb.906:
	v_and_b32_e32 v3, 0xffff, v4
	v_lshlrev_b32_e32 v2, 24, v4
	v_and_b32_e32 v4, 3, v3
	v_ffbh_u32_e32 v6, v4
	v_min_u32_e32 v6, 32, v6
	v_subrev_u32_e32 v7, 29, v6
	v_bfe_u32 v5, v3, 2, 5
	v_lshlrev_b32_e32 v3, v7, v3
	v_sub_u32_e32 v6, 30, v6
	v_and_b32_e32 v3, 3, v3
	v_cmp_eq_u32_e32 vcc, 0, v5
	v_cndmask_b32_e32 v5, v5, v6, vcc
	v_cndmask_b32_e32 v3, v4, v3, vcc
	v_mov_b32_e32 v4, 0x37800000
	v_lshlrev_b32_e32 v3, 21, v3
	v_and_b32_e32 v2, 0x80000000, v2
	v_lshl_add_u32 v4, v5, 23, v4
	v_or3_b32 v2, v2, v4, v3
	v_cvt_f64_f32_e32 v[2:3], v2
.LBB8_907:
	s_or_b64 exec, exec, s[36:37]
	s_mov_b64 s[34:35], 0
	s_branch .LBB8_911
.LBB8_908:
	s_mov_b64 s[34:35], -1
                                        ; implicit-def: $vgpr2_vgpr3
	s_branch .LBB8_917
.LBB8_909:
	s_mov_b64 s[34:35], -1
                                        ; implicit-def: $vgpr2_vgpr3
	s_branch .LBB8_914
.LBB8_910:
	s_mov_b64 s[34:35], -1
                                        ; implicit-def: $vgpr2_vgpr3
.LBB8_911:
	s_and_b64 vcc, exec, s[34:35]
	s_cbranch_vccz .LBB8_913
; %bb.912:
	global_load_ubyte v2, v[0:1], off
	s_mov_b32 s34, 0x7f800000
	s_waitcnt vmcnt(0)
	v_lshlrev_b32_e32 v2, 24, v2
	v_and_b32_e32 v3, 0x7f000000, v2
	v_ffbh_u32_e32 v4, v3
	v_min_u32_e32 v4, 32, v4
	v_sub_u32_e64 v4, v4, 4 clamp
	v_lshlrev_b32_e32 v6, v4, v3
	v_lshlrev_b32_e32 v4, 23, v4
	v_lshrrev_b32_e32 v6, 4, v6
	v_add_u32_e32 v5, 0x1000000, v3
	v_sub_u32_e32 v4, v6, v4
	v_ashrrev_i32_e32 v5, 8, v5
	v_add_u32_e32 v4, 0x3c000000, v4
	v_and_or_b32 v4, v5, s34, v4
	v_cmp_ne_u32_e32 vcc, 0, v3
	v_cndmask_b32_e32 v3, 0, v4, vcc
	s_brev_b32 s34, 1
	v_and_or_b32 v2, v2, s34, v3
	v_cvt_f64_f32_e32 v[2:3], v2
.LBB8_913:
	s_mov_b64 s[34:35], 0
.LBB8_914:
	s_andn2_b64 vcc, exec, s[34:35]
	s_cbranch_vccnz .LBB8_916
; %bb.915:
	global_load_ubyte v2, v[0:1], off
	s_movk_i32 s34, 0x7f00
	s_brev_b32 s35, 16
	s_waitcnt vmcnt(0)
	v_lshlrev_b16_e32 v3, 8, v2
	v_lshlrev_b32_e32 v2, 25, v2
	v_lshrrev_b32_e32 v4, 4, v2
	v_and_or_b32 v5, v3, s34, 0.5
	v_or_b32_e32 v4, 0x70000000, v4
	v_add_f32_e32 v5, -0.5, v5
	v_mul_f32_e32 v4, 0x7800000, v4
	v_cmp_gt_u32_e32 vcc, s35, v2
	v_bfe_i32 v3, v3, 0, 16
	v_cndmask_b32_e32 v2, v4, v5, vcc
	s_brev_b32 s34, 1
	v_and_or_b32 v2, v3, s34, v2
	v_cvt_f64_f32_e32 v[2:3], v2
.LBB8_916:
	s_mov_b64 s[34:35], 0
	s_mov_b64 s[36:37], -1
.LBB8_917:
	s_andn2_b64 vcc, exec, s[34:35]
	s_mov_b64 s[34:35], 0
	s_cbranch_vccnz .LBB8_926
; %bb.918:
	s_cmp_gt_i32 s43, 14
	s_cbranch_scc0 .LBB8_921
; %bb.919:
	s_cmp_eq_u32 s43, 15
	s_cbranch_scc0 .LBB8_922
; %bb.920:
	global_load_ushort v2, v[0:1], off
	s_mov_b64 s[30:31], 0
	s_mov_b64 s[36:37], -1
	s_waitcnt vmcnt(0)
	v_lshlrev_b32_e32 v2, 16, v2
	v_cvt_f64_f32_e32 v[2:3], v2
	s_branch .LBB8_923
.LBB8_921:
	s_mov_b64 s[38:39], -1
                                        ; implicit-def: $vgpr2_vgpr3
	s_branch .LBB8_924
.LBB8_922:
	s_mov_b64 s[30:31], -1
                                        ; implicit-def: $vgpr2_vgpr3
.LBB8_923:
	s_mov_b64 s[38:39], 0
.LBB8_924:
	s_and_b64 vcc, exec, s[38:39]
	s_cbranch_vccz .LBB8_926
; %bb.925:
	s_cmp_lg_u32 s43, 11
	s_cselect_b64 s[38:39], -1, 0
	s_andn2_b64 s[30:31], s[30:31], exec
	s_and_b64 s[38:39], s[38:39], exec
	s_mov_b64 s[34:35], -1
	s_or_b64 s[30:31], s[30:31], s[38:39]
.LBB8_926:
	s_mov_b64 s[38:39], 0
.LBB8_927:
	s_and_b64 s[40:41], s[38:39], exec
	s_andn2_b64 s[38:39], s[0:1], exec
	s_and_b64 s[30:31], s[30:31], exec
	s_and_b64 s[36:37], s[36:37], exec
	;; [unrolled: 1-line block ×3, first 2 shown]
	s_or_b64 s[38:39], s[38:39], s[30:31]
.LBB8_928:
	s_or_b64 exec, exec, s[26:27]
	s_and_b64 s[30:31], s[34:35], exec
	s_andn2_b64 s[0:1], s[0:1], exec
	s_and_b64 s[34:35], s[38:39], exec
	s_and_b64 s[36:37], s[36:37], exec
	;; [unrolled: 1-line block ×3, first 2 shown]
	s_or_b64 s[0:1], s[0:1], s[34:35]
.LBB8_929:
	s_or_b64 exec, exec, s[24:25]
	s_andn2_b64 s[20:21], s[20:21], exec
	s_and_b64 s[24:25], s[28:29], exec
	s_andn2_b64 s[18:19], s[18:19], exec
	s_and_b64 s[0:1], s[0:1], exec
	s_or_b64 s[20:21], s[20:21], s[24:25]
	s_and_b64 s[28:29], s[36:37], exec
	s_and_b64 s[26:27], s[26:27], exec
	;; [unrolled: 1-line block ×3, first 2 shown]
	s_or_b64 s[18:19], s[18:19], s[0:1]
.LBB8_930:
	s_or_b64 exec, exec, s[22:23]
	s_andn2_b64 s[0:1], s[6:7], exec
	s_and_b64 s[6:7], s[20:21], exec
	s_andn2_b64 s[14:15], s[14:15], exec
	s_and_b64 s[18:19], s[18:19], exec
	s_or_b64 s[6:7], s[0:1], s[6:7]
	s_and_b64 s[0:1], s[28:29], exec
	s_and_b64 s[22:23], s[26:27], exec
	;; [unrolled: 1-line block ×3, first 2 shown]
	s_or_b64 s[14:15], s[14:15], s[18:19]
	s_or_b64 exec, exec, s[16:17]
	s_mov_b64 s[16:17], 0
	s_and_saveexec_b64 s[18:19], s[14:15]
	s_cbranch_execz .LBB8_286
.LBB8_931:
	s_mov_b64 s[16:17], exec
	s_andn2_b64 s[20:21], s[20:21], exec
	s_trap 2
	s_or_b64 exec, exec, s[18:19]
	s_and_saveexec_b64 s[14:15], s[20:21]
	s_xor_b64 s[14:15], exec, s[14:15]
	s_cbranch_execnz .LBB8_287
.LBB8_932:
	s_or_b64 exec, exec, s[14:15]
	s_and_saveexec_b64 s[14:15], s[22:23]
	s_cbranch_execz .LBB8_978
.LBB8_933:
	s_sext_i32_i16 s18, s42
	s_cmp_lt_i32 s18, 5
	s_cbranch_scc1 .LBB8_938
; %bb.934:
	s_cmp_lt_i32 s18, 8
	s_cbranch_scc1 .LBB8_939
; %bb.935:
	;; [unrolled: 3-line block ×3, first 2 shown]
	s_cmp_gt_i32 s18, 9
	s_cbranch_scc0 .LBB8_941
; %bb.937:
	global_load_dwordx2 v[2:3], v[0:1], off
	s_mov_b64 s[18:19], 0
	s_branch .LBB8_942
.LBB8_938:
                                        ; implicit-def: $vgpr2_vgpr3
	s_branch .LBB8_959
.LBB8_939:
                                        ; implicit-def: $vgpr2_vgpr3
	s_branch .LBB8_948
.LBB8_940:
	s_mov_b64 s[18:19], -1
                                        ; implicit-def: $vgpr2_vgpr3
	s_branch .LBB8_945
.LBB8_941:
	s_mov_b64 s[18:19], -1
                                        ; implicit-def: $vgpr2_vgpr3
.LBB8_942:
	s_andn2_b64 vcc, exec, s[18:19]
	s_cbranch_vccnz .LBB8_944
; %bb.943:
	global_load_dword v2, v[0:1], off
	s_waitcnt vmcnt(0)
	v_cvt_f64_f32_e32 v[2:3], v2
.LBB8_944:
	s_mov_b64 s[18:19], 0
.LBB8_945:
	s_andn2_b64 vcc, exec, s[18:19]
	s_cbranch_vccnz .LBB8_947
; %bb.946:
	global_load_dword v2, v[0:1], off
	s_waitcnt vmcnt(0)
	v_cvt_f32_f16_e32 v2, v2
	v_cvt_f64_f32_e32 v[2:3], v2
.LBB8_947:
	s_cbranch_execnz .LBB8_958
.LBB8_948:
	s_sext_i32_i16 s18, s42
	s_cmp_lt_i32 s18, 6
	s_cbranch_scc1 .LBB8_951
; %bb.949:
	s_cmp_gt_i32 s18, 6
	s_cbranch_scc0 .LBB8_952
; %bb.950:
	global_load_dwordx2 v[2:3], v[0:1], off
	s_mov_b64 s[18:19], 0
	s_branch .LBB8_953
.LBB8_951:
	s_mov_b64 s[18:19], -1
                                        ; implicit-def: $vgpr2_vgpr3
	s_branch .LBB8_956
.LBB8_952:
	s_mov_b64 s[18:19], -1
                                        ; implicit-def: $vgpr2_vgpr3
.LBB8_953:
	s_andn2_b64 vcc, exec, s[18:19]
	s_cbranch_vccnz .LBB8_955
; %bb.954:
	global_load_dword v2, v[0:1], off
	s_waitcnt vmcnt(0)
	v_cvt_f64_f32_e32 v[2:3], v2
.LBB8_955:
	s_mov_b64 s[18:19], 0
.LBB8_956:
	s_andn2_b64 vcc, exec, s[18:19]
	s_cbranch_vccnz .LBB8_958
; %bb.957:
	global_load_ushort v2, v[0:1], off
	s_waitcnt vmcnt(0)
	v_cvt_f32_f16_e32 v2, v2
	v_cvt_f64_f32_e32 v[2:3], v2
.LBB8_958:
	s_cbranch_execnz .LBB8_977
.LBB8_959:
	s_sext_i32_i16 s18, s42
	s_cmp_lt_i32 s18, 2
	s_cbranch_scc1 .LBB8_963
; %bb.960:
	s_cmp_lt_i32 s18, 3
	s_cbranch_scc1 .LBB8_964
; %bb.961:
	s_cmp_gt_i32 s18, 3
	s_cbranch_scc0 .LBB8_965
; %bb.962:
	global_load_dwordx2 v[2:3], v[0:1], off
	s_mov_b64 s[18:19], 0
	s_waitcnt vmcnt(0)
	v_cvt_f64_i32_e32 v[3:4], v3
	v_cvt_f64_u32_e32 v[5:6], v2
	v_ldexp_f64 v[3:4], v[3:4], 32
	v_add_f64 v[2:3], v[3:4], v[5:6]
	s_branch .LBB8_966
.LBB8_963:
                                        ; implicit-def: $vgpr2_vgpr3
	s_branch .LBB8_972
.LBB8_964:
	s_mov_b64 s[18:19], -1
                                        ; implicit-def: $vgpr2_vgpr3
	s_branch .LBB8_969
.LBB8_965:
	s_mov_b64 s[18:19], -1
                                        ; implicit-def: $vgpr2_vgpr3
.LBB8_966:
	s_andn2_b64 vcc, exec, s[18:19]
	s_cbranch_vccnz .LBB8_968
; %bb.967:
	global_load_dword v2, v[0:1], off
	s_waitcnt vmcnt(0)
	v_cvt_f64_i32_e32 v[2:3], v2
.LBB8_968:
	s_mov_b64 s[18:19], 0
.LBB8_969:
	s_andn2_b64 vcc, exec, s[18:19]
	s_cbranch_vccnz .LBB8_971
; %bb.970:
	global_load_sshort v2, v[0:1], off
	s_waitcnt vmcnt(0)
	v_cvt_f64_i32_e32 v[2:3], v2
.LBB8_971:
	s_cbranch_execnz .LBB8_977
.LBB8_972:
	s_sext_i32_i16 s18, s42
	s_cmp_gt_i32 s18, 0
	s_cbranch_scc0 .LBB8_974
; %bb.973:
	global_load_sbyte v2, v[0:1], off
	s_mov_b64 s[18:19], 0
	s_waitcnt vmcnt(0)
	v_cvt_f64_i32_e32 v[2:3], v2
	s_branch .LBB8_975
.LBB8_974:
	s_mov_b64 s[18:19], -1
                                        ; implicit-def: $vgpr2_vgpr3
.LBB8_975:
	s_andn2_b64 vcc, exec, s[18:19]
	s_cbranch_vccnz .LBB8_977
; %bb.976:
	global_load_ubyte v0, v[0:1], off
	s_waitcnt vmcnt(0)
	v_cvt_f64_u32_e32 v[2:3], v0
.LBB8_977:
	s_or_b64 s[0:1], s[0:1], exec
.LBB8_978:
	s_or_b64 exec, exec, s[14:15]
	s_mov_b64 s[20:21], 0
	s_mov_b64 s[18:19], 0
                                        ; implicit-def: $sgpr26
                                        ; implicit-def: $vgpr4_vgpr5
                                        ; implicit-def: $vgpr0_vgpr1
	s_and_saveexec_b64 s[14:15], s[0:1]
	s_cbranch_execz .LBB8_1010
; %bb.979:
	s_waitcnt vmcnt(0)
	v_cmp_neq_f64_e32 vcc, 0, v[2:3]
                                        ; implicit-def: $vgpr0_vgpr1
	s_and_saveexec_b64 s[0:1], vcc
	s_xor_b64 s[18:19], exec, s[0:1]
	s_cbranch_execz .LBB8_1001
; %bb.980:
	v_cmp_gt_f64_e32 vcc, 0, v[2:3]
	v_mov_b32_e32 v4, 0
	v_mov_b32_e32 v5, 0
	s_mov_b64 s[22:23], -1
	s_and_saveexec_b64 s[20:21], vcc
	s_cbranch_execz .LBB8_988
; %bb.981:
	v_trunc_f64_e32 v[0:1], v[2:3]
	v_mov_b32_e32 v4, 0
	v_mov_b32_e32 v5, 0
	s_mov_b64 s[24:25], 0
	v_cmp_neq_f64_e32 vcc, v[2:3], v[0:1]
	s_and_saveexec_b64 s[22:23], vcc
	s_cbranch_execz .LBB8_987
; %bb.982:
	v_add_f64 v[0:1], v[2:3], -v[0:1]
	s_mov_b32 s0, 0
	s_mov_b32 s25, 0xc00921fb
	;; [unrolled: 1-line block ×4, first 2 shown]
	v_cmp_neq_f64_e64 vcc, |v[2:3]|, s[0:1]
	v_bfrev_b32_e32 v4, 1
	s_mov_b32 s26, 0
	v_mul_f64 v[0:1], |v[0:1]|, s[24:25]
	s_mov_b32 s27, 0x41d00000
                                        ; implicit-def: $vgpr8
                                        ; implicit-def: $vgpr6_vgpr7
	v_cndmask_b32_e32 v1, v4, v1, vcc
	v_cndmask_b32_e32 v0, 0, v0, vcc
	v_cmp_nlt_f64_e64 s[26:27], |v[0:1]|, s[26:27]
                                        ; implicit-def: $vgpr4_vgpr5
	s_and_saveexec_b64 s[28:29], s[26:27]
	s_xor_b64 s[26:27], exec, s[28:29]
	s_cbranch_execz .LBB8_984
; %bb.983:
	v_trig_preop_f64 v[4:5], |v[0:1]|, 0
	s_mov_b32 s28, 0
	s_mov_b32 s29, 0x7b000000
	s_movk_i32 s25, 0xff80
	v_ldexp_f64 v[8:9], |v[0:1]|, s25
	v_cmp_ge_f64_e64 vcc, |v[0:1]|, s[28:29]
	v_trig_preop_f64 v[6:7], |v[0:1]|, 1
	v_and_b32_e32 v10, 0x7fffffff, v1
	v_trig_preop_f64 v[17:18], |v[0:1]|, 2
	v_mov_b32_e32 v28, 0x40100000
	v_mov_b32_e32 v27, 0
	s_mov_b32 s25, 0x3ff921fb
	v_cndmask_b32_e32 v9, v10, v9, vcc
	v_cndmask_b32_e32 v8, v0, v8, vcc
	v_mul_f64 v[10:11], v[4:5], v[8:9]
	v_mul_f64 v[12:13], v[6:7], v[8:9]
	v_mul_f64 v[23:24], v[17:18], v[8:9]
	v_fma_f64 v[4:5], v[4:5], v[8:9], -v[10:11]
	v_fma_f64 v[6:7], v[6:7], v[8:9], -v[12:13]
	;; [unrolled: 1-line block ×3, first 2 shown]
	v_add_f64 v[15:16], v[12:13], v[4:5]
	v_add_f64 v[19:20], v[15:16], -v[12:13]
	v_add_f64 v[25:26], v[10:11], v[15:16]
	v_add_f64 v[21:22], v[15:16], -v[19:20]
	v_add_f64 v[4:5], v[4:5], -v[19:20]
	v_add_f64 v[19:20], v[23:24], v[6:7]
	v_add_f64 v[10:11], v[25:26], -v[10:11]
	v_add_f64 v[12:13], v[12:13], -v[21:22]
	v_ldexp_f64 v[21:22], v[25:26], -2
	v_add_f64 v[29:30], v[19:20], -v[23:24]
	v_add_f64 v[10:11], v[15:16], -v[10:11]
	v_add_f64 v[4:5], v[4:5], v[12:13]
	v_fract_f64_e32 v[12:13], v[21:22]
	v_cmp_neq_f64_e64 vcc, |v[21:22]|, s[0:1]
	v_add_f64 v[6:7], v[6:7], -v[29:30]
	v_add_f64 v[15:16], v[19:20], v[4:5]
	v_ldexp_f64 v[12:13], v[12:13], 2
	v_add_f64 v[21:22], v[10:11], v[15:16]
	v_cndmask_b32_e32 v13, 0, v13, vcc
	v_cndmask_b32_e32 v12, 0, v12, vcc
	v_add_f64 v[31:32], v[15:16], -v[19:20]
	v_add_f64 v[25:26], v[21:22], v[12:13]
	v_add_f64 v[10:11], v[21:22], -v[10:11]
	v_add_f64 v[33:34], v[15:16], -v[31:32]
	;; [unrolled: 1-line block ×3, first 2 shown]
	v_cmp_gt_f64_e32 vcc, 0, v[25:26]
	v_add_f64 v[25:26], v[19:20], -v[29:30]
	v_add_f64 v[10:11], v[15:16], -v[10:11]
	v_add_f64 v[19:20], v[19:20], -v[33:34]
	v_cndmask_b32_e32 v28, 0, v28, vcc
	v_add_f64 v[12:13], v[12:13], v[27:28]
	v_add_f64 v[25:26], v[23:24], -v[25:26]
	v_add_f64 v[4:5], v[4:5], v[19:20]
	v_add_f64 v[35:36], v[21:22], v[12:13]
	v_add_f64 v[6:7], v[6:7], v[25:26]
	v_cvt_i32_f64_e32 v30, v[35:36]
	v_add_f64 v[4:5], v[6:7], v[4:5]
	v_cvt_f64_i32_e32 v[28:29], v30
	v_add_f64 v[12:13], v[12:13], -v[28:29]
	v_add_f64 v[4:5], v[8:9], v[4:5]
	v_add_f64 v[6:7], v[21:22], v[12:13]
	;; [unrolled: 1-line block ×3, first 2 shown]
	v_mov_b32_e32 v11, 0x3ff00000
	v_add_f64 v[8:9], v[6:7], -v[12:13]
	v_cmp_le_f64_e32 vcc, 0.5, v[6:7]
	v_add_f64 v[9:10], v[21:22], -v[8:9]
	v_cndmask_b32_e32 v28, 0, v11, vcc
	v_add_f64 v[6:7], v[6:7], -v[27:28]
	v_addc_co_u32_e64 v8, s[0:1], 0, v30, vcc
	s_mov_b32 s0, 0x33145c07
	s_mov_b32 s1, 0x3c91a626
	v_add_f64 v[4:5], v[4:5], v[9:10]
	v_add_f64 v[9:10], v[6:7], v[4:5]
	v_mul_f64 v[11:12], v[9:10], s[24:25]
	v_add_f64 v[6:7], v[9:10], -v[6:7]
	v_fma_f64 v[15:16], v[9:10], s[24:25], -v[11:12]
	v_add_f64 v[4:5], v[4:5], -v[6:7]
	v_fma_f64 v[6:7], v[9:10], s[0:1], v[15:16]
	v_fma_f64 v[6:7], v[4:5], s[24:25], v[6:7]
	v_add_f64 v[4:5], v[11:12], v[6:7]
	v_add_f64 v[9:10], v[4:5], -v[11:12]
	v_add_f64 v[6:7], v[6:7], -v[9:10]
.LBB8_984:
	s_andn2_saveexec_b64 s[0:1], s[26:27]
	s_cbranch_execz .LBB8_986
; %bb.985:
	s_mov_b32 s24, 0x6dc9c883
	s_mov_b32 s25, 0x3fe45f30
	v_mul_f64 v[4:5], |v[0:1]|, s[24:25]
	s_mov_b32 s24, 0x54442d18
	s_mov_b32 s25, 0xbff921fb
	;; [unrolled: 1-line block ×4, first 2 shown]
	v_rndne_f64_e32 v[8:9], v[4:5]
	v_fma_f64 v[4:5], v[8:9], s[24:25], |v[0:1]|
	v_mul_f64 v[6:7], v[8:9], s[26:27]
	s_mov_b32 s24, 0x252049c0
	s_mov_b32 s25, 0xb97b839a
	v_fma_f64 v[15:16], v[8:9], s[26:27], v[4:5]
	v_add_f64 v[10:11], v[4:5], v[6:7]
	s_mov_b32 s27, 0x3c91a626
	v_add_f64 v[12:13], v[4:5], -v[10:11]
	v_add_f64 v[10:11], v[10:11], -v[15:16]
	v_add_f64 v[4:5], v[12:13], v[6:7]
	v_fma_f64 v[6:7], v[8:9], s[26:27], v[6:7]
	v_add_f64 v[4:5], v[10:11], v[4:5]
	v_add_f64 v[4:5], v[4:5], -v[6:7]
	v_fma_f64 v[6:7], v[8:9], s[24:25], v[4:5]
	v_cvt_i32_f64_e32 v8, v[8:9]
	v_add_f64 v[4:5], v[15:16], v[6:7]
	v_add_f64 v[10:11], v[4:5], -v[15:16]
	v_add_f64 v[6:7], v[6:7], -v[10:11]
.LBB8_986:
	s_or_b64 exec, exec, s[0:1]
	v_mul_f64 v[9:10], v[4:5], v[4:5]
	v_add_f64 v[11:12], v[6:7], v[6:7]
	s_mov_b32 s0, 0xc751c08c
	s_mov_b32 s1, 0x3ef5e089
	v_and_b32_e32 v8, 1, v8
	v_cmp_eq_u32_e32 vcc, 0, v8
	s_mov_b32 s26, 0x54442d18
	s_mov_b32 s27, 0xc00921fb
	v_fma_f64 v[15:16], v[4:5], v[4:5], -v[9:10]
	v_add_f64 v[2:3], -v[2:3], 1.0
	s_mov_b64 s[24:25], exec
	v_fma_f64 v[11:12], v[4:5], v[11:12], v[15:16]
	v_add_f64 v[9:10], v[9:10], v[11:12]
	v_mov_b32_e32 v11, 0xa9a29f71
	v_mov_b32_e32 v12, 0xbf078809
	v_fma_f64 v[11:12], v[9:10], s[0:1], v[11:12]
	s_mov_b32 s0, 0x90a8aae0
	s_mov_b32 s1, 0x3f17746f
	v_fma_f64 v[11:12], v[9:10], v[11:12], s[0:1]
	s_mov_b32 s0, 0xa6fbf144
	s_mov_b32 s1, 0xbefbb44d
	;; [unrolled: 3-line block ×12, first 2 shown]
	v_fma_f64 v[11:12], v[9:10], v[11:12], s[0:1]
	s_movk_i32 s0, 0x1f8
	v_cmp_class_f64_e64 s[0:1], v[0:1], s0
	v_mul_f64 v[9:10], v[9:10], v[11:12]
	v_mul_f64 v[11:12], v[4:5], v[9:10]
	v_add_f64 v[15:16], v[4:5], v[11:12]
	v_fma_f64 v[9:10], v[4:5], v[9:10], -v[11:12]
	v_add_f64 v[4:5], v[15:16], -v[4:5]
	v_add_f64 v[6:7], v[6:7], v[9:10]
	v_add_f64 v[4:5], v[11:12], -v[4:5]
	v_add_f64 v[4:5], v[6:7], v[4:5]
	v_add_f64 v[6:7], v[15:16], v[4:5]
	v_rcp_f64_e32 v[9:10], v[6:7]
	v_fma_f64 v[11:12], -v[6:7], v[9:10], 1.0
	v_fma_f64 v[9:10], v[11:12], v[9:10], v[9:10]
	v_fma_f64 v[11:12], -v[6:7], v[9:10], 1.0
	v_fma_f64 v[9:10], v[11:12], v[9:10], v[9:10]
	v_add_f64 v[11:12], v[6:7], -v[15:16]
	v_mul_f64 v[15:16], v[6:7], v[9:10]
	v_add_f64 v[4:5], v[4:5], -v[11:12]
	v_fma_f64 v[11:12], v[9:10], v[6:7], -v[15:16]
	v_fma_f64 v[4:5], v[9:10], v[4:5], v[11:12]
	v_add_f64 v[11:12], v[15:16], v[4:5]
	v_add_f64 v[17:18], -v[11:12], 1.0
	v_add_f64 v[15:16], v[11:12], -v[15:16]
	v_add_f64 v[19:20], -v[17:18], 1.0
	v_add_f64 v[4:5], v[15:16], -v[4:5]
	v_add_f64 v[11:12], v[19:20], -v[11:12]
	v_add_f64 v[4:5], v[4:5], v[11:12]
	v_add_f64 v[4:5], v[17:18], v[4:5]
	v_mul_f64 v[4:5], v[9:10], v[4:5]
	v_add_f64 v[4:5], v[9:10], v[4:5]
	v_and_b32_e32 v9, 0x80000000, v1
	v_mov_b32_e32 v1, 0x7ff80000
	v_xor_b32_e32 v0, 0x80000000, v5
	v_cndmask_b32_e32 v4, v4, v6, vcc
	v_cndmask_b32_e32 v5, v0, v7, vcc
	v_cndmask_b32_e64 v0, 0, v4, s[0:1]
	v_xor_b32_e32 v4, v5, v9
	v_cndmask_b32_e64 v1, v1, v4, s[0:1]
	v_div_scale_f64 v[4:5], s[0:1], v[0:1], v[0:1], s[26:27]
	v_rcp_f64_e32 v[6:7], v[4:5]
	v_fma_f64 v[8:9], -v[4:5], v[6:7], 1.0
	v_fma_f64 v[6:7], v[6:7], v[8:9], v[6:7]
	v_div_scale_f64 v[8:9], vcc, s[26:27], v[0:1], s[26:27]
	v_fma_f64 v[10:11], -v[4:5], v[6:7], 1.0
	v_fma_f64 v[6:7], v[6:7], v[10:11], v[6:7]
	v_mul_f64 v[10:11], v[8:9], v[6:7]
	v_fma_f64 v[4:5], -v[4:5], v[10:11], v[8:9]
	v_div_fmas_f64 v[4:5], v[4:5], v[6:7], v[10:11]
	v_div_fixup_f64 v[4:5], v[4:5], v[0:1], s[26:27]
.LBB8_987:
	s_or_b64 exec, exec, s[22:23]
	s_orn2_b64 s[22:23], s[24:25], exec
.LBB8_988:
	s_or_b64 exec, exec, s[20:21]
	v_mov_b32_e32 v0, 0
	v_mov_b32_e32 v1, 0x7ff80000
	s_and_saveexec_b64 s[0:1], s[22:23]
	s_cbranch_execz .LBB8_1000
; %bb.989:
	s_mov_b32 s22, 0
	s_mov_b32 s23, 0x40240000
	v_cmp_gt_f64_e32 vcc, s[22:23], v[2:3]
	s_and_saveexec_b64 s[20:21], vcc
	s_cbranch_execz .LBB8_993
; %bb.990:
	s_mov_b64 s[24:25], 0
.LBB8_991:                              ; =>This Inner Loop Header: Depth=1
	v_div_scale_f64 v[0:1], s[26:27], v[2:3], v[2:3], 1.0
	v_rcp_f64_e32 v[6:7], v[0:1]
	v_fma_f64 v[8:9], -v[0:1], v[6:7], 1.0
	v_fma_f64 v[6:7], v[6:7], v[8:9], v[6:7]
	v_div_scale_f64 v[8:9], vcc, 1.0, v[2:3], 1.0
	v_fma_f64 v[10:11], -v[0:1], v[6:7], 1.0
	v_fma_f64 v[6:7], v[6:7], v[10:11], v[6:7]
	v_mul_f64 v[10:11], v[8:9], v[6:7]
	v_fma_f64 v[0:1], -v[0:1], v[10:11], v[8:9]
	v_div_fmas_f64 v[0:1], v[0:1], v[6:7], v[10:11]
	v_div_fixup_f64 v[0:1], v[0:1], v[2:3], 1.0
	v_add_f64 v[2:3], v[2:3], 1.0
	v_add_f64 v[4:5], v[4:5], -v[0:1]
	v_cmp_ngt_f64_e32 vcc, s[22:23], v[2:3]
	s_or_b64 s[24:25], vcc, s[24:25]
	s_andn2_b64 exec, exec, s[24:25]
	s_cbranch_execnz .LBB8_991
; %bb.992:
	s_or_b64 exec, exec, s[24:25]
.LBB8_993:
	s_or_b64 exec, exec, s[20:21]
	s_mov_b32 s20, 0
	s_mov_b32 s21, 0x40240000
	v_cmp_neq_f64_e32 vcc, s[20:21], v[2:3]
                                        ; implicit-def: $vgpr0_vgpr1
	s_and_saveexec_b64 s[20:21], vcc
	s_xor_b64 s[20:21], exec, s[20:21]
	s_cbranch_execz .LBB8_997
; %bb.994:
	s_mov_b32 s22, 0x85d8a000
	s_mov_b32 s23, 0x43763457
	v_cmp_gt_f64_e32 vcc, s[22:23], v[2:3]
	v_mov_b32_e32 v0, 0
	v_mov_b32_e32 v1, 0
	s_and_saveexec_b64 s[22:23], vcc
	s_cbranch_execz .LBB8_996
; %bb.995:
	v_mul_f64 v[0:1], v[2:3], v[2:3]
	s_mov_b32 s26, 0x95995996
	s_mov_b32 s27, 0xbf959959
	;; [unrolled: 1-line block ×4, first 2 shown]
	v_div_scale_f64 v[6:7], s[24:25], v[0:1], v[0:1], 1.0
	v_div_scale_f64 v[12:13], vcc, 1.0, v[0:1], 1.0
	s_mov_b32 s24, 0x55555555
	s_mov_b32 s25, 0x3fb55555
	v_rcp_f64_e32 v[8:9], v[6:7]
	v_fma_f64 v[10:11], -v[6:7], v[8:9], 1.0
	v_fma_f64 v[8:9], v[8:9], v[10:11], v[8:9]
	v_fma_f64 v[10:11], -v[6:7], v[8:9], 1.0
	v_fma_f64 v[8:9], v[8:9], v[10:11], v[8:9]
	v_mul_f64 v[10:11], v[12:13], v[8:9]
	v_fma_f64 v[6:7], -v[6:7], v[10:11], v[12:13]
	v_div_fmas_f64 v[6:7], v[6:7], v[8:9], v[10:11]
	v_div_fixup_f64 v[0:1], v[6:7], v[0:1], 1.0
	v_fma_f64 v[6:7], v[0:1], 0, s[24:25]
	v_fma_f64 v[6:7], v[0:1], v[6:7], s[26:27]
	s_mov_b32 s26, 0xf07c1f08
	s_mov_b32 s27, 0x3f7f07c1
	v_fma_f64 v[6:7], v[0:1], v[6:7], s[26:27]
	s_mov_b32 s27, 0xbf711111
	s_mov_b32 s26, 0x11111111
	v_fma_f64 v[6:7], v[0:1], v[6:7], s[26:27]
	s_mov_b32 s27, 0xbf811111
	v_fma_f64 v[6:7], v[0:1], v[6:7], s[28:29]
	v_fma_f64 v[6:7], v[0:1], v[6:7], s[26:27]
	;; [unrolled: 1-line block ×3, first 2 shown]
	v_mul_f64 v[0:1], v[0:1], v[6:7]
.LBB8_996:
	s_or_b64 exec, exec, s[22:23]
	v_frexp_mant_f64_e32 v[6:7], v[2:3]
	s_mov_b32 s23, 0x3fe55555
	s_mov_b32 s22, 0x55555555
	;; [unrolled: 1-line block ×4, first 2 shown]
	v_cmp_gt_f64_e32 vcc, s[22:23], v[6:7]
	s_mov_b32 s22, 0x55555780
	v_cndmask_b32_e64 v8, 0, 1, vcc
	v_ldexp_f64 v[6:7], v[6:7], v8
	v_add_f64 v[8:9], v[6:7], 1.0
	v_add_f64 v[15:16], v[6:7], -1.0
	v_rcp_f64_e32 v[10:11], v[8:9]
	v_add_f64 v[17:18], v[8:9], -1.0
	v_add_f64 v[6:7], v[6:7], -v[17:18]
	v_fma_f64 v[12:13], -v[8:9], v[10:11], 1.0
	v_fma_f64 v[10:11], v[12:13], v[10:11], v[10:11]
	v_fma_f64 v[12:13], -v[8:9], v[10:11], 1.0
	v_fma_f64 v[10:11], v[12:13], v[10:11], v[10:11]
	v_mul_f64 v[12:13], v[15:16], v[10:11]
	v_mul_f64 v[19:20], v[8:9], v[12:13]
	v_fma_f64 v[8:9], v[12:13], v[8:9], -v[19:20]
	v_fma_f64 v[6:7], v[12:13], v[6:7], v[8:9]
	v_add_f64 v[8:9], v[19:20], v[6:7]
	v_add_f64 v[17:18], v[15:16], -v[8:9]
	v_add_f64 v[19:20], v[8:9], -v[19:20]
	;; [unrolled: 1-line block ×5, first 2 shown]
	v_mov_b32_e32 v15, 0x6b47b09a
	v_mov_b32_e32 v16, 0x3fc38538
	v_add_f64 v[6:7], v[6:7], v[8:9]
	v_add_f64 v[6:7], v[17:18], v[6:7]
	v_mul_f64 v[6:7], v[10:11], v[6:7]
	v_add_f64 v[8:9], v[12:13], v[6:7]
	v_mul_f64 v[10:11], v[8:9], v[8:9]
	v_fma_f64 v[15:16], v[10:11], s[24:25], v[15:16]
	s_mov_b32 s24, 0xd7f4df2e
	s_mov_b32 s25, 0x3fc7474d
	v_mul_f64 v[17:18], v[8:9], v[10:11]
	v_fma_f64 v[15:16], v[10:11], v[15:16], s[24:25]
	s_mov_b32 s24, 0x16291751
	s_mov_b32 s25, 0x3fcc71c0
	v_fma_f64 v[15:16], v[10:11], v[15:16], s[24:25]
	s_mov_b32 s24, 0x9b27acf1
	s_mov_b32 s25, 0x3fd24924
	;; [unrolled: 3-line block ×3, first 2 shown]
	v_fma_f64 v[15:16], v[10:11], v[15:16], s[24:25]
	v_fma_f64 v[10:11], v[10:11], v[15:16], s[22:23]
	v_ldexp_f64 v[15:16], v[8:9], 1
	v_add_f64 v[8:9], v[8:9], -v[12:13]
	s_mov_b32 s22, 0xfefa39ef
	s_mov_b32 s23, 0x3fe62e42
	v_mul_f64 v[10:11], v[17:18], v[10:11]
	v_frexp_exp_i32_f64_e32 v17, v[2:3]
	v_add_f64 v[6:7], v[6:7], -v[8:9]
	v_add_f64 v[12:13], v[15:16], v[10:11]
	v_subbrev_co_u32_e32 v17, vcc, 0, v17, vcc
	v_cvt_f64_i32_e32 v[17:18], v17
	v_ldexp_f64 v[6:7], v[6:7], 1
	v_mul_f64 v[19:20], v[17:18], s[22:23]
	v_add_f64 v[8:9], v[12:13], -v[15:16]
	v_fma_f64 v[15:16], v[17:18], s[22:23], -v[19:20]
	v_add_f64 v[8:9], v[10:11], -v[8:9]
	s_mov_b32 s22, 0x3b39803f
	s_mov_b32 s23, 0x3c7abc9e
	v_fma_f64 v[10:11], v[17:18], s[22:23], v[15:16]
	v_add_f64 v[6:7], v[6:7], v[8:9]
	v_div_scale_f64 v[8:9], s[22:23], v[2:3], v[2:3], -0.5
	s_movk_i32 s22, 0x204
	v_add_f64 v[15:16], v[19:20], v[10:11]
	v_add_f64 v[17:18], v[12:13], v[6:7]
	v_add_f64 v[19:20], v[15:16], -v[19:20]
	v_add_f64 v[21:22], v[15:16], v[17:18]
	v_rcp_f64_e32 v[23:24], v[8:9]
	v_add_f64 v[12:13], v[17:18], -v[12:13]
	v_add_f64 v[10:11], v[10:11], -v[19:20]
	;; [unrolled: 1-line block ×5, first 2 shown]
	v_fma_f64 v[29:30], -v[8:9], v[23:24], 1.0
	v_add_f64 v[12:13], v[17:18], -v[25:26]
	v_add_f64 v[19:20], v[10:11], v[6:7]
	v_add_f64 v[15:16], v[15:16], -v[27:28]
	v_fma_f64 v[17:18], v[23:24], v[29:30], v[23:24]
	v_add_f64 v[25:26], v[19:20], -v[10:11]
	v_add_f64 v[12:13], v[12:13], v[15:16]
	v_div_scale_f64 v[15:16], vcc, -0.5, v[2:3], -0.5
	v_fma_f64 v[23:24], -v[8:9], v[17:18], 1.0
	v_add_f64 v[6:7], v[6:7], -v[25:26]
	v_add_f64 v[12:13], v[19:20], v[12:13]
	v_add_f64 v[19:20], v[19:20], -v[25:26]
	v_fma_f64 v[17:18], v[17:18], v[23:24], v[17:18]
	v_add_f64 v[23:24], v[21:22], v[12:13]
	v_add_f64 v[10:11], v[10:11], -v[19:20]
	v_mul_f64 v[27:28], v[15:16], v[17:18]
	v_add_f64 v[19:20], v[23:24], -v[21:22]
	v_add_f64 v[6:7], v[6:7], v[10:11]
	v_fma_f64 v[8:9], -v[8:9], v[27:28], v[15:16]
	v_add_f64 v[10:11], v[12:13], -v[19:20]
	v_div_fmas_f64 v[8:9], v[8:9], v[17:18], v[27:28]
	v_cmp_class_f64_e64 vcc, v[2:3], s22
	v_add_f64 v[6:7], v[6:7], v[10:11]
	v_add_f64 v[6:7], v[23:24], v[6:7]
	v_div_fixup_f64 v[8:9], v[8:9], v[2:3], -0.5
	v_cndmask_b32_e32 v3, v7, v3, vcc
	v_cndmask_b32_e32 v2, v6, v2, vcc
	v_add_f64 v[2:3], v[2:3], v[8:9]
	v_add_f64 v[0:1], v[2:3], -v[0:1]
	v_add_f64 v[0:1], v[4:5], v[0:1]
                                        ; implicit-def: $vgpr4_vgpr5
.LBB8_997:
	s_andn2_saveexec_b64 s[20:21], s[20:21]
	s_cbranch_execz .LBB8_999
; %bb.998:
	s_mov_b32 s22, 0xdc85cc95
	s_mov_b32 s23, 0x40020396
	v_add_f64 v[0:1], v[4:5], s[22:23]
.LBB8_999:
	s_or_b64 exec, exec, s[20:21]
.LBB8_1000:
	s_or_b64 exec, exec, s[0:1]
                                        ; implicit-def: $vgpr2_vgpr3
.LBB8_1001:
	s_andn2_saveexec_b64 s[0:1], s[18:19]
; %bb.1002:
	v_xor_b32_e32 v0, 0x80000000, v3
	s_brev_b32 s18, -2
	v_mov_b32_e32 v1, 0x7ff00000
	v_bfi_b32 v1, s18, v1, v0
	v_mov_b32_e32 v0, 0
; %bb.1003:
	s_or_b64 exec, exec, s[0:1]
	v_mul_lo_u32 v2, v14, s2
	v_mov_b32_e32 v3, s9
	s_and_b32 s26, s33, 0xff
	s_cmp_lt_i32 s26, 11
	v_ashrrev_i32_e32 v5, 31, v2
	v_add_co_u32_e32 v4, vcc, s8, v2
	v_addc_co_u32_e32 v5, vcc, v3, v5, vcc
	s_cbranch_scc1 .LBB8_1013
; %bb.1004:
	s_and_b32 s27, 0xffff, s26
	s_mov_b64 s[20:21], -1
	s_cmp_gt_i32 s27, 25
	s_mov_b64 s[0:1], s[6:7]
	s_cbranch_scc0 .LBB8_1041
; %bb.1005:
	s_mov_b64 s[18:19], -1
	s_cmp_gt_i32 s27, 28
	s_mov_b64 s[0:1], s[6:7]
	s_cbranch_scc0 .LBB8_1025
; %bb.1006:
	s_cmp_gt_i32 s27, 43
	s_mov_b64 s[0:1], s[6:7]
	s_cbranch_scc0 .LBB8_1021
; %bb.1007:
	;; [unrolled: 4-line block ×3, first 2 shown]
	s_cmp_eq_u32 s27, 46
	s_mov_b64 s[0:1], -1
	s_cbranch_scc0 .LBB8_1014
; %bb.1009:
	v_cvt_f32_f64_e32 v2, v[0:1]
	s_movk_i32 s0, 0x7fff
	v_mov_b32_e32 v3, 0x7fc0
	s_mov_b64 s[18:19], 0
	v_bfe_u32 v6, v2, 16, 1
	v_cmp_o_f32_e32 vcc, v2, v2
	v_add3_u32 v2, v2, v6, s0
	v_cndmask_b32_sdwa v2, v3, v2, vcc dst_sel:DWORD dst_unused:UNUSED_PAD src0_sel:DWORD src1_sel:WORD_1
	global_store_dword v[4:5], v2, off
	s_mov_b64 s[0:1], 0
	s_branch .LBB8_1015
.LBB8_1010:
	s_or_b64 exec, exec, s[14:15]
	s_and_saveexec_b64 s[0:1], s[6:7]
	s_cbranch_execnz .LBB8_1083
.LBB8_1011:
	s_or_b64 exec, exec, s[0:1]
	s_and_saveexec_b64 s[0:1], s[20:21]
	s_xor_b64 s[0:1], exec, s[0:1]
	s_cbranch_execz .LBB8_1084
.LBB8_1012:
	v_cmp_neq_f64_e32 vcc, 0, v[0:1]
	s_waitcnt vmcnt(0)
	v_cndmask_b32_e64 v2, 0, 1, vcc
	global_store_byte v[4:5], v2, off
	s_or_b64 exec, exec, s[0:1]
	s_and_saveexec_b64 s[0:1], s[18:19]
	s_xor_b64 s[0:1], exec, s[0:1]
	s_cbranch_execz .LBB8_1122
	s_branch .LBB8_1085
.LBB8_1013:
	s_mov_b64 s[20:21], 0
	s_mov_b64 s[18:19], -1
	s_mov_b64 s[0:1], s[6:7]
	s_branch .LBB8_1082
.LBB8_1014:
	s_mov_b64 s[18:19], 0
.LBB8_1015:
	s_and_b64 vcc, exec, s[18:19]
	s_cbranch_vccz .LBB8_1020
; %bb.1016:
	s_cmp_eq_u32 s27, 44
	s_mov_b64 s[0:1], -1
	s_cbranch_scc0 .LBB8_1020
; %bb.1017:
	v_cvt_f32_f64_e32 v2, v[0:1]
	s_movk_i32 s0, 0xff
	v_mov_b32_e32 v6, 0xff
	v_bfe_u32 v3, v2, 23, 8
	v_cmp_ne_u32_e32 vcc, s0, v3
	s_and_saveexec_b64 s[18:19], vcc
; %bb.1018:
	s_mov_b32 s0, 0x3fffff
	v_lshrrev_b32_e32 v6, 23, v2
	v_and_b32_e32 v7, 0x400000, v2
	v_and_or_b32 v2, v2, s0, v3
	v_cmp_ne_u32_e32 vcc, 0, v7
	v_cmp_ne_u32_e64 s[0:1], 0, v2
	s_and_b64 s[0:1], vcc, s[0:1]
	v_cndmask_b32_e64 v2, 0, 1, s[0:1]
	v_add_u32_e32 v6, v6, v2
; %bb.1019:
	s_or_b64 exec, exec, s[18:19]
	s_mov_b64 s[0:1], 0
	global_store_byte v[4:5], v6, off
.LBB8_1020:
	s_mov_b64 s[18:19], 0
.LBB8_1021:
	s_and_b64 vcc, exec, s[18:19]
	s_cbranch_vccz .LBB8_1024
; %bb.1022:
	s_cmp_eq_u32 s27, 29
	s_mov_b64 s[0:1], -1
	s_cbranch_scc0 .LBB8_1024
; %bb.1023:
	v_trunc_f64_e32 v[2:3], v[0:1]
	s_movk_i32 s0, 0xffe0
	s_mov_b64 s[18:19], 0
	v_ldexp_f64 v[6:7], v[2:3], s0
	s_mov_b32 s0, 0
	s_mov_b32 s1, 0xc1f00000
	v_floor_f64_e32 v[6:7], v[6:7]
	v_fma_f64 v[2:3], v[6:7], s[0:1], v[2:3]
	v_cvt_u32_f64_e32 v7, v[6:7]
	s_mov_b64 s[0:1], 0
	v_cvt_u32_f64_e32 v6, v[2:3]
	global_store_dwordx2 v[4:5], v[6:7], off
	s_branch .LBB8_1025
.LBB8_1024:
	s_mov_b64 s[18:19], 0
.LBB8_1025:
	s_and_b64 vcc, exec, s[18:19]
	s_cbranch_vccz .LBB8_1040
; %bb.1026:
	s_cmp_lt_i32 s27, 27
	s_mov_b64 s[18:19], -1
	s_cbranch_scc1 .LBB8_1032
; %bb.1027:
	v_cvt_u32_f64_e32 v2, v[0:1]
	s_cmp_gt_i32 s27, 27
	s_cbranch_scc0 .LBB8_1029
; %bb.1028:
	s_mov_b64 s[18:19], 0
	global_store_dword v[4:5], v2, off
.LBB8_1029:
	s_andn2_b64 vcc, exec, s[18:19]
	s_cbranch_vccnz .LBB8_1031
; %bb.1030:
	global_store_short v[4:5], v2, off
.LBB8_1031:
	s_mov_b64 s[18:19], 0
.LBB8_1032:
	s_andn2_b64 vcc, exec, s[18:19]
	s_cbranch_vccnz .LBB8_1040
; %bb.1033:
	v_cvt_f32_f64_e32 v2, v[0:1]
	s_mov_b32 s18, 0x43800000
	v_mov_b32_e32 v6, 0x80
	v_and_b32_e32 v3, 0x7fffffff, v2
	v_cmp_gt_u32_e32 vcc, s18, v3
	s_and_saveexec_b64 s[18:19], vcc
	s_cbranch_execz .LBB8_1039
; %bb.1034:
	s_mov_b32 s20, 0x3bffffff
	v_cmp_lt_u32_e32 vcc, s20, v3
	s_mov_b64 s[20:21], 0
                                        ; implicit-def: $vgpr3
	s_and_saveexec_b64 s[22:23], vcc
	s_xor_b64 s[22:23], exec, s[22:23]
	s_cbranch_execz .LBB8_1137
; %bb.1035:
	v_bfe_u32 v3, v2, 20, 1
	s_mov_b32 s24, 0x487ffff
	v_add3_u32 v3, v2, v3, s24
	s_mov_b64 s[20:21], exec
	v_lshrrev_b32_e32 v3, 20, v3
	s_andn2_saveexec_b64 s[22:23], s[22:23]
	s_cbranch_execnz .LBB8_1138
.LBB8_1036:
	s_or_b64 exec, exec, s[22:23]
	v_mov_b32_e32 v6, 0
	s_and_saveexec_b64 s[22:23], s[20:21]
.LBB8_1037:
	v_lshrrev_b32_e32 v2, 24, v2
	s_movk_i32 s20, 0x80
	v_and_or_b32 v6, v2, s20, v3
.LBB8_1038:
	s_or_b64 exec, exec, s[22:23]
.LBB8_1039:
	s_or_b64 exec, exec, s[18:19]
	global_store_byte v[4:5], v6, off
.LBB8_1040:
	s_mov_b64 s[20:21], 0
.LBB8_1041:
	s_mov_b64 s[18:19], 0
	s_and_b64 vcc, exec, s[20:21]
	s_cbranch_vccz .LBB8_1081
; %bb.1042:
	s_cmp_gt_i32 s27, 22
	s_mov_b64 s[20:21], -1
	s_cbranch_scc0 .LBB8_1074
; %bb.1043:
	s_cmp_lt_i32 s27, 24
	s_cbranch_scc1 .LBB8_1063
; %bb.1044:
	s_cmp_gt_i32 s27, 24
	s_cbranch_scc0 .LBB8_1052
; %bb.1045:
	v_cvt_f32_f64_e32 v2, v[0:1]
	s_mov_b32 s20, 0x47800000
	v_mov_b32_e32 v6, 0x80
	v_and_b32_e32 v3, 0x7fffffff, v2
	v_cmp_gt_u32_e32 vcc, s20, v3
	s_and_saveexec_b64 s[20:21], vcc
	s_cbranch_execz .LBB8_1051
; %bb.1046:
	s_mov_b32 s22, 0x37ffffff
	v_cmp_lt_u32_e32 vcc, s22, v3
	s_mov_b64 s[22:23], 0
                                        ; implicit-def: $vgpr3
	s_and_saveexec_b64 s[24:25], vcc
	s_xor_b64 s[24:25], exec, s[24:25]
	s_cbranch_execz .LBB8_1286
; %bb.1047:
	v_bfe_u32 v3, v2, 21, 1
	s_mov_b32 s28, 0x88fffff
	v_add3_u32 v3, v2, v3, s28
	s_mov_b64 s[22:23], exec
	v_lshrrev_b32_e32 v3, 21, v3
	s_andn2_saveexec_b64 s[24:25], s[24:25]
	s_cbranch_execnz .LBB8_1287
.LBB8_1048:
	s_or_b64 exec, exec, s[24:25]
	v_mov_b32_e32 v6, 0
	s_and_saveexec_b64 s[24:25], s[22:23]
.LBB8_1049:
	v_lshrrev_b32_e32 v2, 24, v2
	s_movk_i32 s22, 0x80
	v_and_or_b32 v6, v2, s22, v3
.LBB8_1050:
	s_or_b64 exec, exec, s[24:25]
.LBB8_1051:
	s_or_b64 exec, exec, s[20:21]
	s_mov_b64 s[20:21], 0
	global_store_byte v[4:5], v6, off
.LBB8_1052:
	s_and_b64 vcc, exec, s[20:21]
	s_cbranch_vccz .LBB8_1062
; %bb.1053:
	v_cvt_f32_f64_e32 v2, v[0:1]
	s_mov_b32 s20, 0x43f00000
                                        ; implicit-def: $vgpr3
	v_and_b32_e32 v6, 0x7fffffff, v2
	v_cmp_gt_u32_e32 vcc, s20, v6
	s_and_saveexec_b64 s[20:21], vcc
	s_xor_b64 s[20:21], exec, s[20:21]
	s_cbranch_execz .LBB8_1059
; %bb.1054:
	s_mov_b32 s22, 0x3c7fffff
	v_cmp_lt_u32_e32 vcc, s22, v6
                                        ; implicit-def: $vgpr3
	s_and_saveexec_b64 s[22:23], vcc
	s_xor_b64 s[22:23], exec, s[22:23]
; %bb.1055:
	v_bfe_u32 v3, v2, 20, 1
	s_mov_b32 s24, 0x407ffff
	v_add3_u32 v3, v2, v3, s24
	v_lshrrev_b32_e32 v6, 20, v3
	v_and_b32_e32 v3, 0xff00000, v3
	s_mov_b32 s24, 0x7f00000
	v_mov_b32_e32 v7, 0x7e
	v_cmp_ne_u32_e32 vcc, s24, v3
	v_cndmask_b32_e32 v3, v7, v6, vcc
; %bb.1056:
	s_andn2_saveexec_b64 s[22:23], s[22:23]
; %bb.1057:
	s_mov_b32 s24, 0x46800000
	v_add_f32_e64 v3, |v2|, s24
; %bb.1058:
	s_or_b64 exec, exec, s[22:23]
                                        ; implicit-def: $vgpr6
.LBB8_1059:
	s_andn2_saveexec_b64 s[20:21], s[20:21]
; %bb.1060:
	s_mov_b32 s22, 0x7f800000
	v_mov_b32_e32 v3, 0x7e
	v_mov_b32_e32 v7, 0x7f
	v_cmp_lt_u32_e32 vcc, s22, v6
	v_cndmask_b32_e32 v3, v3, v7, vcc
; %bb.1061:
	s_or_b64 exec, exec, s[20:21]
	v_lshrrev_b32_e32 v2, 24, v2
	s_movk_i32 s20, 0x80
	v_and_or_b32 v2, v2, s20, v3
	global_store_byte v[4:5], v2, off
.LBB8_1062:
	s_mov_b64 s[20:21], 0
.LBB8_1063:
	s_andn2_b64 vcc, exec, s[20:21]
	s_cbranch_vccnz .LBB8_1073
; %bb.1064:
	v_cvt_f32_f64_e32 v2, v[0:1]
	s_mov_b32 s20, 0x47800000
                                        ; implicit-def: $vgpr3
	v_and_b32_e32 v6, 0x7fffffff, v2
	v_cmp_gt_u32_e32 vcc, s20, v6
	s_and_saveexec_b64 s[20:21], vcc
	s_xor_b64 s[20:21], exec, s[20:21]
	s_cbranch_execz .LBB8_1070
; %bb.1065:
	s_mov_b32 s22, 0x387fffff
	v_cmp_lt_u32_e32 vcc, s22, v6
                                        ; implicit-def: $vgpr3
	s_and_saveexec_b64 s[22:23], vcc
	s_xor_b64 s[22:23], exec, s[22:23]
; %bb.1066:
	v_bfe_u32 v3, v2, 21, 1
	s_mov_b32 s24, 0x80fffff
	v_add3_u32 v3, v2, v3, s24
	v_lshrrev_b32_e32 v3, 21, v3
; %bb.1067:
	s_andn2_saveexec_b64 s[22:23], s[22:23]
; %bb.1068:
	s_mov_b32 s24, 0x43000000
	v_add_f32_e64 v3, |v2|, s24
; %bb.1069:
	s_or_b64 exec, exec, s[22:23]
                                        ; implicit-def: $vgpr6
.LBB8_1070:
	s_andn2_saveexec_b64 s[20:21], s[20:21]
; %bb.1071:
	s_mov_b32 s22, 0x7f800000
	v_mov_b32_e32 v3, 0x7c
	v_mov_b32_e32 v7, 0x7f
	v_cmp_lt_u32_e32 vcc, s22, v6
	v_cndmask_b32_e32 v3, v3, v7, vcc
; %bb.1072:
	s_or_b64 exec, exec, s[20:21]
	v_lshrrev_b32_e32 v2, 24, v2
	s_movk_i32 s20, 0x80
	v_and_or_b32 v2, v2, s20, v3
	global_store_byte v[4:5], v2, off
.LBB8_1073:
	s_mov_b64 s[20:21], 0
.LBB8_1074:
	s_andn2_b64 vcc, exec, s[20:21]
	s_mov_b64 s[20:21], 0
	s_cbranch_vccnz .LBB8_1082
; %bb.1075:
	s_cmp_gt_i32 s27, 14
	s_mov_b64 s[22:23], -1
	s_cbranch_scc0 .LBB8_1079
; %bb.1076:
	s_cmp_eq_u32 s27, 15
	s_mov_b64 s[0:1], -1
	s_cbranch_scc0 .LBB8_1078
; %bb.1077:
	v_cvt_f32_f64_e32 v2, v[0:1]
	s_movk_i32 s0, 0x7fff
	v_mov_b32_e32 v3, 0x7fc0
	v_bfe_u32 v6, v2, 16, 1
	v_cmp_o_f32_e32 vcc, v2, v2
	v_add3_u32 v2, v2, v6, s0
	v_cndmask_b32_sdwa v2, v3, v2, vcc dst_sel:DWORD dst_unused:UNUSED_PAD src0_sel:DWORD src1_sel:WORD_1
	global_store_short v[4:5], v2, off
	s_mov_b64 s[0:1], 0
.LBB8_1078:
	s_mov_b64 s[22:23], 0
.LBB8_1079:
	s_and_b64 vcc, exec, s[22:23]
	s_cbranch_vccz .LBB8_1082
; %bb.1080:
	s_cmp_lg_u32 s27, 11
	s_cselect_b64 s[22:23], -1, 0
	s_andn2_b64 s[0:1], s[0:1], exec
	s_and_b64 s[22:23], s[22:23], exec
	s_mov_b64 s[20:21], -1
	s_or_b64 s[0:1], s[0:1], s[22:23]
	s_branch .LBB8_1082
.LBB8_1081:
	s_mov_b64 s[20:21], 0
.LBB8_1082:
	s_andn2_b64 s[6:7], s[6:7], exec
	s_and_b64 s[0:1], s[0:1], exec
	s_and_b64 s[18:19], s[18:19], exec
	;; [unrolled: 1-line block ×3, first 2 shown]
	s_or_b64 s[6:7], s[6:7], s[0:1]
	s_or_b64 exec, exec, s[14:15]
	s_and_saveexec_b64 s[0:1], s[6:7]
	s_cbranch_execz .LBB8_1011
.LBB8_1083:
	s_or_b64 s[16:17], s[16:17], exec
	s_andn2_b64 s[20:21], s[20:21], exec
	s_trap 2
	s_or_b64 exec, exec, s[0:1]
	s_and_saveexec_b64 s[0:1], s[20:21]
	s_xor_b64 s[0:1], exec, s[0:1]
	s_cbranch_execnz .LBB8_1012
.LBB8_1084:
	s_or_b64 exec, exec, s[0:1]
	s_and_saveexec_b64 s[0:1], s[18:19]
	s_xor_b64 s[0:1], exec, s[0:1]
	s_cbranch_execz .LBB8_1122
.LBB8_1085:
	s_sext_i32_i16 s14, s26
	s_cmp_lt_i32 s14, 5
	s_mov_b64 s[6:7], -1
	s_cbranch_scc1 .LBB8_1106
; %bb.1086:
	s_cmp_lt_i32 s14, 8
	s_cbranch_scc1 .LBB8_1096
; %bb.1087:
	s_cmp_lt_i32 s14, 9
	s_cbranch_scc1 .LBB8_1093
; %bb.1088:
	s_cmp_gt_i32 s14, 9
	s_cbranch_scc0 .LBB8_1090
; %bb.1089:
	s_waitcnt vmcnt(0)
	v_mov_b32_e32 v2, 0
	v_mov_b32_e32 v3, v2
	s_mov_b64 s[6:7], 0
	global_store_dwordx4 v[4:5], v[0:3], off
.LBB8_1090:
	s_andn2_b64 vcc, exec, s[6:7]
	s_cbranch_vccnz .LBB8_1092
; %bb.1091:
	s_waitcnt vmcnt(0)
	v_cvt_f32_f64_e32 v2, v[0:1]
	v_mov_b32_e32 v3, 0
	global_store_dwordx2 v[4:5], v[2:3], off
.LBB8_1092:
	s_mov_b64 s[6:7], 0
.LBB8_1093:
	s_andn2_b64 vcc, exec, s[6:7]
	s_cbranch_vccnz .LBB8_1095
; %bb.1094:
	s_movk_i32 s6, 0x1ff
	s_waitcnt vmcnt(0)
	v_and_or_b32 v2, v1, s6, v0
	v_cmp_ne_u32_e32 vcc, 0, v2
	v_cndmask_b32_e64 v2, 0, 1, vcc
	v_lshrrev_b32_e32 v3, 8, v1
	s_movk_i32 s6, 0xffe
	v_bfe_u32 v6, v1, 20, 11
	v_and_or_b32 v2, v3, s6, v2
	v_sub_u32_e32 v7, 0x3f1, v6
	v_or_b32_e32 v3, 0x1000, v2
	v_med3_i32 v7, v7, 0, 13
	v_lshrrev_b32_e32 v8, v7, v3
	v_lshlrev_b32_e32 v7, v7, v8
	v_cmp_ne_u32_e32 vcc, v7, v3
	v_cndmask_b32_e64 v3, 0, 1, vcc
	v_add_u32_e32 v6, 0xfffffc10, v6
	v_or_b32_e32 v3, v8, v3
	v_lshl_or_b32 v7, v6, 12, v2
	v_cmp_gt_i32_e32 vcc, 1, v6
	v_cndmask_b32_e32 v3, v7, v3, vcc
	v_and_b32_e32 v7, 7, v3
	v_cmp_lt_i32_e32 vcc, 5, v7
	v_cndmask_b32_e64 v8, 0, 1, vcc
	v_cmp_eq_u32_e32 vcc, 3, v7
	v_cndmask_b32_e64 v7, 0, 1, vcc
	v_or_b32_e32 v7, v7, v8
	v_lshrrev_b32_e32 v3, 2, v3
	v_add_u32_e32 v3, v3, v7
	v_mov_b32_e32 v7, 0x7c00
	v_cmp_gt_i32_e32 vcc, 31, v6
	v_cndmask_b32_e32 v3, v7, v3, vcc
	v_mov_b32_e32 v8, 0x7e00
	v_cmp_ne_u32_e32 vcc, 0, v2
	s_movk_i32 s6, 0x40f
	v_cndmask_b32_e32 v2, v7, v8, vcc
	v_cmp_eq_u32_e32 vcc, s6, v6
	v_cndmask_b32_e32 v2, v3, v2, vcc
	v_lshrrev_b32_e32 v3, 16, v1
	s_mov_b32 s6, 0x8000
	v_and_or_b32 v2, v3, s6, v2
	v_and_b32_e32 v2, 0xffff, v2
	global_store_dword v[4:5], v2, off
.LBB8_1095:
	s_mov_b64 s[6:7], 0
.LBB8_1096:
	s_andn2_b64 vcc, exec, s[6:7]
	s_cbranch_vccnz .LBB8_1105
; %bb.1097:
	s_sext_i32_i16 s14, s26
	s_cmp_lt_i32 s14, 6
	s_mov_b64 s[6:7], -1
	s_cbranch_scc1 .LBB8_1103
; %bb.1098:
	s_cmp_gt_i32 s14, 6
	s_cbranch_scc0 .LBB8_1100
; %bb.1099:
	s_mov_b64 s[6:7], 0
	global_store_dwordx2 v[4:5], v[0:1], off
.LBB8_1100:
	s_andn2_b64 vcc, exec, s[6:7]
	s_cbranch_vccnz .LBB8_1102
; %bb.1101:
	s_waitcnt vmcnt(0)
	v_cvt_f32_f64_e32 v2, v[0:1]
	global_store_dword v[4:5], v2, off
.LBB8_1102:
	s_mov_b64 s[6:7], 0
.LBB8_1103:
	s_andn2_b64 vcc, exec, s[6:7]
	s_cbranch_vccnz .LBB8_1105
; %bb.1104:
	s_movk_i32 s6, 0x1ff
	s_waitcnt vmcnt(0)
	v_and_or_b32 v2, v1, s6, v0
	v_cmp_ne_u32_e32 vcc, 0, v2
	v_cndmask_b32_e64 v2, 0, 1, vcc
	v_lshrrev_b32_e32 v3, 8, v1
	s_movk_i32 s6, 0xffe
	v_bfe_u32 v6, v1, 20, 11
	v_and_or_b32 v2, v3, s6, v2
	v_sub_u32_e32 v7, 0x3f1, v6
	v_or_b32_e32 v3, 0x1000, v2
	v_med3_i32 v7, v7, 0, 13
	v_lshrrev_b32_e32 v8, v7, v3
	v_lshlrev_b32_e32 v7, v7, v8
	v_cmp_ne_u32_e32 vcc, v7, v3
	v_cndmask_b32_e64 v3, 0, 1, vcc
	v_add_u32_e32 v6, 0xfffffc10, v6
	v_or_b32_e32 v3, v8, v3
	v_lshl_or_b32 v7, v6, 12, v2
	v_cmp_gt_i32_e32 vcc, 1, v6
	v_cndmask_b32_e32 v3, v7, v3, vcc
	v_and_b32_e32 v7, 7, v3
	v_cmp_lt_i32_e32 vcc, 5, v7
	v_cndmask_b32_e64 v8, 0, 1, vcc
	v_cmp_eq_u32_e32 vcc, 3, v7
	v_cndmask_b32_e64 v7, 0, 1, vcc
	v_or_b32_e32 v7, v7, v8
	v_lshrrev_b32_e32 v3, 2, v3
	v_add_u32_e32 v3, v3, v7
	v_mov_b32_e32 v7, 0x7c00
	v_cmp_gt_i32_e32 vcc, 31, v6
	v_cndmask_b32_e32 v3, v7, v3, vcc
	v_mov_b32_e32 v8, 0x7e00
	v_cmp_ne_u32_e32 vcc, 0, v2
	s_movk_i32 s6, 0x40f
	v_cndmask_b32_e32 v2, v7, v8, vcc
	v_cmp_eq_u32_e32 vcc, s6, v6
	v_cndmask_b32_e32 v2, v3, v2, vcc
	v_lshrrev_b32_e32 v3, 16, v1
	s_mov_b32 s6, 0x8000
	v_and_or_b32 v2, v3, s6, v2
	global_store_short v[4:5], v2, off
.LBB8_1105:
	s_mov_b64 s[6:7], 0
.LBB8_1106:
	s_andn2_b64 vcc, exec, s[6:7]
	s_cbranch_vccnz .LBB8_1122
; %bb.1107:
	s_sext_i32_i16 s14, s26
	s_cmp_lt_i32 s14, 2
	s_mov_b64 s[6:7], -1
	s_cbranch_scc1 .LBB8_1117
; %bb.1108:
	s_cmp_lt_i32 s14, 3
	s_cbranch_scc1 .LBB8_1114
; %bb.1109:
	s_cmp_gt_i32 s14, 3
	s_cbranch_scc0 .LBB8_1111
; %bb.1110:
	s_waitcnt vmcnt(0)
	v_trunc_f64_e32 v[2:3], v[0:1]
	s_movk_i32 s6, 0xffe0
	v_ldexp_f64 v[6:7], v[2:3], s6
	s_mov_b32 s6, 0
	s_mov_b32 s7, 0xc1f00000
	v_floor_f64_e32 v[6:7], v[6:7]
	v_fma_f64 v[2:3], v[6:7], s[6:7], v[2:3]
	v_cvt_i32_f64_e32 v7, v[6:7]
	s_mov_b64 s[6:7], 0
	v_cvt_u32_f64_e32 v6, v[2:3]
	global_store_dwordx2 v[4:5], v[6:7], off
.LBB8_1111:
	s_andn2_b64 vcc, exec, s[6:7]
	s_cbranch_vccnz .LBB8_1113
; %bb.1112:
	s_waitcnt vmcnt(0)
	v_cvt_i32_f64_e32 v2, v[0:1]
	global_store_dword v[4:5], v2, off
.LBB8_1113:
	s_mov_b64 s[6:7], 0
.LBB8_1114:
	s_andn2_b64 vcc, exec, s[6:7]
	s_cbranch_vccnz .LBB8_1116
; %bb.1115:
	s_waitcnt vmcnt(0)
	v_cvt_i32_f64_e32 v2, v[0:1]
	global_store_short v[4:5], v2, off
.LBB8_1116:
	s_mov_b64 s[6:7], 0
.LBB8_1117:
	s_andn2_b64 vcc, exec, s[6:7]
	s_cbranch_vccnz .LBB8_1122
; %bb.1118:
	s_sext_i32_i16 s6, s26
	s_cmp_gt_i32 s6, 0
	s_mov_b64 s[6:7], -1
	s_cbranch_scc0 .LBB8_1120
; %bb.1119:
	s_waitcnt vmcnt(0)
	v_cvt_i32_f64_e32 v2, v[0:1]
	s_mov_b64 s[6:7], 0
	global_store_byte v[4:5], v2, off
.LBB8_1120:
	s_andn2_b64 vcc, exec, s[6:7]
	s_cbranch_vccnz .LBB8_1122
; %bb.1121:
	v_trunc_f64_e32 v[0:1], v[0:1]
	s_movk_i32 s6, 0xffe0
	s_waitcnt vmcnt(0)
	v_ldexp_f64 v[2:3], v[0:1], s6
	s_mov_b32 s6, 0
	s_mov_b32 s7, 0xc1f00000
	v_floor_f64_e32 v[2:3], v[2:3]
	v_fma_f64 v[0:1], v[2:3], s[6:7], v[0:1]
	v_cvt_u32_f64_e32 v0, v[0:1]
	global_store_byte v[4:5], v0, off
.LBB8_1122:
	s_or_b64 exec, exec, s[0:1]
	s_and_b64 s[6:7], s[16:17], exec
                                        ; implicit-def: $vgpr14
.LBB8_1123:
	s_or_saveexec_b64 s[4:5], s[4:5]
	s_mov_b64 s[0:1], 0
                                        ; implicit-def: $sgpr20
                                        ; implicit-def: $vgpr0_vgpr1
                                        ; implicit-def: $vgpr12_vgpr13
	s_xor_b64 exec, exec, s[4:5]
	s_cbranch_execz .LBB8_1813
; %bb.1124:
	v_mul_lo_u32 v8, s3, v14
	v_mov_b32_e32 v1, s11
	s_and_b32 s24, 0xffff, s42
	s_cmp_lt_i32 s24, 11
	s_waitcnt vmcnt(0)
	v_ashrrev_i32_e32 v2, 31, v8
	v_add_co_u32_e32 v0, vcc, s10, v8
	v_addc_co_u32_e32 v1, vcc, v1, v2, vcc
	s_cbranch_scc1 .LBB8_1131
; %bb.1125:
	s_cmp_gt_i32 s24, 25
	s_mov_b64 s[12:13], 0
	s_cbranch_scc0 .LBB8_1133
; %bb.1126:
	s_cmp_gt_i32 s24, 28
	s_cbranch_scc0 .LBB8_1134
; %bb.1127:
	s_cmp_gt_i32 s24, 43
	s_cbranch_scc0 .LBB8_1135
; %bb.1128:
	s_cmp_gt_i32 s24, 45
	s_cbranch_scc0 .LBB8_1136
; %bb.1129:
	s_cmp_eq_u32 s24, 46
	s_mov_b64 s[14:15], 0
	s_cbranch_scc0 .LBB8_1139
; %bb.1130:
	global_load_dword v2, v[0:1], off
	s_mov_b64 s[16:17], -1
	s_waitcnt vmcnt(0)
	v_lshlrev_b32_e32 v2, 16, v2
	v_cvt_f64_f32_e32 v[2:3], v2
	s_branch .LBB8_1140
.LBB8_1131:
	s_mov_b64 s[16:17], 0
                                        ; implicit-def: $vgpr2_vgpr3
	s_mov_b64 s[14:15], s[6:7]
	s_cbranch_execnz .LBB8_1203
.LBB8_1132:
	s_andn2_b64 vcc, exec, s[16:17]
	s_cbranch_vccz .LBB8_1248
	s_branch .LBB8_1810
.LBB8_1133:
	s_mov_b64 s[16:17], 0
                                        ; implicit-def: $vgpr2_vgpr3
	s_cbranch_execnz .LBB8_1170
	s_branch .LBB8_1199
.LBB8_1134:
	s_mov_b64 s[14:15], -1
	s_mov_b64 s[16:17], 0
                                        ; implicit-def: $vgpr2_vgpr3
	s_branch .LBB8_1149
.LBB8_1135:
	s_mov_b64 s[16:17], 0
                                        ; implicit-def: $vgpr2_vgpr3
	s_cbranch_execnz .LBB8_1145
	s_branch .LBB8_1148
.LBB8_1136:
	s_mov_b64 s[14:15], -1
	s_mov_b64 s[16:17], 0
                                        ; implicit-def: $vgpr2_vgpr3
	s_branch .LBB8_1140
.LBB8_1137:
	s_andn2_saveexec_b64 s[22:23], s[22:23]
	s_cbranch_execz .LBB8_1036
.LBB8_1138:
	s_mov_b32 s24, 0x46000000
	v_add_f32_e64 v3, |v2|, s24
	v_and_b32_e32 v3, 0xff, v3
	v_cmp_ne_u32_e32 vcc, 0, v3
	s_andn2_b64 s[20:21], s[20:21], exec
	s_and_b64 s[24:25], vcc, exec
	s_or_b64 s[20:21], s[20:21], s[24:25]
	s_or_b64 exec, exec, s[22:23]
	v_mov_b32_e32 v6, 0
	s_and_saveexec_b64 s[22:23], s[20:21]
	s_cbranch_execnz .LBB8_1037
	s_branch .LBB8_1038
.LBB8_1139:
	s_mov_b64 s[0:1], -1
                                        ; implicit-def: $vgpr2_vgpr3
	s_mov_b64 s[16:17], 0
.LBB8_1140:
	s_and_b64 vcc, exec, s[14:15]
	s_cbranch_vccz .LBB8_1143
; %bb.1141:
	s_cmp_eq_u32 s24, 44
	s_cbranch_scc0 .LBB8_1144
; %bb.1142:
	global_load_ubyte v4, v[0:1], off
	s_movk_i32 s14, 0xff
	v_bfrev_b32_e32 v5, 4
	v_mov_b32_e32 v6, 0x7ff80000
	v_bfrev_b32_e32 v7, 28
	s_mov_b64 s[0:1], 0
	s_mov_b64 s[16:17], -1
	s_waitcnt vmcnt(0)
	v_lshlrev_b32_e32 v2, 23, v4
	v_cvt_f64_f32_e32 v[2:3], v2
	v_cmp_ne_u32_e32 vcc, s14, v4
	v_cndmask_b32_e32 v2, v5, v2, vcc
	v_cndmask_b32_e32 v3, v6, v3, vcc
	v_cmp_ne_u32_e32 vcc, 0, v4
	v_cndmask_b32_e32 v3, v7, v3, vcc
	v_cndmask_b32_e32 v2, 0, v2, vcc
.LBB8_1143:
	s_branch .LBB8_1148
.LBB8_1144:
	s_mov_b64 s[0:1], -1
                                        ; implicit-def: $vgpr2_vgpr3
	s_branch .LBB8_1148
.LBB8_1145:
	s_cmp_eq_u32 s24, 29
	s_cbranch_scc0 .LBB8_1147
; %bb.1146:
	global_load_dwordx2 v[2:3], v[0:1], off
	s_mov_b64 s[0:1], 0
	s_mov_b64 s[16:17], -1
	s_mov_b64 s[14:15], 0
	s_waitcnt vmcnt(0)
	v_cvt_f64_u32_e32 v[3:4], v3
	v_cvt_f64_u32_e32 v[5:6], v2
	v_ldexp_f64 v[3:4], v[3:4], 32
	v_add_f64 v[2:3], v[3:4], v[5:6]
	s_branch .LBB8_1149
.LBB8_1147:
	s_mov_b64 s[0:1], -1
                                        ; implicit-def: $vgpr2_vgpr3
.LBB8_1148:
	s_mov_b64 s[14:15], 0
.LBB8_1149:
	s_and_b64 vcc, exec, s[14:15]
	s_cbranch_vccz .LBB8_1169
; %bb.1150:
	s_cmp_lt_i32 s24, 27
	s_cbranch_scc1 .LBB8_1153
; %bb.1151:
	s_cmp_gt_i32 s24, 27
	s_cbranch_scc0 .LBB8_1154
; %bb.1152:
	global_load_dword v2, v[0:1], off
	s_mov_b64 s[14:15], 0
	s_waitcnt vmcnt(0)
	v_cvt_f64_u32_e32 v[2:3], v2
	s_branch .LBB8_1155
.LBB8_1153:
	s_mov_b64 s[14:15], -1
                                        ; implicit-def: $vgpr2_vgpr3
	s_branch .LBB8_1158
.LBB8_1154:
	s_mov_b64 s[14:15], -1
                                        ; implicit-def: $vgpr2_vgpr3
.LBB8_1155:
	s_andn2_b64 vcc, exec, s[14:15]
	s_cbranch_vccnz .LBB8_1157
; %bb.1156:
	global_load_ushort v2, v[0:1], off
	s_waitcnt vmcnt(0)
	v_cvt_f64_u32_e32 v[2:3], v2
.LBB8_1157:
	s_mov_b64 s[14:15], 0
.LBB8_1158:
	s_andn2_b64 vcc, exec, s[14:15]
	s_cbranch_vccnz .LBB8_1168
; %bb.1159:
	global_load_ubyte v4, v[0:1], off
	s_movk_i32 s14, 0x7f
	s_waitcnt vmcnt(0)
	v_cmp_lt_i16_e32 vcc, s14, v4
	s_mov_b64 s[14:15], 0
	s_and_saveexec_b64 s[16:17], vcc
	s_xor_b64 s[16:17], exec, s[16:17]
	s_cbranch_execz .LBB8_1163
; %bb.1160:
	s_movk_i32 s14, 0x80
	v_cmp_eq_u16_e32 vcc, s14, v4
	s_mov_b64 s[14:15], -1
	s_and_saveexec_b64 s[18:19], vcc
; %bb.1161:
	s_xor_b64 s[14:15], exec, -1
; %bb.1162:
	s_or_b64 exec, exec, s[18:19]
	s_and_b64 s[14:15], s[14:15], exec
.LBB8_1163:
	s_or_saveexec_b64 s[16:17], s[16:17]
	v_bfrev_b32_e32 v2, 4
	v_mov_b32_e32 v3, 0x7ff80000
	s_xor_b64 exec, exec, s[16:17]
; %bb.1164:
	v_cmp_ne_u16_e32 vcc, 0, v4
	v_mov_b32_e32 v2, 0
	s_andn2_b64 s[14:15], s[14:15], exec
	s_and_b64 s[18:19], vcc, exec
	v_mov_b32_e32 v3, 0
	s_or_b64 s[14:15], s[14:15], s[18:19]
; %bb.1165:
	s_or_b64 exec, exec, s[16:17]
	s_and_saveexec_b64 s[16:17], s[14:15]
	s_cbranch_execz .LBB8_1167
; %bb.1166:
	v_and_b32_e32 v3, 0xffff, v4
	v_lshlrev_b32_e32 v2, 24, v4
	v_and_b32_e32 v4, 7, v3
	v_ffbh_u32_e32 v6, v4
	v_min_u32_e32 v6, 32, v6
	v_subrev_u32_e32 v7, 28, v6
	v_bfe_u32 v5, v3, 3, 4
	v_lshlrev_b32_e32 v3, v7, v3
	v_sub_u32_e32 v6, 29, v6
	v_and_b32_e32 v3, 7, v3
	v_cmp_eq_u32_e32 vcc, 0, v5
	v_cndmask_b32_e32 v5, v5, v6, vcc
	v_cndmask_b32_e32 v3, v4, v3, vcc
	v_mov_b32_e32 v4, 0x3b800000
	v_lshlrev_b32_e32 v3, 20, v3
	v_and_b32_e32 v2, 0x80000000, v2
	v_lshl_add_u32 v4, v5, 23, v4
	v_or3_b32 v2, v2, v4, v3
	v_cvt_f64_f32_e32 v[2:3], v2
.LBB8_1167:
	s_or_b64 exec, exec, s[16:17]
.LBB8_1168:
	s_mov_b64 s[16:17], -1
.LBB8_1169:
	s_branch .LBB8_1199
.LBB8_1170:
	s_cmp_gt_i32 s24, 22
	s_cbranch_scc0 .LBB8_1182
; %bb.1171:
	s_cmp_lt_i32 s24, 24
	s_cbranch_scc1 .LBB8_1183
; %bb.1172:
	s_cmp_gt_i32 s24, 24
	s_cbranch_scc0 .LBB8_1184
; %bb.1173:
	global_load_ubyte v4, v[0:1], off
	s_movk_i32 s12, 0x7f
	s_waitcnt vmcnt(0)
	v_cmp_lt_i16_e32 vcc, s12, v4
	s_mov_b64 s[12:13], 0
	s_and_saveexec_b64 s[14:15], vcc
	s_xor_b64 s[14:15], exec, s[14:15]
	s_cbranch_execz .LBB8_1177
; %bb.1174:
	s_movk_i32 s12, 0x80
	v_cmp_eq_u16_e32 vcc, s12, v4
	s_mov_b64 s[12:13], -1
	s_and_saveexec_b64 s[16:17], vcc
; %bb.1175:
	s_xor_b64 s[12:13], exec, -1
; %bb.1176:
	s_or_b64 exec, exec, s[16:17]
	s_and_b64 s[12:13], s[12:13], exec
.LBB8_1177:
	s_or_saveexec_b64 s[14:15], s[14:15]
	v_bfrev_b32_e32 v2, 4
	v_mov_b32_e32 v3, 0x7ff80000
	s_xor_b64 exec, exec, s[14:15]
; %bb.1178:
	v_cmp_ne_u16_e32 vcc, 0, v4
	v_mov_b32_e32 v2, 0
	s_andn2_b64 s[12:13], s[12:13], exec
	s_and_b64 s[16:17], vcc, exec
	v_mov_b32_e32 v3, 0
	s_or_b64 s[12:13], s[12:13], s[16:17]
; %bb.1179:
	s_or_b64 exec, exec, s[14:15]
	s_and_saveexec_b64 s[14:15], s[12:13]
	s_cbranch_execz .LBB8_1181
; %bb.1180:
	v_and_b32_e32 v3, 0xffff, v4
	v_lshlrev_b32_e32 v2, 24, v4
	v_and_b32_e32 v4, 3, v3
	v_ffbh_u32_e32 v6, v4
	v_min_u32_e32 v6, 32, v6
	v_subrev_u32_e32 v7, 29, v6
	v_bfe_u32 v5, v3, 2, 5
	v_lshlrev_b32_e32 v3, v7, v3
	v_sub_u32_e32 v6, 30, v6
	v_and_b32_e32 v3, 3, v3
	v_cmp_eq_u32_e32 vcc, 0, v5
	v_cndmask_b32_e32 v5, v5, v6, vcc
	v_cndmask_b32_e32 v3, v4, v3, vcc
	v_mov_b32_e32 v4, 0x37800000
	v_lshlrev_b32_e32 v3, 21, v3
	v_and_b32_e32 v2, 0x80000000, v2
	v_lshl_add_u32 v4, v5, 23, v4
	v_or3_b32 v2, v2, v4, v3
	v_cvt_f64_f32_e32 v[2:3], v2
.LBB8_1181:
	s_or_b64 exec, exec, s[14:15]
	s_mov_b64 s[12:13], 0
	s_branch .LBB8_1185
.LBB8_1182:
                                        ; implicit-def: $vgpr2_vgpr3
	s_mov_b64 s[12:13], 0
	s_branch .LBB8_1191
.LBB8_1183:
	s_mov_b64 s[12:13], -1
                                        ; implicit-def: $vgpr2_vgpr3
	s_branch .LBB8_1188
.LBB8_1184:
	s_mov_b64 s[12:13], -1
                                        ; implicit-def: $vgpr2_vgpr3
.LBB8_1185:
	s_and_b64 vcc, exec, s[12:13]
	s_cbranch_vccz .LBB8_1187
; %bb.1186:
	global_load_ubyte v2, v[0:1], off
	s_mov_b32 s12, 0x7f800000
	s_waitcnt vmcnt(0)
	v_lshlrev_b32_e32 v2, 24, v2
	v_and_b32_e32 v3, 0x7f000000, v2
	v_ffbh_u32_e32 v4, v3
	v_min_u32_e32 v4, 32, v4
	v_sub_u32_e64 v4, v4, 4 clamp
	v_lshlrev_b32_e32 v6, v4, v3
	v_lshlrev_b32_e32 v4, 23, v4
	v_lshrrev_b32_e32 v6, 4, v6
	v_add_u32_e32 v5, 0x1000000, v3
	v_sub_u32_e32 v4, v6, v4
	v_ashrrev_i32_e32 v5, 8, v5
	v_add_u32_e32 v4, 0x3c000000, v4
	v_and_or_b32 v4, v5, s12, v4
	v_cmp_ne_u32_e32 vcc, 0, v3
	v_cndmask_b32_e32 v3, 0, v4, vcc
	s_brev_b32 s12, 1
	v_and_or_b32 v2, v2, s12, v3
	v_cvt_f64_f32_e32 v[2:3], v2
.LBB8_1187:
	s_mov_b64 s[12:13], 0
.LBB8_1188:
	s_andn2_b64 vcc, exec, s[12:13]
	s_cbranch_vccnz .LBB8_1190
; %bb.1189:
	global_load_ubyte v2, v[0:1], off
	s_movk_i32 s12, 0x7f00
	s_brev_b32 s13, 16
	s_waitcnt vmcnt(0)
	v_lshlrev_b16_e32 v3, 8, v2
	v_lshlrev_b32_e32 v2, 25, v2
	v_lshrrev_b32_e32 v4, 4, v2
	v_and_or_b32 v5, v3, s12, 0.5
	v_or_b32_e32 v4, 0x70000000, v4
	v_add_f32_e32 v5, -0.5, v5
	v_mul_f32_e32 v4, 0x7800000, v4
	v_cmp_gt_u32_e32 vcc, s13, v2
	v_bfe_i32 v3, v3, 0, 16
	v_cndmask_b32_e32 v2, v4, v5, vcc
	s_brev_b32 s12, 1
	v_and_or_b32 v2, v3, s12, v2
	v_cvt_f64_f32_e32 v[2:3], v2
.LBB8_1190:
	s_mov_b64 s[16:17], -1
	s_mov_b64 s[12:13], 0
	s_cbranch_execnz .LBB8_1199
.LBB8_1191:
	s_cmp_gt_i32 s24, 14
	s_cbranch_scc0 .LBB8_1194
; %bb.1192:
	s_cmp_eq_u32 s24, 15
	s_cbranch_scc0 .LBB8_1195
; %bb.1193:
	global_load_ushort v2, v[0:1], off
	s_mov_b64 s[0:1], 0
	s_mov_b64 s[16:17], -1
	s_waitcnt vmcnt(0)
	v_lshlrev_b32_e32 v2, 16, v2
	v_cvt_f64_f32_e32 v[2:3], v2
	s_branch .LBB8_1196
.LBB8_1194:
	s_mov_b64 s[14:15], -1
                                        ; implicit-def: $vgpr2_vgpr3
	s_branch .LBB8_1197
.LBB8_1195:
	s_mov_b64 s[0:1], -1
                                        ; implicit-def: $vgpr2_vgpr3
.LBB8_1196:
	s_mov_b64 s[14:15], 0
.LBB8_1197:
	s_and_b64 vcc, exec, s[14:15]
	s_cbranch_vccz .LBB8_1199
; %bb.1198:
	s_cmp_lg_u32 s24, 11
	s_mov_b64 s[12:13], -1
	s_cselect_b64 s[0:1], -1, 0
.LBB8_1199:
	s_and_b64 vcc, exec, s[0:1]
	s_mov_b64 s[14:15], s[6:7]
	s_cbranch_vccnz .LBB8_1284
; %bb.1200:
	s_andn2_b64 vcc, exec, s[12:13]
	s_cbranch_vccnz .LBB8_1202
.LBB8_1201:
	global_load_ubyte v3, v[0:1], off
	v_mov_b32_e32 v4, 0x3ff00000
	v_mov_b32_e32 v2, 0
	s_mov_b64 s[16:17], -1
	s_waitcnt vmcnt(0)
	v_cmp_ne_u16_e32 vcc, 0, v3
	v_cndmask_b32_e32 v3, 0, v4, vcc
.LBB8_1202:
	s_branch .LBB8_1132
.LBB8_1203:
	s_cmp_lt_i32 s24, 5
	s_cbranch_scc1 .LBB8_1208
; %bb.1204:
	s_cmp_lt_i32 s24, 8
	s_cbranch_scc1 .LBB8_1209
; %bb.1205:
	;; [unrolled: 3-line block ×3, first 2 shown]
	s_cmp_gt_i32 s24, 9
	s_cbranch_scc0 .LBB8_1211
; %bb.1207:
	global_load_dwordx2 v[2:3], v[0:1], off
	s_mov_b64 s[0:1], 0
	s_branch .LBB8_1212
.LBB8_1208:
                                        ; implicit-def: $vgpr2_vgpr3
	s_branch .LBB8_1229
.LBB8_1209:
                                        ; implicit-def: $vgpr2_vgpr3
	s_branch .LBB8_1218
.LBB8_1210:
	s_mov_b64 s[0:1], -1
                                        ; implicit-def: $vgpr2_vgpr3
	s_branch .LBB8_1215
.LBB8_1211:
	s_mov_b64 s[0:1], -1
                                        ; implicit-def: $vgpr2_vgpr3
.LBB8_1212:
	s_andn2_b64 vcc, exec, s[0:1]
	s_cbranch_vccnz .LBB8_1214
; %bb.1213:
	global_load_dword v2, v[0:1], off
	s_waitcnt vmcnt(0)
	v_cvt_f64_f32_e32 v[2:3], v2
.LBB8_1214:
	s_mov_b64 s[0:1], 0
.LBB8_1215:
	s_andn2_b64 vcc, exec, s[0:1]
	s_cbranch_vccnz .LBB8_1217
; %bb.1216:
	global_load_dword v2, v[0:1], off
	s_waitcnt vmcnt(0)
	v_cvt_f32_f16_e32 v2, v2
	v_cvt_f64_f32_e32 v[2:3], v2
.LBB8_1217:
	s_cbranch_execnz .LBB8_1228
.LBB8_1218:
	s_cmp_lt_i32 s24, 6
	s_cbranch_scc1 .LBB8_1221
; %bb.1219:
	s_cmp_gt_i32 s24, 6
	s_cbranch_scc0 .LBB8_1222
; %bb.1220:
	global_load_dwordx2 v[2:3], v[0:1], off
	s_mov_b64 s[0:1], 0
	s_branch .LBB8_1223
.LBB8_1221:
	s_mov_b64 s[0:1], -1
                                        ; implicit-def: $vgpr2_vgpr3
	s_branch .LBB8_1226
.LBB8_1222:
	s_mov_b64 s[0:1], -1
                                        ; implicit-def: $vgpr2_vgpr3
.LBB8_1223:
	s_andn2_b64 vcc, exec, s[0:1]
	s_cbranch_vccnz .LBB8_1225
; %bb.1224:
	global_load_dword v2, v[0:1], off
	s_waitcnt vmcnt(0)
	v_cvt_f64_f32_e32 v[2:3], v2
.LBB8_1225:
	s_mov_b64 s[0:1], 0
.LBB8_1226:
	s_andn2_b64 vcc, exec, s[0:1]
	s_cbranch_vccnz .LBB8_1228
; %bb.1227:
	global_load_ushort v2, v[0:1], off
	s_waitcnt vmcnt(0)
	v_cvt_f32_f16_e32 v2, v2
	v_cvt_f64_f32_e32 v[2:3], v2
.LBB8_1228:
	s_cbranch_execnz .LBB8_1247
.LBB8_1229:
	s_cmp_lt_i32 s24, 2
	s_cbranch_scc1 .LBB8_1233
; %bb.1230:
	s_cmp_lt_i32 s24, 3
	s_cbranch_scc1 .LBB8_1234
; %bb.1231:
	s_cmp_gt_i32 s24, 3
	s_cbranch_scc0 .LBB8_1235
; %bb.1232:
	global_load_dwordx2 v[2:3], v[0:1], off
	s_mov_b64 s[0:1], 0
	s_waitcnt vmcnt(0)
	v_cvt_f64_i32_e32 v[3:4], v3
	v_cvt_f64_u32_e32 v[5:6], v2
	v_ldexp_f64 v[3:4], v[3:4], 32
	v_add_f64 v[2:3], v[3:4], v[5:6]
	s_branch .LBB8_1236
.LBB8_1233:
                                        ; implicit-def: $vgpr2_vgpr3
	s_branch .LBB8_1242
.LBB8_1234:
	s_mov_b64 s[0:1], -1
                                        ; implicit-def: $vgpr2_vgpr3
	s_branch .LBB8_1239
.LBB8_1235:
	s_mov_b64 s[0:1], -1
                                        ; implicit-def: $vgpr2_vgpr3
.LBB8_1236:
	s_andn2_b64 vcc, exec, s[0:1]
	s_cbranch_vccnz .LBB8_1238
; %bb.1237:
	global_load_dword v2, v[0:1], off
	s_waitcnt vmcnt(0)
	v_cvt_f64_i32_e32 v[2:3], v2
.LBB8_1238:
	s_mov_b64 s[0:1], 0
.LBB8_1239:
	s_andn2_b64 vcc, exec, s[0:1]
	s_cbranch_vccnz .LBB8_1241
; %bb.1240:
	global_load_sshort v2, v[0:1], off
	s_waitcnt vmcnt(0)
	v_cvt_f64_i32_e32 v[2:3], v2
.LBB8_1241:
	s_cbranch_execnz .LBB8_1247
.LBB8_1242:
	s_cmp_gt_i32 s24, 0
	s_cbranch_scc0 .LBB8_1244
; %bb.1243:
	global_load_sbyte v2, v[0:1], off
	s_mov_b64 s[0:1], 0
	s_waitcnt vmcnt(0)
	v_cvt_f64_i32_e32 v[2:3], v2
	s_branch .LBB8_1245
.LBB8_1244:
	s_mov_b64 s[0:1], -1
                                        ; implicit-def: $vgpr2_vgpr3
.LBB8_1245:
	s_andn2_b64 vcc, exec, s[0:1]
	s_cbranch_vccnz .LBB8_1247
; %bb.1246:
	global_load_ubyte v0, v[0:1], off
	s_waitcnt vmcnt(0)
	v_cvt_f64_u32_e32 v[2:3], v0
.LBB8_1247:
.LBB8_1248:
	s_waitcnt vmcnt(0)
	v_cmp_neq_f64_e32 vcc, 0, v[2:3]
                                        ; implicit-def: $vgpr0_vgpr1
	s_and_saveexec_b64 s[0:1], vcc
	s_xor_b64 s[12:13], exec, s[0:1]
	s_cbranch_execz .LBB8_1270
; %bb.1249:
	v_cmp_gt_f64_e32 vcc, 0, v[2:3]
	v_mov_b32_e32 v4, 0
	v_mov_b32_e32 v5, 0
	s_mov_b64 s[18:19], -1
	s_and_saveexec_b64 s[16:17], vcc
	s_cbranch_execz .LBB8_1257
; %bb.1250:
	v_trunc_f64_e32 v[0:1], v[2:3]
	v_mov_b32_e32 v4, 0
	v_mov_b32_e32 v5, 0
	s_mov_b64 s[20:21], 0
	v_cmp_neq_f64_e32 vcc, v[2:3], v[0:1]
	s_and_saveexec_b64 s[18:19], vcc
	s_cbranch_execz .LBB8_1256
; %bb.1251:
	v_add_f64 v[0:1], v[2:3], -v[0:1]
	s_mov_b32 s0, 0
	s_mov_b32 s21, 0xc00921fb
	s_mov_b32 s20, 0x54442d18
	s_mov_b32 s1, 0x7ff00000
	v_cmp_neq_f64_e64 vcc, |v[2:3]|, s[0:1]
	v_bfrev_b32_e32 v4, 1
	s_mov_b32 s22, 0
	v_mul_f64 v[0:1], |v[0:1]|, s[20:21]
	s_mov_b32 s23, 0x41d00000
                                        ; implicit-def: $vgpr9
                                        ; implicit-def: $vgpr6_vgpr7
	v_cndmask_b32_e32 v1, v4, v1, vcc
	v_cndmask_b32_e32 v0, 0, v0, vcc
	v_cmp_nlt_f64_e64 s[22:23], |v[0:1]|, s[22:23]
                                        ; implicit-def: $vgpr4_vgpr5
	s_and_saveexec_b64 s[26:27], s[22:23]
	s_xor_b64 s[22:23], exec, s[26:27]
	s_cbranch_execz .LBB8_1253
; %bb.1252:
	v_trig_preop_f64 v[4:5], |v[0:1]|, 0
	s_mov_b32 s26, 0
	s_mov_b32 s27, 0x7b000000
	s_movk_i32 s21, 0xff80
	v_ldexp_f64 v[9:10], |v[0:1]|, s21
	v_cmp_ge_f64_e64 vcc, |v[0:1]|, s[26:27]
	v_trig_preop_f64 v[6:7], |v[0:1]|, 1
	v_and_b32_e32 v11, 0x7fffffff, v1
	v_trig_preop_f64 v[19:20], |v[0:1]|, 2
	v_mov_b32_e32 v13, 0x40100000
	v_mov_b32_e32 v29, 0
	s_mov_b32 s21, 0x3ff921fb
	v_cndmask_b32_e32 v10, v11, v10, vcc
	v_cndmask_b32_e32 v9, v0, v9, vcc
	v_mul_f64 v[11:12], v[4:5], v[9:10]
	v_mul_f64 v[15:16], v[6:7], v[9:10]
	;; [unrolled: 1-line block ×3, first 2 shown]
	v_fma_f64 v[4:5], v[4:5], v[9:10], -v[11:12]
	v_fma_f64 v[6:7], v[6:7], v[9:10], -v[15:16]
	;; [unrolled: 1-line block ×3, first 2 shown]
	v_add_f64 v[17:18], v[15:16], v[4:5]
	v_add_f64 v[21:22], v[17:18], -v[15:16]
	v_add_f64 v[27:28], v[11:12], v[17:18]
	v_add_f64 v[23:24], v[17:18], -v[21:22]
	v_add_f64 v[4:5], v[4:5], -v[21:22]
	v_add_f64 v[21:22], v[25:26], v[6:7]
	v_add_f64 v[11:12], v[27:28], -v[11:12]
	v_add_f64 v[15:16], v[15:16], -v[23:24]
	v_ldexp_f64 v[23:24], v[27:28], -2
	v_add_f64 v[31:32], v[21:22], -v[25:26]
	v_add_f64 v[11:12], v[17:18], -v[11:12]
	v_add_f64 v[4:5], v[4:5], v[15:16]
	v_fract_f64_e32 v[15:16], v[23:24]
	v_cmp_neq_f64_e64 vcc, |v[23:24]|, s[0:1]
	v_add_f64 v[6:7], v[6:7], -v[31:32]
	v_add_f64 v[17:18], v[21:22], v[4:5]
	v_ldexp_f64 v[15:16], v[15:16], 2
	v_add_f64 v[23:24], v[11:12], v[17:18]
	v_cndmask_b32_e32 v16, 0, v16, vcc
	v_cndmask_b32_e32 v15, 0, v15, vcc
	v_add_f64 v[33:34], v[17:18], -v[21:22]
	v_add_f64 v[27:28], v[23:24], v[15:16]
	v_add_f64 v[11:12], v[23:24], -v[11:12]
	v_add_f64 v[35:36], v[17:18], -v[33:34]
	;; [unrolled: 1-line block ×3, first 2 shown]
	v_cmp_gt_f64_e32 vcc, 0, v[27:28]
	v_add_f64 v[27:28], v[21:22], -v[31:32]
	v_add_f64 v[11:12], v[17:18], -v[11:12]
	;; [unrolled: 1-line block ×3, first 2 shown]
	v_cndmask_b32_e32 v30, 0, v13, vcc
	v_add_f64 v[15:16], v[15:16], v[29:30]
	v_add_f64 v[27:28], v[25:26], -v[27:28]
	v_add_f64 v[4:5], v[4:5], v[21:22]
	v_add_f64 v[37:38], v[23:24], v[15:16]
	;; [unrolled: 1-line block ×3, first 2 shown]
	v_cvt_i32_f64_e32 v13, v[37:38]
	v_add_f64 v[4:5], v[6:7], v[4:5]
	v_cvt_f64_i32_e32 v[30:31], v13
	v_add_f64 v[15:16], v[15:16], -v[30:31]
	v_add_f64 v[4:5], v[9:10], v[4:5]
	v_add_f64 v[6:7], v[23:24], v[15:16]
	;; [unrolled: 1-line block ×3, first 2 shown]
	v_mov_b32_e32 v12, 0x3ff00000
	v_add_f64 v[9:10], v[6:7], -v[15:16]
	v_cmp_le_f64_e32 vcc, 0.5, v[6:7]
	v_add_f64 v[10:11], v[23:24], -v[9:10]
	v_cndmask_b32_e32 v30, 0, v12, vcc
	v_add_f64 v[6:7], v[6:7], -v[29:30]
	v_addc_co_u32_e64 v9, s[0:1], 0, v13, vcc
	s_mov_b32 s0, 0x33145c07
	s_mov_b32 s1, 0x3c91a626
	v_add_f64 v[4:5], v[4:5], v[10:11]
	v_add_f64 v[10:11], v[6:7], v[4:5]
	v_mul_f64 v[12:13], v[10:11], s[20:21]
	v_add_f64 v[6:7], v[10:11], -v[6:7]
	v_fma_f64 v[15:16], v[10:11], s[20:21], -v[12:13]
	v_add_f64 v[4:5], v[4:5], -v[6:7]
	v_fma_f64 v[6:7], v[10:11], s[0:1], v[15:16]
	v_fma_f64 v[6:7], v[4:5], s[20:21], v[6:7]
	v_add_f64 v[4:5], v[12:13], v[6:7]
	v_add_f64 v[10:11], v[4:5], -v[12:13]
	v_add_f64 v[6:7], v[6:7], -v[10:11]
.LBB8_1253:
	s_andn2_saveexec_b64 s[0:1], s[22:23]
	s_cbranch_execz .LBB8_1255
; %bb.1254:
	s_mov_b32 s20, 0x6dc9c883
	s_mov_b32 s21, 0x3fe45f30
	v_mul_f64 v[4:5], |v[0:1]|, s[20:21]
	s_mov_b32 s20, 0x54442d18
	s_mov_b32 s21, 0xbff921fb
	;; [unrolled: 1-line block ×4, first 2 shown]
	v_rndne_f64_e32 v[9:10], v[4:5]
	v_fma_f64 v[4:5], v[9:10], s[20:21], |v[0:1]|
	v_mul_f64 v[6:7], v[9:10], s[22:23]
	s_mov_b32 s20, 0x252049c0
	s_mov_b32 s21, 0xb97b839a
	v_fma_f64 v[17:18], v[9:10], s[22:23], v[4:5]
	v_add_f64 v[11:12], v[4:5], v[6:7]
	s_mov_b32 s23, 0x3c91a626
	v_add_f64 v[15:16], v[4:5], -v[11:12]
	v_add_f64 v[11:12], v[11:12], -v[17:18]
	v_add_f64 v[4:5], v[15:16], v[6:7]
	v_fma_f64 v[6:7], v[9:10], s[22:23], v[6:7]
	v_add_f64 v[4:5], v[11:12], v[4:5]
	v_add_f64 v[4:5], v[4:5], -v[6:7]
	v_fma_f64 v[6:7], v[9:10], s[20:21], v[4:5]
	v_cvt_i32_f64_e32 v9, v[9:10]
	v_add_f64 v[4:5], v[17:18], v[6:7]
	v_add_f64 v[11:12], v[4:5], -v[17:18]
	v_add_f64 v[6:7], v[6:7], -v[11:12]
.LBB8_1255:
	s_or_b64 exec, exec, s[0:1]
	v_mul_f64 v[10:11], v[4:5], v[4:5]
	v_add_f64 v[12:13], v[6:7], v[6:7]
	s_mov_b32 s0, 0xc751c08c
	s_mov_b32 s1, 0x3ef5e089
	v_and_b32_e32 v9, 1, v9
	v_cmp_eq_u32_e32 vcc, 0, v9
	s_mov_b32 s22, 0x54442d18
	s_mov_b32 s23, 0xc00921fb
	v_fma_f64 v[15:16], v[4:5], v[4:5], -v[10:11]
	v_add_f64 v[2:3], -v[2:3], 1.0
	s_mov_b64 s[20:21], exec
	v_fma_f64 v[12:13], v[4:5], v[12:13], v[15:16]
	v_add_f64 v[10:11], v[10:11], v[12:13]
	v_mov_b32_e32 v12, 0xa9a29f71
	v_mov_b32_e32 v13, 0xbf078809
	v_fma_f64 v[12:13], v[10:11], s[0:1], v[12:13]
	s_mov_b32 s0, 0x90a8aae0
	s_mov_b32 s1, 0x3f17746f
	v_fma_f64 v[12:13], v[10:11], v[12:13], s[0:1]
	s_mov_b32 s0, 0xa6fbf144
	s_mov_b32 s1, 0xbefbb44d
	v_fma_f64 v[12:13], v[10:11], v[12:13], s[0:1]
	s_mov_b32 s0, 0xa7943acf
	s_mov_b32 s1, 0x3f21e634
	v_fma_f64 v[12:13], v[10:11], v[12:13], s[0:1]
	s_mov_b32 s0, 0xdeb68feb
	s_mov_b32 s1, 0x3f2d250f
	v_fma_f64 v[12:13], v[10:11], v[12:13], s[0:1]
	s_mov_b32 s0, 0xb58c4d95
	s_mov_b32 s1, 0x3f437fd9
	v_fma_f64 v[12:13], v[10:11], v[12:13], s[0:1]
	s_mov_b32 s0, 0x15120e2c
	s_mov_b32 s1, 0x3f57d5af
	v_fma_f64 v[12:13], v[10:11], v[12:13], s[0:1]
	s_mov_b32 s0, 0xe09491df
	s_mov_b32 s1, 0x3f6d6d93
	v_fma_f64 v[12:13], v[10:11], v[12:13], s[0:1]
	s_mov_b32 s0, 0x2033784d
	s_mov_b32 s1, 0x3f8226e1
	v_fma_f64 v[12:13], v[10:11], v[12:13], s[0:1]
	s_mov_b32 s0, 0x9ac36ae2
	s_mov_b32 s1, 0x3f9664f4
	v_fma_f64 v[12:13], v[10:11], v[12:13], s[0:1]
	s_mov_b32 s0, 0x1b451c21
	s_mov_b32 s1, 0x3faba1ba
	v_fma_f64 v[12:13], v[10:11], v[12:13], s[0:1]
	s_mov_b32 s0, 0x111185b7
	s_mov_b32 s1, 0x3fc11111
	v_fma_f64 v[12:13], v[10:11], v[12:13], s[0:1]
	s_mov_b32 s0, 0x555554ee
	s_mov_b32 s1, 0x3fd55555
	v_fma_f64 v[12:13], v[10:11], v[12:13], s[0:1]
	s_movk_i32 s0, 0x1f8
	v_cmp_class_f64_e64 s[0:1], v[0:1], s0
	v_mul_f64 v[10:11], v[10:11], v[12:13]
	v_mul_f64 v[12:13], v[4:5], v[10:11]
	v_add_f64 v[15:16], v[4:5], v[12:13]
	v_fma_f64 v[10:11], v[4:5], v[10:11], -v[12:13]
	v_add_f64 v[4:5], v[15:16], -v[4:5]
	v_add_f64 v[6:7], v[6:7], v[10:11]
	v_add_f64 v[4:5], v[12:13], -v[4:5]
	v_add_f64 v[4:5], v[6:7], v[4:5]
	v_add_f64 v[6:7], v[15:16], v[4:5]
	v_rcp_f64_e32 v[10:11], v[6:7]
	v_fma_f64 v[12:13], -v[6:7], v[10:11], 1.0
	v_fma_f64 v[10:11], v[12:13], v[10:11], v[10:11]
	v_fma_f64 v[12:13], -v[6:7], v[10:11], 1.0
	v_fma_f64 v[10:11], v[12:13], v[10:11], v[10:11]
	v_add_f64 v[12:13], v[6:7], -v[15:16]
	v_mul_f64 v[15:16], v[6:7], v[10:11]
	v_add_f64 v[4:5], v[4:5], -v[12:13]
	v_fma_f64 v[12:13], v[10:11], v[6:7], -v[15:16]
	v_fma_f64 v[4:5], v[10:11], v[4:5], v[12:13]
	v_add_f64 v[12:13], v[15:16], v[4:5]
	v_add_f64 v[17:18], -v[12:13], 1.0
	v_add_f64 v[15:16], v[12:13], -v[15:16]
	v_add_f64 v[19:20], -v[17:18], 1.0
	v_add_f64 v[4:5], v[15:16], -v[4:5]
	v_add_f64 v[12:13], v[19:20], -v[12:13]
	v_add_f64 v[4:5], v[4:5], v[12:13]
	v_add_f64 v[4:5], v[17:18], v[4:5]
	v_mul_f64 v[4:5], v[10:11], v[4:5]
	v_add_f64 v[4:5], v[10:11], v[4:5]
	v_and_b32_e32 v10, 0x80000000, v1
	v_mov_b32_e32 v1, 0x7ff80000
	v_xor_b32_e32 v0, 0x80000000, v5
	v_cndmask_b32_e32 v4, v4, v6, vcc
	v_cndmask_b32_e32 v5, v0, v7, vcc
	v_cndmask_b32_e64 v0, 0, v4, s[0:1]
	v_xor_b32_e32 v4, v5, v10
	v_cndmask_b32_e64 v1, v1, v4, s[0:1]
	v_div_scale_f64 v[4:5], s[0:1], v[0:1], v[0:1], s[22:23]
	v_rcp_f64_e32 v[6:7], v[4:5]
	v_fma_f64 v[9:10], -v[4:5], v[6:7], 1.0
	v_fma_f64 v[6:7], v[6:7], v[9:10], v[6:7]
	v_div_scale_f64 v[9:10], vcc, s[22:23], v[0:1], s[22:23]
	v_fma_f64 v[11:12], -v[4:5], v[6:7], 1.0
	v_fma_f64 v[6:7], v[6:7], v[11:12], v[6:7]
	v_mul_f64 v[11:12], v[9:10], v[6:7]
	v_fma_f64 v[4:5], -v[4:5], v[11:12], v[9:10]
	v_div_fmas_f64 v[4:5], v[4:5], v[6:7], v[11:12]
	v_div_fixup_f64 v[4:5], v[4:5], v[0:1], s[22:23]
.LBB8_1256:
	s_or_b64 exec, exec, s[18:19]
	s_orn2_b64 s[18:19], s[20:21], exec
.LBB8_1257:
	s_or_b64 exec, exec, s[16:17]
	v_mov_b32_e32 v0, 0
	v_mov_b32_e32 v1, 0x7ff80000
	s_and_saveexec_b64 s[0:1], s[18:19]
	s_cbranch_execz .LBB8_1269
; %bb.1258:
	s_mov_b32 s18, 0
	s_mov_b32 s19, 0x40240000
	v_cmp_gt_f64_e32 vcc, s[18:19], v[2:3]
	s_and_saveexec_b64 s[16:17], vcc
	s_cbranch_execz .LBB8_1262
; %bb.1259:
	s_mov_b64 s[20:21], 0
.LBB8_1260:                             ; =>This Inner Loop Header: Depth=1
	v_div_scale_f64 v[0:1], s[22:23], v[2:3], v[2:3], 1.0
	v_rcp_f64_e32 v[6:7], v[0:1]
	v_fma_f64 v[9:10], -v[0:1], v[6:7], 1.0
	v_fma_f64 v[6:7], v[6:7], v[9:10], v[6:7]
	v_div_scale_f64 v[9:10], vcc, 1.0, v[2:3], 1.0
	v_fma_f64 v[11:12], -v[0:1], v[6:7], 1.0
	v_fma_f64 v[6:7], v[6:7], v[11:12], v[6:7]
	v_mul_f64 v[11:12], v[9:10], v[6:7]
	v_fma_f64 v[0:1], -v[0:1], v[11:12], v[9:10]
	v_div_fmas_f64 v[0:1], v[0:1], v[6:7], v[11:12]
	v_div_fixup_f64 v[0:1], v[0:1], v[2:3], 1.0
	v_add_f64 v[2:3], v[2:3], 1.0
	v_add_f64 v[4:5], v[4:5], -v[0:1]
	v_cmp_ngt_f64_e32 vcc, s[18:19], v[2:3]
	s_or_b64 s[20:21], vcc, s[20:21]
	s_andn2_b64 exec, exec, s[20:21]
	s_cbranch_execnz .LBB8_1260
; %bb.1261:
	s_or_b64 exec, exec, s[20:21]
.LBB8_1262:
	s_or_b64 exec, exec, s[16:17]
	s_mov_b32 s16, 0
	s_mov_b32 s17, 0x40240000
	v_cmp_neq_f64_e32 vcc, s[16:17], v[2:3]
                                        ; implicit-def: $vgpr0_vgpr1
	s_and_saveexec_b64 s[16:17], vcc
	s_xor_b64 s[16:17], exec, s[16:17]
	s_cbranch_execz .LBB8_1266
; %bb.1263:
	s_mov_b32 s18, 0x85d8a000
	s_mov_b32 s19, 0x43763457
	v_cmp_gt_f64_e32 vcc, s[18:19], v[2:3]
	v_mov_b32_e32 v0, 0
	v_mov_b32_e32 v1, 0
	s_and_saveexec_b64 s[18:19], vcc
	s_cbranch_execz .LBB8_1265
; %bb.1264:
	v_mul_f64 v[0:1], v[2:3], v[2:3]
	s_mov_b32 s22, 0x95995996
	s_mov_b32 s23, 0xbf959959
	;; [unrolled: 1-line block ×4, first 2 shown]
	v_div_scale_f64 v[6:7], s[20:21], v[0:1], v[0:1], 1.0
	v_div_scale_f64 v[15:16], vcc, 1.0, v[0:1], 1.0
	s_mov_b32 s20, 0x55555555
	s_mov_b32 s21, 0x3fb55555
	v_rcp_f64_e32 v[9:10], v[6:7]
	v_fma_f64 v[11:12], -v[6:7], v[9:10], 1.0
	v_fma_f64 v[9:10], v[9:10], v[11:12], v[9:10]
	v_fma_f64 v[11:12], -v[6:7], v[9:10], 1.0
	v_fma_f64 v[9:10], v[9:10], v[11:12], v[9:10]
	v_mul_f64 v[11:12], v[15:16], v[9:10]
	v_fma_f64 v[6:7], -v[6:7], v[11:12], v[15:16]
	v_div_fmas_f64 v[6:7], v[6:7], v[9:10], v[11:12]
	v_div_fixup_f64 v[0:1], v[6:7], v[0:1], 1.0
	v_fma_f64 v[6:7], v[0:1], 0, s[20:21]
	v_fma_f64 v[6:7], v[0:1], v[6:7], s[22:23]
	s_mov_b32 s22, 0xf07c1f08
	s_mov_b32 s23, 0x3f7f07c1
	v_fma_f64 v[6:7], v[0:1], v[6:7], s[22:23]
	s_mov_b32 s23, 0xbf711111
	s_mov_b32 s22, 0x11111111
	v_fma_f64 v[6:7], v[0:1], v[6:7], s[22:23]
	s_mov_b32 s23, 0xbf811111
	v_fma_f64 v[6:7], v[0:1], v[6:7], s[26:27]
	v_fma_f64 v[6:7], v[0:1], v[6:7], s[22:23]
	;; [unrolled: 1-line block ×3, first 2 shown]
	v_mul_f64 v[0:1], v[0:1], v[6:7]
.LBB8_1265:
	s_or_b64 exec, exec, s[18:19]
	v_frexp_mant_f64_e32 v[6:7], v[2:3]
	s_mov_b32 s19, 0x3fe55555
	s_mov_b32 s18, 0x55555555
	;; [unrolled: 1-line block ×4, first 2 shown]
	v_frexp_exp_i32_f64_e32 v13, v[2:3]
	v_cmp_gt_f64_e32 vcc, s[18:19], v[6:7]
	s_mov_b32 s18, 0x55555780
	v_cndmask_b32_e64 v9, 0, 1, vcc
	v_ldexp_f64 v[6:7], v[6:7], v9
	v_subbrev_co_u32_e32 v13, vcc, 0, v13, vcc
	v_add_f64 v[9:10], v[6:7], 1.0
	v_add_f64 v[17:18], v[6:7], -1.0
	v_rcp_f64_e32 v[11:12], v[9:10]
	v_add_f64 v[19:20], v[9:10], -1.0
	v_add_f64 v[6:7], v[6:7], -v[19:20]
	v_fma_f64 v[15:16], -v[9:10], v[11:12], 1.0
	v_fma_f64 v[11:12], v[15:16], v[11:12], v[11:12]
	v_fma_f64 v[15:16], -v[9:10], v[11:12], 1.0
	v_fma_f64 v[11:12], v[15:16], v[11:12], v[11:12]
	v_mul_f64 v[15:16], v[17:18], v[11:12]
	v_mul_f64 v[21:22], v[9:10], v[15:16]
	v_fma_f64 v[9:10], v[15:16], v[9:10], -v[21:22]
	v_fma_f64 v[6:7], v[15:16], v[6:7], v[9:10]
	v_add_f64 v[9:10], v[21:22], v[6:7]
	v_add_f64 v[19:20], v[17:18], -v[9:10]
	v_add_f64 v[21:22], v[9:10], -v[21:22]
	;; [unrolled: 1-line block ×5, first 2 shown]
	v_mov_b32_e32 v17, 0x6b47b09a
	v_mov_b32_e32 v18, 0x3fc38538
	v_add_f64 v[6:7], v[6:7], v[9:10]
	v_add_f64 v[6:7], v[19:20], v[6:7]
	v_mul_f64 v[6:7], v[11:12], v[6:7]
	v_add_f64 v[9:10], v[15:16], v[6:7]
	v_mul_f64 v[11:12], v[9:10], v[9:10]
	v_fma_f64 v[17:18], v[11:12], s[20:21], v[17:18]
	s_mov_b32 s20, 0xd7f4df2e
	s_mov_b32 s21, 0x3fc7474d
	v_mul_f64 v[19:20], v[9:10], v[11:12]
	v_fma_f64 v[17:18], v[11:12], v[17:18], s[20:21]
	s_mov_b32 s20, 0x16291751
	s_mov_b32 s21, 0x3fcc71c0
	v_fma_f64 v[17:18], v[11:12], v[17:18], s[20:21]
	s_mov_b32 s20, 0x9b27acf1
	s_mov_b32 s21, 0x3fd24924
	;; [unrolled: 3-line block ×3, first 2 shown]
	v_fma_f64 v[17:18], v[11:12], v[17:18], s[20:21]
	v_fma_f64 v[11:12], v[11:12], v[17:18], s[18:19]
	v_ldexp_f64 v[17:18], v[9:10], 1
	v_add_f64 v[9:10], v[9:10], -v[15:16]
	s_mov_b32 s18, 0xfefa39ef
	s_mov_b32 s19, 0x3fe62e42
	v_mul_f64 v[11:12], v[19:20], v[11:12]
	v_cvt_f64_i32_e32 v[19:20], v13
	v_add_f64 v[6:7], v[6:7], -v[9:10]
	v_mul_f64 v[21:22], v[19:20], s[18:19]
	v_add_f64 v[15:16], v[17:18], v[11:12]
	v_ldexp_f64 v[6:7], v[6:7], 1
	v_add_f64 v[9:10], v[15:16], -v[17:18]
	v_fma_f64 v[17:18], v[19:20], s[18:19], -v[21:22]
	s_mov_b32 s18, 0x3b39803f
	s_mov_b32 s19, 0x3c7abc9e
	v_add_f64 v[9:10], v[11:12], -v[9:10]
	v_fma_f64 v[11:12], v[19:20], s[18:19], v[17:18]
	v_add_f64 v[6:7], v[6:7], v[9:10]
	v_div_scale_f64 v[9:10], s[18:19], v[2:3], v[2:3], -0.5
	v_add_f64 v[17:18], v[21:22], v[11:12]
	s_movk_i32 s18, 0x204
	v_add_f64 v[19:20], v[15:16], v[6:7]
	v_add_f64 v[21:22], v[17:18], -v[21:22]
	v_add_f64 v[23:24], v[17:18], v[19:20]
	v_rcp_f64_e32 v[25:26], v[9:10]
	v_add_f64 v[15:16], v[19:20], -v[15:16]
	v_add_f64 v[11:12], v[11:12], -v[21:22]
	;; [unrolled: 1-line block ×5, first 2 shown]
	v_fma_f64 v[31:32], -v[9:10], v[25:26], 1.0
	v_add_f64 v[15:16], v[19:20], -v[27:28]
	v_add_f64 v[21:22], v[11:12], v[6:7]
	v_add_f64 v[17:18], v[17:18], -v[29:30]
	v_fma_f64 v[19:20], v[25:26], v[31:32], v[25:26]
	v_add_f64 v[27:28], v[21:22], -v[11:12]
	v_add_f64 v[15:16], v[15:16], v[17:18]
	v_div_scale_f64 v[17:18], vcc, -0.5, v[2:3], -0.5
	v_fma_f64 v[25:26], -v[9:10], v[19:20], 1.0
	v_add_f64 v[6:7], v[6:7], -v[27:28]
	v_add_f64 v[15:16], v[21:22], v[15:16]
	v_add_f64 v[21:22], v[21:22], -v[27:28]
	v_fma_f64 v[19:20], v[19:20], v[25:26], v[19:20]
	v_add_f64 v[25:26], v[23:24], v[15:16]
	v_add_f64 v[11:12], v[11:12], -v[21:22]
	v_mul_f64 v[29:30], v[17:18], v[19:20]
	v_add_f64 v[21:22], v[25:26], -v[23:24]
	v_add_f64 v[6:7], v[6:7], v[11:12]
	v_fma_f64 v[9:10], -v[9:10], v[29:30], v[17:18]
	v_add_f64 v[11:12], v[15:16], -v[21:22]
	v_div_fmas_f64 v[9:10], v[9:10], v[19:20], v[29:30]
	v_cmp_class_f64_e64 vcc, v[2:3], s18
	v_add_f64 v[6:7], v[6:7], v[11:12]
	v_add_f64 v[6:7], v[25:26], v[6:7]
	v_div_fixup_f64 v[9:10], v[9:10], v[2:3], -0.5
	v_cndmask_b32_e32 v3, v7, v3, vcc
	v_cndmask_b32_e32 v2, v6, v2, vcc
	v_add_f64 v[2:3], v[2:3], v[9:10]
	v_add_f64 v[0:1], v[2:3], -v[0:1]
	v_add_f64 v[0:1], v[4:5], v[0:1]
                                        ; implicit-def: $vgpr4_vgpr5
.LBB8_1266:
	s_andn2_saveexec_b64 s[16:17], s[16:17]
	s_cbranch_execz .LBB8_1268
; %bb.1267:
	s_mov_b32 s18, 0xdc85cc95
	s_mov_b32 s19, 0x40020396
	v_add_f64 v[0:1], v[4:5], s[18:19]
.LBB8_1268:
	s_or_b64 exec, exec, s[16:17]
.LBB8_1269:
	s_or_b64 exec, exec, s[0:1]
                                        ; implicit-def: $vgpr2_vgpr3
.LBB8_1270:
	s_andn2_saveexec_b64 s[0:1], s[12:13]
; %bb.1271:
	v_xor_b32_e32 v0, 0x80000000, v3
	s_brev_b32 s12, -2
	v_mov_b32_e32 v1, 0x7ff00000
	v_bfi_b32 v1, s12, v1, v0
	v_mov_b32_e32 v0, 0
; %bb.1272:
	s_or_b64 exec, exec, s[0:1]
	s_lshl_b32 s3, s3, 7
	v_add_u32_e32 v10, s3, v8
	v_ashrrev_i32_e32 v2, 31, v10
	v_mov_b32_e32 v3, s11
	v_add_co_u32_e32 v4, vcc, s10, v10
	s_cmp_lt_i32 s24, 11
	v_addc_co_u32_e32 v5, vcc, v3, v2, vcc
	s_cbranch_scc1 .LBB8_1279
; %bb.1273:
	s_cmp_gt_i32 s24, 25
	s_mov_b64 s[12:13], 0
	s_cbranch_scc0 .LBB8_1281
; %bb.1274:
	s_cmp_gt_i32 s24, 28
	s_cbranch_scc0 .LBB8_1282
; %bb.1275:
	s_cmp_gt_i32 s24, 43
	;; [unrolled: 3-line block ×3, first 2 shown]
	s_cbranch_scc0 .LBB8_1285
; %bb.1277:
	s_cmp_eq_u32 s24, 46
	s_mov_b64 s[18:19], 0
	s_cbranch_scc0 .LBB8_1288
; %bb.1278:
	global_load_dword v2, v[4:5], off
	s_mov_b64 s[0:1], 0
	s_mov_b64 s[16:17], -1
	s_waitcnt vmcnt(0)
	v_lshlrev_b32_e32 v2, 16, v2
	v_cvt_f64_f32_e32 v[2:3], v2
	s_branch .LBB8_1289
.LBB8_1279:
	s_mov_b64 s[16:17], 0
                                        ; implicit-def: $vgpr2_vgpr3
	s_cbranch_execnz .LBB8_1354
.LBB8_1280:
	s_andn2_b64 vcc, exec, s[16:17]
	s_cbranch_vccnz .LBB8_1810
	s_branch .LBB8_1401
.LBB8_1281:
	s_mov_b64 s[16:17], 0
	s_mov_b64 s[0:1], 0
                                        ; implicit-def: $vgpr2_vgpr3
	s_cbranch_execnz .LBB8_1320
	s_branch .LBB8_1350
.LBB8_1282:
	s_mov_b64 s[18:19], -1
	s_mov_b64 s[16:17], 0
	s_mov_b64 s[0:1], 0
                                        ; implicit-def: $vgpr2_vgpr3
	s_branch .LBB8_1299
.LBB8_1283:
	s_mov_b64 s[18:19], -1
	s_mov_b64 s[16:17], 0
	s_mov_b64 s[0:1], 0
                                        ; implicit-def: $vgpr2_vgpr3
	s_branch .LBB8_1294
.LBB8_1284:
	s_or_b64 s[14:15], s[6:7], exec
	s_trap 2
	s_cbranch_execz .LBB8_1201
	s_branch .LBB8_1202
.LBB8_1285:
	s_mov_b64 s[18:19], -1
	s_mov_b64 s[16:17], 0
	s_mov_b64 s[0:1], 0
                                        ; implicit-def: $vgpr2_vgpr3
	s_branch .LBB8_1289
.LBB8_1286:
	s_andn2_saveexec_b64 s[24:25], s[24:25]
	s_cbranch_execz .LBB8_1048
.LBB8_1287:
	s_mov_b32 s28, 0x42800000
	v_add_f32_e64 v3, |v2|, s28
	v_and_b32_e32 v3, 0xff, v3
	v_cmp_ne_u32_e32 vcc, 0, v3
	s_andn2_b64 s[22:23], s[22:23], exec
	s_and_b64 s[28:29], vcc, exec
	s_or_b64 s[22:23], s[22:23], s[28:29]
	s_or_b64 exec, exec, s[24:25]
	v_mov_b32_e32 v6, 0
	s_and_saveexec_b64 s[24:25], s[22:23]
	s_cbranch_execnz .LBB8_1049
	s_branch .LBB8_1050
.LBB8_1288:
	s_mov_b64 s[0:1], -1
                                        ; implicit-def: $vgpr2_vgpr3
	s_mov_b64 s[16:17], 0
.LBB8_1289:
	s_and_b64 vcc, exec, s[18:19]
	s_cbranch_vccz .LBB8_1293
; %bb.1290:
	s_cmp_eq_u32 s24, 44
	s_cbranch_scc0 .LBB8_1292
; %bb.1291:
	global_load_ubyte v6, v[4:5], off
	s_movk_i32 s16, 0xff
	v_bfrev_b32_e32 v7, 4
	v_mov_b32_e32 v8, 0x7ff80000
	v_bfrev_b32_e32 v9, 28
	s_mov_b64 s[0:1], 0
	s_waitcnt vmcnt(0)
	v_lshlrev_b32_e32 v2, 23, v6
	v_cvt_f64_f32_e32 v[2:3], v2
	v_cmp_ne_u32_e32 vcc, s16, v6
	s_mov_b64 s[16:17], -1
	v_cndmask_b32_e32 v2, v7, v2, vcc
	v_cndmask_b32_e32 v3, v8, v3, vcc
	v_cmp_ne_u32_e32 vcc, 0, v6
	v_cndmask_b32_e32 v3, v9, v3, vcc
	v_cndmask_b32_e32 v2, 0, v2, vcc
	s_branch .LBB8_1293
.LBB8_1292:
	s_mov_b64 s[0:1], -1
                                        ; implicit-def: $vgpr2_vgpr3
.LBB8_1293:
	s_mov_b64 s[18:19], 0
.LBB8_1294:
	s_and_b64 vcc, exec, s[18:19]
	s_cbranch_vccz .LBB8_1298
; %bb.1295:
	s_cmp_eq_u32 s24, 29
	s_cbranch_scc0 .LBB8_1297
; %bb.1296:
	global_load_dwordx2 v[2:3], v[4:5], off
	s_mov_b64 s[0:1], 0
	s_mov_b64 s[16:17], -1
	s_mov_b64 s[18:19], 0
	s_waitcnt vmcnt(0)
	v_cvt_f64_u32_e32 v[6:7], v3
	v_cvt_f64_u32_e32 v[2:3], v2
	v_ldexp_f64 v[6:7], v[6:7], 32
	v_add_f64 v[2:3], v[6:7], v[2:3]
	s_branch .LBB8_1299
.LBB8_1297:
	s_mov_b64 s[0:1], -1
                                        ; implicit-def: $vgpr2_vgpr3
.LBB8_1298:
	s_mov_b64 s[18:19], 0
.LBB8_1299:
	s_and_b64 vcc, exec, s[18:19]
	s_cbranch_vccz .LBB8_1319
; %bb.1300:
	s_cmp_lt_i32 s24, 27
	s_cbranch_scc1 .LBB8_1303
; %bb.1301:
	s_cmp_gt_i32 s24, 27
	s_cbranch_scc0 .LBB8_1304
; %bb.1302:
	global_load_dword v2, v[4:5], off
	s_mov_b64 s[16:17], 0
	s_waitcnt vmcnt(0)
	v_cvt_f64_u32_e32 v[2:3], v2
	s_branch .LBB8_1305
.LBB8_1303:
	s_mov_b64 s[16:17], -1
                                        ; implicit-def: $vgpr2_vgpr3
	s_branch .LBB8_1308
.LBB8_1304:
	s_mov_b64 s[16:17], -1
                                        ; implicit-def: $vgpr2_vgpr3
.LBB8_1305:
	s_andn2_b64 vcc, exec, s[16:17]
	s_cbranch_vccnz .LBB8_1307
; %bb.1306:
	global_load_ushort v2, v[4:5], off
	s_waitcnt vmcnt(0)
	v_cvt_f64_u32_e32 v[2:3], v2
.LBB8_1307:
	s_mov_b64 s[16:17], 0
.LBB8_1308:
	s_andn2_b64 vcc, exec, s[16:17]
	s_cbranch_vccnz .LBB8_1318
; %bb.1309:
	global_load_ubyte v6, v[4:5], off
	s_movk_i32 s16, 0x7f
	s_waitcnt vmcnt(0)
	v_cmp_lt_i16_e32 vcc, s16, v6
	s_mov_b64 s[16:17], 0
	s_and_saveexec_b64 s[18:19], vcc
	s_xor_b64 s[18:19], exec, s[18:19]
	s_cbranch_execz .LBB8_1313
; %bb.1310:
	s_movk_i32 s16, 0x80
	v_cmp_eq_u16_e32 vcc, s16, v6
	s_mov_b64 s[16:17], -1
	s_and_saveexec_b64 s[20:21], vcc
; %bb.1311:
	s_xor_b64 s[16:17], exec, -1
; %bb.1312:
	s_or_b64 exec, exec, s[20:21]
	s_and_b64 s[16:17], s[16:17], exec
.LBB8_1313:
	s_or_saveexec_b64 s[18:19], s[18:19]
	v_bfrev_b32_e32 v2, 4
	v_mov_b32_e32 v3, 0x7ff80000
	s_xor_b64 exec, exec, s[18:19]
; %bb.1314:
	v_cmp_ne_u16_e32 vcc, 0, v6
	v_mov_b32_e32 v2, 0
	s_andn2_b64 s[16:17], s[16:17], exec
	s_and_b64 s[20:21], vcc, exec
	v_mov_b32_e32 v3, 0
	s_or_b64 s[16:17], s[16:17], s[20:21]
; %bb.1315:
	s_or_b64 exec, exec, s[18:19]
	s_and_saveexec_b64 s[18:19], s[16:17]
	s_cbranch_execz .LBB8_1317
; %bb.1316:
	v_and_b32_e32 v3, 0xffff, v6
	v_lshlrev_b32_e32 v2, 24, v6
	v_and_b32_e32 v6, 7, v3
	v_ffbh_u32_e32 v8, v6
	v_min_u32_e32 v8, 32, v8
	v_subrev_u32_e32 v9, 28, v8
	v_bfe_u32 v7, v3, 3, 4
	v_lshlrev_b32_e32 v3, v9, v3
	v_sub_u32_e32 v8, 29, v8
	v_and_b32_e32 v3, 7, v3
	v_cmp_eq_u32_e32 vcc, 0, v7
	v_cndmask_b32_e32 v7, v7, v8, vcc
	v_cndmask_b32_e32 v3, v6, v3, vcc
	v_mov_b32_e32 v6, 0x3b800000
	v_lshlrev_b32_e32 v3, 20, v3
	v_and_b32_e32 v2, 0x80000000, v2
	v_lshl_add_u32 v6, v7, 23, v6
	v_or3_b32 v2, v2, v6, v3
	v_cvt_f64_f32_e32 v[2:3], v2
.LBB8_1317:
	s_or_b64 exec, exec, s[18:19]
.LBB8_1318:
	s_mov_b64 s[16:17], -1
.LBB8_1319:
	s_branch .LBB8_1350
.LBB8_1320:
	s_cmp_gt_i32 s24, 22
	s_cbranch_scc0 .LBB8_1332
; %bb.1321:
	s_cmp_lt_i32 s24, 24
	s_cbranch_scc1 .LBB8_1333
; %bb.1322:
	s_cmp_gt_i32 s24, 24
	s_cbranch_scc0 .LBB8_1334
; %bb.1323:
	global_load_ubyte v6, v[4:5], off
	s_movk_i32 s12, 0x7f
	s_waitcnt vmcnt(0)
	v_cmp_lt_i16_e32 vcc, s12, v6
	s_mov_b64 s[12:13], 0
	s_and_saveexec_b64 s[16:17], vcc
	s_xor_b64 s[16:17], exec, s[16:17]
	s_cbranch_execz .LBB8_1327
; %bb.1324:
	s_movk_i32 s12, 0x80
	v_cmp_eq_u16_e32 vcc, s12, v6
	s_mov_b64 s[12:13], -1
	s_and_saveexec_b64 s[18:19], vcc
; %bb.1325:
	s_xor_b64 s[12:13], exec, -1
; %bb.1326:
	s_or_b64 exec, exec, s[18:19]
	s_and_b64 s[12:13], s[12:13], exec
.LBB8_1327:
	s_or_saveexec_b64 s[16:17], s[16:17]
	v_bfrev_b32_e32 v2, 4
	v_mov_b32_e32 v3, 0x7ff80000
	s_xor_b64 exec, exec, s[16:17]
; %bb.1328:
	v_cmp_ne_u16_e32 vcc, 0, v6
	v_mov_b32_e32 v2, 0
	s_andn2_b64 s[12:13], s[12:13], exec
	s_and_b64 s[18:19], vcc, exec
	v_mov_b32_e32 v3, 0
	s_or_b64 s[12:13], s[12:13], s[18:19]
; %bb.1329:
	s_or_b64 exec, exec, s[16:17]
	s_and_saveexec_b64 s[16:17], s[12:13]
	s_cbranch_execz .LBB8_1331
; %bb.1330:
	v_and_b32_e32 v3, 0xffff, v6
	v_lshlrev_b32_e32 v2, 24, v6
	v_and_b32_e32 v6, 3, v3
	v_ffbh_u32_e32 v8, v6
	v_min_u32_e32 v8, 32, v8
	v_subrev_u32_e32 v9, 29, v8
	v_bfe_u32 v7, v3, 2, 5
	v_lshlrev_b32_e32 v3, v9, v3
	v_sub_u32_e32 v8, 30, v8
	v_and_b32_e32 v3, 3, v3
	v_cmp_eq_u32_e32 vcc, 0, v7
	v_cndmask_b32_e32 v7, v7, v8, vcc
	v_cndmask_b32_e32 v3, v6, v3, vcc
	v_mov_b32_e32 v6, 0x37800000
	v_lshlrev_b32_e32 v3, 21, v3
	v_and_b32_e32 v2, 0x80000000, v2
	v_lshl_add_u32 v6, v7, 23, v6
	v_or3_b32 v2, v2, v6, v3
	v_cvt_f64_f32_e32 v[2:3], v2
.LBB8_1331:
	s_or_b64 exec, exec, s[16:17]
	s_mov_b64 s[12:13], 0
	s_branch .LBB8_1335
.LBB8_1332:
	s_mov_b64 s[12:13], -1
                                        ; implicit-def: $vgpr2_vgpr3
	s_branch .LBB8_1341
.LBB8_1333:
	s_mov_b64 s[12:13], -1
                                        ; implicit-def: $vgpr2_vgpr3
	s_branch .LBB8_1338
.LBB8_1334:
	s_mov_b64 s[12:13], -1
                                        ; implicit-def: $vgpr2_vgpr3
.LBB8_1335:
	s_and_b64 vcc, exec, s[12:13]
	s_cbranch_vccz .LBB8_1337
; %bb.1336:
	global_load_ubyte v2, v[4:5], off
	s_mov_b32 s12, 0x7f800000
	s_waitcnt vmcnt(0)
	v_lshlrev_b32_e32 v2, 24, v2
	v_and_b32_e32 v3, 0x7f000000, v2
	v_ffbh_u32_e32 v6, v3
	v_min_u32_e32 v6, 32, v6
	v_sub_u32_e64 v6, v6, 4 clamp
	v_lshlrev_b32_e32 v8, v6, v3
	v_lshlrev_b32_e32 v6, 23, v6
	v_lshrrev_b32_e32 v8, 4, v8
	v_add_u32_e32 v7, 0x1000000, v3
	v_sub_u32_e32 v6, v8, v6
	v_ashrrev_i32_e32 v7, 8, v7
	v_add_u32_e32 v6, 0x3c000000, v6
	v_and_or_b32 v6, v7, s12, v6
	v_cmp_ne_u32_e32 vcc, 0, v3
	v_cndmask_b32_e32 v3, 0, v6, vcc
	s_brev_b32 s12, 1
	v_and_or_b32 v2, v2, s12, v3
	v_cvt_f64_f32_e32 v[2:3], v2
.LBB8_1337:
	s_mov_b64 s[12:13], 0
.LBB8_1338:
	s_andn2_b64 vcc, exec, s[12:13]
	s_cbranch_vccnz .LBB8_1340
; %bb.1339:
	global_load_ubyte v2, v[4:5], off
	s_movk_i32 s12, 0x7f00
	s_brev_b32 s13, 16
	s_waitcnt vmcnt(0)
	v_lshlrev_b16_e32 v3, 8, v2
	v_lshlrev_b32_e32 v2, 25, v2
	v_lshrrev_b32_e32 v6, 4, v2
	v_and_or_b32 v7, v3, s12, 0.5
	v_or_b32_e32 v6, 0x70000000, v6
	v_add_f32_e32 v7, -0.5, v7
	v_mul_f32_e32 v6, 0x7800000, v6
	v_cmp_gt_u32_e32 vcc, s13, v2
	v_bfe_i32 v3, v3, 0, 16
	v_cndmask_b32_e32 v2, v6, v7, vcc
	s_brev_b32 s12, 1
	v_and_or_b32 v2, v3, s12, v2
	v_cvt_f64_f32_e32 v[2:3], v2
.LBB8_1340:
	s_mov_b64 s[12:13], 0
	s_mov_b64 s[16:17], -1
.LBB8_1341:
	s_andn2_b64 vcc, exec, s[12:13]
	s_mov_b64 s[12:13], 0
	s_cbranch_vccnz .LBB8_1350
; %bb.1342:
	s_cmp_gt_i32 s24, 14
	s_cbranch_scc0 .LBB8_1345
; %bb.1343:
	s_cmp_eq_u32 s24, 15
	s_cbranch_scc0 .LBB8_1346
; %bb.1344:
	global_load_ushort v2, v[4:5], off
	s_mov_b64 s[0:1], 0
	s_mov_b64 s[16:17], -1
	s_waitcnt vmcnt(0)
	v_lshlrev_b32_e32 v2, 16, v2
	v_cvt_f64_f32_e32 v[2:3], v2
	s_branch .LBB8_1347
.LBB8_1345:
	s_mov_b64 s[18:19], -1
                                        ; implicit-def: $vgpr2_vgpr3
	s_branch .LBB8_1348
.LBB8_1346:
	s_mov_b64 s[0:1], -1
                                        ; implicit-def: $vgpr2_vgpr3
.LBB8_1347:
	s_mov_b64 s[18:19], 0
.LBB8_1348:
	s_and_b64 vcc, exec, s[18:19]
	s_cbranch_vccz .LBB8_1350
; %bb.1349:
	s_cmp_lg_u32 s24, 11
	s_mov_b64 s[12:13], -1
	s_cselect_b64 s[0:1], -1, 0
.LBB8_1350:
	s_and_b64 vcc, exec, s[0:1]
	s_cbranch_vccnz .LBB8_1437
; %bb.1351:
	s_andn2_b64 vcc, exec, s[12:13]
	s_cbranch_vccnz .LBB8_1353
.LBB8_1352:
	global_load_ubyte v3, v[4:5], off
	v_mov_b32_e32 v6, 0x3ff00000
	v_mov_b32_e32 v2, 0
	s_mov_b64 s[16:17], -1
	s_waitcnt vmcnt(0)
	v_cmp_ne_u16_e32 vcc, 0, v3
	v_cndmask_b32_e32 v3, 0, v6, vcc
.LBB8_1353:
	s_branch .LBB8_1280
.LBB8_1354:
	s_cmp_lt_i32 s24, 5
	s_cbranch_scc1 .LBB8_1359
; %bb.1355:
	s_cmp_lt_i32 s24, 8
	s_cbranch_scc1 .LBB8_1360
; %bb.1356:
	;; [unrolled: 3-line block ×3, first 2 shown]
	s_cmp_gt_i32 s24, 9
	s_cbranch_scc0 .LBB8_1362
; %bb.1358:
	global_load_dwordx2 v[2:3], v[4:5], off
	s_mov_b64 s[0:1], 0
	s_branch .LBB8_1363
.LBB8_1359:
                                        ; implicit-def: $vgpr2_vgpr3
	s_branch .LBB8_1381
.LBB8_1360:
	s_mov_b64 s[0:1], -1
                                        ; implicit-def: $vgpr2_vgpr3
	s_branch .LBB8_1369
.LBB8_1361:
	s_mov_b64 s[0:1], -1
                                        ; implicit-def: $vgpr2_vgpr3
	s_branch .LBB8_1366
.LBB8_1362:
	s_mov_b64 s[0:1], -1
                                        ; implicit-def: $vgpr2_vgpr3
.LBB8_1363:
	s_andn2_b64 vcc, exec, s[0:1]
	s_cbranch_vccnz .LBB8_1365
; %bb.1364:
	global_load_dword v2, v[4:5], off
	s_waitcnt vmcnt(0)
	v_cvt_f64_f32_e32 v[2:3], v2
.LBB8_1365:
	s_mov_b64 s[0:1], 0
.LBB8_1366:
	s_andn2_b64 vcc, exec, s[0:1]
	s_cbranch_vccnz .LBB8_1368
; %bb.1367:
	global_load_dword v2, v[4:5], off
	s_waitcnt vmcnt(0)
	v_cvt_f32_f16_e32 v2, v2
	v_cvt_f64_f32_e32 v[2:3], v2
.LBB8_1368:
	s_mov_b64 s[0:1], 0
.LBB8_1369:
	s_andn2_b64 vcc, exec, s[0:1]
	s_cbranch_vccnz .LBB8_1380
; %bb.1370:
	s_cmp_lt_i32 s24, 6
	s_cbranch_scc1 .LBB8_1373
; %bb.1371:
	s_cmp_gt_i32 s24, 6
	s_cbranch_scc0 .LBB8_1374
; %bb.1372:
	global_load_dwordx2 v[2:3], v[4:5], off
	s_mov_b64 s[0:1], 0
	s_branch .LBB8_1375
.LBB8_1373:
	s_mov_b64 s[0:1], -1
                                        ; implicit-def: $vgpr2_vgpr3
	s_branch .LBB8_1378
.LBB8_1374:
	s_mov_b64 s[0:1], -1
                                        ; implicit-def: $vgpr2_vgpr3
.LBB8_1375:
	s_andn2_b64 vcc, exec, s[0:1]
	s_cbranch_vccnz .LBB8_1377
; %bb.1376:
	global_load_dword v2, v[4:5], off
	s_waitcnt vmcnt(0)
	v_cvt_f64_f32_e32 v[2:3], v2
.LBB8_1377:
	s_mov_b64 s[0:1], 0
.LBB8_1378:
	s_andn2_b64 vcc, exec, s[0:1]
	s_cbranch_vccnz .LBB8_1380
; %bb.1379:
	global_load_ushort v2, v[4:5], off
	s_waitcnt vmcnt(0)
	v_cvt_f32_f16_e32 v2, v2
	v_cvt_f64_f32_e32 v[2:3], v2
.LBB8_1380:
	s_cbranch_execnz .LBB8_1400
.LBB8_1381:
	s_cmp_lt_i32 s24, 2
	s_cbranch_scc1 .LBB8_1385
; %bb.1382:
	s_cmp_lt_i32 s24, 3
	s_cbranch_scc1 .LBB8_1386
; %bb.1383:
	s_cmp_gt_i32 s24, 3
	s_cbranch_scc0 .LBB8_1387
; %bb.1384:
	global_load_dwordx2 v[2:3], v[4:5], off
	s_mov_b64 s[0:1], 0
	s_waitcnt vmcnt(0)
	v_cvt_f64_i32_e32 v[6:7], v3
	v_cvt_f64_u32_e32 v[2:3], v2
	v_ldexp_f64 v[6:7], v[6:7], 32
	v_add_f64 v[2:3], v[6:7], v[2:3]
	s_branch .LBB8_1388
.LBB8_1385:
	s_mov_b64 s[0:1], -1
                                        ; implicit-def: $vgpr2_vgpr3
	s_branch .LBB8_1394
.LBB8_1386:
	s_mov_b64 s[0:1], -1
                                        ; implicit-def: $vgpr2_vgpr3
	s_branch .LBB8_1391
.LBB8_1387:
	s_mov_b64 s[0:1], -1
                                        ; implicit-def: $vgpr2_vgpr3
.LBB8_1388:
	s_andn2_b64 vcc, exec, s[0:1]
	s_cbranch_vccnz .LBB8_1390
; %bb.1389:
	global_load_dword v2, v[4:5], off
	s_waitcnt vmcnt(0)
	v_cvt_f64_i32_e32 v[2:3], v2
.LBB8_1390:
	s_mov_b64 s[0:1], 0
.LBB8_1391:
	s_andn2_b64 vcc, exec, s[0:1]
	s_cbranch_vccnz .LBB8_1393
; %bb.1392:
	global_load_sshort v2, v[4:5], off
	s_waitcnt vmcnt(0)
	v_cvt_f64_i32_e32 v[2:3], v2
.LBB8_1393:
	s_mov_b64 s[0:1], 0
.LBB8_1394:
	s_andn2_b64 vcc, exec, s[0:1]
	s_cbranch_vccnz .LBB8_1400
; %bb.1395:
	s_cmp_gt_i32 s24, 0
	s_cbranch_scc0 .LBB8_1397
; %bb.1396:
	global_load_sbyte v2, v[4:5], off
	s_mov_b64 s[0:1], 0
	s_waitcnt vmcnt(0)
	v_cvt_f64_i32_e32 v[2:3], v2
	s_branch .LBB8_1398
.LBB8_1397:
	s_mov_b64 s[0:1], -1
                                        ; implicit-def: $vgpr2_vgpr3
.LBB8_1398:
	s_andn2_b64 vcc, exec, s[0:1]
	s_cbranch_vccnz .LBB8_1400
; %bb.1399:
	global_load_ubyte v2, v[4:5], off
	s_waitcnt vmcnt(0)
	v_cvt_f64_u32_e32 v[2:3], v2
.LBB8_1400:
.LBB8_1401:
	s_waitcnt vmcnt(0)
	v_cmp_neq_f64_e32 vcc, 0, v[2:3]
                                        ; implicit-def: $vgpr4_vgpr5
	s_and_saveexec_b64 s[0:1], vcc
	s_xor_b64 s[12:13], exec, s[0:1]
	s_cbranch_execz .LBB8_1423
; %bb.1402:
	v_cmp_gt_f64_e32 vcc, 0, v[2:3]
	v_mov_b32_e32 v6, 0
	v_mov_b32_e32 v7, 0
	s_mov_b64 s[18:19], -1
	s_and_saveexec_b64 s[16:17], vcc
	s_cbranch_execz .LBB8_1410
; %bb.1403:
	v_trunc_f64_e32 v[4:5], v[2:3]
	v_mov_b32_e32 v6, 0
	v_mov_b32_e32 v7, 0
	s_mov_b64 s[20:21], 0
	v_cmp_neq_f64_e32 vcc, v[2:3], v[4:5]
	s_and_saveexec_b64 s[18:19], vcc
	s_cbranch_execz .LBB8_1409
; %bb.1404:
	v_add_f64 v[4:5], v[2:3], -v[4:5]
	s_mov_b32 s0, 0
	s_mov_b32 s21, 0xc00921fb
	;; [unrolled: 1-line block ×4, first 2 shown]
	v_cmp_neq_f64_e64 vcc, |v[2:3]|, s[0:1]
	v_bfrev_b32_e32 v6, 1
	s_mov_b32 s22, 0
	v_mul_f64 v[4:5], |v[4:5]|, s[20:21]
	s_mov_b32 s23, 0x41d00000
                                        ; implicit-def: $vgpr11
                                        ; implicit-def: $vgpr8_vgpr9
	v_cndmask_b32_e32 v5, v6, v5, vcc
	v_cndmask_b32_e32 v4, 0, v4, vcc
	v_cmp_nlt_f64_e64 s[22:23], |v[4:5]|, s[22:23]
                                        ; implicit-def: $vgpr6_vgpr7
	s_and_saveexec_b64 s[26:27], s[22:23]
	s_xor_b64 s[22:23], exec, s[26:27]
	s_cbranch_execz .LBB8_1406
; %bb.1405:
	v_trig_preop_f64 v[6:7], |v[4:5]|, 0
	s_mov_b32 s26, 0
	s_mov_b32 s27, 0x7b000000
	s_movk_i32 s21, 0xff80
	v_ldexp_f64 v[11:12], |v[4:5]|, s21
	v_cmp_ge_f64_e64 vcc, |v[4:5]|, s[26:27]
	v_trig_preop_f64 v[8:9], |v[4:5]|, 1
	v_and_b32_e32 v13, 0x7fffffff, v5
	v_trig_preop_f64 v[21:22], |v[4:5]|, 2
	v_mov_b32_e32 v31, 0
	s_mov_b32 s21, 0x3ff921fb
	v_cndmask_b32_e32 v12, v13, v12, vcc
	v_cndmask_b32_e32 v11, v4, v11, vcc
	v_mov_b32_e32 v13, 0x40100000
	v_mul_f64 v[15:16], v[6:7], v[11:12]
	v_mul_f64 v[17:18], v[8:9], v[11:12]
	;; [unrolled: 1-line block ×3, first 2 shown]
	v_fma_f64 v[6:7], v[6:7], v[11:12], -v[15:16]
	v_fma_f64 v[8:9], v[8:9], v[11:12], -v[17:18]
	;; [unrolled: 1-line block ×3, first 2 shown]
	v_add_f64 v[19:20], v[17:18], v[6:7]
	v_add_f64 v[23:24], v[19:20], -v[17:18]
	v_add_f64 v[29:30], v[15:16], v[19:20]
	v_add_f64 v[25:26], v[19:20], -v[23:24]
	v_add_f64 v[6:7], v[6:7], -v[23:24]
	v_add_f64 v[23:24], v[27:28], v[8:9]
	v_add_f64 v[15:16], v[29:30], -v[15:16]
	v_add_f64 v[17:18], v[17:18], -v[25:26]
	v_ldexp_f64 v[25:26], v[29:30], -2
	v_add_f64 v[33:34], v[23:24], -v[27:28]
	v_add_f64 v[15:16], v[19:20], -v[15:16]
	v_add_f64 v[6:7], v[6:7], v[17:18]
	v_fract_f64_e32 v[17:18], v[25:26]
	v_cmp_neq_f64_e64 vcc, |v[25:26]|, s[0:1]
	v_add_f64 v[8:9], v[8:9], -v[33:34]
	v_add_f64 v[19:20], v[23:24], v[6:7]
	v_ldexp_f64 v[17:18], v[17:18], 2
	v_add_f64 v[25:26], v[15:16], v[19:20]
	v_cndmask_b32_e32 v18, 0, v18, vcc
	v_cndmask_b32_e32 v17, 0, v17, vcc
	v_add_f64 v[35:36], v[19:20], -v[23:24]
	v_add_f64 v[29:30], v[25:26], v[17:18]
	v_add_f64 v[15:16], v[25:26], -v[15:16]
	v_add_f64 v[37:38], v[19:20], -v[35:36]
	;; [unrolled: 1-line block ×3, first 2 shown]
	v_cmp_gt_f64_e32 vcc, 0, v[29:30]
	v_add_f64 v[29:30], v[23:24], -v[33:34]
	v_add_f64 v[15:16], v[19:20], -v[15:16]
	;; [unrolled: 1-line block ×3, first 2 shown]
	v_cndmask_b32_e32 v32, 0, v13, vcc
	v_add_f64 v[17:18], v[17:18], v[31:32]
	v_add_f64 v[29:30], v[27:28], -v[29:30]
	v_add_f64 v[6:7], v[6:7], v[23:24]
	v_add_f64 v[39:40], v[25:26], v[17:18]
	;; [unrolled: 1-line block ×3, first 2 shown]
	v_cvt_i32_f64_e32 v34, v[39:40]
	v_add_f64 v[6:7], v[8:9], v[6:7]
	v_cvt_f64_i32_e32 v[32:33], v34
	v_add_f64 v[17:18], v[17:18], -v[32:33]
	v_add_f64 v[6:7], v[11:12], v[6:7]
	v_add_f64 v[8:9], v[25:26], v[17:18]
	;; [unrolled: 1-line block ×3, first 2 shown]
	v_mov_b32_e32 v15, 0x3ff00000
	v_add_f64 v[11:12], v[8:9], -v[17:18]
	v_cmp_le_f64_e32 vcc, 0.5, v[8:9]
	v_add_f64 v[12:13], v[25:26], -v[11:12]
	v_cndmask_b32_e32 v32, 0, v15, vcc
	v_add_f64 v[8:9], v[8:9], -v[31:32]
	v_addc_co_u32_e64 v11, s[0:1], 0, v34, vcc
	s_mov_b32 s0, 0x33145c07
	s_mov_b32 s1, 0x3c91a626
	v_add_f64 v[6:7], v[6:7], v[12:13]
	v_add_f64 v[12:13], v[8:9], v[6:7]
	v_mul_f64 v[15:16], v[12:13], s[20:21]
	v_add_f64 v[8:9], v[12:13], -v[8:9]
	v_fma_f64 v[17:18], v[12:13], s[20:21], -v[15:16]
	v_add_f64 v[6:7], v[6:7], -v[8:9]
	v_fma_f64 v[8:9], v[12:13], s[0:1], v[17:18]
	v_fma_f64 v[8:9], v[6:7], s[20:21], v[8:9]
	v_add_f64 v[6:7], v[15:16], v[8:9]
	v_add_f64 v[12:13], v[6:7], -v[15:16]
	v_add_f64 v[8:9], v[8:9], -v[12:13]
.LBB8_1406:
	s_andn2_saveexec_b64 s[0:1], s[22:23]
	s_cbranch_execz .LBB8_1408
; %bb.1407:
	s_mov_b32 s20, 0x6dc9c883
	s_mov_b32 s21, 0x3fe45f30
	v_mul_f64 v[6:7], |v[4:5]|, s[20:21]
	s_mov_b32 s20, 0x54442d18
	s_mov_b32 s21, 0xbff921fb
	;; [unrolled: 1-line block ×4, first 2 shown]
	v_rndne_f64_e32 v[11:12], v[6:7]
	v_fma_f64 v[6:7], v[11:12], s[20:21], |v[4:5]|
	v_mul_f64 v[8:9], v[11:12], s[22:23]
	s_mov_b32 s20, 0x252049c0
	s_mov_b32 s21, 0xb97b839a
	v_fma_f64 v[19:20], v[11:12], s[22:23], v[6:7]
	v_add_f64 v[15:16], v[6:7], v[8:9]
	s_mov_b32 s23, 0x3c91a626
	v_add_f64 v[17:18], v[6:7], -v[15:16]
	v_add_f64 v[15:16], v[15:16], -v[19:20]
	v_add_f64 v[6:7], v[17:18], v[8:9]
	v_fma_f64 v[8:9], v[11:12], s[22:23], v[8:9]
	v_add_f64 v[6:7], v[15:16], v[6:7]
	v_add_f64 v[6:7], v[6:7], -v[8:9]
	v_fma_f64 v[8:9], v[11:12], s[20:21], v[6:7]
	v_cvt_i32_f64_e32 v11, v[11:12]
	v_add_f64 v[6:7], v[19:20], v[8:9]
	v_add_f64 v[15:16], v[6:7], -v[19:20]
	v_add_f64 v[8:9], v[8:9], -v[15:16]
.LBB8_1408:
	s_or_b64 exec, exec, s[0:1]
	v_mul_f64 v[12:13], v[6:7], v[6:7]
	v_add_f64 v[15:16], v[8:9], v[8:9]
	s_mov_b32 s0, 0xc751c08c
	s_mov_b32 s1, 0x3ef5e089
	v_and_b32_e32 v11, 1, v11
	v_cmp_eq_u32_e32 vcc, 0, v11
	s_mov_b32 s22, 0x54442d18
	s_mov_b32 s23, 0xc00921fb
	v_fma_f64 v[17:18], v[6:7], v[6:7], -v[12:13]
	v_add_f64 v[2:3], -v[2:3], 1.0
	s_mov_b64 s[20:21], exec
	v_fma_f64 v[15:16], v[6:7], v[15:16], v[17:18]
	v_add_f64 v[12:13], v[12:13], v[15:16]
	v_mov_b32_e32 v15, 0xa9a29f71
	v_mov_b32_e32 v16, 0xbf078809
	v_fma_f64 v[15:16], v[12:13], s[0:1], v[15:16]
	s_mov_b32 s0, 0x90a8aae0
	s_mov_b32 s1, 0x3f17746f
	v_fma_f64 v[15:16], v[12:13], v[15:16], s[0:1]
	s_mov_b32 s0, 0xa6fbf144
	s_mov_b32 s1, 0xbefbb44d
	;; [unrolled: 3-line block ×12, first 2 shown]
	v_fma_f64 v[15:16], v[12:13], v[15:16], s[0:1]
	s_movk_i32 s0, 0x1f8
	v_cmp_class_f64_e64 s[0:1], v[4:5], s0
	v_mul_f64 v[12:13], v[12:13], v[15:16]
	v_mul_f64 v[15:16], v[6:7], v[12:13]
	v_add_f64 v[17:18], v[6:7], v[15:16]
	v_fma_f64 v[12:13], v[6:7], v[12:13], -v[15:16]
	v_add_f64 v[6:7], v[17:18], -v[6:7]
	v_add_f64 v[8:9], v[8:9], v[12:13]
	v_add_f64 v[6:7], v[15:16], -v[6:7]
	v_add_f64 v[6:7], v[8:9], v[6:7]
	v_add_f64 v[8:9], v[17:18], v[6:7]
	v_rcp_f64_e32 v[12:13], v[8:9]
	v_fma_f64 v[15:16], -v[8:9], v[12:13], 1.0
	v_fma_f64 v[12:13], v[15:16], v[12:13], v[12:13]
	v_fma_f64 v[15:16], -v[8:9], v[12:13], 1.0
	v_fma_f64 v[12:13], v[15:16], v[12:13], v[12:13]
	v_add_f64 v[15:16], v[8:9], -v[17:18]
	v_mul_f64 v[17:18], v[8:9], v[12:13]
	v_add_f64 v[6:7], v[6:7], -v[15:16]
	v_fma_f64 v[15:16], v[12:13], v[8:9], -v[17:18]
	v_fma_f64 v[6:7], v[12:13], v[6:7], v[15:16]
	v_add_f64 v[15:16], v[17:18], v[6:7]
	v_add_f64 v[19:20], -v[15:16], 1.0
	v_add_f64 v[17:18], v[15:16], -v[17:18]
	v_add_f64 v[21:22], -v[19:20], 1.0
	v_add_f64 v[6:7], v[17:18], -v[6:7]
	v_add_f64 v[15:16], v[21:22], -v[15:16]
	v_add_f64 v[6:7], v[6:7], v[15:16]
	v_add_f64 v[6:7], v[19:20], v[6:7]
	v_mul_f64 v[6:7], v[12:13], v[6:7]
	v_add_f64 v[6:7], v[12:13], v[6:7]
	v_and_b32_e32 v12, 0x80000000, v5
	v_mov_b32_e32 v5, 0x7ff80000
	v_xor_b32_e32 v4, 0x80000000, v7
	v_cndmask_b32_e32 v6, v6, v8, vcc
	v_cndmask_b32_e32 v7, v4, v9, vcc
	v_cndmask_b32_e64 v4, 0, v6, s[0:1]
	v_xor_b32_e32 v6, v7, v12
	v_cndmask_b32_e64 v5, v5, v6, s[0:1]
	v_div_scale_f64 v[6:7], s[0:1], v[4:5], v[4:5], s[22:23]
	v_rcp_f64_e32 v[8:9], v[6:7]
	v_fma_f64 v[11:12], -v[6:7], v[8:9], 1.0
	v_fma_f64 v[8:9], v[8:9], v[11:12], v[8:9]
	v_div_scale_f64 v[11:12], vcc, s[22:23], v[4:5], s[22:23]
	v_fma_f64 v[15:16], -v[6:7], v[8:9], 1.0
	v_fma_f64 v[8:9], v[8:9], v[15:16], v[8:9]
	v_mul_f64 v[15:16], v[11:12], v[8:9]
	v_fma_f64 v[6:7], -v[6:7], v[15:16], v[11:12]
	v_div_fmas_f64 v[6:7], v[6:7], v[8:9], v[15:16]
	v_div_fixup_f64 v[6:7], v[6:7], v[4:5], s[22:23]
.LBB8_1409:
	s_or_b64 exec, exec, s[18:19]
	s_orn2_b64 s[18:19], s[20:21], exec
.LBB8_1410:
	s_or_b64 exec, exec, s[16:17]
	v_mov_b32_e32 v4, 0
	v_mov_b32_e32 v5, 0x7ff80000
	s_and_saveexec_b64 s[0:1], s[18:19]
	s_cbranch_execz .LBB8_1422
; %bb.1411:
	s_mov_b32 s18, 0
	s_mov_b32 s19, 0x40240000
	v_cmp_gt_f64_e32 vcc, s[18:19], v[2:3]
	s_and_saveexec_b64 s[16:17], vcc
	s_cbranch_execz .LBB8_1415
; %bb.1412:
	s_mov_b64 s[20:21], 0
.LBB8_1413:                             ; =>This Inner Loop Header: Depth=1
	v_div_scale_f64 v[4:5], s[22:23], v[2:3], v[2:3], 1.0
	v_rcp_f64_e32 v[8:9], v[4:5]
	v_fma_f64 v[11:12], -v[4:5], v[8:9], 1.0
	v_fma_f64 v[8:9], v[8:9], v[11:12], v[8:9]
	v_div_scale_f64 v[11:12], vcc, 1.0, v[2:3], 1.0
	v_fma_f64 v[15:16], -v[4:5], v[8:9], 1.0
	v_fma_f64 v[8:9], v[8:9], v[15:16], v[8:9]
	v_mul_f64 v[15:16], v[11:12], v[8:9]
	v_fma_f64 v[4:5], -v[4:5], v[15:16], v[11:12]
	v_div_fmas_f64 v[4:5], v[4:5], v[8:9], v[15:16]
	v_div_fixup_f64 v[4:5], v[4:5], v[2:3], 1.0
	v_add_f64 v[2:3], v[2:3], 1.0
	v_add_f64 v[6:7], v[6:7], -v[4:5]
	v_cmp_ngt_f64_e32 vcc, s[18:19], v[2:3]
	s_or_b64 s[20:21], vcc, s[20:21]
	s_andn2_b64 exec, exec, s[20:21]
	s_cbranch_execnz .LBB8_1413
; %bb.1414:
	s_or_b64 exec, exec, s[20:21]
.LBB8_1415:
	s_or_b64 exec, exec, s[16:17]
	s_mov_b32 s16, 0
	s_mov_b32 s17, 0x40240000
	v_cmp_neq_f64_e32 vcc, s[16:17], v[2:3]
                                        ; implicit-def: $vgpr4_vgpr5
	s_and_saveexec_b64 s[16:17], vcc
	s_xor_b64 s[16:17], exec, s[16:17]
	s_cbranch_execz .LBB8_1419
; %bb.1416:
	s_mov_b32 s18, 0x85d8a000
	s_mov_b32 s19, 0x43763457
	v_cmp_gt_f64_e32 vcc, s[18:19], v[2:3]
	v_mov_b32_e32 v4, 0
	v_mov_b32_e32 v5, 0
	s_and_saveexec_b64 s[18:19], vcc
	s_cbranch_execz .LBB8_1418
; %bb.1417:
	v_mul_f64 v[4:5], v[2:3], v[2:3]
	s_mov_b32 s22, 0x95995996
	s_mov_b32 s23, 0xbf959959
	;; [unrolled: 1-line block ×4, first 2 shown]
	v_div_scale_f64 v[8:9], s[20:21], v[4:5], v[4:5], 1.0
	v_div_scale_f64 v[17:18], vcc, 1.0, v[4:5], 1.0
	s_mov_b32 s20, 0x55555555
	s_mov_b32 s21, 0x3fb55555
	v_rcp_f64_e32 v[11:12], v[8:9]
	v_fma_f64 v[15:16], -v[8:9], v[11:12], 1.0
	v_fma_f64 v[11:12], v[11:12], v[15:16], v[11:12]
	v_fma_f64 v[15:16], -v[8:9], v[11:12], 1.0
	v_fma_f64 v[11:12], v[11:12], v[15:16], v[11:12]
	v_mul_f64 v[15:16], v[17:18], v[11:12]
	v_fma_f64 v[8:9], -v[8:9], v[15:16], v[17:18]
	v_div_fmas_f64 v[8:9], v[8:9], v[11:12], v[15:16]
	v_div_fixup_f64 v[4:5], v[8:9], v[4:5], 1.0
	v_fma_f64 v[8:9], v[4:5], 0, s[20:21]
	v_fma_f64 v[8:9], v[4:5], v[8:9], s[22:23]
	s_mov_b32 s22, 0xf07c1f08
	s_mov_b32 s23, 0x3f7f07c1
	v_fma_f64 v[8:9], v[4:5], v[8:9], s[22:23]
	s_mov_b32 s23, 0xbf711111
	s_mov_b32 s22, 0x11111111
	v_fma_f64 v[8:9], v[4:5], v[8:9], s[22:23]
	s_mov_b32 s23, 0xbf811111
	v_fma_f64 v[8:9], v[4:5], v[8:9], s[26:27]
	v_fma_f64 v[8:9], v[4:5], v[8:9], s[22:23]
	;; [unrolled: 1-line block ×3, first 2 shown]
	v_mul_f64 v[4:5], v[4:5], v[8:9]
.LBB8_1418:
	s_or_b64 exec, exec, s[18:19]
	v_frexp_mant_f64_e32 v[8:9], v[2:3]
	s_mov_b32 s19, 0x3fe55555
	s_mov_b32 s18, 0x55555555
	s_mov_b32 s20, 0xbf559e2b
	s_mov_b32 s21, 0x3fc3ab76
	v_frexp_exp_i32_f64_e32 v13, v[2:3]
	v_cmp_gt_f64_e32 vcc, s[18:19], v[8:9]
	s_mov_b32 s18, 0x55555780
	v_cndmask_b32_e64 v11, 0, 1, vcc
	v_ldexp_f64 v[8:9], v[8:9], v11
	v_subbrev_co_u32_e32 v13, vcc, 0, v13, vcc
	v_add_f64 v[11:12], v[8:9], 1.0
	v_add_f64 v[19:20], v[8:9], -1.0
	v_rcp_f64_e32 v[15:16], v[11:12]
	v_add_f64 v[21:22], v[11:12], -1.0
	v_add_f64 v[8:9], v[8:9], -v[21:22]
	v_fma_f64 v[17:18], -v[11:12], v[15:16], 1.0
	v_fma_f64 v[15:16], v[17:18], v[15:16], v[15:16]
	v_fma_f64 v[17:18], -v[11:12], v[15:16], 1.0
	v_fma_f64 v[15:16], v[17:18], v[15:16], v[15:16]
	v_mul_f64 v[17:18], v[19:20], v[15:16]
	v_mul_f64 v[23:24], v[11:12], v[17:18]
	v_fma_f64 v[11:12], v[17:18], v[11:12], -v[23:24]
	v_fma_f64 v[8:9], v[17:18], v[8:9], v[11:12]
	v_add_f64 v[11:12], v[23:24], v[8:9]
	v_add_f64 v[21:22], v[19:20], -v[11:12]
	v_add_f64 v[23:24], v[11:12], -v[23:24]
	;; [unrolled: 1-line block ×5, first 2 shown]
	v_mov_b32_e32 v19, 0x6b47b09a
	v_mov_b32_e32 v20, 0x3fc38538
	v_add_f64 v[8:9], v[8:9], v[11:12]
	v_add_f64 v[8:9], v[21:22], v[8:9]
	v_mul_f64 v[8:9], v[15:16], v[8:9]
	v_add_f64 v[11:12], v[17:18], v[8:9]
	v_mul_f64 v[15:16], v[11:12], v[11:12]
	v_fma_f64 v[19:20], v[15:16], s[20:21], v[19:20]
	s_mov_b32 s20, 0xd7f4df2e
	s_mov_b32 s21, 0x3fc7474d
	v_mul_f64 v[21:22], v[11:12], v[15:16]
	v_fma_f64 v[19:20], v[15:16], v[19:20], s[20:21]
	s_mov_b32 s20, 0x16291751
	s_mov_b32 s21, 0x3fcc71c0
	v_fma_f64 v[19:20], v[15:16], v[19:20], s[20:21]
	s_mov_b32 s20, 0x9b27acf1
	s_mov_b32 s21, 0x3fd24924
	;; [unrolled: 3-line block ×3, first 2 shown]
	v_fma_f64 v[19:20], v[15:16], v[19:20], s[20:21]
	v_fma_f64 v[15:16], v[15:16], v[19:20], s[18:19]
	v_ldexp_f64 v[19:20], v[11:12], 1
	v_add_f64 v[11:12], v[11:12], -v[17:18]
	s_mov_b32 s18, 0xfefa39ef
	s_mov_b32 s19, 0x3fe62e42
	v_mul_f64 v[15:16], v[21:22], v[15:16]
	v_cvt_f64_i32_e32 v[21:22], v13
	v_add_f64 v[8:9], v[8:9], -v[11:12]
	v_mul_f64 v[23:24], v[21:22], s[18:19]
	v_add_f64 v[17:18], v[19:20], v[15:16]
	v_ldexp_f64 v[8:9], v[8:9], 1
	v_add_f64 v[11:12], v[17:18], -v[19:20]
	v_fma_f64 v[19:20], v[21:22], s[18:19], -v[23:24]
	s_mov_b32 s18, 0x3b39803f
	s_mov_b32 s19, 0x3c7abc9e
	v_add_f64 v[11:12], v[15:16], -v[11:12]
	v_fma_f64 v[15:16], v[21:22], s[18:19], v[19:20]
	v_add_f64 v[8:9], v[8:9], v[11:12]
	v_div_scale_f64 v[11:12], s[18:19], v[2:3], v[2:3], -0.5
	v_add_f64 v[19:20], v[23:24], v[15:16]
	s_movk_i32 s18, 0x204
	v_add_f64 v[21:22], v[17:18], v[8:9]
	v_add_f64 v[23:24], v[19:20], -v[23:24]
	v_add_f64 v[25:26], v[19:20], v[21:22]
	v_rcp_f64_e32 v[27:28], v[11:12]
	v_add_f64 v[17:18], v[21:22], -v[17:18]
	v_add_f64 v[15:16], v[15:16], -v[23:24]
	;; [unrolled: 1-line block ×5, first 2 shown]
	v_fma_f64 v[33:34], -v[11:12], v[27:28], 1.0
	v_add_f64 v[17:18], v[21:22], -v[29:30]
	v_add_f64 v[23:24], v[15:16], v[8:9]
	v_add_f64 v[19:20], v[19:20], -v[31:32]
	v_fma_f64 v[21:22], v[27:28], v[33:34], v[27:28]
	v_add_f64 v[29:30], v[23:24], -v[15:16]
	v_add_f64 v[17:18], v[17:18], v[19:20]
	v_div_scale_f64 v[19:20], vcc, -0.5, v[2:3], -0.5
	v_fma_f64 v[27:28], -v[11:12], v[21:22], 1.0
	v_add_f64 v[8:9], v[8:9], -v[29:30]
	v_add_f64 v[17:18], v[23:24], v[17:18]
	v_add_f64 v[23:24], v[23:24], -v[29:30]
	v_fma_f64 v[21:22], v[21:22], v[27:28], v[21:22]
	v_add_f64 v[27:28], v[25:26], v[17:18]
	v_add_f64 v[15:16], v[15:16], -v[23:24]
	v_mul_f64 v[31:32], v[19:20], v[21:22]
	v_add_f64 v[23:24], v[27:28], -v[25:26]
	v_add_f64 v[8:9], v[8:9], v[15:16]
	v_fma_f64 v[11:12], -v[11:12], v[31:32], v[19:20]
	v_add_f64 v[15:16], v[17:18], -v[23:24]
	v_div_fmas_f64 v[11:12], v[11:12], v[21:22], v[31:32]
	v_cmp_class_f64_e64 vcc, v[2:3], s18
	v_add_f64 v[8:9], v[8:9], v[15:16]
	v_add_f64 v[8:9], v[27:28], v[8:9]
	v_div_fixup_f64 v[11:12], v[11:12], v[2:3], -0.5
	v_cndmask_b32_e32 v3, v9, v3, vcc
	v_cndmask_b32_e32 v2, v8, v2, vcc
	v_add_f64 v[2:3], v[2:3], v[11:12]
	v_add_f64 v[2:3], v[2:3], -v[4:5]
	v_add_f64 v[4:5], v[6:7], v[2:3]
                                        ; implicit-def: $vgpr6_vgpr7
.LBB8_1419:
	s_andn2_saveexec_b64 s[16:17], s[16:17]
	s_cbranch_execz .LBB8_1421
; %bb.1420:
	s_mov_b32 s18, 0xdc85cc95
	s_mov_b32 s19, 0x40020396
	v_add_f64 v[4:5], v[6:7], s[18:19]
.LBB8_1421:
	s_or_b64 exec, exec, s[16:17]
.LBB8_1422:
	s_or_b64 exec, exec, s[0:1]
                                        ; implicit-def: $vgpr2_vgpr3
.LBB8_1423:
	s_andn2_saveexec_b64 s[0:1], s[12:13]
; %bb.1424:
	v_xor_b32_e32 v2, 0x80000000, v3
	s_brev_b32 s12, -2
	v_mov_b32_e32 v3, 0x7ff00000
	v_bfi_b32 v5, s12, v3, v2
	v_mov_b32_e32 v4, 0
; %bb.1425:
	s_or_b64 exec, exec, s[0:1]
	v_add_u32_e32 v12, s3, v10
	v_ashrrev_i32_e32 v2, 31, v12
	v_mov_b32_e32 v3, s11
	v_add_co_u32_e32 v6, vcc, s10, v12
	s_cmp_lt_i32 s24, 11
	v_addc_co_u32_e32 v7, vcc, v3, v2, vcc
	s_cbranch_scc1 .LBB8_1432
; %bb.1426:
	s_cmp_gt_i32 s24, 25
	s_mov_b64 s[12:13], 0
	s_cbranch_scc0 .LBB8_1434
; %bb.1427:
	s_cmp_gt_i32 s24, 28
	s_cbranch_scc0 .LBB8_1435
; %bb.1428:
	s_cmp_gt_i32 s24, 43
	;; [unrolled: 3-line block ×3, first 2 shown]
	s_cbranch_scc0 .LBB8_1438
; %bb.1430:
	s_cmp_eq_u32 s24, 46
	s_mov_b64 s[18:19], 0
	s_cbranch_scc0 .LBB8_1439
; %bb.1431:
	global_load_dword v2, v[6:7], off
	s_mov_b64 s[0:1], 0
	s_mov_b64 s[16:17], -1
	s_waitcnt vmcnt(0)
	v_lshlrev_b32_e32 v2, 16, v2
	v_cvt_f64_f32_e32 v[2:3], v2
	s_branch .LBB8_1440
.LBB8_1432:
	s_mov_b64 s[16:17], 0
                                        ; implicit-def: $vgpr2_vgpr3
	s_cbranch_execnz .LBB8_1506
.LBB8_1433:
	s_andn2_b64 vcc, exec, s[16:17]
	s_cbranch_vccnz .LBB8_1810
	s_branch .LBB8_1554
.LBB8_1434:
	s_mov_b64 s[18:19], -1
	s_mov_b64 s[16:17], 0
	s_mov_b64 s[0:1], 0
                                        ; implicit-def: $vgpr2_vgpr3
	s_branch .LBB8_1471
.LBB8_1435:
	s_mov_b64 s[18:19], -1
	s_mov_b64 s[16:17], 0
	s_mov_b64 s[0:1], 0
                                        ; implicit-def: $vgpr2_vgpr3
	s_branch .LBB8_1450
.LBB8_1436:
	s_mov_b64 s[18:19], -1
	s_mov_b64 s[16:17], 0
	s_mov_b64 s[0:1], 0
                                        ; implicit-def: $vgpr2_vgpr3
	s_branch .LBB8_1445
.LBB8_1437:
	s_trap 2
	s_or_b64 s[14:15], s[14:15], exec
	s_cbranch_execz .LBB8_1352
	s_branch .LBB8_1353
.LBB8_1438:
	s_mov_b64 s[18:19], -1
	s_mov_b64 s[16:17], 0
	s_mov_b64 s[0:1], 0
                                        ; implicit-def: $vgpr2_vgpr3
	s_branch .LBB8_1440
.LBB8_1439:
	s_mov_b64 s[0:1], -1
                                        ; implicit-def: $vgpr2_vgpr3
	s_mov_b64 s[16:17], 0
.LBB8_1440:
	s_and_b64 vcc, exec, s[18:19]
	s_cbranch_vccz .LBB8_1444
; %bb.1441:
	s_cmp_eq_u32 s24, 44
	s_cbranch_scc0 .LBB8_1443
; %bb.1442:
	global_load_ubyte v8, v[6:7], off
	s_movk_i32 s16, 0xff
	v_bfrev_b32_e32 v9, 4
	v_mov_b32_e32 v10, 0x7ff80000
	v_bfrev_b32_e32 v11, 28
	s_mov_b64 s[0:1], 0
	s_waitcnt vmcnt(0)
	v_lshlrev_b32_e32 v2, 23, v8
	v_cvt_f64_f32_e32 v[2:3], v2
	v_cmp_ne_u32_e32 vcc, s16, v8
	s_mov_b64 s[16:17], -1
	v_cndmask_b32_e32 v2, v9, v2, vcc
	v_cndmask_b32_e32 v3, v10, v3, vcc
	v_cmp_ne_u32_e32 vcc, 0, v8
	v_cndmask_b32_e32 v3, v11, v3, vcc
	v_cndmask_b32_e32 v2, 0, v2, vcc
	s_branch .LBB8_1444
.LBB8_1443:
	s_mov_b64 s[0:1], -1
                                        ; implicit-def: $vgpr2_vgpr3
.LBB8_1444:
	s_mov_b64 s[18:19], 0
.LBB8_1445:
	s_and_b64 vcc, exec, s[18:19]
	s_cbranch_vccz .LBB8_1449
; %bb.1446:
	s_cmp_eq_u32 s24, 29
	s_cbranch_scc0 .LBB8_1448
; %bb.1447:
	global_load_dwordx2 v[2:3], v[6:7], off
	s_mov_b64 s[0:1], 0
	s_mov_b64 s[16:17], -1
	s_mov_b64 s[18:19], 0
	s_waitcnt vmcnt(0)
	v_cvt_f64_u32_e32 v[8:9], v3
	v_cvt_f64_u32_e32 v[2:3], v2
	v_ldexp_f64 v[8:9], v[8:9], 32
	v_add_f64 v[2:3], v[8:9], v[2:3]
	s_branch .LBB8_1450
.LBB8_1448:
	s_mov_b64 s[0:1], -1
                                        ; implicit-def: $vgpr2_vgpr3
.LBB8_1449:
	s_mov_b64 s[18:19], 0
.LBB8_1450:
	s_and_b64 vcc, exec, s[18:19]
	s_cbranch_vccz .LBB8_1470
; %bb.1451:
	s_cmp_lt_i32 s24, 27
	s_cbranch_scc1 .LBB8_1454
; %bb.1452:
	s_cmp_gt_i32 s24, 27
	s_cbranch_scc0 .LBB8_1455
; %bb.1453:
	global_load_dword v2, v[6:7], off
	s_mov_b64 s[16:17], 0
	s_waitcnt vmcnt(0)
	v_cvt_f64_u32_e32 v[2:3], v2
	s_branch .LBB8_1456
.LBB8_1454:
	s_mov_b64 s[16:17], -1
                                        ; implicit-def: $vgpr2_vgpr3
	s_branch .LBB8_1459
.LBB8_1455:
	s_mov_b64 s[16:17], -1
                                        ; implicit-def: $vgpr2_vgpr3
.LBB8_1456:
	s_andn2_b64 vcc, exec, s[16:17]
	s_cbranch_vccnz .LBB8_1458
; %bb.1457:
	global_load_ushort v2, v[6:7], off
	s_waitcnt vmcnt(0)
	v_cvt_f64_u32_e32 v[2:3], v2
.LBB8_1458:
	s_mov_b64 s[16:17], 0
.LBB8_1459:
	s_andn2_b64 vcc, exec, s[16:17]
	s_cbranch_vccnz .LBB8_1469
; %bb.1460:
	global_load_ubyte v8, v[6:7], off
	s_movk_i32 s16, 0x7f
	s_waitcnt vmcnt(0)
	v_cmp_lt_i16_e32 vcc, s16, v8
	s_mov_b64 s[16:17], 0
	s_and_saveexec_b64 s[18:19], vcc
	s_xor_b64 s[18:19], exec, s[18:19]
	s_cbranch_execz .LBB8_1464
; %bb.1461:
	s_movk_i32 s16, 0x80
	v_cmp_eq_u16_e32 vcc, s16, v8
	s_mov_b64 s[16:17], -1
	s_and_saveexec_b64 s[20:21], vcc
; %bb.1462:
	s_xor_b64 s[16:17], exec, -1
; %bb.1463:
	s_or_b64 exec, exec, s[20:21]
	s_and_b64 s[16:17], s[16:17], exec
.LBB8_1464:
	s_or_saveexec_b64 s[18:19], s[18:19]
	v_bfrev_b32_e32 v2, 4
	v_mov_b32_e32 v3, 0x7ff80000
	s_xor_b64 exec, exec, s[18:19]
; %bb.1465:
	v_cmp_ne_u16_e32 vcc, 0, v8
	v_mov_b32_e32 v2, 0
	s_andn2_b64 s[16:17], s[16:17], exec
	s_and_b64 s[20:21], vcc, exec
	v_mov_b32_e32 v3, 0
	s_or_b64 s[16:17], s[16:17], s[20:21]
; %bb.1466:
	s_or_b64 exec, exec, s[18:19]
	s_and_saveexec_b64 s[18:19], s[16:17]
	s_cbranch_execz .LBB8_1468
; %bb.1467:
	v_and_b32_e32 v3, 0xffff, v8
	v_lshlrev_b32_e32 v2, 24, v8
	v_and_b32_e32 v8, 7, v3
	v_ffbh_u32_e32 v10, v8
	v_min_u32_e32 v10, 32, v10
	v_subrev_u32_e32 v11, 28, v10
	v_bfe_u32 v9, v3, 3, 4
	v_lshlrev_b32_e32 v3, v11, v3
	v_sub_u32_e32 v10, 29, v10
	v_and_b32_e32 v3, 7, v3
	v_cmp_eq_u32_e32 vcc, 0, v9
	v_cndmask_b32_e32 v9, v9, v10, vcc
	v_cndmask_b32_e32 v3, v8, v3, vcc
	v_mov_b32_e32 v8, 0x3b800000
	v_lshlrev_b32_e32 v3, 20, v3
	v_and_b32_e32 v2, 0x80000000, v2
	v_lshl_add_u32 v8, v9, 23, v8
	v_or3_b32 v2, v2, v8, v3
	v_cvt_f64_f32_e32 v[2:3], v2
.LBB8_1468:
	s_or_b64 exec, exec, s[18:19]
.LBB8_1469:
	s_mov_b64 s[16:17], -1
.LBB8_1470:
	s_mov_b64 s[18:19], 0
.LBB8_1471:
	s_and_b64 vcc, exec, s[18:19]
	s_cbranch_vccz .LBB8_1502
; %bb.1472:
	s_cmp_gt_i32 s24, 22
	s_cbranch_scc0 .LBB8_1484
; %bb.1473:
	s_cmp_lt_i32 s24, 24
	s_cbranch_scc1 .LBB8_1485
; %bb.1474:
	s_cmp_gt_i32 s24, 24
	s_cbranch_scc0 .LBB8_1486
; %bb.1475:
	global_load_ubyte v8, v[6:7], off
	s_movk_i32 s12, 0x7f
	s_waitcnt vmcnt(0)
	v_cmp_lt_i16_e32 vcc, s12, v8
	s_mov_b64 s[12:13], 0
	s_and_saveexec_b64 s[16:17], vcc
	s_xor_b64 s[16:17], exec, s[16:17]
	s_cbranch_execz .LBB8_1479
; %bb.1476:
	s_movk_i32 s12, 0x80
	v_cmp_eq_u16_e32 vcc, s12, v8
	s_mov_b64 s[12:13], -1
	s_and_saveexec_b64 s[18:19], vcc
; %bb.1477:
	s_xor_b64 s[12:13], exec, -1
; %bb.1478:
	s_or_b64 exec, exec, s[18:19]
	s_and_b64 s[12:13], s[12:13], exec
.LBB8_1479:
	s_or_saveexec_b64 s[16:17], s[16:17]
	v_bfrev_b32_e32 v2, 4
	v_mov_b32_e32 v3, 0x7ff80000
	s_xor_b64 exec, exec, s[16:17]
; %bb.1480:
	v_cmp_ne_u16_e32 vcc, 0, v8
	v_mov_b32_e32 v2, 0
	s_andn2_b64 s[12:13], s[12:13], exec
	s_and_b64 s[18:19], vcc, exec
	v_mov_b32_e32 v3, 0
	s_or_b64 s[12:13], s[12:13], s[18:19]
; %bb.1481:
	s_or_b64 exec, exec, s[16:17]
	s_and_saveexec_b64 s[16:17], s[12:13]
	s_cbranch_execz .LBB8_1483
; %bb.1482:
	v_and_b32_e32 v3, 0xffff, v8
	v_lshlrev_b32_e32 v2, 24, v8
	v_and_b32_e32 v8, 3, v3
	v_ffbh_u32_e32 v10, v8
	v_min_u32_e32 v10, 32, v10
	v_subrev_u32_e32 v11, 29, v10
	v_bfe_u32 v9, v3, 2, 5
	v_lshlrev_b32_e32 v3, v11, v3
	v_sub_u32_e32 v10, 30, v10
	v_and_b32_e32 v3, 3, v3
	v_cmp_eq_u32_e32 vcc, 0, v9
	v_cndmask_b32_e32 v9, v9, v10, vcc
	v_cndmask_b32_e32 v3, v8, v3, vcc
	v_mov_b32_e32 v8, 0x37800000
	v_lshlrev_b32_e32 v3, 21, v3
	v_and_b32_e32 v2, 0x80000000, v2
	v_lshl_add_u32 v8, v9, 23, v8
	v_or3_b32 v2, v2, v8, v3
	v_cvt_f64_f32_e32 v[2:3], v2
.LBB8_1483:
	s_or_b64 exec, exec, s[16:17]
	s_mov_b64 s[12:13], 0
	s_branch .LBB8_1487
.LBB8_1484:
	s_mov_b64 s[12:13], -1
                                        ; implicit-def: $vgpr2_vgpr3
	s_branch .LBB8_1493
.LBB8_1485:
	s_mov_b64 s[12:13], -1
                                        ; implicit-def: $vgpr2_vgpr3
	s_branch .LBB8_1490
.LBB8_1486:
	s_mov_b64 s[12:13], -1
                                        ; implicit-def: $vgpr2_vgpr3
.LBB8_1487:
	s_and_b64 vcc, exec, s[12:13]
	s_cbranch_vccz .LBB8_1489
; %bb.1488:
	global_load_ubyte v2, v[6:7], off
	s_mov_b32 s12, 0x7f800000
	s_waitcnt vmcnt(0)
	v_lshlrev_b32_e32 v2, 24, v2
	v_and_b32_e32 v3, 0x7f000000, v2
	v_ffbh_u32_e32 v8, v3
	v_min_u32_e32 v8, 32, v8
	v_sub_u32_e64 v8, v8, 4 clamp
	v_lshlrev_b32_e32 v10, v8, v3
	v_lshlrev_b32_e32 v8, 23, v8
	v_lshrrev_b32_e32 v10, 4, v10
	v_add_u32_e32 v9, 0x1000000, v3
	v_sub_u32_e32 v8, v10, v8
	v_ashrrev_i32_e32 v9, 8, v9
	v_add_u32_e32 v8, 0x3c000000, v8
	v_and_or_b32 v8, v9, s12, v8
	v_cmp_ne_u32_e32 vcc, 0, v3
	v_cndmask_b32_e32 v3, 0, v8, vcc
	s_brev_b32 s12, 1
	v_and_or_b32 v2, v2, s12, v3
	v_cvt_f64_f32_e32 v[2:3], v2
.LBB8_1489:
	s_mov_b64 s[12:13], 0
.LBB8_1490:
	s_andn2_b64 vcc, exec, s[12:13]
	s_cbranch_vccnz .LBB8_1492
; %bb.1491:
	global_load_ubyte v2, v[6:7], off
	s_movk_i32 s12, 0x7f00
	s_brev_b32 s13, 16
	s_waitcnt vmcnt(0)
	v_lshlrev_b16_e32 v3, 8, v2
	v_lshlrev_b32_e32 v2, 25, v2
	v_lshrrev_b32_e32 v8, 4, v2
	v_and_or_b32 v9, v3, s12, 0.5
	v_or_b32_e32 v8, 0x70000000, v8
	v_add_f32_e32 v9, -0.5, v9
	v_mul_f32_e32 v8, 0x7800000, v8
	v_cmp_gt_u32_e32 vcc, s13, v2
	v_bfe_i32 v3, v3, 0, 16
	v_cndmask_b32_e32 v2, v8, v9, vcc
	s_brev_b32 s12, 1
	v_and_or_b32 v2, v3, s12, v2
	v_cvt_f64_f32_e32 v[2:3], v2
.LBB8_1492:
	s_mov_b64 s[12:13], 0
	s_mov_b64 s[16:17], -1
.LBB8_1493:
	s_andn2_b64 vcc, exec, s[12:13]
	s_mov_b64 s[12:13], 0
	s_cbranch_vccnz .LBB8_1502
; %bb.1494:
	s_cmp_gt_i32 s24, 14
	s_cbranch_scc0 .LBB8_1497
; %bb.1495:
	s_cmp_eq_u32 s24, 15
	s_cbranch_scc0 .LBB8_1498
; %bb.1496:
	global_load_ushort v2, v[6:7], off
	s_mov_b64 s[0:1], 0
	s_mov_b64 s[16:17], -1
	s_waitcnt vmcnt(0)
	v_lshlrev_b32_e32 v2, 16, v2
	v_cvt_f64_f32_e32 v[2:3], v2
	s_branch .LBB8_1499
.LBB8_1497:
	s_mov_b64 s[18:19], -1
                                        ; implicit-def: $vgpr2_vgpr3
	s_branch .LBB8_1500
.LBB8_1498:
	s_mov_b64 s[0:1], -1
                                        ; implicit-def: $vgpr2_vgpr3
.LBB8_1499:
	s_mov_b64 s[18:19], 0
.LBB8_1500:
	s_and_b64 vcc, exec, s[18:19]
	s_cbranch_vccz .LBB8_1502
; %bb.1501:
	s_cmp_lg_u32 s24, 11
	s_mov_b64 s[12:13], -1
	s_cselect_b64 s[0:1], -1, 0
.LBB8_1502:
	s_and_b64 vcc, exec, s[0:1]
	s_cbranch_vccnz .LBB8_1589
; %bb.1503:
	s_andn2_b64 vcc, exec, s[12:13]
	s_cbranch_vccnz .LBB8_1505
.LBB8_1504:
	global_load_ubyte v3, v[6:7], off
	v_mov_b32_e32 v8, 0x3ff00000
	v_mov_b32_e32 v2, 0
	s_mov_b64 s[16:17], -1
	s_waitcnt vmcnt(0)
	v_cmp_ne_u16_e32 vcc, 0, v3
	v_cndmask_b32_e32 v3, 0, v8, vcc
.LBB8_1505:
	s_branch .LBB8_1433
.LBB8_1506:
	s_cmp_lt_i32 s24, 5
	s_cbranch_scc1 .LBB8_1511
; %bb.1507:
	s_cmp_lt_i32 s24, 8
	s_cbranch_scc1 .LBB8_1512
; %bb.1508:
	;; [unrolled: 3-line block ×3, first 2 shown]
	s_cmp_gt_i32 s24, 9
	s_cbranch_scc0 .LBB8_1514
; %bb.1510:
	global_load_dwordx2 v[2:3], v[6:7], off
	s_mov_b64 s[0:1], 0
	s_branch .LBB8_1515
.LBB8_1511:
	s_mov_b64 s[0:1], -1
                                        ; implicit-def: $vgpr2_vgpr3
	s_branch .LBB8_1533
.LBB8_1512:
	s_mov_b64 s[0:1], -1
                                        ; implicit-def: $vgpr2_vgpr3
	s_branch .LBB8_1521
.LBB8_1513:
	s_mov_b64 s[0:1], -1
                                        ; implicit-def: $vgpr2_vgpr3
	s_branch .LBB8_1518
.LBB8_1514:
	s_mov_b64 s[0:1], -1
                                        ; implicit-def: $vgpr2_vgpr3
.LBB8_1515:
	s_andn2_b64 vcc, exec, s[0:1]
	s_cbranch_vccnz .LBB8_1517
; %bb.1516:
	global_load_dword v2, v[6:7], off
	s_waitcnt vmcnt(0)
	v_cvt_f64_f32_e32 v[2:3], v2
.LBB8_1517:
	s_mov_b64 s[0:1], 0
.LBB8_1518:
	s_andn2_b64 vcc, exec, s[0:1]
	s_cbranch_vccnz .LBB8_1520
; %bb.1519:
	global_load_dword v2, v[6:7], off
	s_waitcnt vmcnt(0)
	v_cvt_f32_f16_e32 v2, v2
	v_cvt_f64_f32_e32 v[2:3], v2
.LBB8_1520:
	s_mov_b64 s[0:1], 0
.LBB8_1521:
	s_andn2_b64 vcc, exec, s[0:1]
	s_cbranch_vccnz .LBB8_1532
; %bb.1522:
	s_cmp_lt_i32 s24, 6
	s_cbranch_scc1 .LBB8_1525
; %bb.1523:
	s_cmp_gt_i32 s24, 6
	s_cbranch_scc0 .LBB8_1526
; %bb.1524:
	global_load_dwordx2 v[2:3], v[6:7], off
	s_mov_b64 s[0:1], 0
	s_branch .LBB8_1527
.LBB8_1525:
	s_mov_b64 s[0:1], -1
                                        ; implicit-def: $vgpr2_vgpr3
	s_branch .LBB8_1530
.LBB8_1526:
	s_mov_b64 s[0:1], -1
                                        ; implicit-def: $vgpr2_vgpr3
.LBB8_1527:
	s_andn2_b64 vcc, exec, s[0:1]
	s_cbranch_vccnz .LBB8_1529
; %bb.1528:
	global_load_dword v2, v[6:7], off
	s_waitcnt vmcnt(0)
	v_cvt_f64_f32_e32 v[2:3], v2
.LBB8_1529:
	s_mov_b64 s[0:1], 0
.LBB8_1530:
	s_andn2_b64 vcc, exec, s[0:1]
	s_cbranch_vccnz .LBB8_1532
; %bb.1531:
	global_load_ushort v2, v[6:7], off
	s_waitcnt vmcnt(0)
	v_cvt_f32_f16_e32 v2, v2
	v_cvt_f64_f32_e32 v[2:3], v2
.LBB8_1532:
	s_mov_b64 s[0:1], 0
.LBB8_1533:
	s_andn2_b64 vcc, exec, s[0:1]
	s_cbranch_vccnz .LBB8_1553
; %bb.1534:
	s_cmp_lt_i32 s24, 2
	s_cbranch_scc1 .LBB8_1538
; %bb.1535:
	s_cmp_lt_i32 s24, 3
	s_cbranch_scc1 .LBB8_1539
; %bb.1536:
	s_cmp_gt_i32 s24, 3
	s_cbranch_scc0 .LBB8_1540
; %bb.1537:
	global_load_dwordx2 v[2:3], v[6:7], off
	s_mov_b64 s[0:1], 0
	s_waitcnt vmcnt(0)
	v_cvt_f64_i32_e32 v[8:9], v3
	v_cvt_f64_u32_e32 v[2:3], v2
	v_ldexp_f64 v[8:9], v[8:9], 32
	v_add_f64 v[2:3], v[8:9], v[2:3]
	s_branch .LBB8_1541
.LBB8_1538:
	s_mov_b64 s[0:1], -1
                                        ; implicit-def: $vgpr2_vgpr3
	s_branch .LBB8_1547
.LBB8_1539:
	s_mov_b64 s[0:1], -1
                                        ; implicit-def: $vgpr2_vgpr3
	s_branch .LBB8_1544
.LBB8_1540:
	s_mov_b64 s[0:1], -1
                                        ; implicit-def: $vgpr2_vgpr3
.LBB8_1541:
	s_andn2_b64 vcc, exec, s[0:1]
	s_cbranch_vccnz .LBB8_1543
; %bb.1542:
	global_load_dword v2, v[6:7], off
	s_waitcnt vmcnt(0)
	v_cvt_f64_i32_e32 v[2:3], v2
.LBB8_1543:
	s_mov_b64 s[0:1], 0
.LBB8_1544:
	s_andn2_b64 vcc, exec, s[0:1]
	s_cbranch_vccnz .LBB8_1546
; %bb.1545:
	global_load_sshort v2, v[6:7], off
	s_waitcnt vmcnt(0)
	v_cvt_f64_i32_e32 v[2:3], v2
.LBB8_1546:
	s_mov_b64 s[0:1], 0
.LBB8_1547:
	s_andn2_b64 vcc, exec, s[0:1]
	s_cbranch_vccnz .LBB8_1553
; %bb.1548:
	s_cmp_gt_i32 s24, 0
	s_cbranch_scc0 .LBB8_1550
; %bb.1549:
	global_load_sbyte v2, v[6:7], off
	s_mov_b64 s[0:1], 0
	s_waitcnt vmcnt(0)
	v_cvt_f64_i32_e32 v[2:3], v2
	s_branch .LBB8_1551
.LBB8_1550:
	s_mov_b64 s[0:1], -1
                                        ; implicit-def: $vgpr2_vgpr3
.LBB8_1551:
	s_andn2_b64 vcc, exec, s[0:1]
	s_cbranch_vccnz .LBB8_1553
; %bb.1552:
	global_load_ubyte v2, v[6:7], off
	s_waitcnt vmcnt(0)
	v_cvt_f64_u32_e32 v[2:3], v2
.LBB8_1553:
.LBB8_1554:
	s_waitcnt vmcnt(0)
	v_cmp_neq_f64_e32 vcc, 0, v[2:3]
                                        ; implicit-def: $vgpr8_vgpr9
	s_and_saveexec_b64 s[0:1], vcc
	s_xor_b64 s[12:13], exec, s[0:1]
	s_cbranch_execz .LBB8_1576
; %bb.1555:
	v_cmp_gt_f64_e32 vcc, 0, v[2:3]
	v_mov_b32_e32 v6, 0
	v_mov_b32_e32 v7, 0
	s_mov_b64 s[18:19], -1
	s_and_saveexec_b64 s[16:17], vcc
	s_cbranch_execz .LBB8_1563
; %bb.1556:
	v_trunc_f64_e32 v[8:9], v[2:3]
	v_mov_b32_e32 v6, 0
	v_mov_b32_e32 v7, 0
	s_mov_b64 s[20:21], 0
	v_cmp_neq_f64_e32 vcc, v[2:3], v[8:9]
	s_and_saveexec_b64 s[18:19], vcc
	s_cbranch_execz .LBB8_1562
; %bb.1557:
	v_add_f64 v[6:7], v[2:3], -v[8:9]
	s_mov_b32 s22, 0
	s_mov_b32 s1, 0xc00921fb
	;; [unrolled: 1-line block ×4, first 2 shown]
	v_cmp_neq_f64_e64 vcc, |v[2:3]|, s[22:23]
	v_bfrev_b32_e32 v8, 1
	s_mov_b32 s20, 0
	v_mul_f64 v[6:7], |v[6:7]|, s[0:1]
	s_mov_b32 s21, 0x41d00000
                                        ; implicit-def: $vgpr13
                                        ; implicit-def: $vgpr10_vgpr11
	v_cndmask_b32_e32 v7, v8, v7, vcc
	v_cndmask_b32_e32 v6, 0, v6, vcc
	v_cmp_nlt_f64_e64 s[20:21], |v[6:7]|, s[20:21]
                                        ; implicit-def: $vgpr8_vgpr9
	s_and_saveexec_b64 s[26:27], s[20:21]
	s_xor_b64 s[20:21], exec, s[26:27]
	s_cbranch_execz .LBB8_1559
; %bb.1558:
	v_trig_preop_f64 v[8:9], |v[6:7]|, 0
	s_mov_b32 s26, 0
	s_mov_b32 s27, 0x7b000000
	s_movk_i32 s1, 0xff80
	v_ldexp_f64 v[15:16], |v[6:7]|, s1
	v_cmp_ge_f64_e64 vcc, |v[6:7]|, s[26:27]
	v_trig_preop_f64 v[10:11], |v[6:7]|, 1
	v_and_b32_e32 v13, 0x7fffffff, v7
	v_trig_preop_f64 v[23:24], |v[6:7]|, 2
	v_mov_b32_e32 v33, 0
	s_mov_b32 s1, 0x3ff921fb
	v_cndmask_b32_e32 v16, v13, v16, vcc
	v_cndmask_b32_e32 v15, v6, v15, vcc
	v_mov_b32_e32 v13, 0x40100000
	v_mul_f64 v[17:18], v[8:9], v[15:16]
	v_mul_f64 v[19:20], v[10:11], v[15:16]
	;; [unrolled: 1-line block ×3, first 2 shown]
	v_fma_f64 v[8:9], v[8:9], v[15:16], -v[17:18]
	v_fma_f64 v[10:11], v[10:11], v[15:16], -v[19:20]
	;; [unrolled: 1-line block ×3, first 2 shown]
	v_add_f64 v[21:22], v[19:20], v[8:9]
	v_add_f64 v[25:26], v[21:22], -v[19:20]
	v_add_f64 v[31:32], v[17:18], v[21:22]
	v_add_f64 v[27:28], v[21:22], -v[25:26]
	v_add_f64 v[8:9], v[8:9], -v[25:26]
	v_add_f64 v[25:26], v[29:30], v[10:11]
	v_add_f64 v[17:18], v[31:32], -v[17:18]
	v_add_f64 v[19:20], v[19:20], -v[27:28]
	v_ldexp_f64 v[27:28], v[31:32], -2
	v_add_f64 v[35:36], v[25:26], -v[29:30]
	v_add_f64 v[17:18], v[21:22], -v[17:18]
	v_add_f64 v[8:9], v[8:9], v[19:20]
	v_fract_f64_e32 v[19:20], v[27:28]
	v_cmp_neq_f64_e64 vcc, |v[27:28]|, s[22:23]
	v_add_f64 v[10:11], v[10:11], -v[35:36]
	s_mov_b32 s22, 0x33145c07
	s_mov_b32 s23, 0x3c91a626
	v_add_f64 v[21:22], v[25:26], v[8:9]
	v_ldexp_f64 v[19:20], v[19:20], 2
	v_add_f64 v[27:28], v[17:18], v[21:22]
	v_cndmask_b32_e32 v20, 0, v20, vcc
	v_cndmask_b32_e32 v19, 0, v19, vcc
	v_add_f64 v[37:38], v[21:22], -v[25:26]
	v_add_f64 v[31:32], v[27:28], v[19:20]
	v_add_f64 v[17:18], v[27:28], -v[17:18]
	v_add_f64 v[39:40], v[21:22], -v[37:38]
	;; [unrolled: 1-line block ×3, first 2 shown]
	v_cmp_gt_f64_e32 vcc, 0, v[31:32]
	v_add_f64 v[31:32], v[25:26], -v[35:36]
	v_add_f64 v[17:18], v[21:22], -v[17:18]
	;; [unrolled: 1-line block ×3, first 2 shown]
	v_cndmask_b32_e32 v34, 0, v13, vcc
	v_add_f64 v[19:20], v[19:20], v[33:34]
	v_add_f64 v[31:32], v[29:30], -v[31:32]
	v_add_f64 v[8:9], v[8:9], v[25:26]
	v_add_f64 v[41:42], v[27:28], v[19:20]
	;; [unrolled: 1-line block ×3, first 2 shown]
	v_cvt_i32_f64_e32 v13, v[41:42]
	v_add_f64 v[8:9], v[10:11], v[8:9]
	v_cvt_f64_i32_e32 v[34:35], v13
	v_add_f64 v[19:20], v[19:20], -v[34:35]
	v_add_f64 v[8:9], v[15:16], v[8:9]
	v_add_f64 v[10:11], v[27:28], v[19:20]
	;; [unrolled: 1-line block ×3, first 2 shown]
	v_mov_b32_e32 v17, 0x3ff00000
	v_add_f64 v[15:16], v[10:11], -v[19:20]
	v_cmp_le_f64_e32 vcc, 0.5, v[10:11]
	v_add_f64 v[15:16], v[27:28], -v[15:16]
	v_cndmask_b32_e32 v34, 0, v17, vcc
	v_add_f64 v[10:11], v[10:11], -v[33:34]
	v_addc_co_u32_e32 v13, vcc, 0, v13, vcc
	v_add_f64 v[8:9], v[8:9], v[15:16]
	v_add_f64 v[15:16], v[10:11], v[8:9]
	v_mul_f64 v[17:18], v[15:16], s[0:1]
	v_add_f64 v[10:11], v[15:16], -v[10:11]
	v_fma_f64 v[19:20], v[15:16], s[0:1], -v[17:18]
	v_add_f64 v[8:9], v[8:9], -v[10:11]
	v_fma_f64 v[10:11], v[15:16], s[22:23], v[19:20]
	v_fma_f64 v[10:11], v[8:9], s[0:1], v[10:11]
	v_add_f64 v[8:9], v[17:18], v[10:11]
	v_add_f64 v[15:16], v[8:9], -v[17:18]
	v_add_f64 v[10:11], v[10:11], -v[15:16]
.LBB8_1559:
	s_andn2_saveexec_b64 s[0:1], s[20:21]
	s_cbranch_execz .LBB8_1561
; %bb.1560:
	s_mov_b32 s20, 0x6dc9c883
	s_mov_b32 s21, 0x3fe45f30
	v_mul_f64 v[8:9], |v[6:7]|, s[20:21]
	s_mov_b32 s20, 0x54442d18
	s_mov_b32 s21, 0xbff921fb
	;; [unrolled: 1-line block ×4, first 2 shown]
	v_rndne_f64_e32 v[15:16], v[8:9]
	v_fma_f64 v[8:9], v[15:16], s[20:21], |v[6:7]|
	v_mul_f64 v[10:11], v[15:16], s[22:23]
	s_mov_b32 s20, 0x252049c0
	s_mov_b32 s21, 0xb97b839a
	v_cvt_i32_f64_e32 v13, v[15:16]
	v_fma_f64 v[21:22], v[15:16], s[22:23], v[8:9]
	v_add_f64 v[17:18], v[8:9], v[10:11]
	s_mov_b32 s23, 0x3c91a626
	v_add_f64 v[19:20], v[8:9], -v[17:18]
	v_add_f64 v[17:18], v[17:18], -v[21:22]
	v_add_f64 v[8:9], v[19:20], v[10:11]
	v_fma_f64 v[10:11], v[15:16], s[22:23], v[10:11]
	v_add_f64 v[8:9], v[17:18], v[8:9]
	v_add_f64 v[8:9], v[8:9], -v[10:11]
	v_fma_f64 v[10:11], v[15:16], s[20:21], v[8:9]
	v_add_f64 v[8:9], v[21:22], v[10:11]
	v_add_f64 v[17:18], v[8:9], -v[21:22]
	v_add_f64 v[10:11], v[10:11], -v[17:18]
.LBB8_1561:
	s_or_b64 exec, exec, s[0:1]
	v_mul_f64 v[15:16], v[8:9], v[8:9]
	v_add_f64 v[17:18], v[10:11], v[10:11]
	s_mov_b32 s0, 0xc751c08c
	s_mov_b32 s1, 0x3ef5e089
	v_and_b32_e32 v13, 1, v13
	v_cmp_eq_u32_e32 vcc, 0, v13
	s_mov_b32 s22, 0x54442d18
	s_mov_b32 s23, 0xc00921fb
	v_fma_f64 v[19:20], v[8:9], v[8:9], -v[15:16]
	v_add_f64 v[2:3], -v[2:3], 1.0
	s_mov_b64 s[20:21], exec
	v_fma_f64 v[17:18], v[8:9], v[17:18], v[19:20]
	v_add_f64 v[15:16], v[15:16], v[17:18]
	v_mov_b32_e32 v17, 0xa9a29f71
	v_mov_b32_e32 v18, 0xbf078809
	v_fma_f64 v[17:18], v[15:16], s[0:1], v[17:18]
	s_mov_b32 s0, 0x90a8aae0
	s_mov_b32 s1, 0x3f17746f
	v_fma_f64 v[17:18], v[15:16], v[17:18], s[0:1]
	s_mov_b32 s0, 0xa6fbf144
	s_mov_b32 s1, 0xbefbb44d
	;; [unrolled: 3-line block ×12, first 2 shown]
	v_fma_f64 v[17:18], v[15:16], v[17:18], s[0:1]
	s_movk_i32 s0, 0x1f8
	v_cmp_class_f64_e64 s[0:1], v[6:7], s0
	v_mul_f64 v[15:16], v[15:16], v[17:18]
	v_mul_f64 v[17:18], v[8:9], v[15:16]
	v_add_f64 v[19:20], v[8:9], v[17:18]
	v_fma_f64 v[15:16], v[8:9], v[15:16], -v[17:18]
	v_add_f64 v[8:9], v[19:20], -v[8:9]
	v_add_f64 v[10:11], v[10:11], v[15:16]
	v_add_f64 v[8:9], v[17:18], -v[8:9]
	v_add_f64 v[8:9], v[10:11], v[8:9]
	v_add_f64 v[10:11], v[19:20], v[8:9]
	v_rcp_f64_e32 v[15:16], v[10:11]
	v_fma_f64 v[17:18], -v[10:11], v[15:16], 1.0
	v_fma_f64 v[15:16], v[17:18], v[15:16], v[15:16]
	v_fma_f64 v[17:18], -v[10:11], v[15:16], 1.0
	v_fma_f64 v[15:16], v[17:18], v[15:16], v[15:16]
	v_add_f64 v[17:18], v[10:11], -v[19:20]
	v_mul_f64 v[19:20], v[10:11], v[15:16]
	v_add_f64 v[8:9], v[8:9], -v[17:18]
	v_fma_f64 v[17:18], v[15:16], v[10:11], -v[19:20]
	v_fma_f64 v[8:9], v[15:16], v[8:9], v[17:18]
	v_add_f64 v[17:18], v[19:20], v[8:9]
	v_add_f64 v[21:22], -v[17:18], 1.0
	v_add_f64 v[19:20], v[17:18], -v[19:20]
	v_add_f64 v[23:24], -v[21:22], 1.0
	v_add_f64 v[8:9], v[19:20], -v[8:9]
	v_add_f64 v[17:18], v[23:24], -v[17:18]
	v_add_f64 v[8:9], v[8:9], v[17:18]
	v_add_f64 v[8:9], v[21:22], v[8:9]
	v_mul_f64 v[8:9], v[15:16], v[8:9]
	v_add_f64 v[8:9], v[15:16], v[8:9]
	v_and_b32_e32 v15, 0x80000000, v7
	v_mov_b32_e32 v7, 0x7ff80000
	v_xor_b32_e32 v6, 0x80000000, v9
	v_cndmask_b32_e32 v8, v8, v10, vcc
	v_cndmask_b32_e32 v9, v6, v11, vcc
	v_cndmask_b32_e64 v6, 0, v8, s[0:1]
	v_xor_b32_e32 v8, v9, v15
	v_cndmask_b32_e64 v7, v7, v8, s[0:1]
	v_div_scale_f64 v[8:9], s[0:1], v[6:7], v[6:7], s[22:23]
	v_rcp_f64_e32 v[10:11], v[8:9]
	v_fma_f64 v[15:16], -v[8:9], v[10:11], 1.0
	v_fma_f64 v[10:11], v[10:11], v[15:16], v[10:11]
	v_div_scale_f64 v[15:16], vcc, s[22:23], v[6:7], s[22:23]
	v_fma_f64 v[17:18], -v[8:9], v[10:11], 1.0
	v_fma_f64 v[10:11], v[10:11], v[17:18], v[10:11]
	v_mul_f64 v[17:18], v[15:16], v[10:11]
	v_fma_f64 v[8:9], -v[8:9], v[17:18], v[15:16]
	v_div_fmas_f64 v[8:9], v[8:9], v[10:11], v[17:18]
	v_div_fixup_f64 v[6:7], v[8:9], v[6:7], s[22:23]
.LBB8_1562:
	s_or_b64 exec, exec, s[18:19]
	s_orn2_b64 s[18:19], s[20:21], exec
.LBB8_1563:
	s_or_b64 exec, exec, s[16:17]
	v_mov_b32_e32 v8, 0
	v_mov_b32_e32 v9, 0x7ff80000
	s_and_saveexec_b64 s[0:1], s[18:19]
	s_cbranch_execz .LBB8_1575
; %bb.1564:
	s_mov_b32 s18, 0
	s_mov_b32 s19, 0x40240000
	v_cmp_gt_f64_e32 vcc, s[18:19], v[2:3]
	s_and_saveexec_b64 s[16:17], vcc
	s_cbranch_execz .LBB8_1568
; %bb.1565:
	s_mov_b64 s[20:21], 0
.LBB8_1566:                             ; =>This Inner Loop Header: Depth=1
	v_div_scale_f64 v[8:9], s[22:23], v[2:3], v[2:3], 1.0
	v_rcp_f64_e32 v[10:11], v[8:9]
	v_fma_f64 v[15:16], -v[8:9], v[10:11], 1.0
	v_fma_f64 v[10:11], v[10:11], v[15:16], v[10:11]
	v_div_scale_f64 v[15:16], vcc, 1.0, v[2:3], 1.0
	v_fma_f64 v[17:18], -v[8:9], v[10:11], 1.0
	v_fma_f64 v[10:11], v[10:11], v[17:18], v[10:11]
	v_mul_f64 v[17:18], v[15:16], v[10:11]
	v_fma_f64 v[8:9], -v[8:9], v[17:18], v[15:16]
	v_div_fmas_f64 v[8:9], v[8:9], v[10:11], v[17:18]
	v_div_fixup_f64 v[8:9], v[8:9], v[2:3], 1.0
	v_add_f64 v[2:3], v[2:3], 1.0
	v_add_f64 v[6:7], v[6:7], -v[8:9]
	v_cmp_ngt_f64_e32 vcc, s[18:19], v[2:3]
	s_or_b64 s[20:21], vcc, s[20:21]
	s_andn2_b64 exec, exec, s[20:21]
	s_cbranch_execnz .LBB8_1566
; %bb.1567:
	s_or_b64 exec, exec, s[20:21]
.LBB8_1568:
	s_or_b64 exec, exec, s[16:17]
	s_mov_b32 s16, 0
	s_mov_b32 s17, 0x40240000
	v_cmp_neq_f64_e32 vcc, s[16:17], v[2:3]
                                        ; implicit-def: $vgpr8_vgpr9
	s_and_saveexec_b64 s[16:17], vcc
	s_xor_b64 s[16:17], exec, s[16:17]
	s_cbranch_execz .LBB8_1572
; %bb.1569:
	s_mov_b32 s18, 0x85d8a000
	s_mov_b32 s19, 0x43763457
	v_cmp_gt_f64_e32 vcc, s[18:19], v[2:3]
	v_mov_b32_e32 v8, 0
	v_mov_b32_e32 v9, 0
	s_and_saveexec_b64 s[18:19], vcc
	s_cbranch_execz .LBB8_1571
; %bb.1570:
	v_mul_f64 v[8:9], v[2:3], v[2:3]
	s_mov_b32 s22, 0x95995996
	s_mov_b32 s23, 0xbf959959
	;; [unrolled: 1-line block ×4, first 2 shown]
	v_div_scale_f64 v[10:11], s[20:21], v[8:9], v[8:9], 1.0
	v_div_scale_f64 v[19:20], vcc, 1.0, v[8:9], 1.0
	s_mov_b32 s20, 0x55555555
	s_mov_b32 s21, 0x3fb55555
	v_rcp_f64_e32 v[15:16], v[10:11]
	v_fma_f64 v[17:18], -v[10:11], v[15:16], 1.0
	v_fma_f64 v[15:16], v[15:16], v[17:18], v[15:16]
	v_fma_f64 v[17:18], -v[10:11], v[15:16], 1.0
	v_fma_f64 v[15:16], v[15:16], v[17:18], v[15:16]
	v_mul_f64 v[17:18], v[19:20], v[15:16]
	v_fma_f64 v[10:11], -v[10:11], v[17:18], v[19:20]
	v_div_fmas_f64 v[10:11], v[10:11], v[15:16], v[17:18]
	v_div_fixup_f64 v[8:9], v[10:11], v[8:9], 1.0
	v_fma_f64 v[10:11], v[8:9], 0, s[20:21]
	v_fma_f64 v[10:11], v[8:9], v[10:11], s[22:23]
	s_mov_b32 s22, 0xf07c1f08
	s_mov_b32 s23, 0x3f7f07c1
	v_fma_f64 v[10:11], v[8:9], v[10:11], s[22:23]
	s_mov_b32 s23, 0xbf711111
	s_mov_b32 s22, 0x11111111
	v_fma_f64 v[10:11], v[8:9], v[10:11], s[22:23]
	s_mov_b32 s23, 0xbf811111
	v_fma_f64 v[10:11], v[8:9], v[10:11], s[26:27]
	v_fma_f64 v[10:11], v[8:9], v[10:11], s[22:23]
	;; [unrolled: 1-line block ×3, first 2 shown]
	v_mul_f64 v[8:9], v[8:9], v[10:11]
.LBB8_1571:
	s_or_b64 exec, exec, s[18:19]
	v_frexp_mant_f64_e32 v[10:11], v[2:3]
	s_mov_b32 s19, 0x3fe55555
	s_mov_b32 s18, 0x55555555
	s_mov_b32 s20, 0xbf559e2b
	s_mov_b32 s21, 0x3fc3ab76
	v_cmp_gt_f64_e32 vcc, s[18:19], v[10:11]
	s_mov_b32 s18, 0x55555780
	v_cndmask_b32_e64 v13, 0, 1, vcc
	v_ldexp_f64 v[10:11], v[10:11], v13
	v_frexp_exp_i32_f64_e32 v13, v[2:3]
	v_add_f64 v[15:16], v[10:11], 1.0
	v_add_f64 v[21:22], v[10:11], -1.0
	v_subbrev_co_u32_e32 v13, vcc, 0, v13, vcc
	v_rcp_f64_e32 v[17:18], v[15:16]
	v_add_f64 v[23:24], v[15:16], -1.0
	v_add_f64 v[10:11], v[10:11], -v[23:24]
	v_fma_f64 v[19:20], -v[15:16], v[17:18], 1.0
	v_fma_f64 v[17:18], v[19:20], v[17:18], v[17:18]
	v_fma_f64 v[19:20], -v[15:16], v[17:18], 1.0
	v_fma_f64 v[17:18], v[19:20], v[17:18], v[17:18]
	v_mul_f64 v[19:20], v[21:22], v[17:18]
	v_mul_f64 v[25:26], v[15:16], v[19:20]
	v_fma_f64 v[15:16], v[19:20], v[15:16], -v[25:26]
	v_fma_f64 v[10:11], v[19:20], v[10:11], v[15:16]
	v_add_f64 v[15:16], v[25:26], v[10:11]
	v_add_f64 v[23:24], v[21:22], -v[15:16]
	v_add_f64 v[25:26], v[15:16], -v[25:26]
	;; [unrolled: 1-line block ×5, first 2 shown]
	v_mov_b32_e32 v21, 0x6b47b09a
	v_mov_b32_e32 v22, 0x3fc38538
	v_add_f64 v[10:11], v[10:11], v[15:16]
	v_add_f64 v[10:11], v[23:24], v[10:11]
	v_mul_f64 v[10:11], v[17:18], v[10:11]
	v_add_f64 v[15:16], v[19:20], v[10:11]
	v_mul_f64 v[17:18], v[15:16], v[15:16]
	v_fma_f64 v[21:22], v[17:18], s[20:21], v[21:22]
	s_mov_b32 s20, 0xd7f4df2e
	s_mov_b32 s21, 0x3fc7474d
	v_mul_f64 v[23:24], v[15:16], v[17:18]
	v_fma_f64 v[21:22], v[17:18], v[21:22], s[20:21]
	s_mov_b32 s20, 0x16291751
	s_mov_b32 s21, 0x3fcc71c0
	v_fma_f64 v[21:22], v[17:18], v[21:22], s[20:21]
	s_mov_b32 s20, 0x9b27acf1
	s_mov_b32 s21, 0x3fd24924
	;; [unrolled: 3-line block ×3, first 2 shown]
	v_fma_f64 v[21:22], v[17:18], v[21:22], s[20:21]
	v_fma_f64 v[17:18], v[17:18], v[21:22], s[18:19]
	v_ldexp_f64 v[21:22], v[15:16], 1
	v_add_f64 v[15:16], v[15:16], -v[19:20]
	s_mov_b32 s18, 0xfefa39ef
	s_mov_b32 s19, 0x3fe62e42
	v_mul_f64 v[17:18], v[23:24], v[17:18]
	v_cvt_f64_i32_e32 v[23:24], v13
	v_add_f64 v[10:11], v[10:11], -v[15:16]
	v_mul_f64 v[25:26], v[23:24], s[18:19]
	v_add_f64 v[19:20], v[21:22], v[17:18]
	v_ldexp_f64 v[10:11], v[10:11], 1
	v_add_f64 v[15:16], v[19:20], -v[21:22]
	v_fma_f64 v[21:22], v[23:24], s[18:19], -v[25:26]
	s_mov_b32 s18, 0x3b39803f
	s_mov_b32 s19, 0x3c7abc9e
	v_add_f64 v[15:16], v[17:18], -v[15:16]
	v_fma_f64 v[17:18], v[23:24], s[18:19], v[21:22]
	v_add_f64 v[10:11], v[10:11], v[15:16]
	v_div_scale_f64 v[15:16], s[18:19], v[2:3], v[2:3], -0.5
	v_add_f64 v[21:22], v[25:26], v[17:18]
	s_movk_i32 s18, 0x204
	v_add_f64 v[23:24], v[19:20], v[10:11]
	v_add_f64 v[25:26], v[21:22], -v[25:26]
	v_add_f64 v[27:28], v[21:22], v[23:24]
	v_rcp_f64_e32 v[29:30], v[15:16]
	v_add_f64 v[19:20], v[23:24], -v[19:20]
	v_add_f64 v[17:18], v[17:18], -v[25:26]
	v_add_f64 v[31:32], v[27:28], -v[21:22]
	v_add_f64 v[10:11], v[10:11], -v[19:20]
	v_add_f64 v[33:34], v[27:28], -v[31:32]
	v_fma_f64 v[35:36], -v[15:16], v[29:30], 1.0
	v_add_f64 v[19:20], v[23:24], -v[31:32]
	v_add_f64 v[25:26], v[17:18], v[10:11]
	v_add_f64 v[21:22], v[21:22], -v[33:34]
	v_fma_f64 v[23:24], v[29:30], v[35:36], v[29:30]
	v_add_f64 v[31:32], v[25:26], -v[17:18]
	v_add_f64 v[19:20], v[19:20], v[21:22]
	v_div_scale_f64 v[21:22], vcc, -0.5, v[2:3], -0.5
	v_fma_f64 v[29:30], -v[15:16], v[23:24], 1.0
	v_add_f64 v[10:11], v[10:11], -v[31:32]
	v_add_f64 v[19:20], v[25:26], v[19:20]
	v_add_f64 v[25:26], v[25:26], -v[31:32]
	v_fma_f64 v[23:24], v[23:24], v[29:30], v[23:24]
	v_add_f64 v[29:30], v[27:28], v[19:20]
	v_add_f64 v[17:18], v[17:18], -v[25:26]
	v_mul_f64 v[33:34], v[21:22], v[23:24]
	v_add_f64 v[25:26], v[29:30], -v[27:28]
	v_add_f64 v[10:11], v[10:11], v[17:18]
	v_fma_f64 v[15:16], -v[15:16], v[33:34], v[21:22]
	v_add_f64 v[17:18], v[19:20], -v[25:26]
	v_div_fmas_f64 v[15:16], v[15:16], v[23:24], v[33:34]
	v_cmp_class_f64_e64 vcc, v[2:3], s18
	v_add_f64 v[10:11], v[10:11], v[17:18]
	v_add_f64 v[10:11], v[29:30], v[10:11]
	v_div_fixup_f64 v[15:16], v[15:16], v[2:3], -0.5
	v_cndmask_b32_e32 v3, v11, v3, vcc
	v_cndmask_b32_e32 v2, v10, v2, vcc
	v_add_f64 v[2:3], v[2:3], v[15:16]
	v_add_f64 v[2:3], v[2:3], -v[8:9]
	v_add_f64 v[8:9], v[6:7], v[2:3]
                                        ; implicit-def: $vgpr6_vgpr7
.LBB8_1572:
	s_andn2_saveexec_b64 s[16:17], s[16:17]
	s_cbranch_execz .LBB8_1574
; %bb.1573:
	s_mov_b32 s18, 0xdc85cc95
	s_mov_b32 s19, 0x40020396
	v_add_f64 v[8:9], v[6:7], s[18:19]
.LBB8_1574:
	s_or_b64 exec, exec, s[16:17]
.LBB8_1575:
	s_or_b64 exec, exec, s[0:1]
                                        ; implicit-def: $vgpr2_vgpr3
.LBB8_1576:
	s_andn2_saveexec_b64 s[0:1], s[12:13]
; %bb.1577:
	v_xor_b32_e32 v2, 0x80000000, v3
	s_brev_b32 s12, -2
	v_mov_b32_e32 v3, 0x7ff00000
	v_bfi_b32 v9, s12, v3, v2
	v_mov_b32_e32 v8, 0
; %bb.1578:
	s_or_b64 exec, exec, s[0:1]
	v_add_u32_e32 v2, s3, v12
	v_ashrrev_i32_e32 v3, 31, v2
	v_mov_b32_e32 v7, s11
	v_add_co_u32_e32 v6, vcc, s10, v2
	s_cmp_lt_i32 s24, 11
	v_addc_co_u32_e32 v7, vcc, v7, v3, vcc
	s_cbranch_scc1 .LBB8_1585
; %bb.1579:
	s_cmp_gt_i32 s24, 25
	s_mov_b64 s[10:11], 0
	s_cbranch_scc0 .LBB8_1586
; %bb.1580:
	s_cmp_gt_i32 s24, 28
	s_cbranch_scc0 .LBB8_1587
; %bb.1581:
	s_cmp_gt_i32 s24, 43
	;; [unrolled: 3-line block ×3, first 2 shown]
	s_cbranch_scc0 .LBB8_1590
; %bb.1583:
	s_cmp_eq_u32 s24, 46
	s_mov_b64 s[16:17], 0
	s_cbranch_scc0 .LBB8_1591
; %bb.1584:
	global_load_dword v2, v[6:7], off
	s_mov_b64 s[0:1], 0
	s_mov_b64 s[12:13], -1
	s_waitcnt vmcnt(0)
	v_lshlrev_b32_e32 v2, 16, v2
	v_cvt_f64_f32_e32 v[2:3], v2
	s_branch .LBB8_1592
.LBB8_1585:
	s_mov_b64 s[0:1], -1
	s_mov_b64 s[12:13], 0
                                        ; implicit-def: $vgpr2_vgpr3
	s_branch .LBB8_1658
.LBB8_1586:
	s_mov_b64 s[16:17], -1
	s_mov_b64 s[12:13], 0
	s_mov_b64 s[0:1], 0
                                        ; implicit-def: $vgpr2_vgpr3
	s_branch .LBB8_1623
.LBB8_1587:
	s_mov_b64 s[16:17], -1
	s_mov_b64 s[12:13], 0
	s_mov_b64 s[0:1], 0
                                        ; implicit-def: $vgpr2_vgpr3
	s_branch .LBB8_1602
.LBB8_1588:
	s_mov_b64 s[16:17], -1
	s_mov_b64 s[12:13], 0
	s_mov_b64 s[0:1], 0
                                        ; implicit-def: $vgpr2_vgpr3
	s_branch .LBB8_1597
.LBB8_1589:
	s_trap 2
	s_or_b64 s[14:15], s[14:15], exec
	s_cbranch_execz .LBB8_1504
	s_branch .LBB8_1505
.LBB8_1590:
	s_mov_b64 s[16:17], -1
	s_mov_b64 s[12:13], 0
	s_mov_b64 s[0:1], 0
                                        ; implicit-def: $vgpr2_vgpr3
	s_branch .LBB8_1592
.LBB8_1591:
	s_mov_b64 s[0:1], -1
                                        ; implicit-def: $vgpr2_vgpr3
	s_mov_b64 s[12:13], 0
.LBB8_1592:
	s_and_b64 vcc, exec, s[16:17]
	s_cbranch_vccz .LBB8_1596
; %bb.1593:
	s_cmp_eq_u32 s24, 44
	s_cbranch_scc0 .LBB8_1595
; %bb.1594:
	global_load_ubyte v10, v[6:7], off
	s_movk_i32 s3, 0xff
	v_bfrev_b32_e32 v11, 4
	v_mov_b32_e32 v12, 0x7ff80000
	v_bfrev_b32_e32 v13, 28
	s_mov_b64 s[0:1], 0
	s_mov_b64 s[12:13], -1
	s_waitcnt vmcnt(0)
	v_lshlrev_b32_e32 v2, 23, v10
	v_cvt_f64_f32_e32 v[2:3], v2
	v_cmp_ne_u32_e32 vcc, s3, v10
	v_cndmask_b32_e32 v2, v11, v2, vcc
	v_cndmask_b32_e32 v3, v12, v3, vcc
	v_cmp_ne_u32_e32 vcc, 0, v10
	v_cndmask_b32_e32 v3, v13, v3, vcc
	v_cndmask_b32_e32 v2, 0, v2, vcc
	s_branch .LBB8_1596
.LBB8_1595:
	s_mov_b64 s[0:1], -1
                                        ; implicit-def: $vgpr2_vgpr3
.LBB8_1596:
	s_mov_b64 s[16:17], 0
.LBB8_1597:
	s_and_b64 vcc, exec, s[16:17]
	s_cbranch_vccz .LBB8_1601
; %bb.1598:
	s_cmp_eq_u32 s24, 29
	s_cbranch_scc0 .LBB8_1600
; %bb.1599:
	global_load_dwordx2 v[2:3], v[6:7], off
	s_mov_b64 s[0:1], 0
	s_mov_b64 s[12:13], -1
	s_mov_b64 s[16:17], 0
	s_waitcnt vmcnt(0)
	v_cvt_f64_u32_e32 v[10:11], v3
	v_cvt_f64_u32_e32 v[2:3], v2
	v_ldexp_f64 v[10:11], v[10:11], 32
	v_add_f64 v[2:3], v[10:11], v[2:3]
	s_branch .LBB8_1602
.LBB8_1600:
	s_mov_b64 s[0:1], -1
                                        ; implicit-def: $vgpr2_vgpr3
.LBB8_1601:
	s_mov_b64 s[16:17], 0
.LBB8_1602:
	s_and_b64 vcc, exec, s[16:17]
	s_cbranch_vccz .LBB8_1622
; %bb.1603:
	s_cmp_lt_i32 s24, 27
	s_cbranch_scc1 .LBB8_1606
; %bb.1604:
	s_cmp_gt_i32 s24, 27
	s_cbranch_scc0 .LBB8_1607
; %bb.1605:
	global_load_dword v2, v[6:7], off
	s_mov_b64 s[12:13], 0
	s_waitcnt vmcnt(0)
	v_cvt_f64_u32_e32 v[2:3], v2
	s_branch .LBB8_1608
.LBB8_1606:
	s_mov_b64 s[12:13], -1
                                        ; implicit-def: $vgpr2_vgpr3
	s_branch .LBB8_1611
.LBB8_1607:
	s_mov_b64 s[12:13], -1
                                        ; implicit-def: $vgpr2_vgpr3
.LBB8_1608:
	s_andn2_b64 vcc, exec, s[12:13]
	s_cbranch_vccnz .LBB8_1610
; %bb.1609:
	global_load_ushort v2, v[6:7], off
	s_waitcnt vmcnt(0)
	v_cvt_f64_u32_e32 v[2:3], v2
.LBB8_1610:
	s_mov_b64 s[12:13], 0
.LBB8_1611:
	s_andn2_b64 vcc, exec, s[12:13]
	s_cbranch_vccnz .LBB8_1621
; %bb.1612:
	global_load_ubyte v10, v[6:7], off
	s_movk_i32 s3, 0x7f
	s_mov_b64 s[12:13], 0
	s_waitcnt vmcnt(0)
	v_cmp_lt_i16_e32 vcc, s3, v10
	s_and_saveexec_b64 s[16:17], vcc
	s_xor_b64 s[16:17], exec, s[16:17]
	s_cbranch_execz .LBB8_1616
; %bb.1613:
	s_movk_i32 s3, 0x80
	v_cmp_eq_u16_e32 vcc, s3, v10
	s_mov_b64 s[12:13], -1
	s_and_saveexec_b64 s[18:19], vcc
; %bb.1614:
	s_xor_b64 s[12:13], exec, -1
; %bb.1615:
	s_or_b64 exec, exec, s[18:19]
	s_and_b64 s[12:13], s[12:13], exec
.LBB8_1616:
	s_or_saveexec_b64 s[16:17], s[16:17]
	v_bfrev_b32_e32 v2, 4
	v_mov_b32_e32 v3, 0x7ff80000
	s_xor_b64 exec, exec, s[16:17]
; %bb.1617:
	v_cmp_ne_u16_e32 vcc, 0, v10
	v_mov_b32_e32 v2, 0
	s_andn2_b64 s[12:13], s[12:13], exec
	s_and_b64 s[18:19], vcc, exec
	v_mov_b32_e32 v3, 0
	s_or_b64 s[12:13], s[12:13], s[18:19]
; %bb.1618:
	s_or_b64 exec, exec, s[16:17]
	s_and_saveexec_b64 s[16:17], s[12:13]
	s_cbranch_execz .LBB8_1620
; %bb.1619:
	v_and_b32_e32 v3, 0xffff, v10
	v_lshlrev_b32_e32 v2, 24, v10
	v_and_b32_e32 v10, 7, v3
	v_ffbh_u32_e32 v12, v10
	v_min_u32_e32 v12, 32, v12
	v_subrev_u32_e32 v13, 28, v12
	v_bfe_u32 v11, v3, 3, 4
	v_lshlrev_b32_e32 v3, v13, v3
	v_sub_u32_e32 v12, 29, v12
	v_and_b32_e32 v3, 7, v3
	v_cmp_eq_u32_e32 vcc, 0, v11
	v_cndmask_b32_e32 v11, v11, v12, vcc
	v_cndmask_b32_e32 v3, v10, v3, vcc
	v_mov_b32_e32 v10, 0x3b800000
	v_lshlrev_b32_e32 v3, 20, v3
	v_and_b32_e32 v2, 0x80000000, v2
	v_lshl_add_u32 v10, v11, 23, v10
	v_or3_b32 v2, v2, v10, v3
	v_cvt_f64_f32_e32 v[2:3], v2
.LBB8_1620:
	s_or_b64 exec, exec, s[16:17]
.LBB8_1621:
	s_mov_b64 s[12:13], -1
.LBB8_1622:
	s_mov_b64 s[16:17], 0
.LBB8_1623:
	s_and_b64 vcc, exec, s[16:17]
	s_cbranch_vccz .LBB8_1654
; %bb.1624:
	s_cmp_gt_i32 s24, 22
	s_cbranch_scc0 .LBB8_1636
; %bb.1625:
	s_cmp_lt_i32 s24, 24
	s_cbranch_scc1 .LBB8_1637
; %bb.1626:
	s_cmp_gt_i32 s24, 24
	s_cbranch_scc0 .LBB8_1638
; %bb.1627:
	global_load_ubyte v10, v[6:7], off
	s_movk_i32 s3, 0x7f
	s_waitcnt vmcnt(0)
	v_cmp_lt_i16_e32 vcc, s3, v10
	s_and_saveexec_b64 s[12:13], vcc
	s_xor_b64 s[12:13], exec, s[12:13]
	s_cbranch_execz .LBB8_1631
; %bb.1628:
	s_movk_i32 s3, 0x80
	v_cmp_eq_u16_e32 vcc, s3, v10
	s_mov_b64 s[10:11], -1
	s_and_saveexec_b64 s[16:17], vcc
; %bb.1629:
	s_xor_b64 s[10:11], exec, -1
; %bb.1630:
	s_or_b64 exec, exec, s[16:17]
	s_and_b64 s[10:11], s[10:11], exec
.LBB8_1631:
	s_or_saveexec_b64 s[12:13], s[12:13]
	v_bfrev_b32_e32 v2, 4
	v_mov_b32_e32 v3, 0x7ff80000
	s_xor_b64 exec, exec, s[12:13]
; %bb.1632:
	v_cmp_ne_u16_e32 vcc, 0, v10
	v_mov_b32_e32 v2, 0
	s_andn2_b64 s[10:11], s[10:11], exec
	s_and_b64 s[16:17], vcc, exec
	v_mov_b32_e32 v3, 0
	s_or_b64 s[10:11], s[10:11], s[16:17]
; %bb.1633:
	s_or_b64 exec, exec, s[12:13]
	s_and_saveexec_b64 s[12:13], s[10:11]
	s_cbranch_execz .LBB8_1635
; %bb.1634:
	v_and_b32_e32 v3, 0xffff, v10
	v_lshlrev_b32_e32 v2, 24, v10
	v_and_b32_e32 v10, 3, v3
	v_ffbh_u32_e32 v12, v10
	v_min_u32_e32 v12, 32, v12
	v_subrev_u32_e32 v13, 29, v12
	v_bfe_u32 v11, v3, 2, 5
	v_lshlrev_b32_e32 v3, v13, v3
	v_sub_u32_e32 v12, 30, v12
	v_and_b32_e32 v3, 3, v3
	v_cmp_eq_u32_e32 vcc, 0, v11
	v_cndmask_b32_e32 v11, v11, v12, vcc
	v_cndmask_b32_e32 v3, v10, v3, vcc
	v_mov_b32_e32 v10, 0x37800000
	v_lshlrev_b32_e32 v3, 21, v3
	v_and_b32_e32 v2, 0x80000000, v2
	v_lshl_add_u32 v10, v11, 23, v10
	v_or3_b32 v2, v2, v10, v3
	v_cvt_f64_f32_e32 v[2:3], v2
.LBB8_1635:
	s_or_b64 exec, exec, s[12:13]
	s_mov_b64 s[10:11], 0
	s_branch .LBB8_1639
.LBB8_1636:
	s_mov_b64 s[10:11], -1
                                        ; implicit-def: $vgpr2_vgpr3
	s_branch .LBB8_1645
.LBB8_1637:
	s_mov_b64 s[10:11], -1
                                        ; implicit-def: $vgpr2_vgpr3
	s_branch .LBB8_1642
.LBB8_1638:
	s_mov_b64 s[10:11], -1
                                        ; implicit-def: $vgpr2_vgpr3
.LBB8_1639:
	s_and_b64 vcc, exec, s[10:11]
	s_cbranch_vccz .LBB8_1641
; %bb.1640:
	global_load_ubyte v2, v[6:7], off
	s_mov_b32 s3, 0x7f800000
	s_waitcnt vmcnt(0)
	v_lshlrev_b32_e32 v2, 24, v2
	v_and_b32_e32 v3, 0x7f000000, v2
	v_ffbh_u32_e32 v10, v3
	v_min_u32_e32 v10, 32, v10
	v_sub_u32_e64 v10, v10, 4 clamp
	v_lshlrev_b32_e32 v12, v10, v3
	v_lshlrev_b32_e32 v10, 23, v10
	v_lshrrev_b32_e32 v12, 4, v12
	v_add_u32_e32 v11, 0x1000000, v3
	v_sub_u32_e32 v10, v12, v10
	v_ashrrev_i32_e32 v11, 8, v11
	v_add_u32_e32 v10, 0x3c000000, v10
	v_and_or_b32 v10, v11, s3, v10
	v_cmp_ne_u32_e32 vcc, 0, v3
	v_cndmask_b32_e32 v3, 0, v10, vcc
	s_brev_b32 s3, 1
	v_and_or_b32 v2, v2, s3, v3
	v_cvt_f64_f32_e32 v[2:3], v2
.LBB8_1641:
	s_mov_b64 s[10:11], 0
.LBB8_1642:
	s_andn2_b64 vcc, exec, s[10:11]
	s_cbranch_vccnz .LBB8_1644
; %bb.1643:
	global_load_ubyte v2, v[6:7], off
	s_movk_i32 s3, 0x7f00
	s_brev_b32 s10, 16
	s_waitcnt vmcnt(0)
	v_lshlrev_b16_e32 v3, 8, v2
	v_lshlrev_b32_e32 v2, 25, v2
	v_lshrrev_b32_e32 v10, 4, v2
	v_and_or_b32 v11, v3, s3, 0.5
	v_or_b32_e32 v10, 0x70000000, v10
	v_add_f32_e32 v11, -0.5, v11
	v_mul_f32_e32 v10, 0x7800000, v10
	v_cmp_gt_u32_e32 vcc, s10, v2
	v_bfe_i32 v3, v3, 0, 16
	v_cndmask_b32_e32 v2, v10, v11, vcc
	s_brev_b32 s3, 1
	v_and_or_b32 v2, v3, s3, v2
	v_cvt_f64_f32_e32 v[2:3], v2
.LBB8_1644:
	s_mov_b64 s[10:11], 0
	s_mov_b64 s[12:13], -1
.LBB8_1645:
	s_andn2_b64 vcc, exec, s[10:11]
	s_mov_b64 s[10:11], 0
	s_cbranch_vccnz .LBB8_1654
; %bb.1646:
	s_cmp_gt_i32 s24, 14
	s_cbranch_scc0 .LBB8_1649
; %bb.1647:
	s_cmp_eq_u32 s24, 15
	s_cbranch_scc0 .LBB8_1650
; %bb.1648:
	global_load_ushort v2, v[6:7], off
	s_mov_b64 s[0:1], 0
	s_mov_b64 s[12:13], -1
	s_waitcnt vmcnt(0)
	v_lshlrev_b32_e32 v2, 16, v2
	v_cvt_f64_f32_e32 v[2:3], v2
	s_branch .LBB8_1651
.LBB8_1649:
	s_mov_b64 s[16:17], -1
                                        ; implicit-def: $vgpr2_vgpr3
	s_branch .LBB8_1652
.LBB8_1650:
	s_mov_b64 s[0:1], -1
                                        ; implicit-def: $vgpr2_vgpr3
.LBB8_1651:
	s_mov_b64 s[16:17], 0
.LBB8_1652:
	s_and_b64 vcc, exec, s[16:17]
	s_cbranch_vccz .LBB8_1654
; %bb.1653:
	s_cmp_lg_u32 s24, 11
	s_mov_b64 s[10:11], -1
	s_cselect_b64 s[0:1], -1, 0
.LBB8_1654:
	s_and_b64 vcc, exec, s[0:1]
	s_cbranch_vccnz .LBB8_2213
; %bb.1655:
	s_andn2_b64 vcc, exec, s[10:11]
	s_cbranch_vccnz .LBB8_1657
.LBB8_1656:
	global_load_ubyte v3, v[6:7], off
	v_mov_b32_e32 v10, 0x3ff00000
	v_mov_b32_e32 v2, 0
	s_mov_b64 s[12:13], -1
	s_waitcnt vmcnt(0)
	v_cmp_ne_u16_e32 vcc, 0, v3
	v_cndmask_b32_e32 v3, 0, v10, vcc
.LBB8_1657:
	s_mov_b64 s[0:1], 0
.LBB8_1658:
	s_and_b64 vcc, exec, s[0:1]
	s_cbranch_vccz .LBB8_1707
; %bb.1659:
	s_cmp_lt_i32 s24, 5
	s_cbranch_scc1 .LBB8_1664
; %bb.1660:
	s_cmp_lt_i32 s24, 8
	s_cbranch_scc1 .LBB8_1665
	;; [unrolled: 3-line block ×3, first 2 shown]
; %bb.1662:
	s_cmp_gt_i32 s24, 9
	s_cbranch_scc0 .LBB8_1667
; %bb.1663:
	global_load_dwordx2 v[2:3], v[6:7], off
	s_mov_b64 s[0:1], 0
	s_branch .LBB8_1668
.LBB8_1664:
	s_mov_b64 s[0:1], -1
                                        ; implicit-def: $vgpr2_vgpr3
	s_branch .LBB8_1686
.LBB8_1665:
	s_mov_b64 s[0:1], -1
                                        ; implicit-def: $vgpr2_vgpr3
	s_branch .LBB8_1674
.LBB8_1666:
	s_mov_b64 s[0:1], -1
                                        ; implicit-def: $vgpr2_vgpr3
	s_branch .LBB8_1671
.LBB8_1667:
	s_mov_b64 s[0:1], -1
                                        ; implicit-def: $vgpr2_vgpr3
.LBB8_1668:
	s_andn2_b64 vcc, exec, s[0:1]
	s_cbranch_vccnz .LBB8_1670
; %bb.1669:
	global_load_dword v2, v[6:7], off
	s_waitcnt vmcnt(0)
	v_cvt_f64_f32_e32 v[2:3], v2
.LBB8_1670:
	s_mov_b64 s[0:1], 0
.LBB8_1671:
	s_andn2_b64 vcc, exec, s[0:1]
	s_cbranch_vccnz .LBB8_1673
; %bb.1672:
	global_load_dword v2, v[6:7], off
	s_waitcnt vmcnt(0)
	v_cvt_f32_f16_e32 v2, v2
	v_cvt_f64_f32_e32 v[2:3], v2
.LBB8_1673:
	s_mov_b64 s[0:1], 0
.LBB8_1674:
	s_andn2_b64 vcc, exec, s[0:1]
	s_cbranch_vccnz .LBB8_1685
; %bb.1675:
	s_cmp_lt_i32 s24, 6
	s_cbranch_scc1 .LBB8_1678
; %bb.1676:
	s_cmp_gt_i32 s24, 6
	s_cbranch_scc0 .LBB8_1679
; %bb.1677:
	global_load_dwordx2 v[2:3], v[6:7], off
	s_mov_b64 s[0:1], 0
	s_branch .LBB8_1680
.LBB8_1678:
	s_mov_b64 s[0:1], -1
                                        ; implicit-def: $vgpr2_vgpr3
	s_branch .LBB8_1683
.LBB8_1679:
	s_mov_b64 s[0:1], -1
                                        ; implicit-def: $vgpr2_vgpr3
.LBB8_1680:
	s_andn2_b64 vcc, exec, s[0:1]
	s_cbranch_vccnz .LBB8_1682
; %bb.1681:
	global_load_dword v2, v[6:7], off
	s_waitcnt vmcnt(0)
	v_cvt_f64_f32_e32 v[2:3], v2
.LBB8_1682:
	s_mov_b64 s[0:1], 0
.LBB8_1683:
	s_andn2_b64 vcc, exec, s[0:1]
	s_cbranch_vccnz .LBB8_1685
; %bb.1684:
	global_load_ushort v2, v[6:7], off
	s_waitcnt vmcnt(0)
	v_cvt_f32_f16_e32 v2, v2
	v_cvt_f64_f32_e32 v[2:3], v2
.LBB8_1685:
	s_mov_b64 s[0:1], 0
.LBB8_1686:
	s_andn2_b64 vcc, exec, s[0:1]
	s_cbranch_vccnz .LBB8_1706
; %bb.1687:
	s_cmp_lt_i32 s24, 2
	s_cbranch_scc1 .LBB8_1691
; %bb.1688:
	s_cmp_lt_i32 s24, 3
	s_cbranch_scc1 .LBB8_1692
; %bb.1689:
	s_cmp_gt_i32 s24, 3
	s_cbranch_scc0 .LBB8_1693
; %bb.1690:
	global_load_dwordx2 v[2:3], v[6:7], off
	s_mov_b64 s[0:1], 0
	s_waitcnt vmcnt(0)
	v_cvt_f64_i32_e32 v[10:11], v3
	v_cvt_f64_u32_e32 v[2:3], v2
	v_ldexp_f64 v[10:11], v[10:11], 32
	v_add_f64 v[2:3], v[10:11], v[2:3]
	s_branch .LBB8_1694
.LBB8_1691:
	s_mov_b64 s[0:1], -1
                                        ; implicit-def: $vgpr2_vgpr3
	s_branch .LBB8_1700
.LBB8_1692:
	s_mov_b64 s[0:1], -1
                                        ; implicit-def: $vgpr2_vgpr3
	s_branch .LBB8_1697
.LBB8_1693:
	s_mov_b64 s[0:1], -1
                                        ; implicit-def: $vgpr2_vgpr3
.LBB8_1694:
	s_andn2_b64 vcc, exec, s[0:1]
	s_cbranch_vccnz .LBB8_1696
; %bb.1695:
	global_load_dword v2, v[6:7], off
	s_waitcnt vmcnt(0)
	v_cvt_f64_i32_e32 v[2:3], v2
.LBB8_1696:
	s_mov_b64 s[0:1], 0
.LBB8_1697:
	s_andn2_b64 vcc, exec, s[0:1]
	s_cbranch_vccnz .LBB8_1699
; %bb.1698:
	global_load_sshort v2, v[6:7], off
	s_waitcnt vmcnt(0)
	v_cvt_f64_i32_e32 v[2:3], v2
.LBB8_1699:
	s_mov_b64 s[0:1], 0
.LBB8_1700:
	s_andn2_b64 vcc, exec, s[0:1]
	s_cbranch_vccnz .LBB8_1706
; %bb.1701:
	s_cmp_gt_i32 s24, 0
	s_cbranch_scc0 .LBB8_1703
; %bb.1702:
	global_load_sbyte v2, v[6:7], off
	s_mov_b64 s[0:1], 0
	s_waitcnt vmcnt(0)
	v_cvt_f64_i32_e32 v[2:3], v2
	s_branch .LBB8_1704
.LBB8_1703:
	s_mov_b64 s[0:1], -1
                                        ; implicit-def: $vgpr2_vgpr3
.LBB8_1704:
	s_andn2_b64 vcc, exec, s[0:1]
	s_cbranch_vccnz .LBB8_1706
; %bb.1705:
	global_load_ubyte v2, v[6:7], off
	s_waitcnt vmcnt(0)
	v_cvt_f64_u32_e32 v[2:3], v2
.LBB8_1706:
	s_mov_b64 s[12:13], -1
.LBB8_1707:
	s_andn2_b64 vcc, exec, s[12:13]
	s_cbranch_vccnz .LBB8_1810
; %bb.1708:
	s_waitcnt vmcnt(0)
	v_cmp_neq_f64_e32 vcc, 0, v[2:3]
                                        ; implicit-def: $vgpr12_vgpr13
	s_and_saveexec_b64 s[0:1], vcc
	s_xor_b64 s[10:11], exec, s[0:1]
	s_cbranch_execz .LBB8_1730
; %bb.1709:
	v_cmp_gt_f64_e32 vcc, 0, v[2:3]
	v_mov_b32_e32 v6, 0
	v_mov_b32_e32 v7, 0
	s_mov_b64 s[16:17], -1
	s_and_saveexec_b64 s[12:13], vcc
	s_cbranch_execz .LBB8_1717
; %bb.1710:
	v_trunc_f64_e32 v[10:11], v[2:3]
	v_mov_b32_e32 v6, 0
	v_mov_b32_e32 v7, 0
	s_mov_b64 s[18:19], 0
	v_cmp_neq_f64_e32 vcc, v[2:3], v[10:11]
	s_and_saveexec_b64 s[16:17], vcc
	s_cbranch_execz .LBB8_1716
; %bb.1711:
	v_add_f64 v[6:7], v[2:3], -v[10:11]
	s_mov_b32 s20, 0
	s_mov_b32 s1, 0xc00921fb
	;; [unrolled: 1-line block ×4, first 2 shown]
	v_cmp_neq_f64_e64 vcc, |v[2:3]|, s[20:21]
	v_bfrev_b32_e32 v10, 1
	s_mov_b32 s18, 0
	v_mul_f64 v[6:7], |v[6:7]|, s[0:1]
	s_mov_b32 s19, 0x41d00000
                                        ; implicit-def: $vgpr15
                                        ; implicit-def: $vgpr12_vgpr13
	v_cndmask_b32_e32 v7, v10, v7, vcc
	v_cndmask_b32_e32 v6, 0, v6, vcc
	v_cmp_nlt_f64_e64 s[18:19], |v[6:7]|, s[18:19]
                                        ; implicit-def: $vgpr10_vgpr11
	s_and_saveexec_b64 s[22:23], s[18:19]
	s_xor_b64 s[18:19], exec, s[22:23]
	s_cbranch_execz .LBB8_1713
; %bb.1712:
	v_trig_preop_f64 v[10:11], |v[6:7]|, 0
	s_mov_b32 s22, 0
	s_mov_b32 s23, 0x7b000000
	s_movk_i32 s1, 0xff80
	v_ldexp_f64 v[15:16], |v[6:7]|, s1
	v_cmp_ge_f64_e64 vcc, |v[6:7]|, s[22:23]
	v_trig_preop_f64 v[12:13], |v[6:7]|, 1
	v_and_b32_e32 v17, 0x7fffffff, v7
	v_trig_preop_f64 v[23:24], |v[6:7]|, 2
	v_mov_b32_e32 v34, 0x40100000
	v_mov_b32_e32 v33, 0
	s_mov_b32 s1, 0x3ff921fb
	v_cndmask_b32_e32 v16, v17, v16, vcc
	v_cndmask_b32_e32 v15, v6, v15, vcc
	v_mul_f64 v[17:18], v[10:11], v[15:16]
	v_mul_f64 v[19:20], v[12:13], v[15:16]
	;; [unrolled: 1-line block ×3, first 2 shown]
	v_fma_f64 v[10:11], v[10:11], v[15:16], -v[17:18]
	v_fma_f64 v[12:13], v[12:13], v[15:16], -v[19:20]
	;; [unrolled: 1-line block ×3, first 2 shown]
	v_add_f64 v[21:22], v[19:20], v[10:11]
	v_add_f64 v[25:26], v[21:22], -v[19:20]
	v_add_f64 v[31:32], v[17:18], v[21:22]
	v_add_f64 v[27:28], v[21:22], -v[25:26]
	v_add_f64 v[10:11], v[10:11], -v[25:26]
	v_add_f64 v[25:26], v[29:30], v[12:13]
	v_add_f64 v[17:18], v[31:32], -v[17:18]
	v_add_f64 v[19:20], v[19:20], -v[27:28]
	v_ldexp_f64 v[27:28], v[31:32], -2
	v_add_f64 v[35:36], v[25:26], -v[29:30]
	v_add_f64 v[17:18], v[21:22], -v[17:18]
	v_add_f64 v[10:11], v[10:11], v[19:20]
	v_fract_f64_e32 v[19:20], v[27:28]
	v_cmp_neq_f64_e64 vcc, |v[27:28]|, s[20:21]
	v_add_f64 v[12:13], v[12:13], -v[35:36]
	s_mov_b32 s20, 0x33145c07
	s_mov_b32 s21, 0x3c91a626
	v_add_f64 v[21:22], v[25:26], v[10:11]
	v_ldexp_f64 v[19:20], v[19:20], 2
	v_add_f64 v[27:28], v[17:18], v[21:22]
	v_cndmask_b32_e32 v20, 0, v20, vcc
	v_cndmask_b32_e32 v19, 0, v19, vcc
	v_add_f64 v[37:38], v[21:22], -v[25:26]
	v_add_f64 v[31:32], v[27:28], v[19:20]
	v_add_f64 v[17:18], v[27:28], -v[17:18]
	v_add_f64 v[39:40], v[21:22], -v[37:38]
	;; [unrolled: 1-line block ×3, first 2 shown]
	v_cmp_gt_f64_e32 vcc, 0, v[31:32]
	v_add_f64 v[31:32], v[25:26], -v[35:36]
	v_add_f64 v[17:18], v[21:22], -v[17:18]
	;; [unrolled: 1-line block ×3, first 2 shown]
	v_cndmask_b32_e32 v34, 0, v34, vcc
	v_add_f64 v[19:20], v[19:20], v[33:34]
	v_add_f64 v[31:32], v[29:30], -v[31:32]
	v_add_f64 v[10:11], v[10:11], v[25:26]
	v_add_f64 v[41:42], v[27:28], v[19:20]
	;; [unrolled: 1-line block ×3, first 2 shown]
	v_cvt_i32_f64_e32 v36, v[41:42]
	v_add_f64 v[10:11], v[12:13], v[10:11]
	v_cvt_f64_i32_e32 v[34:35], v36
	v_add_f64 v[19:20], v[19:20], -v[34:35]
	v_add_f64 v[10:11], v[15:16], v[10:11]
	v_add_f64 v[12:13], v[27:28], v[19:20]
	;; [unrolled: 1-line block ×3, first 2 shown]
	v_mov_b32_e32 v17, 0x3ff00000
	v_add_f64 v[15:16], v[12:13], -v[19:20]
	v_cmp_le_f64_e32 vcc, 0.5, v[12:13]
	v_add_f64 v[15:16], v[27:28], -v[15:16]
	v_cndmask_b32_e32 v34, 0, v17, vcc
	v_add_f64 v[12:13], v[12:13], -v[33:34]
	v_add_f64 v[10:11], v[10:11], v[15:16]
	v_add_f64 v[15:16], v[12:13], v[10:11]
	v_mul_f64 v[17:18], v[15:16], s[0:1]
	v_add_f64 v[12:13], v[15:16], -v[12:13]
	v_fma_f64 v[19:20], v[15:16], s[0:1], -v[17:18]
	v_add_f64 v[10:11], v[10:11], -v[12:13]
	v_fma_f64 v[12:13], v[15:16], s[20:21], v[19:20]
	v_fma_f64 v[12:13], v[10:11], s[0:1], v[12:13]
	v_add_f64 v[10:11], v[17:18], v[12:13]
	v_add_f64 v[15:16], v[10:11], -v[17:18]
	v_add_f64 v[12:13], v[12:13], -v[15:16]
	v_addc_co_u32_e32 v15, vcc, 0, v36, vcc
.LBB8_1713:
	s_andn2_saveexec_b64 s[0:1], s[18:19]
	s_cbranch_execz .LBB8_1715
; %bb.1714:
	s_mov_b32 s18, 0x6dc9c883
	s_mov_b32 s19, 0x3fe45f30
	v_mul_f64 v[10:11], |v[6:7]|, s[18:19]
	s_mov_b32 s18, 0x54442d18
	s_mov_b32 s19, 0xbff921fb
	;; [unrolled: 1-line block ×4, first 2 shown]
	v_rndne_f64_e32 v[15:16], v[10:11]
	v_fma_f64 v[10:11], v[15:16], s[18:19], |v[6:7]|
	v_mul_f64 v[12:13], v[15:16], s[20:21]
	s_mov_b32 s18, 0x252049c0
	s_mov_b32 s19, 0xb97b839a
	v_fma_f64 v[21:22], v[15:16], s[20:21], v[10:11]
	v_add_f64 v[17:18], v[10:11], v[12:13]
	s_mov_b32 s21, 0x3c91a626
	v_add_f64 v[19:20], v[10:11], -v[17:18]
	v_add_f64 v[17:18], v[17:18], -v[21:22]
	v_add_f64 v[10:11], v[19:20], v[12:13]
	v_fma_f64 v[12:13], v[15:16], s[20:21], v[12:13]
	v_add_f64 v[10:11], v[17:18], v[10:11]
	v_add_f64 v[10:11], v[10:11], -v[12:13]
	v_fma_f64 v[12:13], v[15:16], s[18:19], v[10:11]
	v_cvt_i32_f64_e32 v15, v[15:16]
	v_add_f64 v[10:11], v[21:22], v[12:13]
	v_add_f64 v[17:18], v[10:11], -v[21:22]
	v_add_f64 v[12:13], v[12:13], -v[17:18]
.LBB8_1715:
	s_or_b64 exec, exec, s[0:1]
	v_mul_f64 v[16:17], v[10:11], v[10:11]
	v_add_f64 v[18:19], v[12:13], v[12:13]
	s_mov_b32 s0, 0xc751c08c
	s_mov_b32 s1, 0x3ef5e089
	v_and_b32_e32 v15, 1, v15
	v_cmp_eq_u32_e32 vcc, 0, v15
	s_mov_b32 s20, 0x54442d18
	s_mov_b32 s21, 0xc00921fb
	v_fma_f64 v[20:21], v[10:11], v[10:11], -v[16:17]
	v_add_f64 v[2:3], -v[2:3], 1.0
	s_mov_b64 s[18:19], exec
	v_fma_f64 v[18:19], v[10:11], v[18:19], v[20:21]
	v_add_f64 v[16:17], v[16:17], v[18:19]
	v_mov_b32_e32 v18, 0xa9a29f71
	v_mov_b32_e32 v19, 0xbf078809
	v_fma_f64 v[18:19], v[16:17], s[0:1], v[18:19]
	s_mov_b32 s0, 0x90a8aae0
	s_mov_b32 s1, 0x3f17746f
	v_fma_f64 v[18:19], v[16:17], v[18:19], s[0:1]
	s_mov_b32 s0, 0xa6fbf144
	s_mov_b32 s1, 0xbefbb44d
	;; [unrolled: 3-line block ×12, first 2 shown]
	v_fma_f64 v[18:19], v[16:17], v[18:19], s[0:1]
	s_movk_i32 s0, 0x1f8
	v_cmp_class_f64_e64 s[0:1], v[6:7], s0
	v_mul_f64 v[16:17], v[16:17], v[18:19]
	v_mul_f64 v[18:19], v[10:11], v[16:17]
	v_add_f64 v[20:21], v[10:11], v[18:19]
	v_fma_f64 v[16:17], v[10:11], v[16:17], -v[18:19]
	v_add_f64 v[10:11], v[20:21], -v[10:11]
	v_add_f64 v[12:13], v[12:13], v[16:17]
	v_add_f64 v[10:11], v[18:19], -v[10:11]
	v_add_f64 v[10:11], v[12:13], v[10:11]
	v_add_f64 v[12:13], v[20:21], v[10:11]
	v_rcp_f64_e32 v[16:17], v[12:13]
	v_fma_f64 v[18:19], -v[12:13], v[16:17], 1.0
	v_fma_f64 v[16:17], v[18:19], v[16:17], v[16:17]
	v_fma_f64 v[18:19], -v[12:13], v[16:17], 1.0
	v_fma_f64 v[16:17], v[18:19], v[16:17], v[16:17]
	v_add_f64 v[18:19], v[12:13], -v[20:21]
	v_mul_f64 v[20:21], v[12:13], v[16:17]
	v_add_f64 v[10:11], v[10:11], -v[18:19]
	v_fma_f64 v[18:19], v[16:17], v[12:13], -v[20:21]
	v_fma_f64 v[10:11], v[16:17], v[10:11], v[18:19]
	v_add_f64 v[18:19], v[20:21], v[10:11]
	v_add_f64 v[22:23], -v[18:19], 1.0
	v_add_f64 v[20:21], v[18:19], -v[20:21]
	v_add_f64 v[24:25], -v[22:23], 1.0
	v_add_f64 v[10:11], v[20:21], -v[10:11]
	v_add_f64 v[18:19], v[24:25], -v[18:19]
	v_add_f64 v[10:11], v[10:11], v[18:19]
	v_add_f64 v[10:11], v[22:23], v[10:11]
	v_mul_f64 v[10:11], v[16:17], v[10:11]
	v_add_f64 v[10:11], v[16:17], v[10:11]
	v_and_b32_e32 v16, 0x80000000, v7
	v_mov_b32_e32 v7, 0x7ff80000
	v_xor_b32_e32 v6, 0x80000000, v11
	v_cndmask_b32_e32 v10, v10, v12, vcc
	v_cndmask_b32_e32 v11, v6, v13, vcc
	v_cndmask_b32_e64 v6, 0, v10, s[0:1]
	v_xor_b32_e32 v10, v11, v16
	v_cndmask_b32_e64 v7, v7, v10, s[0:1]
	v_div_scale_f64 v[10:11], s[0:1], v[6:7], v[6:7], s[20:21]
	v_rcp_f64_e32 v[12:13], v[10:11]
	v_fma_f64 v[15:16], -v[10:11], v[12:13], 1.0
	v_fma_f64 v[12:13], v[12:13], v[15:16], v[12:13]
	v_div_scale_f64 v[15:16], vcc, s[20:21], v[6:7], s[20:21]
	v_fma_f64 v[17:18], -v[10:11], v[12:13], 1.0
	v_fma_f64 v[12:13], v[12:13], v[17:18], v[12:13]
	v_mul_f64 v[17:18], v[15:16], v[12:13]
	v_fma_f64 v[10:11], -v[10:11], v[17:18], v[15:16]
	v_div_fmas_f64 v[10:11], v[10:11], v[12:13], v[17:18]
	v_div_fixup_f64 v[6:7], v[10:11], v[6:7], s[20:21]
.LBB8_1716:
	s_or_b64 exec, exec, s[16:17]
	s_orn2_b64 s[16:17], s[18:19], exec
.LBB8_1717:
	s_or_b64 exec, exec, s[12:13]
	v_mov_b32_e32 v12, 0
	v_mov_b32_e32 v13, 0x7ff80000
	s_and_saveexec_b64 s[0:1], s[16:17]
	s_cbranch_execz .LBB8_1729
; %bb.1718:
	s_mov_b32 s16, 0
	s_mov_b32 s17, 0x40240000
	v_cmp_gt_f64_e32 vcc, s[16:17], v[2:3]
	s_and_saveexec_b64 s[12:13], vcc
	s_cbranch_execz .LBB8_1722
; %bb.1719:
	s_mov_b64 s[18:19], 0
.LBB8_1720:                             ; =>This Inner Loop Header: Depth=1
	v_div_scale_f64 v[10:11], s[20:21], v[2:3], v[2:3], 1.0
	v_rcp_f64_e32 v[12:13], v[10:11]
	v_fma_f64 v[15:16], -v[10:11], v[12:13], 1.0
	v_fma_f64 v[12:13], v[12:13], v[15:16], v[12:13]
	v_div_scale_f64 v[15:16], vcc, 1.0, v[2:3], 1.0
	v_fma_f64 v[17:18], -v[10:11], v[12:13], 1.0
	v_fma_f64 v[12:13], v[12:13], v[17:18], v[12:13]
	v_mul_f64 v[17:18], v[15:16], v[12:13]
	v_fma_f64 v[10:11], -v[10:11], v[17:18], v[15:16]
	v_div_fmas_f64 v[10:11], v[10:11], v[12:13], v[17:18]
	v_div_fixup_f64 v[10:11], v[10:11], v[2:3], 1.0
	v_add_f64 v[2:3], v[2:3], 1.0
	v_add_f64 v[6:7], v[6:7], -v[10:11]
	v_cmp_ngt_f64_e32 vcc, s[16:17], v[2:3]
	s_or_b64 s[18:19], vcc, s[18:19]
	s_andn2_b64 exec, exec, s[18:19]
	s_cbranch_execnz .LBB8_1720
; %bb.1721:
	s_or_b64 exec, exec, s[18:19]
.LBB8_1722:
	s_or_b64 exec, exec, s[12:13]
	s_mov_b32 s12, 0
	s_mov_b32 s13, 0x40240000
	v_cmp_neq_f64_e32 vcc, s[12:13], v[2:3]
                                        ; implicit-def: $vgpr12_vgpr13
	s_and_saveexec_b64 s[12:13], vcc
	s_xor_b64 s[12:13], exec, s[12:13]
	s_cbranch_execz .LBB8_1726
; %bb.1723:
	s_mov_b32 s16, 0x85d8a000
	s_mov_b32 s17, 0x43763457
	v_cmp_gt_f64_e32 vcc, s[16:17], v[2:3]
	v_mov_b32_e32 v10, 0
	v_mov_b32_e32 v11, 0
	s_and_saveexec_b64 s[16:17], vcc
	s_cbranch_execz .LBB8_1725
; %bb.1724:
	v_mul_f64 v[10:11], v[2:3], v[2:3]
	s_mov_b32 s20, 0x95995996
	s_mov_b32 s21, 0xbf959959
	;; [unrolled: 1-line block ×4, first 2 shown]
	v_div_scale_f64 v[12:13], s[18:19], v[10:11], v[10:11], 1.0
	v_div_scale_f64 v[19:20], vcc, 1.0, v[10:11], 1.0
	s_mov_b32 s18, 0x55555555
	s_mov_b32 s19, 0x3fb55555
	v_rcp_f64_e32 v[15:16], v[12:13]
	v_fma_f64 v[17:18], -v[12:13], v[15:16], 1.0
	v_fma_f64 v[15:16], v[15:16], v[17:18], v[15:16]
	v_fma_f64 v[17:18], -v[12:13], v[15:16], 1.0
	v_fma_f64 v[15:16], v[15:16], v[17:18], v[15:16]
	v_mul_f64 v[17:18], v[19:20], v[15:16]
	v_fma_f64 v[12:13], -v[12:13], v[17:18], v[19:20]
	v_div_fmas_f64 v[12:13], v[12:13], v[15:16], v[17:18]
	v_div_fixup_f64 v[10:11], v[12:13], v[10:11], 1.0
	v_fma_f64 v[12:13], v[10:11], 0, s[18:19]
	v_fma_f64 v[12:13], v[10:11], v[12:13], s[20:21]
	s_mov_b32 s20, 0xf07c1f08
	s_mov_b32 s21, 0x3f7f07c1
	v_fma_f64 v[12:13], v[10:11], v[12:13], s[20:21]
	s_mov_b32 s21, 0xbf711111
	s_mov_b32 s20, 0x11111111
	v_fma_f64 v[12:13], v[10:11], v[12:13], s[20:21]
	s_mov_b32 s21, 0xbf811111
	v_fma_f64 v[12:13], v[10:11], v[12:13], s[22:23]
	v_fma_f64 v[12:13], v[10:11], v[12:13], s[20:21]
	;; [unrolled: 1-line block ×3, first 2 shown]
	v_mul_f64 v[10:11], v[10:11], v[12:13]
.LBB8_1725:
	s_or_b64 exec, exec, s[16:17]
	v_frexp_mant_f64_e32 v[12:13], v[2:3]
	s_mov_b32 s17, 0x3fe55555
	s_mov_b32 s16, 0x55555555
	s_mov_b32 s18, 0xbf559e2b
	s_mov_b32 s19, 0x3fc3ab76
	s_movk_i32 s3, 0x204
	v_cmp_gt_f64_e32 vcc, s[16:17], v[12:13]
	s_mov_b32 s16, 0x55555780
	v_cndmask_b32_e64 v15, 0, 1, vcc
	v_ldexp_f64 v[12:13], v[12:13], v15
	v_add_f64 v[15:16], v[12:13], 1.0
	v_add_f64 v[21:22], v[12:13], -1.0
	v_rcp_f64_e32 v[17:18], v[15:16]
	v_add_f64 v[23:24], v[15:16], -1.0
	v_add_f64 v[12:13], v[12:13], -v[23:24]
	v_fma_f64 v[19:20], -v[15:16], v[17:18], 1.0
	v_fma_f64 v[17:18], v[19:20], v[17:18], v[17:18]
	v_fma_f64 v[19:20], -v[15:16], v[17:18], 1.0
	v_fma_f64 v[17:18], v[19:20], v[17:18], v[17:18]
	v_mul_f64 v[19:20], v[21:22], v[17:18]
	v_mul_f64 v[25:26], v[15:16], v[19:20]
	v_fma_f64 v[15:16], v[19:20], v[15:16], -v[25:26]
	v_fma_f64 v[12:13], v[19:20], v[12:13], v[15:16]
	v_add_f64 v[15:16], v[25:26], v[12:13]
	v_add_f64 v[23:24], v[21:22], -v[15:16]
	v_add_f64 v[25:26], v[15:16], -v[25:26]
	;; [unrolled: 1-line block ×5, first 2 shown]
	v_mov_b32_e32 v21, 0x6b47b09a
	v_mov_b32_e32 v22, 0x3fc38538
	v_add_f64 v[12:13], v[12:13], v[15:16]
	v_add_f64 v[12:13], v[23:24], v[12:13]
	v_mul_f64 v[12:13], v[17:18], v[12:13]
	v_add_f64 v[15:16], v[19:20], v[12:13]
	v_mul_f64 v[17:18], v[15:16], v[15:16]
	v_fma_f64 v[21:22], v[17:18], s[18:19], v[21:22]
	s_mov_b32 s18, 0xd7f4df2e
	s_mov_b32 s19, 0x3fc7474d
	v_mul_f64 v[23:24], v[15:16], v[17:18]
	v_fma_f64 v[21:22], v[17:18], v[21:22], s[18:19]
	s_mov_b32 s18, 0x16291751
	s_mov_b32 s19, 0x3fcc71c0
	v_fma_f64 v[21:22], v[17:18], v[21:22], s[18:19]
	s_mov_b32 s18, 0x9b27acf1
	s_mov_b32 s19, 0x3fd24924
	;; [unrolled: 3-line block ×3, first 2 shown]
	v_fma_f64 v[21:22], v[17:18], v[21:22], s[18:19]
	v_fma_f64 v[17:18], v[17:18], v[21:22], s[16:17]
	v_ldexp_f64 v[21:22], v[15:16], 1
	v_add_f64 v[15:16], v[15:16], -v[19:20]
	s_mov_b32 s16, 0xfefa39ef
	s_mov_b32 s17, 0x3fe62e42
	v_mul_f64 v[17:18], v[23:24], v[17:18]
	v_frexp_exp_i32_f64_e32 v23, v[2:3]
	v_add_f64 v[12:13], v[12:13], -v[15:16]
	v_add_f64 v[19:20], v[21:22], v[17:18]
	v_subbrev_co_u32_e32 v23, vcc, 0, v23, vcc
	v_cvt_f64_i32_e32 v[23:24], v23
	v_ldexp_f64 v[12:13], v[12:13], 1
	v_mul_f64 v[25:26], v[23:24], s[16:17]
	v_add_f64 v[15:16], v[19:20], -v[21:22]
	v_fma_f64 v[21:22], v[23:24], s[16:17], -v[25:26]
	v_add_f64 v[15:16], v[17:18], -v[15:16]
	s_mov_b32 s16, 0x3b39803f
	s_mov_b32 s17, 0x3c7abc9e
	v_fma_f64 v[17:18], v[23:24], s[16:17], v[21:22]
	v_add_f64 v[12:13], v[12:13], v[15:16]
	v_div_scale_f64 v[15:16], s[16:17], v[2:3], v[2:3], -0.5
	v_add_f64 v[21:22], v[25:26], v[17:18]
	v_add_f64 v[23:24], v[19:20], v[12:13]
	v_add_f64 v[25:26], v[21:22], -v[25:26]
	v_add_f64 v[27:28], v[21:22], v[23:24]
	v_rcp_f64_e32 v[29:30], v[15:16]
	v_add_f64 v[19:20], v[23:24], -v[19:20]
	v_add_f64 v[17:18], v[17:18], -v[25:26]
	;; [unrolled: 1-line block ×5, first 2 shown]
	v_fma_f64 v[35:36], -v[15:16], v[29:30], 1.0
	v_add_f64 v[19:20], v[23:24], -v[31:32]
	v_add_f64 v[25:26], v[17:18], v[12:13]
	v_add_f64 v[21:22], v[21:22], -v[33:34]
	v_fma_f64 v[23:24], v[29:30], v[35:36], v[29:30]
	v_add_f64 v[31:32], v[25:26], -v[17:18]
	v_add_f64 v[19:20], v[19:20], v[21:22]
	v_div_scale_f64 v[21:22], vcc, -0.5, v[2:3], -0.5
	v_fma_f64 v[29:30], -v[15:16], v[23:24], 1.0
	v_add_f64 v[12:13], v[12:13], -v[31:32]
	v_add_f64 v[19:20], v[25:26], v[19:20]
	v_add_f64 v[25:26], v[25:26], -v[31:32]
	v_fma_f64 v[23:24], v[23:24], v[29:30], v[23:24]
	v_add_f64 v[29:30], v[27:28], v[19:20]
	v_add_f64 v[17:18], v[17:18], -v[25:26]
	v_mul_f64 v[33:34], v[21:22], v[23:24]
	v_add_f64 v[25:26], v[29:30], -v[27:28]
	v_add_f64 v[12:13], v[12:13], v[17:18]
	v_fma_f64 v[15:16], -v[15:16], v[33:34], v[21:22]
	v_add_f64 v[17:18], v[19:20], -v[25:26]
	v_div_fmas_f64 v[15:16], v[15:16], v[23:24], v[33:34]
	v_cmp_class_f64_e64 vcc, v[2:3], s3
	v_add_f64 v[12:13], v[12:13], v[17:18]
	v_add_f64 v[12:13], v[29:30], v[12:13]
	v_div_fixup_f64 v[15:16], v[15:16], v[2:3], -0.5
	v_cndmask_b32_e32 v3, v13, v3, vcc
	v_cndmask_b32_e32 v2, v12, v2, vcc
	v_add_f64 v[2:3], v[2:3], v[15:16]
	v_add_f64 v[2:3], v[2:3], -v[10:11]
	v_add_f64 v[12:13], v[6:7], v[2:3]
                                        ; implicit-def: $vgpr6_vgpr7
.LBB8_1726:
	s_andn2_saveexec_b64 s[12:13], s[12:13]
	s_cbranch_execz .LBB8_1728
; %bb.1727:
	s_mov_b32 s16, 0xdc85cc95
	s_mov_b32 s17, 0x40020396
	v_add_f64 v[12:13], v[6:7], s[16:17]
.LBB8_1728:
	s_or_b64 exec, exec, s[12:13]
.LBB8_1729:
	s_or_b64 exec, exec, s[0:1]
                                        ; implicit-def: $vgpr2_vgpr3
.LBB8_1730:
	s_andn2_saveexec_b64 s[0:1], s[10:11]
; %bb.1731:
	v_xor_b32_e32 v2, 0x80000000, v3
	s_brev_b32 s3, -2
	v_mov_b32_e32 v3, 0x7ff00000
	v_bfi_b32 v13, s3, v3, v2
	v_mov_b32_e32 v12, 0
; %bb.1732:
	s_or_b64 exec, exec, s[0:1]
	v_mul_lo_u32 v10, s2, v14
	v_mov_b32_e32 v2, s9
	s_and_b32 s20, s33, 0xff
	s_cmp_lt_i32 s20, 11
	v_ashrrev_i32_e32 v3, 31, v10
	v_add_co_u32_e32 v6, vcc, s8, v10
	v_addc_co_u32_e32 v7, vcc, v2, v3, vcc
	s_cbranch_scc1 .LBB8_1856
; %bb.1733:
	s_and_b32 s3, 0xffff, s20
	s_mov_b64 s[16:17], -1
	s_mov_b64 s[10:11], 0
	s_cmp_gt_i32 s3, 25
	s_mov_b64 s[12:13], 0
	s_mov_b64 s[0:1], 0
	s_cbranch_scc0 .LBB8_1766
; %bb.1734:
	s_cmp_gt_i32 s3, 28
	s_cbranch_scc0 .LBB8_1749
; %bb.1735:
	s_cmp_gt_i32 s3, 43
	;; [unrolled: 3-line block ×3, first 2 shown]
	s_cbranch_scc0 .LBB8_1739
; %bb.1737:
	s_mov_b64 s[0:1], -1
	s_mov_b64 s[16:17], 0
	s_cmp_eq_u32 s3, 46
	s_cbranch_scc0 .LBB8_1739
; %bb.1738:
	v_cvt_f32_f64_e32 v2, v[0:1]
	s_movk_i32 s0, 0x7fff
	v_mov_b32_e32 v3, 0x7fc0
	s_mov_b64 s[12:13], -1
	v_bfe_u32 v11, v2, 16, 1
	v_cmp_o_f32_e32 vcc, v2, v2
	v_add3_u32 v2, v2, v11, s0
	v_cndmask_b32_sdwa v2, v3, v2, vcc dst_sel:DWORD dst_unused:UNUSED_PAD src0_sel:DWORD src1_sel:WORD_1
	global_store_dword v[6:7], v2, off
	s_mov_b64 s[0:1], 0
.LBB8_1739:
	s_and_b64 vcc, exec, s[16:17]
	s_cbranch_vccz .LBB8_1744
; %bb.1740:
	s_cmp_eq_u32 s3, 44
	s_mov_b64 s[0:1], -1
	s_cbranch_scc0 .LBB8_1744
; %bb.1741:
	v_cvt_f32_f64_e32 v2, v[0:1]
	s_movk_i32 s0, 0xff
	v_mov_b32_e32 v11, 0xff
	v_bfe_u32 v3, v2, 23, 8
	v_cmp_ne_u32_e32 vcc, s0, v3
	s_and_saveexec_b64 s[12:13], vcc
; %bb.1742:
	s_mov_b32 s0, 0x3fffff
	v_lshrrev_b32_e32 v11, 23, v2
	v_and_b32_e32 v14, 0x400000, v2
	v_and_or_b32 v2, v2, s0, v3
	v_cmp_ne_u32_e32 vcc, 0, v14
	v_cmp_ne_u32_e64 s[0:1], 0, v2
	s_and_b64 s[0:1], vcc, s[0:1]
	v_cndmask_b32_e64 v2, 0, 1, s[0:1]
	v_add_u32_e32 v11, v11, v2
; %bb.1743:
	s_or_b64 exec, exec, s[12:13]
	s_mov_b64 s[0:1], 0
	s_mov_b64 s[12:13], -1
	global_store_byte v[6:7], v11, off
.LBB8_1744:
	s_mov_b64 s[16:17], 0
.LBB8_1745:
	s_and_b64 vcc, exec, s[16:17]
	s_cbranch_vccz .LBB8_1748
; %bb.1746:
	s_cmp_eq_u32 s3, 29
	s_mov_b64 s[0:1], -1
	s_cbranch_scc0 .LBB8_1748
; %bb.1747:
	v_trunc_f64_e32 v[2:3], v[0:1]
	s_movk_i32 s0, 0xffe0
	s_mov_b64 s[12:13], -1
	v_ldexp_f64 v[14:15], v[2:3], s0
	s_mov_b32 s0, 0
	s_mov_b32 s1, 0xc1f00000
	v_floor_f64_e32 v[14:15], v[14:15]
	v_fma_f64 v[2:3], v[14:15], s[0:1], v[2:3]
	v_cvt_u32_f64_e32 v15, v[14:15]
	s_mov_b64 s[0:1], 0
	v_cvt_u32_f64_e32 v14, v[2:3]
	global_store_dwordx2 v[6:7], v[14:15], off
.LBB8_1748:
	s_mov_b64 s[16:17], 0
.LBB8_1749:
	s_and_b64 vcc, exec, s[16:17]
	s_cbranch_vccz .LBB8_1765
; %bb.1750:
	s_cmp_lt_i32 s3, 27
	s_mov_b64 s[12:13], -1
	s_cbranch_scc1 .LBB8_1756
; %bb.1751:
	v_cvt_u32_f64_e32 v2, v[0:1]
	s_cmp_gt_i32 s3, 27
	s_cbranch_scc0 .LBB8_1753
; %bb.1752:
	s_mov_b64 s[12:13], 0
	global_store_dword v[6:7], v2, off
.LBB8_1753:
	s_andn2_b64 vcc, exec, s[12:13]
	s_cbranch_vccnz .LBB8_1755
; %bb.1754:
	global_store_short v[6:7], v2, off
.LBB8_1755:
	s_mov_b64 s[12:13], 0
.LBB8_1756:
	s_andn2_b64 vcc, exec, s[12:13]
	s_cbranch_vccnz .LBB8_1764
; %bb.1757:
	v_cvt_f32_f64_e32 v2, v[0:1]
	s_mov_b32 s12, 0x43800000
	v_mov_b32_e32 v11, 0x80
	v_and_b32_e32 v3, 0x7fffffff, v2
	v_cmp_gt_u32_e32 vcc, s12, v3
	s_and_saveexec_b64 s[12:13], vcc
	s_cbranch_execz .LBB8_1763
; %bb.1758:
	s_mov_b32 s16, 0x3bffffff
	v_cmp_lt_u32_e32 vcc, s16, v3
	s_mov_b64 s[16:17], 0
                                        ; implicit-def: $vgpr3
	s_and_saveexec_b64 s[18:19], vcc
	s_xor_b64 s[18:19], exec, s[18:19]
	s_cbranch_execz .LBB8_2214
; %bb.1759:
	v_bfe_u32 v3, v2, 20, 1
	s_mov_b32 s21, 0x487ffff
	v_add3_u32 v3, v2, v3, s21
	s_mov_b64 s[16:17], exec
	v_lshrrev_b32_e32 v3, 20, v3
	s_andn2_saveexec_b64 s[18:19], s[18:19]
	s_cbranch_execnz .LBB8_2215
.LBB8_1760:
	s_or_b64 exec, exec, s[18:19]
	v_mov_b32_e32 v11, 0
	s_and_saveexec_b64 s[18:19], s[16:17]
.LBB8_1761:
	v_lshrrev_b32_e32 v2, 24, v2
	s_movk_i32 s16, 0x80
	v_and_or_b32 v11, v2, s16, v3
.LBB8_1762:
	s_or_b64 exec, exec, s[18:19]
.LBB8_1763:
	s_or_b64 exec, exec, s[12:13]
	global_store_byte v[6:7], v11, off
.LBB8_1764:
	s_mov_b64 s[12:13], -1
.LBB8_1765:
	s_mov_b64 s[16:17], 0
.LBB8_1766:
	s_and_b64 vcc, exec, s[16:17]
	s_cbranch_vccz .LBB8_1806
; %bb.1767:
	s_cmp_gt_i32 s3, 22
	s_mov_b64 s[10:11], -1
	s_cbranch_scc0 .LBB8_1799
; %bb.1768:
	s_cmp_lt_i32 s3, 24
	s_cbranch_scc1 .LBB8_1788
; %bb.1769:
	s_cmp_gt_i32 s3, 24
	s_cbranch_scc0 .LBB8_1777
; %bb.1770:
	v_cvt_f32_f64_e32 v2, v[0:1]
	s_mov_b32 s10, 0x47800000
	v_mov_b32_e32 v11, 0x80
	v_and_b32_e32 v3, 0x7fffffff, v2
	v_cmp_gt_u32_e32 vcc, s10, v3
	s_and_saveexec_b64 s[10:11], vcc
	s_cbranch_execz .LBB8_1776
; %bb.1771:
	s_mov_b32 s12, 0x37ffffff
	v_cmp_lt_u32_e32 vcc, s12, v3
	s_mov_b64 s[12:13], 0
                                        ; implicit-def: $vgpr3
	s_and_saveexec_b64 s[16:17], vcc
	s_xor_b64 s[16:17], exec, s[16:17]
	s_cbranch_execz .LBB8_2217
; %bb.1772:
	v_bfe_u32 v3, v2, 21, 1
	s_mov_b32 s18, 0x88fffff
	v_add3_u32 v3, v2, v3, s18
	s_mov_b64 s[12:13], exec
	v_lshrrev_b32_e32 v3, 21, v3
	s_andn2_saveexec_b64 s[16:17], s[16:17]
	s_cbranch_execnz .LBB8_2218
.LBB8_1773:
	s_or_b64 exec, exec, s[16:17]
	v_mov_b32_e32 v11, 0
	s_and_saveexec_b64 s[16:17], s[12:13]
.LBB8_1774:
	v_lshrrev_b32_e32 v2, 24, v2
	s_movk_i32 s12, 0x80
	v_and_or_b32 v11, v2, s12, v3
.LBB8_1775:
	s_or_b64 exec, exec, s[16:17]
.LBB8_1776:
	s_or_b64 exec, exec, s[10:11]
	s_mov_b64 s[10:11], 0
	global_store_byte v[6:7], v11, off
.LBB8_1777:
	s_and_b64 vcc, exec, s[10:11]
	s_cbranch_vccz .LBB8_1787
; %bb.1778:
	v_cvt_f32_f64_e32 v2, v[0:1]
	s_mov_b32 s10, 0x43f00000
                                        ; implicit-def: $vgpr3
	v_and_b32_e32 v11, 0x7fffffff, v2
	v_cmp_gt_u32_e32 vcc, s10, v11
	s_and_saveexec_b64 s[10:11], vcc
	s_xor_b64 s[10:11], exec, s[10:11]
	s_cbranch_execz .LBB8_1784
; %bb.1779:
	s_mov_b32 s12, 0x3c7fffff
	v_cmp_lt_u32_e32 vcc, s12, v11
                                        ; implicit-def: $vgpr3
	s_and_saveexec_b64 s[12:13], vcc
	s_xor_b64 s[12:13], exec, s[12:13]
; %bb.1780:
	v_bfe_u32 v3, v2, 20, 1
	s_mov_b32 s16, 0x407ffff
	v_add3_u32 v3, v2, v3, s16
	v_lshrrev_b32_e32 v11, 20, v3
	v_and_b32_e32 v3, 0xff00000, v3
	s_mov_b32 s16, 0x7f00000
	v_mov_b32_e32 v14, 0x7e
	v_cmp_ne_u32_e32 vcc, s16, v3
	v_cndmask_b32_e32 v3, v14, v11, vcc
; %bb.1781:
	s_andn2_saveexec_b64 s[12:13], s[12:13]
; %bb.1782:
	s_mov_b32 s16, 0x46800000
	v_add_f32_e64 v3, |v2|, s16
; %bb.1783:
	s_or_b64 exec, exec, s[12:13]
                                        ; implicit-def: $vgpr11
.LBB8_1784:
	s_andn2_saveexec_b64 s[10:11], s[10:11]
; %bb.1785:
	s_mov_b32 s12, 0x7f800000
	v_mov_b32_e32 v3, 0x7e
	v_mov_b32_e32 v14, 0x7f
	v_cmp_lt_u32_e32 vcc, s12, v11
	v_cndmask_b32_e32 v3, v3, v14, vcc
; %bb.1786:
	s_or_b64 exec, exec, s[10:11]
	v_lshrrev_b32_e32 v2, 24, v2
	s_movk_i32 s10, 0x80
	v_and_or_b32 v2, v2, s10, v3
	global_store_byte v[6:7], v2, off
.LBB8_1787:
	s_mov_b64 s[10:11], 0
.LBB8_1788:
	s_andn2_b64 vcc, exec, s[10:11]
	s_cbranch_vccnz .LBB8_1798
; %bb.1789:
	v_cvt_f32_f64_e32 v2, v[0:1]
	s_mov_b32 s10, 0x47800000
                                        ; implicit-def: $vgpr3
	v_and_b32_e32 v11, 0x7fffffff, v2
	v_cmp_gt_u32_e32 vcc, s10, v11
	s_and_saveexec_b64 s[10:11], vcc
	s_xor_b64 s[10:11], exec, s[10:11]
	s_cbranch_execz .LBB8_1795
; %bb.1790:
	s_mov_b32 s12, 0x387fffff
	v_cmp_lt_u32_e32 vcc, s12, v11
                                        ; implicit-def: $vgpr3
	s_and_saveexec_b64 s[12:13], vcc
	s_xor_b64 s[12:13], exec, s[12:13]
; %bb.1791:
	v_bfe_u32 v3, v2, 21, 1
	s_mov_b32 s16, 0x80fffff
	v_add3_u32 v3, v2, v3, s16
	v_lshrrev_b32_e32 v3, 21, v3
; %bb.1792:
	s_andn2_saveexec_b64 s[12:13], s[12:13]
; %bb.1793:
	s_mov_b32 s16, 0x43000000
	v_add_f32_e64 v3, |v2|, s16
; %bb.1794:
	s_or_b64 exec, exec, s[12:13]
                                        ; implicit-def: $vgpr11
.LBB8_1795:
	s_andn2_saveexec_b64 s[10:11], s[10:11]
; %bb.1796:
	s_mov_b32 s12, 0x7f800000
	v_mov_b32_e32 v3, 0x7c
	v_mov_b32_e32 v14, 0x7f
	v_cmp_lt_u32_e32 vcc, s12, v11
	v_cndmask_b32_e32 v3, v3, v14, vcc
; %bb.1797:
	s_or_b64 exec, exec, s[10:11]
	v_lshrrev_b32_e32 v2, 24, v2
	s_movk_i32 s10, 0x80
	v_and_or_b32 v2, v2, s10, v3
	global_store_byte v[6:7], v2, off
.LBB8_1798:
	s_mov_b64 s[10:11], 0
	s_mov_b64 s[12:13], -1
.LBB8_1799:
	s_andn2_b64 vcc, exec, s[10:11]
	s_mov_b64 s[10:11], 0
	s_cbranch_vccnz .LBB8_1806
; %bb.1800:
	s_cmp_gt_i32 s3, 14
	s_mov_b64 s[16:17], -1
	s_cbranch_scc0 .LBB8_1804
; %bb.1801:
	s_cmp_eq_u32 s3, 15
	s_mov_b64 s[0:1], -1
	s_cbranch_scc0 .LBB8_1803
; %bb.1802:
	v_cvt_f32_f64_e32 v2, v[0:1]
	s_movk_i32 s0, 0x7fff
	v_mov_b32_e32 v3, 0x7fc0
	s_mov_b64 s[12:13], -1
	v_bfe_u32 v11, v2, 16, 1
	v_cmp_o_f32_e32 vcc, v2, v2
	v_add3_u32 v2, v2, v11, s0
	v_cndmask_b32_sdwa v2, v3, v2, vcc dst_sel:DWORD dst_unused:UNUSED_PAD src0_sel:DWORD src1_sel:WORD_1
	global_store_short v[6:7], v2, off
	s_mov_b64 s[0:1], 0
.LBB8_1803:
	s_mov_b64 s[16:17], 0
.LBB8_1804:
	s_and_b64 vcc, exec, s[16:17]
	s_cbranch_vccz .LBB8_1806
; %bb.1805:
	s_cmp_lg_u32 s3, 11
	s_mov_b64 s[10:11], -1
	s_cselect_b64 s[0:1], -1, 0
.LBB8_1806:
	s_and_b64 vcc, exec, s[0:1]
	s_cbranch_vccnz .LBB8_2216
; %bb.1807:
	s_andn2_b64 vcc, exec, s[10:11]
	s_cbranch_vccnz .LBB8_1809
.LBB8_1808:
	v_cmp_neq_f64_e32 vcc, 0, v[0:1]
	s_mov_b64 s[12:13], -1
	v_cndmask_b32_e64 v2, 0, 1, vcc
	global_store_byte v[6:7], v2, off
.LBB8_1809:
	s_mov_b64 s[0:1], 0
	s_branch .LBB8_1857
.LBB8_1810:
	s_mov_b64 s[0:1], 0
                                        ; implicit-def: $sgpr20
                                        ; implicit-def: $vgpr0_vgpr1
                                        ; implicit-def: $vgpr12_vgpr13
.LBB8_1811:
	s_mov_b64 s[2:3], 0
.LBB8_1812:
	s_and_b64 s[12:13], s[2:3], exec
	s_andn2_b64 s[2:3], s[6:7], exec
	s_and_b64 s[6:7], s[14:15], exec
	s_and_b64 s[0:1], s[0:1], exec
	s_or_b64 s[6:7], s[2:3], s[6:7]
.LBB8_1813:
	s_or_b64 exec, exec, s[4:5]
	s_and_saveexec_b64 s[2:3], s[6:7]
	s_cbranch_execz .LBB8_1816
; %bb.1814:
	; divergent unreachable
	s_or_b64 exec, exec, s[2:3]
	s_and_saveexec_b64 s[2:3], s[12:13]
	s_xor_b64 s[2:3], exec, s[2:3]
	s_cbranch_execnz .LBB8_1817
.LBB8_1815:
	s_or_b64 exec, exec, s[2:3]
	s_and_saveexec_b64 s[2:3], s[0:1]
	s_cbranch_execnz .LBB8_1818
	s_branch .LBB8_1855
.LBB8_1816:
	s_or_b64 exec, exec, s[2:3]
	s_and_saveexec_b64 s[2:3], s[12:13]
	s_xor_b64 s[2:3], exec, s[2:3]
	s_cbranch_execz .LBB8_1815
.LBB8_1817:
	v_cmp_neq_f64_e32 vcc, 0, v[12:13]
	s_waitcnt vmcnt(0)
	v_cndmask_b32_e64 v2, 0, 1, vcc
	global_store_byte v[0:1], v2, off
	s_or_b64 exec, exec, s[2:3]
	s_and_saveexec_b64 s[2:3], s[0:1]
	s_cbranch_execz .LBB8_1855
.LBB8_1818:
	s_sext_i32_i16 s2, s20
	s_cmp_lt_i32 s2, 5
	s_mov_b64 s[0:1], -1
	s_cbranch_scc1 .LBB8_1839
; %bb.1819:
	s_cmp_lt_i32 s2, 8
	s_cbranch_scc1 .LBB8_1829
; %bb.1820:
	s_cmp_lt_i32 s2, 9
	s_cbranch_scc1 .LBB8_1826
; %bb.1821:
	s_cmp_gt_i32 s2, 9
	s_cbranch_scc0 .LBB8_1823
; %bb.1822:
	v_mov_b32_e32 v14, 0
	v_mov_b32_e32 v15, v14
	global_store_dwordx4 v[0:1], v[12:15], off
	s_mov_b64 s[0:1], 0
.LBB8_1823:
	s_andn2_b64 vcc, exec, s[0:1]
	s_cbranch_vccnz .LBB8_1825
; %bb.1824:
	s_waitcnt vmcnt(0)
	v_cvt_f32_f64_e32 v2, v[12:13]
	v_mov_b32_e32 v3, 0
	global_store_dwordx2 v[0:1], v[2:3], off
.LBB8_1825:
	s_mov_b64 s[0:1], 0
.LBB8_1826:
	s_andn2_b64 vcc, exec, s[0:1]
	s_cbranch_vccnz .LBB8_1828
; %bb.1827:
	s_movk_i32 s0, 0x1ff
	s_waitcnt vmcnt(0)
	v_and_or_b32 v2, v13, s0, v12
	v_cmp_ne_u32_e32 vcc, 0, v2
	v_cndmask_b32_e64 v2, 0, 1, vcc
	v_lshrrev_b32_e32 v3, 8, v13
	s_movk_i32 s0, 0xffe
	v_bfe_u32 v4, v13, 20, 11
	v_and_or_b32 v2, v3, s0, v2
	v_sub_u32_e32 v5, 0x3f1, v4
	v_or_b32_e32 v3, 0x1000, v2
	v_med3_i32 v5, v5, 0, 13
	v_lshrrev_b32_e32 v6, v5, v3
	v_lshlrev_b32_e32 v5, v5, v6
	v_cmp_ne_u32_e32 vcc, v5, v3
	v_cndmask_b32_e64 v3, 0, 1, vcc
	v_add_u32_e32 v4, 0xfffffc10, v4
	v_or_b32_e32 v3, v6, v3
	v_lshl_or_b32 v5, v4, 12, v2
	v_cmp_gt_i32_e32 vcc, 1, v4
	v_cndmask_b32_e32 v3, v5, v3, vcc
	v_and_b32_e32 v5, 7, v3
	v_cmp_lt_i32_e32 vcc, 5, v5
	v_cndmask_b32_e64 v6, 0, 1, vcc
	v_cmp_eq_u32_e32 vcc, 3, v5
	v_cndmask_b32_e64 v5, 0, 1, vcc
	v_or_b32_e32 v5, v5, v6
	v_lshrrev_b32_e32 v3, 2, v3
	v_add_u32_e32 v3, v3, v5
	v_mov_b32_e32 v5, 0x7c00
	v_cmp_gt_i32_e32 vcc, 31, v4
	v_cndmask_b32_e32 v3, v5, v3, vcc
	v_mov_b32_e32 v6, 0x7e00
	v_cmp_ne_u32_e32 vcc, 0, v2
	s_movk_i32 s0, 0x40f
	v_cndmask_b32_e32 v2, v5, v6, vcc
	v_cmp_eq_u32_e32 vcc, s0, v4
	v_cndmask_b32_e32 v2, v3, v2, vcc
	v_lshrrev_b32_e32 v3, 16, v13
	s_mov_b32 s0, 0x8000
	v_and_or_b32 v2, v3, s0, v2
	v_and_b32_e32 v2, 0xffff, v2
	global_store_dword v[0:1], v2, off
.LBB8_1828:
	s_mov_b64 s[0:1], 0
.LBB8_1829:
	s_andn2_b64 vcc, exec, s[0:1]
	s_cbranch_vccnz .LBB8_1838
; %bb.1830:
	s_sext_i32_i16 s2, s20
	s_cmp_lt_i32 s2, 6
	s_mov_b64 s[0:1], -1
	s_cbranch_scc1 .LBB8_1836
; %bb.1831:
	s_cmp_gt_i32 s2, 6
	s_cbranch_scc0 .LBB8_1833
; %bb.1832:
	global_store_dwordx2 v[0:1], v[12:13], off
	s_mov_b64 s[0:1], 0
.LBB8_1833:
	s_andn2_b64 vcc, exec, s[0:1]
	s_cbranch_vccnz .LBB8_1835
; %bb.1834:
	s_waitcnt vmcnt(0)
	v_cvt_f32_f64_e32 v2, v[12:13]
	global_store_dword v[0:1], v2, off
.LBB8_1835:
	s_mov_b64 s[0:1], 0
.LBB8_1836:
	s_andn2_b64 vcc, exec, s[0:1]
	s_cbranch_vccnz .LBB8_1838
; %bb.1837:
	s_movk_i32 s0, 0x1ff
	s_waitcnt vmcnt(0)
	v_and_or_b32 v2, v13, s0, v12
	v_cmp_ne_u32_e32 vcc, 0, v2
	v_cndmask_b32_e64 v2, 0, 1, vcc
	v_lshrrev_b32_e32 v3, 8, v13
	s_movk_i32 s0, 0xffe
	v_bfe_u32 v4, v13, 20, 11
	v_and_or_b32 v2, v3, s0, v2
	v_sub_u32_e32 v5, 0x3f1, v4
	v_or_b32_e32 v3, 0x1000, v2
	v_med3_i32 v5, v5, 0, 13
	v_lshrrev_b32_e32 v6, v5, v3
	v_lshlrev_b32_e32 v5, v5, v6
	v_cmp_ne_u32_e32 vcc, v5, v3
	v_cndmask_b32_e64 v3, 0, 1, vcc
	v_add_u32_e32 v4, 0xfffffc10, v4
	v_or_b32_e32 v3, v6, v3
	v_lshl_or_b32 v5, v4, 12, v2
	v_cmp_gt_i32_e32 vcc, 1, v4
	v_cndmask_b32_e32 v3, v5, v3, vcc
	v_and_b32_e32 v5, 7, v3
	v_cmp_lt_i32_e32 vcc, 5, v5
	v_cndmask_b32_e64 v6, 0, 1, vcc
	v_cmp_eq_u32_e32 vcc, 3, v5
	v_cndmask_b32_e64 v5, 0, 1, vcc
	v_or_b32_e32 v5, v5, v6
	v_lshrrev_b32_e32 v3, 2, v3
	v_add_u32_e32 v3, v3, v5
	v_mov_b32_e32 v5, 0x7c00
	v_cmp_gt_i32_e32 vcc, 31, v4
	v_cndmask_b32_e32 v3, v5, v3, vcc
	v_mov_b32_e32 v6, 0x7e00
	v_cmp_ne_u32_e32 vcc, 0, v2
	s_movk_i32 s0, 0x40f
	v_cndmask_b32_e32 v2, v5, v6, vcc
	v_cmp_eq_u32_e32 vcc, s0, v4
	v_cndmask_b32_e32 v2, v3, v2, vcc
	v_lshrrev_b32_e32 v3, 16, v13
	s_mov_b32 s0, 0x8000
	v_and_or_b32 v2, v3, s0, v2
	global_store_short v[0:1], v2, off
.LBB8_1838:
	s_mov_b64 s[0:1], 0
.LBB8_1839:
	s_andn2_b64 vcc, exec, s[0:1]
	s_cbranch_vccnz .LBB8_1855
; %bb.1840:
	s_sext_i32_i16 s2, s20
	s_cmp_lt_i32 s2, 2
	s_mov_b64 s[0:1], -1
	s_cbranch_scc1 .LBB8_1850
; %bb.1841:
	s_cmp_lt_i32 s2, 3
	s_cbranch_scc1 .LBB8_1847
; %bb.1842:
	s_cmp_gt_i32 s2, 3
	s_cbranch_scc0 .LBB8_1844
; %bb.1843:
	s_waitcnt vmcnt(0)
	v_trunc_f64_e32 v[2:3], v[12:13]
	s_movk_i32 s0, 0xffe0
	v_ldexp_f64 v[4:5], v[2:3], s0
	s_mov_b32 s0, 0
	s_mov_b32 s1, 0xc1f00000
	v_floor_f64_e32 v[4:5], v[4:5]
	v_fma_f64 v[2:3], v[4:5], s[0:1], v[2:3]
	v_cvt_i32_f64_e32 v4, v[4:5]
	s_mov_b64 s[0:1], 0
	v_cvt_u32_f64_e32 v3, v[2:3]
	global_store_dwordx2 v[0:1], v[3:4], off
.LBB8_1844:
	s_andn2_b64 vcc, exec, s[0:1]
	s_cbranch_vccnz .LBB8_1846
; %bb.1845:
	s_waitcnt vmcnt(0)
	v_cvt_i32_f64_e32 v2, v[12:13]
	global_store_dword v[0:1], v2, off
.LBB8_1846:
	s_mov_b64 s[0:1], 0
.LBB8_1847:
	s_andn2_b64 vcc, exec, s[0:1]
	s_cbranch_vccnz .LBB8_1849
; %bb.1848:
	s_waitcnt vmcnt(0)
	v_cvt_i32_f64_e32 v2, v[12:13]
	global_store_short v[0:1], v2, off
.LBB8_1849:
	s_mov_b64 s[0:1], 0
.LBB8_1850:
	s_andn2_b64 vcc, exec, s[0:1]
	s_cbranch_vccnz .LBB8_1855
; %bb.1851:
	s_sext_i32_i16 s0, s20
	s_cmp_gt_i32 s0, 0
	s_mov_b64 s[0:1], -1
	s_cbranch_scc0 .LBB8_1853
; %bb.1852:
	s_waitcnt vmcnt(0)
	v_cvt_i32_f64_e32 v2, v[12:13]
	s_mov_b64 s[0:1], 0
	global_store_byte v[0:1], v2, off
.LBB8_1853:
	s_andn2_b64 vcc, exec, s[0:1]
	s_cbranch_vccnz .LBB8_1855
; %bb.1854:
	s_waitcnt vmcnt(0)
	v_trunc_f64_e32 v[2:3], v[12:13]
	s_movk_i32 s0, 0xffe0
	v_ldexp_f64 v[4:5], v[2:3], s0
	s_mov_b32 s0, 0
	s_mov_b32 s1, 0xc1f00000
	v_floor_f64_e32 v[4:5], v[4:5]
	v_fma_f64 v[2:3], v[4:5], s[0:1], v[2:3]
	v_cvt_u32_f64_e32 v2, v[2:3]
	global_store_byte v[0:1], v2, off
	s_endpgm
.LBB8_1855:
	s_endpgm
.LBB8_1856:
	s_mov_b64 s[0:1], -1
	s_mov_b64 s[12:13], 0
.LBB8_1857:
	s_and_b64 vcc, exec, s[0:1]
	s_cbranch_vccz .LBB8_1896
; %bb.1858:
	s_and_b32 s3, 0xffff, s20
	s_cmp_lt_i32 s3, 5
	s_mov_b64 s[0:1], -1
	s_cbranch_scc1 .LBB8_1879
; %bb.1859:
	s_cmp_lt_i32 s3, 8
	s_cbranch_scc1 .LBB8_1869
; %bb.1860:
	s_cmp_lt_i32 s3, 9
	s_cbranch_scc1 .LBB8_1866
; %bb.1861:
	s_cmp_gt_i32 s3, 9
	s_cbranch_scc0 .LBB8_1863
; %bb.1862:
	v_mov_b32_e32 v2, 0
	v_mov_b32_e32 v3, v2
	global_store_dwordx4 v[6:7], v[0:3], off
	s_mov_b64 s[0:1], 0
.LBB8_1863:
	s_andn2_b64 vcc, exec, s[0:1]
	s_cbranch_vccnz .LBB8_1865
; %bb.1864:
	v_cvt_f32_f64_e32 v2, v[0:1]
	v_mov_b32_e32 v3, 0
	global_store_dwordx2 v[6:7], v[2:3], off
.LBB8_1865:
	s_mov_b64 s[0:1], 0
.LBB8_1866:
	s_andn2_b64 vcc, exec, s[0:1]
	s_cbranch_vccnz .LBB8_1868
; %bb.1867:
	s_movk_i32 s0, 0x1ff
	v_and_or_b32 v2, v1, s0, v0
	v_cmp_ne_u32_e32 vcc, 0, v2
	v_cndmask_b32_e64 v2, 0, 1, vcc
	v_lshrrev_b32_e32 v3, 8, v1
	s_movk_i32 s0, 0xffe
	v_bfe_u32 v11, v1, 20, 11
	v_and_or_b32 v2, v3, s0, v2
	v_sub_u32_e32 v14, 0x3f1, v11
	v_or_b32_e32 v3, 0x1000, v2
	v_med3_i32 v14, v14, 0, 13
	v_lshrrev_b32_e32 v15, v14, v3
	v_lshlrev_b32_e32 v14, v14, v15
	v_cmp_ne_u32_e32 vcc, v14, v3
	v_cndmask_b32_e64 v3, 0, 1, vcc
	v_add_u32_e32 v11, 0xfffffc10, v11
	v_or_b32_e32 v3, v15, v3
	v_lshl_or_b32 v14, v11, 12, v2
	v_cmp_gt_i32_e32 vcc, 1, v11
	v_cndmask_b32_e32 v3, v14, v3, vcc
	v_and_b32_e32 v14, 7, v3
	v_cmp_lt_i32_e32 vcc, 5, v14
	v_cndmask_b32_e64 v15, 0, 1, vcc
	v_cmp_eq_u32_e32 vcc, 3, v14
	v_cndmask_b32_e64 v14, 0, 1, vcc
	v_or_b32_e32 v14, v14, v15
	v_lshrrev_b32_e32 v3, 2, v3
	v_add_u32_e32 v3, v3, v14
	v_mov_b32_e32 v14, 0x7c00
	v_cmp_gt_i32_e32 vcc, 31, v11
	v_cndmask_b32_e32 v3, v14, v3, vcc
	v_mov_b32_e32 v15, 0x7e00
	v_cmp_ne_u32_e32 vcc, 0, v2
	s_movk_i32 s0, 0x40f
	v_cndmask_b32_e32 v2, v14, v15, vcc
	v_cmp_eq_u32_e32 vcc, s0, v11
	v_cndmask_b32_e32 v2, v3, v2, vcc
	v_lshrrev_b32_e32 v3, 16, v1
	s_mov_b32 s0, 0x8000
	v_and_or_b32 v2, v3, s0, v2
	v_and_b32_e32 v2, 0xffff, v2
	global_store_dword v[6:7], v2, off
.LBB8_1868:
	s_mov_b64 s[0:1], 0
.LBB8_1869:
	s_andn2_b64 vcc, exec, s[0:1]
	s_cbranch_vccnz .LBB8_1878
; %bb.1870:
	s_cmp_lt_i32 s3, 6
	s_mov_b64 s[0:1], -1
	s_cbranch_scc1 .LBB8_1876
; %bb.1871:
	s_cmp_gt_i32 s3, 6
	s_cbranch_scc0 .LBB8_1873
; %bb.1872:
	global_store_dwordx2 v[6:7], v[0:1], off
	s_mov_b64 s[0:1], 0
.LBB8_1873:
	s_andn2_b64 vcc, exec, s[0:1]
	s_cbranch_vccnz .LBB8_1875
; %bb.1874:
	v_cvt_f32_f64_e32 v2, v[0:1]
	global_store_dword v[6:7], v2, off
.LBB8_1875:
	s_mov_b64 s[0:1], 0
.LBB8_1876:
	s_andn2_b64 vcc, exec, s[0:1]
	s_cbranch_vccnz .LBB8_1878
; %bb.1877:
	s_movk_i32 s0, 0x1ff
	v_and_or_b32 v2, v1, s0, v0
	v_cmp_ne_u32_e32 vcc, 0, v2
	v_cndmask_b32_e64 v2, 0, 1, vcc
	v_lshrrev_b32_e32 v3, 8, v1
	s_movk_i32 s0, 0xffe
	v_bfe_u32 v11, v1, 20, 11
	v_and_or_b32 v2, v3, s0, v2
	v_sub_u32_e32 v14, 0x3f1, v11
	v_or_b32_e32 v3, 0x1000, v2
	v_med3_i32 v14, v14, 0, 13
	v_lshrrev_b32_e32 v15, v14, v3
	v_lshlrev_b32_e32 v14, v14, v15
	v_cmp_ne_u32_e32 vcc, v14, v3
	v_cndmask_b32_e64 v3, 0, 1, vcc
	v_add_u32_e32 v11, 0xfffffc10, v11
	v_or_b32_e32 v3, v15, v3
	v_lshl_or_b32 v14, v11, 12, v2
	v_cmp_gt_i32_e32 vcc, 1, v11
	v_cndmask_b32_e32 v3, v14, v3, vcc
	v_and_b32_e32 v14, 7, v3
	v_cmp_lt_i32_e32 vcc, 5, v14
	v_cndmask_b32_e64 v15, 0, 1, vcc
	v_cmp_eq_u32_e32 vcc, 3, v14
	v_cndmask_b32_e64 v14, 0, 1, vcc
	v_or_b32_e32 v14, v14, v15
	v_lshrrev_b32_e32 v3, 2, v3
	v_add_u32_e32 v3, v3, v14
	v_mov_b32_e32 v14, 0x7c00
	v_cmp_gt_i32_e32 vcc, 31, v11
	v_cndmask_b32_e32 v3, v14, v3, vcc
	v_mov_b32_e32 v15, 0x7e00
	v_cmp_ne_u32_e32 vcc, 0, v2
	s_movk_i32 s0, 0x40f
	v_cndmask_b32_e32 v2, v14, v15, vcc
	v_cmp_eq_u32_e32 vcc, s0, v11
	v_cndmask_b32_e32 v2, v3, v2, vcc
	v_lshrrev_b32_e32 v3, 16, v1
	s_mov_b32 s0, 0x8000
	v_and_or_b32 v2, v3, s0, v2
	global_store_short v[6:7], v2, off
.LBB8_1878:
	s_mov_b64 s[0:1], 0
.LBB8_1879:
	s_andn2_b64 vcc, exec, s[0:1]
	s_cbranch_vccnz .LBB8_1895
; %bb.1880:
	s_cmp_lt_i32 s3, 2
	s_mov_b64 s[0:1], -1
	s_cbranch_scc1 .LBB8_1890
; %bb.1881:
	s_cmp_lt_i32 s3, 3
	s_cbranch_scc1 .LBB8_1887
; %bb.1882:
	s_cmp_gt_i32 s3, 3
	s_cbranch_scc0 .LBB8_1884
; %bb.1883:
	v_trunc_f64_e32 v[2:3], v[0:1]
	s_movk_i32 s0, 0xffe0
	v_ldexp_f64 v[14:15], v[2:3], s0
	s_mov_b32 s0, 0
	s_mov_b32 s1, 0xc1f00000
	v_floor_f64_e32 v[14:15], v[14:15]
	v_fma_f64 v[2:3], v[14:15], s[0:1], v[2:3]
	v_cvt_i32_f64_e32 v15, v[14:15]
	s_mov_b64 s[0:1], 0
	v_cvt_u32_f64_e32 v14, v[2:3]
	global_store_dwordx2 v[6:7], v[14:15], off
.LBB8_1884:
	s_andn2_b64 vcc, exec, s[0:1]
	s_cbranch_vccnz .LBB8_1886
; %bb.1885:
	v_cvt_i32_f64_e32 v2, v[0:1]
	global_store_dword v[6:7], v2, off
.LBB8_1886:
	s_mov_b64 s[0:1], 0
.LBB8_1887:
	s_andn2_b64 vcc, exec, s[0:1]
	s_cbranch_vccnz .LBB8_1889
; %bb.1888:
	v_cvt_i32_f64_e32 v2, v[0:1]
	global_store_short v[6:7], v2, off
.LBB8_1889:
	s_mov_b64 s[0:1], 0
.LBB8_1890:
	s_andn2_b64 vcc, exec, s[0:1]
	s_cbranch_vccnz .LBB8_1895
; %bb.1891:
	s_cmp_gt_i32 s3, 0
	s_mov_b64 s[0:1], -1
	s_cbranch_scc0 .LBB8_1893
; %bb.1892:
	v_cvt_i32_f64_e32 v2, v[0:1]
	s_mov_b64 s[0:1], 0
	global_store_byte v[6:7], v2, off
.LBB8_1893:
	s_andn2_b64 vcc, exec, s[0:1]
	s_cbranch_vccnz .LBB8_1895
; %bb.1894:
	v_trunc_f64_e32 v[0:1], v[0:1]
	s_movk_i32 s0, 0xffe0
	v_ldexp_f64 v[2:3], v[0:1], s0
	s_mov_b32 s0, 0
	s_mov_b32 s1, 0xc1f00000
	v_floor_f64_e32 v[2:3], v[2:3]
	v_fma_f64 v[0:1], v[2:3], s[0:1], v[0:1]
	v_cvt_u32_f64_e32 v0, v[0:1]
	global_store_byte v[6:7], v0, off
.LBB8_1895:
	s_mov_b64 s[12:13], -1
.LBB8_1896:
	s_andn2_b64 vcc, exec, s[12:13]
	s_cbranch_vccnz .LBB8_2211
; %bb.1897:
	s_lshl_b32 s18, s2, 7
	v_add_u32_e32 v2, s18, v10
	v_ashrrev_i32_e32 v1, 31, v2
	v_mov_b32_e32 v3, s9
	v_add_co_u32_e32 v0, vcc, s8, v2
	s_cmp_lt_i32 s20, 11
	v_addc_co_u32_e32 v1, vcc, v3, v1, vcc
	s_cbranch_scc1 .LBB8_1975
; %bb.1898:
	s_and_b32 s19, 0xffff, s20
	s_mov_b64 s[12:13], -1
	s_mov_b64 s[2:3], 0
	s_cmp_gt_i32 s19, 25
	s_mov_b64 s[10:11], 0
	s_mov_b64 s[0:1], 0
	s_cbranch_scc0 .LBB8_1931
; %bb.1899:
	s_cmp_gt_i32 s19, 28
	s_cbranch_scc0 .LBB8_1914
; %bb.1900:
	s_cmp_gt_i32 s19, 43
	;; [unrolled: 3-line block ×3, first 2 shown]
	s_cbranch_scc0 .LBB8_1904
; %bb.1902:
	s_mov_b64 s[0:1], -1
	s_mov_b64 s[12:13], 0
	s_cmp_eq_u32 s19, 46
	s_cbranch_scc0 .LBB8_1904
; %bb.1903:
	v_cvt_f32_f64_e32 v3, v[4:5]
	s_movk_i32 s0, 0x7fff
	v_mov_b32_e32 v6, 0x7fc0
	s_mov_b64 s[10:11], -1
	v_bfe_u32 v7, v3, 16, 1
	v_cmp_o_f32_e32 vcc, v3, v3
	v_add3_u32 v3, v3, v7, s0
	v_cndmask_b32_sdwa v3, v6, v3, vcc dst_sel:DWORD dst_unused:UNUSED_PAD src0_sel:DWORD src1_sel:WORD_1
	global_store_dword v[0:1], v3, off
	s_mov_b64 s[0:1], 0
.LBB8_1904:
	s_and_b64 vcc, exec, s[12:13]
	s_cbranch_vccz .LBB8_1909
; %bb.1905:
	s_cmp_eq_u32 s19, 44
	s_mov_b64 s[0:1], -1
	s_cbranch_scc0 .LBB8_1909
; %bb.1906:
	v_cvt_f32_f64_e32 v3, v[4:5]
	s_movk_i32 s0, 0xff
	v_mov_b32_e32 v7, 0xff
	v_bfe_u32 v6, v3, 23, 8
	v_cmp_ne_u32_e32 vcc, s0, v6
	s_and_saveexec_b64 s[10:11], vcc
; %bb.1907:
	s_mov_b32 s0, 0x3fffff
	v_lshrrev_b32_e32 v7, 23, v3
	v_and_b32_e32 v10, 0x400000, v3
	v_and_or_b32 v3, v3, s0, v6
	v_cmp_ne_u32_e32 vcc, 0, v10
	v_cmp_ne_u32_e64 s[0:1], 0, v3
	s_and_b64 s[0:1], vcc, s[0:1]
	v_cndmask_b32_e64 v3, 0, 1, s[0:1]
	v_add_u32_e32 v7, v7, v3
; %bb.1908:
	s_or_b64 exec, exec, s[10:11]
	s_mov_b64 s[0:1], 0
	s_mov_b64 s[10:11], -1
	global_store_byte v[0:1], v7, off
.LBB8_1909:
	s_mov_b64 s[12:13], 0
.LBB8_1910:
	s_and_b64 vcc, exec, s[12:13]
	s_cbranch_vccz .LBB8_1913
; %bb.1911:
	s_cmp_eq_u32 s19, 29
	s_mov_b64 s[0:1], -1
	s_cbranch_scc0 .LBB8_1913
; %bb.1912:
	v_trunc_f64_e32 v[6:7], v[4:5]
	s_movk_i32 s0, 0xffe0
	s_mov_b64 s[10:11], -1
	v_ldexp_f64 v[10:11], v[6:7], s0
	s_mov_b32 s0, 0
	s_mov_b32 s1, 0xc1f00000
	v_floor_f64_e32 v[10:11], v[10:11]
	v_fma_f64 v[6:7], v[10:11], s[0:1], v[6:7]
	v_cvt_u32_f64_e32 v11, v[10:11]
	s_mov_b64 s[0:1], 0
	v_cvt_u32_f64_e32 v10, v[6:7]
	global_store_dwordx2 v[0:1], v[10:11], off
.LBB8_1913:
	s_mov_b64 s[12:13], 0
.LBB8_1914:
	s_and_b64 vcc, exec, s[12:13]
	s_cbranch_vccz .LBB8_1930
; %bb.1915:
	s_cmp_lt_i32 s19, 27
	s_mov_b64 s[10:11], -1
	s_cbranch_scc1 .LBB8_1921
; %bb.1916:
	v_cvt_u32_f64_e32 v3, v[4:5]
	s_cmp_gt_i32 s19, 27
	s_cbranch_scc0 .LBB8_1918
; %bb.1917:
	s_mov_b64 s[10:11], 0
	global_store_dword v[0:1], v3, off
.LBB8_1918:
	s_andn2_b64 vcc, exec, s[10:11]
	s_cbranch_vccnz .LBB8_1920
; %bb.1919:
	global_store_short v[0:1], v3, off
.LBB8_1920:
	s_mov_b64 s[10:11], 0
.LBB8_1921:
	s_andn2_b64 vcc, exec, s[10:11]
	s_cbranch_vccnz .LBB8_1929
; %bb.1922:
	v_cvt_f32_f64_e32 v3, v[4:5]
	s_mov_b32 s10, 0x43800000
	v_mov_b32_e32 v7, 0x80
	v_and_b32_e32 v6, 0x7fffffff, v3
	v_cmp_gt_u32_e32 vcc, s10, v6
	s_and_saveexec_b64 s[10:11], vcc
	s_cbranch_execz .LBB8_1928
; %bb.1923:
	s_mov_b32 s12, 0x3bffffff
	v_cmp_lt_u32_e32 vcc, s12, v6
	s_mov_b64 s[12:13], 0
                                        ; implicit-def: $vgpr6
	s_and_saveexec_b64 s[16:17], vcc
	s_xor_b64 s[16:17], exec, s[16:17]
	s_cbranch_execz .LBB8_2219
; %bb.1924:
	v_bfe_u32 v6, v3, 20, 1
	s_mov_b32 s21, 0x487ffff
	v_add3_u32 v6, v3, v6, s21
	s_mov_b64 s[12:13], exec
	v_lshrrev_b32_e32 v6, 20, v6
	s_andn2_saveexec_b64 s[16:17], s[16:17]
	s_cbranch_execnz .LBB8_2220
.LBB8_1925:
	s_or_b64 exec, exec, s[16:17]
	v_mov_b32_e32 v7, 0
	s_and_saveexec_b64 s[16:17], s[12:13]
.LBB8_1926:
	v_lshrrev_b32_e32 v3, 24, v3
	s_movk_i32 s12, 0x80
	v_and_or_b32 v7, v3, s12, v6
.LBB8_1927:
	s_or_b64 exec, exec, s[16:17]
.LBB8_1928:
	s_or_b64 exec, exec, s[10:11]
	global_store_byte v[0:1], v7, off
.LBB8_1929:
	s_mov_b64 s[10:11], -1
.LBB8_1930:
	s_mov_b64 s[12:13], 0
.LBB8_1931:
	s_and_b64 vcc, exec, s[12:13]
	s_cbranch_vccz .LBB8_1971
; %bb.1932:
	s_cmp_gt_i32 s19, 22
	s_mov_b64 s[2:3], -1
	s_cbranch_scc0 .LBB8_1964
; %bb.1933:
	s_cmp_lt_i32 s19, 24
	s_cbranch_scc1 .LBB8_1953
; %bb.1934:
	s_cmp_gt_i32 s19, 24
	s_cbranch_scc0 .LBB8_1942
; %bb.1935:
	v_cvt_f32_f64_e32 v3, v[4:5]
	s_mov_b32 s2, 0x47800000
	v_mov_b32_e32 v7, 0x80
	v_and_b32_e32 v6, 0x7fffffff, v3
	v_cmp_gt_u32_e32 vcc, s2, v6
	s_and_saveexec_b64 s[2:3], vcc
	s_cbranch_execz .LBB8_1941
; %bb.1936:
	s_mov_b32 s10, 0x37ffffff
	v_cmp_lt_u32_e32 vcc, s10, v6
	s_mov_b64 s[10:11], 0
                                        ; implicit-def: $vgpr6
	s_and_saveexec_b64 s[12:13], vcc
	s_xor_b64 s[12:13], exec, s[12:13]
	s_cbranch_execz .LBB8_2222
; %bb.1937:
	v_bfe_u32 v6, v3, 21, 1
	s_mov_b32 s16, 0x88fffff
	v_add3_u32 v6, v3, v6, s16
	s_mov_b64 s[10:11], exec
	v_lshrrev_b32_e32 v6, 21, v6
	s_andn2_saveexec_b64 s[12:13], s[12:13]
	s_cbranch_execnz .LBB8_2223
.LBB8_1938:
	s_or_b64 exec, exec, s[12:13]
	v_mov_b32_e32 v7, 0
	s_and_saveexec_b64 s[12:13], s[10:11]
.LBB8_1939:
	v_lshrrev_b32_e32 v3, 24, v3
	s_movk_i32 s10, 0x80
	v_and_or_b32 v7, v3, s10, v6
.LBB8_1940:
	s_or_b64 exec, exec, s[12:13]
.LBB8_1941:
	s_or_b64 exec, exec, s[2:3]
	s_mov_b64 s[2:3], 0
	global_store_byte v[0:1], v7, off
.LBB8_1942:
	s_and_b64 vcc, exec, s[2:3]
	s_cbranch_vccz .LBB8_1952
; %bb.1943:
	v_cvt_f32_f64_e32 v3, v[4:5]
	s_mov_b32 s2, 0x43f00000
                                        ; implicit-def: $vgpr6
	v_and_b32_e32 v7, 0x7fffffff, v3
	v_cmp_gt_u32_e32 vcc, s2, v7
	s_and_saveexec_b64 s[2:3], vcc
	s_xor_b64 s[2:3], exec, s[2:3]
	s_cbranch_execz .LBB8_1949
; %bb.1944:
	s_mov_b32 s10, 0x3c7fffff
	v_cmp_lt_u32_e32 vcc, s10, v7
                                        ; implicit-def: $vgpr6
	s_and_saveexec_b64 s[10:11], vcc
	s_xor_b64 s[10:11], exec, s[10:11]
; %bb.1945:
	v_bfe_u32 v6, v3, 20, 1
	s_mov_b32 s12, 0x407ffff
	v_add3_u32 v6, v3, v6, s12
	v_lshrrev_b32_e32 v7, 20, v6
	v_and_b32_e32 v6, 0xff00000, v6
	s_mov_b32 s12, 0x7f00000
	v_mov_b32_e32 v10, 0x7e
	v_cmp_ne_u32_e32 vcc, s12, v6
	v_cndmask_b32_e32 v6, v10, v7, vcc
; %bb.1946:
	s_andn2_saveexec_b64 s[10:11], s[10:11]
; %bb.1947:
	s_mov_b32 s12, 0x46800000
	v_add_f32_e64 v6, |v3|, s12
; %bb.1948:
	s_or_b64 exec, exec, s[10:11]
                                        ; implicit-def: $vgpr7
.LBB8_1949:
	s_andn2_saveexec_b64 s[2:3], s[2:3]
; %bb.1950:
	s_mov_b32 s10, 0x7f800000
	v_mov_b32_e32 v6, 0x7e
	v_mov_b32_e32 v10, 0x7f
	v_cmp_lt_u32_e32 vcc, s10, v7
	v_cndmask_b32_e32 v6, v6, v10, vcc
; %bb.1951:
	s_or_b64 exec, exec, s[2:3]
	v_lshrrev_b32_e32 v3, 24, v3
	s_movk_i32 s2, 0x80
	v_and_or_b32 v3, v3, s2, v6
	global_store_byte v[0:1], v3, off
.LBB8_1952:
	s_mov_b64 s[2:3], 0
.LBB8_1953:
	s_andn2_b64 vcc, exec, s[2:3]
	s_cbranch_vccnz .LBB8_1963
; %bb.1954:
	v_cvt_f32_f64_e32 v3, v[4:5]
	s_mov_b32 s2, 0x47800000
                                        ; implicit-def: $vgpr6
	v_and_b32_e32 v7, 0x7fffffff, v3
	v_cmp_gt_u32_e32 vcc, s2, v7
	s_and_saveexec_b64 s[2:3], vcc
	s_xor_b64 s[2:3], exec, s[2:3]
	s_cbranch_execz .LBB8_1960
; %bb.1955:
	s_mov_b32 s10, 0x387fffff
	v_cmp_lt_u32_e32 vcc, s10, v7
                                        ; implicit-def: $vgpr6
	s_and_saveexec_b64 s[10:11], vcc
	s_xor_b64 s[10:11], exec, s[10:11]
; %bb.1956:
	v_bfe_u32 v6, v3, 21, 1
	s_mov_b32 s12, 0x80fffff
	v_add3_u32 v6, v3, v6, s12
	v_lshrrev_b32_e32 v6, 21, v6
; %bb.1957:
	s_andn2_saveexec_b64 s[10:11], s[10:11]
; %bb.1958:
	s_mov_b32 s12, 0x43000000
	v_add_f32_e64 v6, |v3|, s12
; %bb.1959:
	s_or_b64 exec, exec, s[10:11]
                                        ; implicit-def: $vgpr7
.LBB8_1960:
	s_andn2_saveexec_b64 s[2:3], s[2:3]
; %bb.1961:
	s_mov_b32 s10, 0x7f800000
	v_mov_b32_e32 v6, 0x7c
	v_mov_b32_e32 v10, 0x7f
	v_cmp_lt_u32_e32 vcc, s10, v7
	v_cndmask_b32_e32 v6, v6, v10, vcc
; %bb.1962:
	s_or_b64 exec, exec, s[2:3]
	v_lshrrev_b32_e32 v3, 24, v3
	s_movk_i32 s2, 0x80
	v_and_or_b32 v3, v3, s2, v6
	global_store_byte v[0:1], v3, off
.LBB8_1963:
	s_mov_b64 s[2:3], 0
	s_mov_b64 s[10:11], -1
.LBB8_1964:
	s_andn2_b64 vcc, exec, s[2:3]
	s_mov_b64 s[2:3], 0
	s_cbranch_vccnz .LBB8_1971
; %bb.1965:
	s_cmp_gt_i32 s19, 14
	s_mov_b64 s[12:13], -1
	s_cbranch_scc0 .LBB8_1969
; %bb.1966:
	s_cmp_eq_u32 s19, 15
	s_mov_b64 s[0:1], -1
	s_cbranch_scc0 .LBB8_1968
; %bb.1967:
	v_cvt_f32_f64_e32 v3, v[4:5]
	s_movk_i32 s0, 0x7fff
	v_mov_b32_e32 v6, 0x7fc0
	s_mov_b64 s[10:11], -1
	v_bfe_u32 v7, v3, 16, 1
	v_cmp_o_f32_e32 vcc, v3, v3
	v_add3_u32 v3, v3, v7, s0
	v_cndmask_b32_sdwa v3, v6, v3, vcc dst_sel:DWORD dst_unused:UNUSED_PAD src0_sel:DWORD src1_sel:WORD_1
	global_store_short v[0:1], v3, off
	s_mov_b64 s[0:1], 0
.LBB8_1968:
	s_mov_b64 s[12:13], 0
.LBB8_1969:
	s_and_b64 vcc, exec, s[12:13]
	s_cbranch_vccz .LBB8_1971
; %bb.1970:
	s_cmp_lg_u32 s19, 11
	s_mov_b64 s[2:3], -1
	s_cselect_b64 s[0:1], -1, 0
.LBB8_1971:
	s_and_b64 vcc, exec, s[0:1]
	s_cbranch_vccnz .LBB8_2221
; %bb.1972:
	s_andn2_b64 vcc, exec, s[2:3]
	s_cbranch_vccnz .LBB8_1974
.LBB8_1973:
	v_cmp_neq_f64_e32 vcc, 0, v[4:5]
	s_mov_b64 s[10:11], -1
	v_cndmask_b32_e64 v3, 0, 1, vcc
	global_store_byte v[0:1], v3, off
.LBB8_1974:
	s_mov_b64 s[0:1], 0
	s_branch .LBB8_1976
.LBB8_1975:
	s_mov_b64 s[0:1], -1
	s_mov_b64 s[10:11], 0
.LBB8_1976:
	s_and_b64 vcc, exec, s[0:1]
	s_cbranch_vccz .LBB8_2015
; %bb.1977:
	s_and_b32 s2, 0xffff, s20
	s_cmp_lt_i32 s2, 5
	s_mov_b64 s[0:1], -1
	s_cbranch_scc1 .LBB8_1998
; %bb.1978:
	s_cmp_lt_i32 s2, 8
	s_cbranch_scc1 .LBB8_1988
; %bb.1979:
	s_cmp_lt_i32 s2, 9
	s_cbranch_scc1 .LBB8_1985
; %bb.1980:
	s_cmp_gt_i32 s2, 9
	s_cbranch_scc0 .LBB8_1982
; %bb.1981:
	v_mov_b32_e32 v6, 0
	v_mov_b32_e32 v7, v6
	global_store_dwordx4 v[0:1], v[4:7], off
	s_mov_b64 s[0:1], 0
.LBB8_1982:
	s_andn2_b64 vcc, exec, s[0:1]
	s_cbranch_vccnz .LBB8_1984
; %bb.1983:
	v_cvt_f32_f64_e32 v6, v[4:5]
	v_mov_b32_e32 v7, 0
	global_store_dwordx2 v[0:1], v[6:7], off
.LBB8_1984:
	s_mov_b64 s[0:1], 0
.LBB8_1985:
	s_andn2_b64 vcc, exec, s[0:1]
	s_cbranch_vccnz .LBB8_1987
; %bb.1986:
	s_movk_i32 s0, 0x1ff
	v_and_or_b32 v3, v5, s0, v4
	v_cmp_ne_u32_e32 vcc, 0, v3
	v_cndmask_b32_e64 v3, 0, 1, vcc
	v_lshrrev_b32_e32 v6, 8, v5
	s_movk_i32 s0, 0xffe
	v_bfe_u32 v7, v5, 20, 11
	v_and_or_b32 v3, v6, s0, v3
	v_sub_u32_e32 v10, 0x3f1, v7
	v_or_b32_e32 v6, 0x1000, v3
	v_med3_i32 v10, v10, 0, 13
	v_lshrrev_b32_e32 v11, v10, v6
	v_lshlrev_b32_e32 v10, v10, v11
	v_cmp_ne_u32_e32 vcc, v10, v6
	v_cndmask_b32_e64 v6, 0, 1, vcc
	v_add_u32_e32 v7, 0xfffffc10, v7
	v_or_b32_e32 v6, v11, v6
	v_lshl_or_b32 v10, v7, 12, v3
	v_cmp_gt_i32_e32 vcc, 1, v7
	v_cndmask_b32_e32 v6, v10, v6, vcc
	v_and_b32_e32 v10, 7, v6
	v_cmp_lt_i32_e32 vcc, 5, v10
	v_cndmask_b32_e64 v11, 0, 1, vcc
	v_cmp_eq_u32_e32 vcc, 3, v10
	v_cndmask_b32_e64 v10, 0, 1, vcc
	v_or_b32_e32 v10, v10, v11
	v_lshrrev_b32_e32 v6, 2, v6
	v_add_u32_e32 v6, v6, v10
	v_mov_b32_e32 v10, 0x7c00
	v_cmp_gt_i32_e32 vcc, 31, v7
	v_cndmask_b32_e32 v6, v10, v6, vcc
	v_mov_b32_e32 v11, 0x7e00
	v_cmp_ne_u32_e32 vcc, 0, v3
	s_movk_i32 s0, 0x40f
	v_cndmask_b32_e32 v3, v10, v11, vcc
	v_cmp_eq_u32_e32 vcc, s0, v7
	v_cndmask_b32_e32 v3, v6, v3, vcc
	v_lshrrev_b32_e32 v6, 16, v5
	s_mov_b32 s0, 0x8000
	v_and_or_b32 v3, v6, s0, v3
	v_and_b32_e32 v3, 0xffff, v3
	global_store_dword v[0:1], v3, off
.LBB8_1987:
	s_mov_b64 s[0:1], 0
.LBB8_1988:
	s_andn2_b64 vcc, exec, s[0:1]
	s_cbranch_vccnz .LBB8_1997
; %bb.1989:
	s_cmp_lt_i32 s2, 6
	s_mov_b64 s[0:1], -1
	s_cbranch_scc1 .LBB8_1995
; %bb.1990:
	s_cmp_gt_i32 s2, 6
	s_cbranch_scc0 .LBB8_1992
; %bb.1991:
	global_store_dwordx2 v[0:1], v[4:5], off
	s_mov_b64 s[0:1], 0
.LBB8_1992:
	s_andn2_b64 vcc, exec, s[0:1]
	s_cbranch_vccnz .LBB8_1994
; %bb.1993:
	v_cvt_f32_f64_e32 v3, v[4:5]
	global_store_dword v[0:1], v3, off
.LBB8_1994:
	s_mov_b64 s[0:1], 0
.LBB8_1995:
	s_andn2_b64 vcc, exec, s[0:1]
	s_cbranch_vccnz .LBB8_1997
; %bb.1996:
	s_movk_i32 s0, 0x1ff
	v_and_or_b32 v3, v5, s0, v4
	v_cmp_ne_u32_e32 vcc, 0, v3
	v_cndmask_b32_e64 v3, 0, 1, vcc
	v_lshrrev_b32_e32 v6, 8, v5
	s_movk_i32 s0, 0xffe
	v_bfe_u32 v7, v5, 20, 11
	v_and_or_b32 v3, v6, s0, v3
	v_sub_u32_e32 v10, 0x3f1, v7
	v_or_b32_e32 v6, 0x1000, v3
	v_med3_i32 v10, v10, 0, 13
	v_lshrrev_b32_e32 v11, v10, v6
	v_lshlrev_b32_e32 v10, v10, v11
	v_cmp_ne_u32_e32 vcc, v10, v6
	v_cndmask_b32_e64 v6, 0, 1, vcc
	v_add_u32_e32 v7, 0xfffffc10, v7
	v_or_b32_e32 v6, v11, v6
	v_lshl_or_b32 v10, v7, 12, v3
	v_cmp_gt_i32_e32 vcc, 1, v7
	v_cndmask_b32_e32 v6, v10, v6, vcc
	v_and_b32_e32 v10, 7, v6
	v_cmp_lt_i32_e32 vcc, 5, v10
	v_cndmask_b32_e64 v11, 0, 1, vcc
	v_cmp_eq_u32_e32 vcc, 3, v10
	v_cndmask_b32_e64 v10, 0, 1, vcc
	v_or_b32_e32 v10, v10, v11
	v_lshrrev_b32_e32 v6, 2, v6
	v_add_u32_e32 v6, v6, v10
	v_mov_b32_e32 v10, 0x7c00
	v_cmp_gt_i32_e32 vcc, 31, v7
	v_cndmask_b32_e32 v6, v10, v6, vcc
	v_mov_b32_e32 v11, 0x7e00
	v_cmp_ne_u32_e32 vcc, 0, v3
	s_movk_i32 s0, 0x40f
	v_cndmask_b32_e32 v3, v10, v11, vcc
	v_cmp_eq_u32_e32 vcc, s0, v7
	v_cndmask_b32_e32 v3, v6, v3, vcc
	v_lshrrev_b32_e32 v6, 16, v5
	s_mov_b32 s0, 0x8000
	v_and_or_b32 v3, v6, s0, v3
	global_store_short v[0:1], v3, off
.LBB8_1997:
	s_mov_b64 s[0:1], 0
.LBB8_1998:
	s_andn2_b64 vcc, exec, s[0:1]
	s_cbranch_vccnz .LBB8_2014
; %bb.1999:
	s_cmp_lt_i32 s2, 2
	s_mov_b64 s[0:1], -1
	s_cbranch_scc1 .LBB8_2009
; %bb.2000:
	s_cmp_lt_i32 s2, 3
	s_cbranch_scc1 .LBB8_2006
; %bb.2001:
	s_cmp_gt_i32 s2, 3
	s_cbranch_scc0 .LBB8_2003
; %bb.2002:
	v_trunc_f64_e32 v[6:7], v[4:5]
	s_movk_i32 s0, 0xffe0
	v_ldexp_f64 v[10:11], v[6:7], s0
	s_mov_b32 s0, 0
	s_mov_b32 s1, 0xc1f00000
	v_floor_f64_e32 v[10:11], v[10:11]
	v_fma_f64 v[6:7], v[10:11], s[0:1], v[6:7]
	v_cvt_i32_f64_e32 v11, v[10:11]
	s_mov_b64 s[0:1], 0
	v_cvt_u32_f64_e32 v10, v[6:7]
	global_store_dwordx2 v[0:1], v[10:11], off
.LBB8_2003:
	s_andn2_b64 vcc, exec, s[0:1]
	s_cbranch_vccnz .LBB8_2005
; %bb.2004:
	v_cvt_i32_f64_e32 v3, v[4:5]
	global_store_dword v[0:1], v3, off
.LBB8_2005:
	s_mov_b64 s[0:1], 0
.LBB8_2006:
	s_andn2_b64 vcc, exec, s[0:1]
	s_cbranch_vccnz .LBB8_2008
; %bb.2007:
	v_cvt_i32_f64_e32 v3, v[4:5]
	global_store_short v[0:1], v3, off
.LBB8_2008:
	s_mov_b64 s[0:1], 0
.LBB8_2009:
	s_andn2_b64 vcc, exec, s[0:1]
	s_cbranch_vccnz .LBB8_2014
; %bb.2010:
	s_cmp_gt_i32 s2, 0
	s_mov_b64 s[0:1], -1
	s_cbranch_scc0 .LBB8_2012
; %bb.2011:
	v_cvt_i32_f64_e32 v3, v[4:5]
	s_mov_b64 s[0:1], 0
	global_store_byte v[0:1], v3, off
.LBB8_2012:
	s_andn2_b64 vcc, exec, s[0:1]
	s_cbranch_vccnz .LBB8_2014
; %bb.2013:
	v_trunc_f64_e32 v[3:4], v[4:5]
	s_movk_i32 s0, 0xffe0
	v_ldexp_f64 v[5:6], v[3:4], s0
	s_mov_b32 s0, 0
	s_mov_b32 s1, 0xc1f00000
	v_floor_f64_e32 v[5:6], v[5:6]
	v_fma_f64 v[3:4], v[5:6], s[0:1], v[3:4]
	v_cvt_u32_f64_e32 v3, v[3:4]
	global_store_byte v[0:1], v3, off
.LBB8_2014:
	s_mov_b64 s[10:11], -1
.LBB8_2015:
	s_andn2_b64 vcc, exec, s[10:11]
	s_cbranch_vccnz .LBB8_2211
; %bb.2016:
	v_add_u32_e32 v2, s18, v2
	v_ashrrev_i32_e32 v1, 31, v2
	v_mov_b32_e32 v3, s9
	v_add_co_u32_e32 v0, vcc, s8, v2
	s_cmp_lt_i32 s20, 11
	v_addc_co_u32_e32 v1, vcc, v3, v1, vcc
	s_cbranch_scc1 .LBB8_2094
; %bb.2017:
	s_and_b32 s19, 0xffff, s20
	s_mov_b64 s[12:13], -1
	s_mov_b64 s[2:3], 0
	s_cmp_gt_i32 s19, 25
	s_mov_b64 s[10:11], 0
	s_mov_b64 s[0:1], 0
	s_cbranch_scc0 .LBB8_2050
; %bb.2018:
	s_cmp_gt_i32 s19, 28
	s_cbranch_scc0 .LBB8_2033
; %bb.2019:
	s_cmp_gt_i32 s19, 43
	;; [unrolled: 3-line block ×3, first 2 shown]
	s_cbranch_scc0 .LBB8_2023
; %bb.2021:
	s_mov_b64 s[0:1], -1
	s_mov_b64 s[12:13], 0
	s_cmp_eq_u32 s19, 46
	s_cbranch_scc0 .LBB8_2023
; %bb.2022:
	v_cvt_f32_f64_e32 v3, v[8:9]
	s_movk_i32 s0, 0x7fff
	v_mov_b32_e32 v4, 0x7fc0
	s_mov_b64 s[10:11], -1
	v_bfe_u32 v5, v3, 16, 1
	v_cmp_o_f32_e32 vcc, v3, v3
	v_add3_u32 v3, v3, v5, s0
	v_cndmask_b32_sdwa v3, v4, v3, vcc dst_sel:DWORD dst_unused:UNUSED_PAD src0_sel:DWORD src1_sel:WORD_1
	global_store_dword v[0:1], v3, off
	s_mov_b64 s[0:1], 0
.LBB8_2023:
	s_and_b64 vcc, exec, s[12:13]
	s_cbranch_vccz .LBB8_2028
; %bb.2024:
	s_cmp_eq_u32 s19, 44
	s_mov_b64 s[0:1], -1
	s_cbranch_scc0 .LBB8_2028
; %bb.2025:
	v_cvt_f32_f64_e32 v3, v[8:9]
	s_movk_i32 s0, 0xff
	v_mov_b32_e32 v5, 0xff
	v_bfe_u32 v4, v3, 23, 8
	v_cmp_ne_u32_e32 vcc, s0, v4
	s_and_saveexec_b64 s[10:11], vcc
; %bb.2026:
	s_mov_b32 s0, 0x3fffff
	v_lshrrev_b32_e32 v5, 23, v3
	v_and_b32_e32 v6, 0x400000, v3
	v_and_or_b32 v3, v3, s0, v4
	v_cmp_ne_u32_e32 vcc, 0, v6
	v_cmp_ne_u32_e64 s[0:1], 0, v3
	s_and_b64 s[0:1], vcc, s[0:1]
	v_cndmask_b32_e64 v3, 0, 1, s[0:1]
	v_add_u32_e32 v5, v5, v3
; %bb.2027:
	s_or_b64 exec, exec, s[10:11]
	s_mov_b64 s[0:1], 0
	s_mov_b64 s[10:11], -1
	global_store_byte v[0:1], v5, off
.LBB8_2028:
	s_mov_b64 s[12:13], 0
.LBB8_2029:
	s_and_b64 vcc, exec, s[12:13]
	s_cbranch_vccz .LBB8_2032
; %bb.2030:
	s_cmp_eq_u32 s19, 29
	s_mov_b64 s[0:1], -1
	s_cbranch_scc0 .LBB8_2032
; %bb.2031:
	v_trunc_f64_e32 v[3:4], v[8:9]
	s_movk_i32 s0, 0xffe0
	s_mov_b64 s[10:11], -1
	v_ldexp_f64 v[5:6], v[3:4], s0
	s_mov_b32 s0, 0
	s_mov_b32 s1, 0xc1f00000
	v_floor_f64_e32 v[5:6], v[5:6]
	v_fma_f64 v[3:4], v[5:6], s[0:1], v[3:4]
	v_cvt_u32_f64_e32 v5, v[5:6]
	s_mov_b64 s[0:1], 0
	v_cvt_u32_f64_e32 v4, v[3:4]
	global_store_dwordx2 v[0:1], v[4:5], off
.LBB8_2032:
	s_mov_b64 s[12:13], 0
.LBB8_2033:
	s_and_b64 vcc, exec, s[12:13]
	s_cbranch_vccz .LBB8_2049
; %bb.2034:
	s_cmp_lt_i32 s19, 27
	s_mov_b64 s[10:11], -1
	s_cbranch_scc1 .LBB8_2040
; %bb.2035:
	v_cvt_u32_f64_e32 v3, v[8:9]
	s_cmp_gt_i32 s19, 27
	s_cbranch_scc0 .LBB8_2037
; %bb.2036:
	s_mov_b64 s[10:11], 0
	global_store_dword v[0:1], v3, off
.LBB8_2037:
	s_andn2_b64 vcc, exec, s[10:11]
	s_cbranch_vccnz .LBB8_2039
; %bb.2038:
	global_store_short v[0:1], v3, off
.LBB8_2039:
	s_mov_b64 s[10:11], 0
.LBB8_2040:
	s_andn2_b64 vcc, exec, s[10:11]
	s_cbranch_vccnz .LBB8_2048
; %bb.2041:
	v_cvt_f32_f64_e32 v3, v[8:9]
	s_mov_b32 s10, 0x43800000
	v_mov_b32_e32 v5, 0x80
	v_and_b32_e32 v4, 0x7fffffff, v3
	v_cmp_gt_u32_e32 vcc, s10, v4
	s_and_saveexec_b64 s[10:11], vcc
	s_cbranch_execz .LBB8_2047
; %bb.2042:
	s_mov_b32 s12, 0x3bffffff
	v_cmp_lt_u32_e32 vcc, s12, v4
	s_mov_b64 s[12:13], 0
                                        ; implicit-def: $vgpr4
	s_and_saveexec_b64 s[16:17], vcc
	s_xor_b64 s[16:17], exec, s[16:17]
	s_cbranch_execz .LBB8_2224
; %bb.2043:
	v_bfe_u32 v4, v3, 20, 1
	s_mov_b32 s21, 0x487ffff
	v_add3_u32 v4, v3, v4, s21
	s_mov_b64 s[12:13], exec
	v_lshrrev_b32_e32 v4, 20, v4
	s_andn2_saveexec_b64 s[16:17], s[16:17]
	s_cbranch_execnz .LBB8_2225
.LBB8_2044:
	s_or_b64 exec, exec, s[16:17]
	v_mov_b32_e32 v5, 0
	s_and_saveexec_b64 s[16:17], s[12:13]
.LBB8_2045:
	v_lshrrev_b32_e32 v3, 24, v3
	s_movk_i32 s12, 0x80
	v_and_or_b32 v5, v3, s12, v4
.LBB8_2046:
	s_or_b64 exec, exec, s[16:17]
.LBB8_2047:
	s_or_b64 exec, exec, s[10:11]
	global_store_byte v[0:1], v5, off
.LBB8_2048:
	s_mov_b64 s[10:11], -1
.LBB8_2049:
	s_mov_b64 s[12:13], 0
.LBB8_2050:
	s_and_b64 vcc, exec, s[12:13]
	s_cbranch_vccz .LBB8_2090
; %bb.2051:
	s_cmp_gt_i32 s19, 22
	s_mov_b64 s[2:3], -1
	s_cbranch_scc0 .LBB8_2083
; %bb.2052:
	s_cmp_lt_i32 s19, 24
	s_cbranch_scc1 .LBB8_2072
; %bb.2053:
	s_cmp_gt_i32 s19, 24
	s_cbranch_scc0 .LBB8_2061
; %bb.2054:
	v_cvt_f32_f64_e32 v3, v[8:9]
	s_mov_b32 s2, 0x47800000
	v_mov_b32_e32 v5, 0x80
	v_and_b32_e32 v4, 0x7fffffff, v3
	v_cmp_gt_u32_e32 vcc, s2, v4
	s_and_saveexec_b64 s[2:3], vcc
	s_cbranch_execz .LBB8_2060
; %bb.2055:
	s_mov_b32 s10, 0x37ffffff
	v_cmp_lt_u32_e32 vcc, s10, v4
	s_mov_b64 s[10:11], 0
                                        ; implicit-def: $vgpr4
	s_and_saveexec_b64 s[12:13], vcc
	s_xor_b64 s[12:13], exec, s[12:13]
	s_cbranch_execz .LBB8_2227
; %bb.2056:
	v_bfe_u32 v4, v3, 21, 1
	s_mov_b32 s16, 0x88fffff
	v_add3_u32 v4, v3, v4, s16
	s_mov_b64 s[10:11], exec
	v_lshrrev_b32_e32 v4, 21, v4
	s_andn2_saveexec_b64 s[12:13], s[12:13]
	s_cbranch_execnz .LBB8_2228
.LBB8_2057:
	s_or_b64 exec, exec, s[12:13]
	v_mov_b32_e32 v5, 0
	s_and_saveexec_b64 s[12:13], s[10:11]
.LBB8_2058:
	v_lshrrev_b32_e32 v3, 24, v3
	s_movk_i32 s10, 0x80
	v_and_or_b32 v5, v3, s10, v4
.LBB8_2059:
	s_or_b64 exec, exec, s[12:13]
.LBB8_2060:
	s_or_b64 exec, exec, s[2:3]
	s_mov_b64 s[2:3], 0
	global_store_byte v[0:1], v5, off
.LBB8_2061:
	s_and_b64 vcc, exec, s[2:3]
	s_cbranch_vccz .LBB8_2071
; %bb.2062:
	v_cvt_f32_f64_e32 v3, v[8:9]
	s_mov_b32 s2, 0x43f00000
                                        ; implicit-def: $vgpr4
	v_and_b32_e32 v5, 0x7fffffff, v3
	v_cmp_gt_u32_e32 vcc, s2, v5
	s_and_saveexec_b64 s[2:3], vcc
	s_xor_b64 s[2:3], exec, s[2:3]
	s_cbranch_execz .LBB8_2068
; %bb.2063:
	s_mov_b32 s10, 0x3c7fffff
	v_cmp_lt_u32_e32 vcc, s10, v5
                                        ; implicit-def: $vgpr4
	s_and_saveexec_b64 s[10:11], vcc
	s_xor_b64 s[10:11], exec, s[10:11]
; %bb.2064:
	v_bfe_u32 v4, v3, 20, 1
	s_mov_b32 s12, 0x407ffff
	v_add3_u32 v4, v3, v4, s12
	v_lshrrev_b32_e32 v5, 20, v4
	v_and_b32_e32 v4, 0xff00000, v4
	s_mov_b32 s12, 0x7f00000
	v_mov_b32_e32 v6, 0x7e
	v_cmp_ne_u32_e32 vcc, s12, v4
	v_cndmask_b32_e32 v4, v6, v5, vcc
; %bb.2065:
	s_andn2_saveexec_b64 s[10:11], s[10:11]
; %bb.2066:
	s_mov_b32 s12, 0x46800000
	v_add_f32_e64 v4, |v3|, s12
; %bb.2067:
	s_or_b64 exec, exec, s[10:11]
                                        ; implicit-def: $vgpr5
.LBB8_2068:
	s_andn2_saveexec_b64 s[2:3], s[2:3]
; %bb.2069:
	s_mov_b32 s10, 0x7f800000
	v_mov_b32_e32 v4, 0x7e
	v_mov_b32_e32 v6, 0x7f
	v_cmp_lt_u32_e32 vcc, s10, v5
	v_cndmask_b32_e32 v4, v4, v6, vcc
; %bb.2070:
	s_or_b64 exec, exec, s[2:3]
	v_lshrrev_b32_e32 v3, 24, v3
	s_movk_i32 s2, 0x80
	v_and_or_b32 v3, v3, s2, v4
	global_store_byte v[0:1], v3, off
.LBB8_2071:
	s_mov_b64 s[2:3], 0
.LBB8_2072:
	s_andn2_b64 vcc, exec, s[2:3]
	s_cbranch_vccnz .LBB8_2082
; %bb.2073:
	v_cvt_f32_f64_e32 v3, v[8:9]
	s_mov_b32 s2, 0x47800000
                                        ; implicit-def: $vgpr4
	v_and_b32_e32 v5, 0x7fffffff, v3
	v_cmp_gt_u32_e32 vcc, s2, v5
	s_and_saveexec_b64 s[2:3], vcc
	s_xor_b64 s[2:3], exec, s[2:3]
	s_cbranch_execz .LBB8_2079
; %bb.2074:
	s_mov_b32 s10, 0x387fffff
	v_cmp_lt_u32_e32 vcc, s10, v5
                                        ; implicit-def: $vgpr4
	s_and_saveexec_b64 s[10:11], vcc
	s_xor_b64 s[10:11], exec, s[10:11]
; %bb.2075:
	v_bfe_u32 v4, v3, 21, 1
	s_mov_b32 s12, 0x80fffff
	v_add3_u32 v4, v3, v4, s12
	v_lshrrev_b32_e32 v4, 21, v4
; %bb.2076:
	s_andn2_saveexec_b64 s[10:11], s[10:11]
; %bb.2077:
	s_mov_b32 s12, 0x43000000
	v_add_f32_e64 v4, |v3|, s12
; %bb.2078:
	s_or_b64 exec, exec, s[10:11]
                                        ; implicit-def: $vgpr5
.LBB8_2079:
	s_andn2_saveexec_b64 s[2:3], s[2:3]
; %bb.2080:
	s_mov_b32 s10, 0x7f800000
	v_mov_b32_e32 v4, 0x7c
	v_mov_b32_e32 v6, 0x7f
	v_cmp_lt_u32_e32 vcc, s10, v5
	v_cndmask_b32_e32 v4, v4, v6, vcc
; %bb.2081:
	s_or_b64 exec, exec, s[2:3]
	v_lshrrev_b32_e32 v3, 24, v3
	s_movk_i32 s2, 0x80
	v_and_or_b32 v3, v3, s2, v4
	global_store_byte v[0:1], v3, off
.LBB8_2082:
	s_mov_b64 s[2:3], 0
	s_mov_b64 s[10:11], -1
.LBB8_2083:
	s_andn2_b64 vcc, exec, s[2:3]
	s_mov_b64 s[2:3], 0
	s_cbranch_vccnz .LBB8_2090
; %bb.2084:
	s_cmp_gt_i32 s19, 14
	s_mov_b64 s[12:13], -1
	s_cbranch_scc0 .LBB8_2088
; %bb.2085:
	s_cmp_eq_u32 s19, 15
	s_mov_b64 s[0:1], -1
	s_cbranch_scc0 .LBB8_2087
; %bb.2086:
	v_cvt_f32_f64_e32 v3, v[8:9]
	s_movk_i32 s0, 0x7fff
	v_mov_b32_e32 v4, 0x7fc0
	s_mov_b64 s[10:11], -1
	v_bfe_u32 v5, v3, 16, 1
	v_cmp_o_f32_e32 vcc, v3, v3
	v_add3_u32 v3, v3, v5, s0
	v_cndmask_b32_sdwa v3, v4, v3, vcc dst_sel:DWORD dst_unused:UNUSED_PAD src0_sel:DWORD src1_sel:WORD_1
	global_store_short v[0:1], v3, off
	s_mov_b64 s[0:1], 0
.LBB8_2087:
	s_mov_b64 s[12:13], 0
.LBB8_2088:
	s_and_b64 vcc, exec, s[12:13]
	s_cbranch_vccz .LBB8_2090
; %bb.2089:
	s_cmp_lg_u32 s19, 11
	s_mov_b64 s[2:3], -1
	s_cselect_b64 s[0:1], -1, 0
.LBB8_2090:
	s_and_b64 vcc, exec, s[0:1]
	s_cbranch_vccnz .LBB8_2226
; %bb.2091:
	s_andn2_b64 vcc, exec, s[2:3]
	s_cbranch_vccnz .LBB8_2093
.LBB8_2092:
	v_cmp_neq_f64_e32 vcc, 0, v[8:9]
	s_mov_b64 s[10:11], -1
	v_cndmask_b32_e64 v3, 0, 1, vcc
	global_store_byte v[0:1], v3, off
.LBB8_2093:
	s_mov_b64 s[0:1], 0
	s_branch .LBB8_2095
.LBB8_2094:
	s_mov_b64 s[0:1], -1
	s_mov_b64 s[10:11], 0
.LBB8_2095:
	s_and_b64 vcc, exec, s[0:1]
	s_cbranch_vccz .LBB8_2134
; %bb.2096:
	s_and_b32 s2, 0xffff, s20
	s_cmp_lt_i32 s2, 5
	s_mov_b64 s[0:1], -1
	s_cbranch_scc1 .LBB8_2117
; %bb.2097:
	s_cmp_lt_i32 s2, 8
	s_cbranch_scc1 .LBB8_2107
; %bb.2098:
	s_cmp_lt_i32 s2, 9
	s_cbranch_scc1 .LBB8_2104
; %bb.2099:
	s_cmp_gt_i32 s2, 9
	s_cbranch_scc0 .LBB8_2101
; %bb.2100:
	v_mov_b32_e32 v10, 0
	v_mov_b32_e32 v11, v10
	global_store_dwordx4 v[0:1], v[8:11], off
	s_mov_b64 s[0:1], 0
.LBB8_2101:
	s_andn2_b64 vcc, exec, s[0:1]
	s_cbranch_vccnz .LBB8_2103
; %bb.2102:
	v_cvt_f32_f64_e32 v3, v[8:9]
	v_mov_b32_e32 v4, 0
	global_store_dwordx2 v[0:1], v[3:4], off
.LBB8_2103:
	s_mov_b64 s[0:1], 0
.LBB8_2104:
	s_andn2_b64 vcc, exec, s[0:1]
	s_cbranch_vccnz .LBB8_2106
; %bb.2105:
	s_movk_i32 s0, 0x1ff
	v_and_or_b32 v3, v9, s0, v8
	v_cmp_ne_u32_e32 vcc, 0, v3
	v_cndmask_b32_e64 v3, 0, 1, vcc
	v_lshrrev_b32_e32 v4, 8, v9
	s_movk_i32 s0, 0xffe
	v_bfe_u32 v5, v9, 20, 11
	v_and_or_b32 v3, v4, s0, v3
	v_sub_u32_e32 v6, 0x3f1, v5
	v_or_b32_e32 v4, 0x1000, v3
	v_med3_i32 v6, v6, 0, 13
	v_lshrrev_b32_e32 v7, v6, v4
	v_lshlrev_b32_e32 v6, v6, v7
	v_cmp_ne_u32_e32 vcc, v6, v4
	v_cndmask_b32_e64 v4, 0, 1, vcc
	v_add_u32_e32 v5, 0xfffffc10, v5
	v_or_b32_e32 v4, v7, v4
	v_lshl_or_b32 v6, v5, 12, v3
	v_cmp_gt_i32_e32 vcc, 1, v5
	v_cndmask_b32_e32 v4, v6, v4, vcc
	v_and_b32_e32 v6, 7, v4
	v_cmp_lt_i32_e32 vcc, 5, v6
	v_cndmask_b32_e64 v7, 0, 1, vcc
	v_cmp_eq_u32_e32 vcc, 3, v6
	v_cndmask_b32_e64 v6, 0, 1, vcc
	v_or_b32_e32 v6, v6, v7
	v_lshrrev_b32_e32 v4, 2, v4
	v_add_u32_e32 v4, v4, v6
	v_mov_b32_e32 v6, 0x7c00
	v_cmp_gt_i32_e32 vcc, 31, v5
	v_cndmask_b32_e32 v4, v6, v4, vcc
	v_mov_b32_e32 v7, 0x7e00
	v_cmp_ne_u32_e32 vcc, 0, v3
	s_movk_i32 s0, 0x40f
	v_cndmask_b32_e32 v3, v6, v7, vcc
	v_cmp_eq_u32_e32 vcc, s0, v5
	v_cndmask_b32_e32 v3, v4, v3, vcc
	v_lshrrev_b32_e32 v4, 16, v9
	s_mov_b32 s0, 0x8000
	v_and_or_b32 v3, v4, s0, v3
	v_and_b32_e32 v3, 0xffff, v3
	global_store_dword v[0:1], v3, off
.LBB8_2106:
	s_mov_b64 s[0:1], 0
.LBB8_2107:
	s_andn2_b64 vcc, exec, s[0:1]
	s_cbranch_vccnz .LBB8_2116
; %bb.2108:
	s_cmp_lt_i32 s2, 6
	s_mov_b64 s[0:1], -1
	s_cbranch_scc1 .LBB8_2114
; %bb.2109:
	s_cmp_gt_i32 s2, 6
	s_cbranch_scc0 .LBB8_2111
; %bb.2110:
	global_store_dwordx2 v[0:1], v[8:9], off
	s_mov_b64 s[0:1], 0
.LBB8_2111:
	s_andn2_b64 vcc, exec, s[0:1]
	s_cbranch_vccnz .LBB8_2113
; %bb.2112:
	v_cvt_f32_f64_e32 v3, v[8:9]
	global_store_dword v[0:1], v3, off
.LBB8_2113:
	s_mov_b64 s[0:1], 0
.LBB8_2114:
	s_andn2_b64 vcc, exec, s[0:1]
	s_cbranch_vccnz .LBB8_2116
; %bb.2115:
	s_movk_i32 s0, 0x1ff
	v_and_or_b32 v3, v9, s0, v8
	v_cmp_ne_u32_e32 vcc, 0, v3
	v_cndmask_b32_e64 v3, 0, 1, vcc
	v_lshrrev_b32_e32 v4, 8, v9
	s_movk_i32 s0, 0xffe
	v_bfe_u32 v5, v9, 20, 11
	v_and_or_b32 v3, v4, s0, v3
	v_sub_u32_e32 v6, 0x3f1, v5
	v_or_b32_e32 v4, 0x1000, v3
	v_med3_i32 v6, v6, 0, 13
	v_lshrrev_b32_e32 v7, v6, v4
	v_lshlrev_b32_e32 v6, v6, v7
	v_cmp_ne_u32_e32 vcc, v6, v4
	v_cndmask_b32_e64 v4, 0, 1, vcc
	v_add_u32_e32 v5, 0xfffffc10, v5
	v_or_b32_e32 v4, v7, v4
	v_lshl_or_b32 v6, v5, 12, v3
	v_cmp_gt_i32_e32 vcc, 1, v5
	v_cndmask_b32_e32 v4, v6, v4, vcc
	v_and_b32_e32 v6, 7, v4
	v_cmp_lt_i32_e32 vcc, 5, v6
	v_cndmask_b32_e64 v7, 0, 1, vcc
	v_cmp_eq_u32_e32 vcc, 3, v6
	v_cndmask_b32_e64 v6, 0, 1, vcc
	v_or_b32_e32 v6, v6, v7
	v_lshrrev_b32_e32 v4, 2, v4
	v_add_u32_e32 v4, v4, v6
	v_mov_b32_e32 v6, 0x7c00
	v_cmp_gt_i32_e32 vcc, 31, v5
	v_cndmask_b32_e32 v4, v6, v4, vcc
	v_mov_b32_e32 v7, 0x7e00
	v_cmp_ne_u32_e32 vcc, 0, v3
	s_movk_i32 s0, 0x40f
	v_cndmask_b32_e32 v3, v6, v7, vcc
	v_cmp_eq_u32_e32 vcc, s0, v5
	v_cndmask_b32_e32 v3, v4, v3, vcc
	v_lshrrev_b32_e32 v4, 16, v9
	s_mov_b32 s0, 0x8000
	v_and_or_b32 v3, v4, s0, v3
	global_store_short v[0:1], v3, off
.LBB8_2116:
	s_mov_b64 s[0:1], 0
.LBB8_2117:
	s_andn2_b64 vcc, exec, s[0:1]
	s_cbranch_vccnz .LBB8_2133
; %bb.2118:
	s_cmp_lt_i32 s2, 2
	s_mov_b64 s[0:1], -1
	s_cbranch_scc1 .LBB8_2128
; %bb.2119:
	s_cmp_lt_i32 s2, 3
	s_cbranch_scc1 .LBB8_2125
; %bb.2120:
	s_cmp_gt_i32 s2, 3
	s_cbranch_scc0 .LBB8_2122
; %bb.2121:
	v_trunc_f64_e32 v[3:4], v[8:9]
	s_movk_i32 s0, 0xffe0
	v_ldexp_f64 v[5:6], v[3:4], s0
	s_mov_b32 s0, 0
	s_mov_b32 s1, 0xc1f00000
	v_floor_f64_e32 v[5:6], v[5:6]
	v_fma_f64 v[3:4], v[5:6], s[0:1], v[3:4]
	v_cvt_i32_f64_e32 v5, v[5:6]
	s_mov_b64 s[0:1], 0
	v_cvt_u32_f64_e32 v4, v[3:4]
	global_store_dwordx2 v[0:1], v[4:5], off
.LBB8_2122:
	s_andn2_b64 vcc, exec, s[0:1]
	s_cbranch_vccnz .LBB8_2124
; %bb.2123:
	v_cvt_i32_f64_e32 v3, v[8:9]
	global_store_dword v[0:1], v3, off
.LBB8_2124:
	s_mov_b64 s[0:1], 0
.LBB8_2125:
	s_andn2_b64 vcc, exec, s[0:1]
	s_cbranch_vccnz .LBB8_2127
; %bb.2126:
	v_cvt_i32_f64_e32 v3, v[8:9]
	global_store_short v[0:1], v3, off
.LBB8_2127:
	s_mov_b64 s[0:1], 0
.LBB8_2128:
	s_andn2_b64 vcc, exec, s[0:1]
	s_cbranch_vccnz .LBB8_2133
; %bb.2129:
	s_cmp_gt_i32 s2, 0
	s_mov_b64 s[0:1], -1
	s_cbranch_scc0 .LBB8_2131
; %bb.2130:
	v_cvt_i32_f64_e32 v3, v[8:9]
	s_mov_b64 s[0:1], 0
	global_store_byte v[0:1], v3, off
.LBB8_2131:
	s_andn2_b64 vcc, exec, s[0:1]
	s_cbranch_vccnz .LBB8_2133
; %bb.2132:
	v_trunc_f64_e32 v[3:4], v[8:9]
	s_movk_i32 s0, 0xffe0
	v_ldexp_f64 v[5:6], v[3:4], s0
	s_mov_b32 s0, 0
	s_mov_b32 s1, 0xc1f00000
	v_floor_f64_e32 v[5:6], v[5:6]
	v_fma_f64 v[3:4], v[5:6], s[0:1], v[3:4]
	v_cvt_u32_f64_e32 v3, v[3:4]
	global_store_byte v[0:1], v3, off
.LBB8_2133:
	s_mov_b64 s[10:11], -1
.LBB8_2134:
	s_andn2_b64 vcc, exec, s[10:11]
	s_cbranch_vccnz .LBB8_2211
; %bb.2135:
	v_add_u32_e32 v0, s18, v2
	v_ashrrev_i32_e32 v1, 31, v0
	v_mov_b32_e32 v2, s9
	v_add_co_u32_e32 v0, vcc, s8, v0
	s_cmp_lt_i32 s20, 11
	v_addc_co_u32_e32 v1, vcc, v2, v1, vcc
	s_cbranch_scc1 .LBB8_2212
; %bb.2136:
	s_and_b32 s16, 0xffff, s20
	s_mov_b64 s[8:9], -1
	s_mov_b64 s[2:3], 0
	s_cmp_gt_i32 s16, 25
	s_mov_b64 s[0:1], 0
	s_cbranch_scc0 .LBB8_2169
; %bb.2137:
	s_cmp_gt_i32 s16, 28
	s_cbranch_scc0 .LBB8_2153
; %bb.2138:
	s_cmp_gt_i32 s16, 43
	;; [unrolled: 3-line block ×3, first 2 shown]
	s_cbranch_scc0 .LBB8_2143
; %bb.2140:
	s_cmp_eq_u32 s16, 46
	s_mov_b64 s[0:1], -1
	s_cbranch_scc0 .LBB8_2142
; %bb.2141:
	v_cvt_f32_f64_e32 v2, v[12:13]
	s_movk_i32 s0, 0x7fff
	v_mov_b32_e32 v3, 0x7fc0
	v_bfe_u32 v4, v2, 16, 1
	v_cmp_o_f32_e32 vcc, v2, v2
	v_add3_u32 v2, v2, v4, s0
	v_cndmask_b32_sdwa v2, v3, v2, vcc dst_sel:DWORD dst_unused:UNUSED_PAD src0_sel:DWORD src1_sel:WORD_1
	global_store_dword v[0:1], v2, off
	s_mov_b64 s[0:1], 0
.LBB8_2142:
	s_mov_b64 s[8:9], 0
.LBB8_2143:
	s_and_b64 vcc, exec, s[8:9]
	s_cbranch_vccz .LBB8_2148
; %bb.2144:
	s_cmp_eq_u32 s16, 44
	s_mov_b64 s[0:1], -1
	s_cbranch_scc0 .LBB8_2148
; %bb.2145:
	v_cvt_f32_f64_e32 v2, v[12:13]
	s_movk_i32 s0, 0xff
	v_mov_b32_e32 v4, 0xff
	v_bfe_u32 v3, v2, 23, 8
	v_cmp_ne_u32_e32 vcc, s0, v3
	s_and_saveexec_b64 s[8:9], vcc
; %bb.2146:
	s_mov_b32 s0, 0x3fffff
	v_lshrrev_b32_e32 v4, 23, v2
	v_and_b32_e32 v5, 0x400000, v2
	v_and_or_b32 v2, v2, s0, v3
	v_cmp_ne_u32_e32 vcc, 0, v5
	v_cmp_ne_u32_e64 s[0:1], 0, v2
	s_and_b64 s[0:1], vcc, s[0:1]
	v_cndmask_b32_e64 v2, 0, 1, s[0:1]
	v_add_u32_e32 v4, v4, v2
; %bb.2147:
	s_or_b64 exec, exec, s[8:9]
	s_mov_b64 s[0:1], 0
	global_store_byte v[0:1], v4, off
.LBB8_2148:
	s_mov_b64 s[8:9], 0
.LBB8_2149:
	s_and_b64 vcc, exec, s[8:9]
	s_cbranch_vccz .LBB8_2152
; %bb.2150:
	s_cmp_eq_u32 s16, 29
	s_mov_b64 s[0:1], -1
	s_cbranch_scc0 .LBB8_2152
; %bb.2151:
	v_trunc_f64_e32 v[2:3], v[12:13]
	s_movk_i32 s0, 0xffe0
	v_ldexp_f64 v[4:5], v[2:3], s0
	s_mov_b32 s0, 0
	s_mov_b32 s1, 0xc1f00000
	v_floor_f64_e32 v[4:5], v[4:5]
	v_fma_f64 v[2:3], v[4:5], s[0:1], v[2:3]
	v_cvt_u32_f64_e32 v4, v[4:5]
	s_mov_b64 s[0:1], 0
	v_cvt_u32_f64_e32 v3, v[2:3]
	global_store_dwordx2 v[0:1], v[3:4], off
.LBB8_2152:
	s_mov_b64 s[8:9], 0
.LBB8_2153:
	s_and_b64 vcc, exec, s[8:9]
	s_cbranch_vccz .LBB8_2168
; %bb.2154:
	s_cmp_lt_i32 s16, 27
	s_mov_b64 s[8:9], -1
	s_cbranch_scc1 .LBB8_2160
; %bb.2155:
	v_cvt_u32_f64_e32 v2, v[12:13]
	s_cmp_gt_i32 s16, 27
	s_cbranch_scc0 .LBB8_2157
; %bb.2156:
	global_store_dword v[0:1], v2, off
	s_mov_b64 s[8:9], 0
.LBB8_2157:
	s_andn2_b64 vcc, exec, s[8:9]
	s_cbranch_vccnz .LBB8_2159
; %bb.2158:
	global_store_short v[0:1], v2, off
.LBB8_2159:
	s_mov_b64 s[8:9], 0
.LBB8_2160:
	s_andn2_b64 vcc, exec, s[8:9]
	s_cbranch_vccnz .LBB8_2168
; %bb.2161:
	v_cvt_f32_f64_e32 v2, v[12:13]
	s_mov_b32 s8, 0x43800000
	v_mov_b32_e32 v4, 0x80
	v_and_b32_e32 v3, 0x7fffffff, v2
	v_cmp_gt_u32_e32 vcc, s8, v3
	s_and_saveexec_b64 s[8:9], vcc
	s_cbranch_execz .LBB8_2167
; %bb.2162:
	s_mov_b32 s10, 0x3bffffff
	v_cmp_lt_u32_e32 vcc, s10, v3
	s_mov_b64 s[10:11], 0
                                        ; implicit-def: $vgpr3
	s_and_saveexec_b64 s[12:13], vcc
	s_xor_b64 s[12:13], exec, s[12:13]
	s_cbranch_execz .LBB8_2229
; %bb.2163:
	v_bfe_u32 v3, v2, 20, 1
	s_mov_b32 s17, 0x487ffff
	v_add3_u32 v3, v2, v3, s17
	s_mov_b64 s[10:11], exec
	v_lshrrev_b32_e32 v3, 20, v3
	s_andn2_saveexec_b64 s[12:13], s[12:13]
	s_cbranch_execnz .LBB8_2230
.LBB8_2164:
	s_or_b64 exec, exec, s[12:13]
	v_mov_b32_e32 v4, 0
	s_and_saveexec_b64 s[12:13], s[10:11]
.LBB8_2165:
	v_lshrrev_b32_e32 v2, 24, v2
	s_movk_i32 s10, 0x80
	v_and_or_b32 v4, v2, s10, v3
.LBB8_2166:
	s_or_b64 exec, exec, s[12:13]
.LBB8_2167:
	s_or_b64 exec, exec, s[8:9]
	global_store_byte v[0:1], v4, off
.LBB8_2168:
	s_mov_b64 s[8:9], 0
.LBB8_2169:
	s_and_b64 vcc, exec, s[8:9]
	s_cbranch_vccz .LBB8_2209
; %bb.2170:
	s_cmp_gt_i32 s16, 22
	s_mov_b64 s[2:3], -1
	s_cbranch_scc0 .LBB8_2202
; %bb.2171:
	s_cmp_lt_i32 s16, 24
	s_cbranch_scc1 .LBB8_2191
; %bb.2172:
	s_cmp_gt_i32 s16, 24
	s_cbranch_scc0 .LBB8_2180
; %bb.2173:
	v_cvt_f32_f64_e32 v2, v[12:13]
	s_mov_b32 s2, 0x47800000
	v_mov_b32_e32 v4, 0x80
	v_and_b32_e32 v3, 0x7fffffff, v2
	v_cmp_gt_u32_e32 vcc, s2, v3
	s_and_saveexec_b64 s[2:3], vcc
	s_cbranch_execz .LBB8_2179
; %bb.2174:
	s_mov_b32 s8, 0x37ffffff
	v_cmp_lt_u32_e32 vcc, s8, v3
	s_mov_b64 s[8:9], 0
                                        ; implicit-def: $vgpr3
	s_and_saveexec_b64 s[10:11], vcc
	s_xor_b64 s[10:11], exec, s[10:11]
	s_cbranch_execz .LBB8_2232
; %bb.2175:
	v_bfe_u32 v3, v2, 21, 1
	s_mov_b32 s12, 0x88fffff
	v_add3_u32 v3, v2, v3, s12
	s_mov_b64 s[8:9], exec
	v_lshrrev_b32_e32 v3, 21, v3
	s_andn2_saveexec_b64 s[10:11], s[10:11]
	s_cbranch_execnz .LBB8_2233
.LBB8_2176:
	s_or_b64 exec, exec, s[10:11]
	v_mov_b32_e32 v4, 0
	s_and_saveexec_b64 s[10:11], s[8:9]
.LBB8_2177:
	v_lshrrev_b32_e32 v2, 24, v2
	s_movk_i32 s8, 0x80
	v_and_or_b32 v4, v2, s8, v3
.LBB8_2178:
	s_or_b64 exec, exec, s[10:11]
.LBB8_2179:
	s_or_b64 exec, exec, s[2:3]
	s_mov_b64 s[2:3], 0
	global_store_byte v[0:1], v4, off
.LBB8_2180:
	s_and_b64 vcc, exec, s[2:3]
	s_cbranch_vccz .LBB8_2190
; %bb.2181:
	v_cvt_f32_f64_e32 v2, v[12:13]
	s_mov_b32 s2, 0x43f00000
                                        ; implicit-def: $vgpr3
	v_and_b32_e32 v4, 0x7fffffff, v2
	v_cmp_gt_u32_e32 vcc, s2, v4
	s_and_saveexec_b64 s[2:3], vcc
	s_xor_b64 s[2:3], exec, s[2:3]
	s_cbranch_execz .LBB8_2187
; %bb.2182:
	s_mov_b32 s8, 0x3c7fffff
	v_cmp_lt_u32_e32 vcc, s8, v4
                                        ; implicit-def: $vgpr3
	s_and_saveexec_b64 s[8:9], vcc
	s_xor_b64 s[8:9], exec, s[8:9]
; %bb.2183:
	v_bfe_u32 v3, v2, 20, 1
	s_mov_b32 s10, 0x407ffff
	v_add3_u32 v3, v2, v3, s10
	v_lshrrev_b32_e32 v4, 20, v3
	v_and_b32_e32 v3, 0xff00000, v3
	s_mov_b32 s10, 0x7f00000
	v_mov_b32_e32 v5, 0x7e
	v_cmp_ne_u32_e32 vcc, s10, v3
	v_cndmask_b32_e32 v3, v5, v4, vcc
; %bb.2184:
	s_andn2_saveexec_b64 s[8:9], s[8:9]
; %bb.2185:
	s_mov_b32 s10, 0x46800000
	v_add_f32_e64 v3, |v2|, s10
; %bb.2186:
	s_or_b64 exec, exec, s[8:9]
                                        ; implicit-def: $vgpr4
.LBB8_2187:
	s_andn2_saveexec_b64 s[2:3], s[2:3]
; %bb.2188:
	s_mov_b32 s8, 0x7f800000
	v_mov_b32_e32 v3, 0x7e
	v_mov_b32_e32 v5, 0x7f
	v_cmp_lt_u32_e32 vcc, s8, v4
	v_cndmask_b32_e32 v3, v3, v5, vcc
; %bb.2189:
	s_or_b64 exec, exec, s[2:3]
	v_lshrrev_b32_e32 v2, 24, v2
	s_movk_i32 s2, 0x80
	v_and_or_b32 v2, v2, s2, v3
	global_store_byte v[0:1], v2, off
.LBB8_2190:
	s_mov_b64 s[2:3], 0
.LBB8_2191:
	s_andn2_b64 vcc, exec, s[2:3]
	s_cbranch_vccnz .LBB8_2201
; %bb.2192:
	v_cvt_f32_f64_e32 v2, v[12:13]
	s_mov_b32 s2, 0x47800000
                                        ; implicit-def: $vgpr3
	v_and_b32_e32 v4, 0x7fffffff, v2
	v_cmp_gt_u32_e32 vcc, s2, v4
	s_and_saveexec_b64 s[2:3], vcc
	s_xor_b64 s[2:3], exec, s[2:3]
	s_cbranch_execz .LBB8_2198
; %bb.2193:
	s_mov_b32 s8, 0x387fffff
	v_cmp_lt_u32_e32 vcc, s8, v4
                                        ; implicit-def: $vgpr3
	s_and_saveexec_b64 s[8:9], vcc
	s_xor_b64 s[8:9], exec, s[8:9]
; %bb.2194:
	v_bfe_u32 v3, v2, 21, 1
	s_mov_b32 s10, 0x80fffff
	v_add3_u32 v3, v2, v3, s10
	v_lshrrev_b32_e32 v3, 21, v3
; %bb.2195:
	s_andn2_saveexec_b64 s[8:9], s[8:9]
; %bb.2196:
	s_mov_b32 s10, 0x43000000
	v_add_f32_e64 v3, |v2|, s10
; %bb.2197:
	s_or_b64 exec, exec, s[8:9]
                                        ; implicit-def: $vgpr4
.LBB8_2198:
	s_andn2_saveexec_b64 s[2:3], s[2:3]
; %bb.2199:
	s_mov_b32 s8, 0x7f800000
	v_mov_b32_e32 v3, 0x7c
	v_mov_b32_e32 v5, 0x7f
	v_cmp_lt_u32_e32 vcc, s8, v4
	v_cndmask_b32_e32 v3, v3, v5, vcc
; %bb.2200:
	s_or_b64 exec, exec, s[2:3]
	v_lshrrev_b32_e32 v2, 24, v2
	s_movk_i32 s2, 0x80
	v_and_or_b32 v2, v2, s2, v3
	global_store_byte v[0:1], v2, off
.LBB8_2201:
	s_mov_b64 s[2:3], 0
.LBB8_2202:
	s_andn2_b64 vcc, exec, s[2:3]
	s_mov_b64 s[2:3], 0
	s_cbranch_vccnz .LBB8_2209
; %bb.2203:
	s_cmp_gt_i32 s16, 14
	s_mov_b64 s[8:9], -1
	s_cbranch_scc0 .LBB8_2207
; %bb.2204:
	s_cmp_eq_u32 s16, 15
	s_mov_b64 s[0:1], -1
	s_cbranch_scc0 .LBB8_2206
; %bb.2205:
	v_cvt_f32_f64_e32 v2, v[12:13]
	s_movk_i32 s0, 0x7fff
	v_mov_b32_e32 v3, 0x7fc0
	v_bfe_u32 v4, v2, 16, 1
	v_cmp_o_f32_e32 vcc, v2, v2
	v_add3_u32 v2, v2, v4, s0
	v_cndmask_b32_sdwa v2, v3, v2, vcc dst_sel:DWORD dst_unused:UNUSED_PAD src0_sel:DWORD src1_sel:WORD_1
	global_store_short v[0:1], v2, off
	s_mov_b64 s[0:1], 0
.LBB8_2206:
	s_mov_b64 s[8:9], 0
.LBB8_2207:
	s_and_b64 vcc, exec, s[8:9]
	s_cbranch_vccz .LBB8_2209
; %bb.2208:
	s_cmp_lg_u32 s16, 11
	s_mov_b64 s[2:3], -1
	s_cselect_b64 s[0:1], -1, 0
.LBB8_2209:
	s_and_b64 vcc, exec, s[0:1]
	s_cbranch_vccnz .LBB8_2231
.LBB8_2210:
	s_mov_b64 s[0:1], 0
	s_branch .LBB8_1812
.LBB8_2211:
	s_mov_b64 s[0:1], 0
                                        ; implicit-def: $sgpr20
                                        ; implicit-def: $vgpr0_vgpr1
	s_branch .LBB8_1811
.LBB8_2212:
	s_mov_b64 s[2:3], 0
	s_mov_b64 s[0:1], -1
	s_branch .LBB8_1812
.LBB8_2213:
	s_trap 2
	s_or_b64 s[14:15], s[14:15], exec
	s_cbranch_execz .LBB8_1656
	s_branch .LBB8_1657
.LBB8_2214:
	s_andn2_saveexec_b64 s[18:19], s[18:19]
	s_cbranch_execz .LBB8_1760
.LBB8_2215:
	s_mov_b32 s21, 0x46000000
	v_add_f32_e64 v3, |v2|, s21
	v_and_b32_e32 v3, 0xff, v3
	v_cmp_ne_u32_e32 vcc, 0, v3
	s_andn2_b64 s[16:17], s[16:17], exec
	s_and_b64 s[22:23], vcc, exec
	s_or_b64 s[16:17], s[16:17], s[22:23]
	s_or_b64 exec, exec, s[18:19]
	v_mov_b32_e32 v11, 0
	s_and_saveexec_b64 s[18:19], s[16:17]
	s_cbranch_execnz .LBB8_1761
	s_branch .LBB8_1762
.LBB8_2216:
	s_trap 2
	s_or_b64 s[14:15], s[14:15], exec
	s_cbranch_execz .LBB8_1808
	s_branch .LBB8_1809
.LBB8_2217:
	s_andn2_saveexec_b64 s[16:17], s[16:17]
	s_cbranch_execz .LBB8_1773
.LBB8_2218:
	s_mov_b32 s18, 0x42800000
	v_add_f32_e64 v3, |v2|, s18
	v_and_b32_e32 v3, 0xff, v3
	v_cmp_ne_u32_e32 vcc, 0, v3
	s_andn2_b64 s[12:13], s[12:13], exec
	s_and_b64 s[18:19], vcc, exec
	s_or_b64 s[12:13], s[12:13], s[18:19]
	s_or_b64 exec, exec, s[16:17]
	v_mov_b32_e32 v11, 0
	s_and_saveexec_b64 s[16:17], s[12:13]
	s_cbranch_execnz .LBB8_1774
	s_branch .LBB8_1775
.LBB8_2219:
	s_andn2_saveexec_b64 s[16:17], s[16:17]
	s_cbranch_execz .LBB8_1925
.LBB8_2220:
	s_mov_b32 s21, 0x46000000
	v_add_f32_e64 v6, |v3|, s21
	v_and_b32_e32 v6, 0xff, v6
	v_cmp_ne_u32_e32 vcc, 0, v6
	s_andn2_b64 s[12:13], s[12:13], exec
	s_and_b64 s[22:23], vcc, exec
	s_or_b64 s[12:13], s[12:13], s[22:23]
	s_or_b64 exec, exec, s[16:17]
	v_mov_b32_e32 v7, 0
	s_and_saveexec_b64 s[16:17], s[12:13]
	s_cbranch_execnz .LBB8_1926
	s_branch .LBB8_1927
.LBB8_2221:
	s_trap 2
	s_or_b64 s[14:15], s[14:15], exec
	s_cbranch_execz .LBB8_1973
	s_branch .LBB8_1974
.LBB8_2222:
	s_andn2_saveexec_b64 s[12:13], s[12:13]
	s_cbranch_execz .LBB8_1938
.LBB8_2223:
	s_mov_b32 s16, 0x42800000
	v_add_f32_e64 v6, |v3|, s16
	v_and_b32_e32 v6, 0xff, v6
	v_cmp_ne_u32_e32 vcc, 0, v6
	s_andn2_b64 s[10:11], s[10:11], exec
	s_and_b64 s[16:17], vcc, exec
	s_or_b64 s[10:11], s[10:11], s[16:17]
	s_or_b64 exec, exec, s[12:13]
	v_mov_b32_e32 v7, 0
	s_and_saveexec_b64 s[12:13], s[10:11]
	s_cbranch_execnz .LBB8_1939
	s_branch .LBB8_1940
.LBB8_2224:
	s_andn2_saveexec_b64 s[16:17], s[16:17]
	s_cbranch_execz .LBB8_2044
.LBB8_2225:
	s_mov_b32 s21, 0x46000000
	v_add_f32_e64 v4, |v3|, s21
	v_and_b32_e32 v4, 0xff, v4
	v_cmp_ne_u32_e32 vcc, 0, v4
	s_andn2_b64 s[12:13], s[12:13], exec
	s_and_b64 s[22:23], vcc, exec
	s_or_b64 s[12:13], s[12:13], s[22:23]
	s_or_b64 exec, exec, s[16:17]
	v_mov_b32_e32 v5, 0
	s_and_saveexec_b64 s[16:17], s[12:13]
	s_cbranch_execnz .LBB8_2045
	s_branch .LBB8_2046
.LBB8_2226:
	s_trap 2
	s_or_b64 s[14:15], s[14:15], exec
	s_cbranch_execz .LBB8_2092
	s_branch .LBB8_2093
.LBB8_2227:
	s_andn2_saveexec_b64 s[12:13], s[12:13]
	s_cbranch_execz .LBB8_2057
.LBB8_2228:
	s_mov_b32 s16, 0x42800000
	v_add_f32_e64 v4, |v3|, s16
	v_and_b32_e32 v4, 0xff, v4
	v_cmp_ne_u32_e32 vcc, 0, v4
	s_andn2_b64 s[10:11], s[10:11], exec
	s_and_b64 s[16:17], vcc, exec
	s_or_b64 s[10:11], s[10:11], s[16:17]
	s_or_b64 exec, exec, s[12:13]
	v_mov_b32_e32 v5, 0
	s_and_saveexec_b64 s[12:13], s[10:11]
	s_cbranch_execnz .LBB8_2058
	s_branch .LBB8_2059
.LBB8_2229:
	s_andn2_saveexec_b64 s[12:13], s[12:13]
	s_cbranch_execz .LBB8_2164
.LBB8_2230:
	s_mov_b32 s17, 0x46000000
	v_add_f32_e64 v3, |v2|, s17
	v_and_b32_e32 v3, 0xff, v3
	v_cmp_ne_u32_e32 vcc, 0, v3
	s_andn2_b64 s[10:11], s[10:11], exec
	s_and_b64 s[18:19], vcc, exec
	s_or_b64 s[10:11], s[10:11], s[18:19]
	s_or_b64 exec, exec, s[12:13]
	v_mov_b32_e32 v4, 0
	s_and_saveexec_b64 s[12:13], s[10:11]
	s_cbranch_execnz .LBB8_2165
	s_branch .LBB8_2166
.LBB8_2231:
	s_mov_b64 s[2:3], 0
	s_or_b64 s[14:15], s[14:15], exec
	s_trap 2
	s_branch .LBB8_2210
.LBB8_2232:
	s_andn2_saveexec_b64 s[10:11], s[10:11]
	s_cbranch_execz .LBB8_2176
.LBB8_2233:
	s_mov_b32 s12, 0x42800000
	v_add_f32_e64 v3, |v2|, s12
	v_and_b32_e32 v3, 0xff, v3
	v_cmp_ne_u32_e32 vcc, 0, v3
	s_andn2_b64 s[8:9], s[8:9], exec
	s_and_b64 s[12:13], vcc, exec
	s_or_b64 s[8:9], s[8:9], s[12:13]
	s_or_b64 exec, exec, s[10:11]
	v_mov_b32_e32 v4, 0
	s_and_saveexec_b64 s[10:11], s[8:9]
	s_cbranch_execnz .LBB8_2177
	s_branch .LBB8_2178
	.section	.rodata,"a",@progbits
	.p2align	6, 0x0
	.amdhsa_kernel _ZN2at6native32elementwise_kernel_manual_unrollILi128ELi4EZNS0_15gpu_kernel_implIZZZNS0_19digamma_kernel_cudaERNS_18TensorIteratorBaseEENKUlvE_clEvENKUlvE_clEvEUldE_EEvS4_RKT_EUlibE_EEviT1_
		.amdhsa_group_segment_fixed_size 0
		.amdhsa_private_segment_fixed_size 0
		.amdhsa_kernarg_size 40
		.amdhsa_user_sgpr_count 6
		.amdhsa_user_sgpr_private_segment_buffer 1
		.amdhsa_user_sgpr_dispatch_ptr 0
		.amdhsa_user_sgpr_queue_ptr 0
		.amdhsa_user_sgpr_kernarg_segment_ptr 1
		.amdhsa_user_sgpr_dispatch_id 0
		.amdhsa_user_sgpr_flat_scratch_init 0
		.amdhsa_user_sgpr_private_segment_size 0
		.amdhsa_uses_dynamic_stack 0
		.amdhsa_system_sgpr_private_segment_wavefront_offset 0
		.amdhsa_system_sgpr_workgroup_id_x 1
		.amdhsa_system_sgpr_workgroup_id_y 0
		.amdhsa_system_sgpr_workgroup_id_z 0
		.amdhsa_system_sgpr_workgroup_info 0
		.amdhsa_system_vgpr_workitem_id 0
		.amdhsa_next_free_vgpr 43
		.amdhsa_next_free_sgpr 46
		.amdhsa_reserve_vcc 1
		.amdhsa_reserve_flat_scratch 0
		.amdhsa_float_round_mode_32 0
		.amdhsa_float_round_mode_16_64 0
		.amdhsa_float_denorm_mode_32 3
		.amdhsa_float_denorm_mode_16_64 3
		.amdhsa_dx10_clamp 1
		.amdhsa_ieee_mode 1
		.amdhsa_fp16_overflow 0
		.amdhsa_exception_fp_ieee_invalid_op 0
		.amdhsa_exception_fp_denorm_src 0
		.amdhsa_exception_fp_ieee_div_zero 0
		.amdhsa_exception_fp_ieee_overflow 0
		.amdhsa_exception_fp_ieee_underflow 0
		.amdhsa_exception_fp_ieee_inexact 0
		.amdhsa_exception_int_div_zero 0
	.end_amdhsa_kernel
	.section	.text._ZN2at6native32elementwise_kernel_manual_unrollILi128ELi4EZNS0_15gpu_kernel_implIZZZNS0_19digamma_kernel_cudaERNS_18TensorIteratorBaseEENKUlvE_clEvENKUlvE_clEvEUldE_EEvS4_RKT_EUlibE_EEviT1_,"axG",@progbits,_ZN2at6native32elementwise_kernel_manual_unrollILi128ELi4EZNS0_15gpu_kernel_implIZZZNS0_19digamma_kernel_cudaERNS_18TensorIteratorBaseEENKUlvE_clEvENKUlvE_clEvEUldE_EEvS4_RKT_EUlibE_EEviT1_,comdat
.Lfunc_end8:
	.size	_ZN2at6native32elementwise_kernel_manual_unrollILi128ELi4EZNS0_15gpu_kernel_implIZZZNS0_19digamma_kernel_cudaERNS_18TensorIteratorBaseEENKUlvE_clEvENKUlvE_clEvEUldE_EEvS4_RKT_EUlibE_EEviT1_, .Lfunc_end8-_ZN2at6native32elementwise_kernel_manual_unrollILi128ELi4EZNS0_15gpu_kernel_implIZZZNS0_19digamma_kernel_cudaERNS_18TensorIteratorBaseEENKUlvE_clEvENKUlvE_clEvEUldE_EEvS4_RKT_EUlibE_EEviT1_
                                        ; -- End function
	.set _ZN2at6native32elementwise_kernel_manual_unrollILi128ELi4EZNS0_15gpu_kernel_implIZZZNS0_19digamma_kernel_cudaERNS_18TensorIteratorBaseEENKUlvE_clEvENKUlvE_clEvEUldE_EEvS4_RKT_EUlibE_EEviT1_.num_vgpr, 43
	.set _ZN2at6native32elementwise_kernel_manual_unrollILi128ELi4EZNS0_15gpu_kernel_implIZZZNS0_19digamma_kernel_cudaERNS_18TensorIteratorBaseEENKUlvE_clEvENKUlvE_clEvEUldE_EEvS4_RKT_EUlibE_EEviT1_.num_agpr, 0
	.set _ZN2at6native32elementwise_kernel_manual_unrollILi128ELi4EZNS0_15gpu_kernel_implIZZZNS0_19digamma_kernel_cudaERNS_18TensorIteratorBaseEENKUlvE_clEvENKUlvE_clEvEUldE_EEvS4_RKT_EUlibE_EEviT1_.numbered_sgpr, 46
	.set _ZN2at6native32elementwise_kernel_manual_unrollILi128ELi4EZNS0_15gpu_kernel_implIZZZNS0_19digamma_kernel_cudaERNS_18TensorIteratorBaseEENKUlvE_clEvENKUlvE_clEvEUldE_EEvS4_RKT_EUlibE_EEviT1_.num_named_barrier, 0
	.set _ZN2at6native32elementwise_kernel_manual_unrollILi128ELi4EZNS0_15gpu_kernel_implIZZZNS0_19digamma_kernel_cudaERNS_18TensorIteratorBaseEENKUlvE_clEvENKUlvE_clEvEUldE_EEvS4_RKT_EUlibE_EEviT1_.private_seg_size, 0
	.set _ZN2at6native32elementwise_kernel_manual_unrollILi128ELi4EZNS0_15gpu_kernel_implIZZZNS0_19digamma_kernel_cudaERNS_18TensorIteratorBaseEENKUlvE_clEvENKUlvE_clEvEUldE_EEvS4_RKT_EUlibE_EEviT1_.uses_vcc, 1
	.set _ZN2at6native32elementwise_kernel_manual_unrollILi128ELi4EZNS0_15gpu_kernel_implIZZZNS0_19digamma_kernel_cudaERNS_18TensorIteratorBaseEENKUlvE_clEvENKUlvE_clEvEUldE_EEvS4_RKT_EUlibE_EEviT1_.uses_flat_scratch, 0
	.set _ZN2at6native32elementwise_kernel_manual_unrollILi128ELi4EZNS0_15gpu_kernel_implIZZZNS0_19digamma_kernel_cudaERNS_18TensorIteratorBaseEENKUlvE_clEvENKUlvE_clEvEUldE_EEvS4_RKT_EUlibE_EEviT1_.has_dyn_sized_stack, 0
	.set _ZN2at6native32elementwise_kernel_manual_unrollILi128ELi4EZNS0_15gpu_kernel_implIZZZNS0_19digamma_kernel_cudaERNS_18TensorIteratorBaseEENKUlvE_clEvENKUlvE_clEvEUldE_EEvS4_RKT_EUlibE_EEviT1_.has_recursion, 0
	.set _ZN2at6native32elementwise_kernel_manual_unrollILi128ELi4EZNS0_15gpu_kernel_implIZZZNS0_19digamma_kernel_cudaERNS_18TensorIteratorBaseEENKUlvE_clEvENKUlvE_clEvEUldE_EEvS4_RKT_EUlibE_EEviT1_.has_indirect_call, 0
	.section	.AMDGPU.csdata,"",@progbits
; Kernel info:
; codeLenInByte = 60844
; TotalNumSgprs: 50
; NumVgprs: 43
; ScratchSize: 0
; MemoryBound: 1
; FloatMode: 240
; IeeeMode: 1
; LDSByteSize: 0 bytes/workgroup (compile time only)
; SGPRBlocks: 6
; VGPRBlocks: 10
; NumSGPRsForWavesPerEU: 50
; NumVGPRsForWavesPerEU: 43
; Occupancy: 5
; WaveLimiterHint : 0
; COMPUTE_PGM_RSRC2:SCRATCH_EN: 0
; COMPUTE_PGM_RSRC2:USER_SGPR: 6
; COMPUTE_PGM_RSRC2:TRAP_HANDLER: 0
; COMPUTE_PGM_RSRC2:TGID_X_EN: 1
; COMPUTE_PGM_RSRC2:TGID_Y_EN: 0
; COMPUTE_PGM_RSRC2:TGID_Z_EN: 0
; COMPUTE_PGM_RSRC2:TIDIG_COMP_CNT: 0
	.section	.text._ZN2at6native32elementwise_kernel_manual_unrollILi128ELi4EZNS0_15gpu_kernel_implIZZZNS0_19digamma_kernel_cudaERNS_18TensorIteratorBaseEENKUlvE_clEvENKUlvE_clEvEUldE_EEvS4_RKT_EUlibE0_EEviT1_,"axG",@progbits,_ZN2at6native32elementwise_kernel_manual_unrollILi128ELi4EZNS0_15gpu_kernel_implIZZZNS0_19digamma_kernel_cudaERNS_18TensorIteratorBaseEENKUlvE_clEvENKUlvE_clEvEUldE_EEvS4_RKT_EUlibE0_EEviT1_,comdat
	.globl	_ZN2at6native32elementwise_kernel_manual_unrollILi128ELi4EZNS0_15gpu_kernel_implIZZZNS0_19digamma_kernel_cudaERNS_18TensorIteratorBaseEENKUlvE_clEvENKUlvE_clEvEUldE_EEvS4_RKT_EUlibE0_EEviT1_ ; -- Begin function _ZN2at6native32elementwise_kernel_manual_unrollILi128ELi4EZNS0_15gpu_kernel_implIZZZNS0_19digamma_kernel_cudaERNS_18TensorIteratorBaseEENKUlvE_clEvENKUlvE_clEvEUldE_EEvS4_RKT_EUlibE0_EEviT1_
	.p2align	8
	.type	_ZN2at6native32elementwise_kernel_manual_unrollILi128ELi4EZNS0_15gpu_kernel_implIZZZNS0_19digamma_kernel_cudaERNS_18TensorIteratorBaseEENKUlvE_clEvENKUlvE_clEvEUldE_EEvS4_RKT_EUlibE0_EEviT1_,@function
_ZN2at6native32elementwise_kernel_manual_unrollILi128ELi4EZNS0_15gpu_kernel_implIZZZNS0_19digamma_kernel_cudaERNS_18TensorIteratorBaseEENKUlvE_clEvENKUlvE_clEvEUldE_EEvS4_RKT_EUlibE0_EEviT1_: ; @_ZN2at6native32elementwise_kernel_manual_unrollILi128ELi4EZNS0_15gpu_kernel_implIZZZNS0_19digamma_kernel_cudaERNS_18TensorIteratorBaseEENKUlvE_clEvENKUlvE_clEvEUldE_EEvS4_RKT_EUlibE0_EEviT1_
; %bb.0:
	s_load_dword s70, s[4:5], 0x0
	s_load_dword s33, s[4:5], 0x8
	s_add_u32 s34, s4, 8
	s_addc_u32 s35, s5, 0
	v_lshl_or_b32 v11, s6, 9, v0
	v_or_b32_e32 v5, 0x180, v11
	s_waitcnt lgkmcnt(0)
	s_add_i32 s72, s33, -1
	s_cmp_gt_u32 s72, 1
	v_cmp_le_i32_e32 vcc, s70, v5
	s_cselect_b64 s[40:41], -1, 0
	s_mov_b64 s[6:7], 0
	s_mov_b64 s[28:29], 0
	s_and_saveexec_b64 s[0:1], vcc
	s_xor_b64 s[42:43], exec, s[0:1]
	s_cbranch_execz .LBB9_1182
; %bb.1:
	v_mov_b32_e32 v0, 0
	global_load_ushort v0, v0, s[34:35] offset:345
	s_load_dwordx4 s[36:39], s[34:35], 0x4
	s_load_dwordx2 s[44:45], s[34:35], 0x14
	s_load_dwordx4 s[28:31], s[34:35], 0xc4
	s_load_dwordx4 s[24:27], s[34:35], 0x148
	s_cmp_lg_u32 s33, 0
	s_cselect_b64 s[50:51], -1, 0
	s_add_u32 s48, s34, 0xc4
	s_addc_u32 s49, s35, 0
	s_min_u32 s75, s72, 15
	s_cmp_gt_u32 s33, 1
	s_cselect_b64 s[46:47], -1, 0
	v_cmp_gt_i32_e32 vcc, s70, v11
	s_mov_b64 s[2:3], -1
	s_mov_b64 s[60:61], 0
	s_mov_b64 s[54:55], 0
	;; [unrolled: 1-line block ×3, first 2 shown]
	s_waitcnt vmcnt(0)
	v_readfirstlane_b32 s73, v0
	s_and_b32 s0, 0xffff, s73
	s_lshr_b32 s74, s0, 8
	s_and_saveexec_b64 s[56:57], vcc
	s_cbranch_execz .LBB9_290
; %bb.2:
	s_andn2_b64 vcc, exec, s[40:41]
	s_cbranch_vccnz .LBB9_7
; %bb.3:
	s_andn2_b64 vcc, exec, s[50:51]
	s_cbranch_vccnz .LBB9_8
; %bb.4:
	s_add_i32 s59, s75, 1
	s_cmp_eq_u32 s72, 2
	s_cbranch_scc1 .LBB9_9
; %bb.5:
	s_and_b32 s58, s59, 28
	v_mov_b32_e32 v0, 0
	s_mov_b32 s62, 0
	s_mov_b64 s[52:53], s[34:35]
	s_mov_b64 s[54:55], s[48:49]
	v_mov_b32_e32 v2, 0
	v_mov_b32_e32 v1, v11
.LBB9_6:                                ; =>This Inner Loop Header: Depth=1
	s_load_dwordx8 s[16:23], s[52:53], 0x4
	s_load_dwordx4 s[0:3], s[52:53], 0x24
	s_load_dwordx8 s[8:15], s[54:55], 0x0
	s_add_u32 s52, s52, 48
	s_addc_u32 s53, s53, 0
	s_waitcnt lgkmcnt(0)
	v_mul_hi_u32 v3, s17, v1
	s_add_i32 s62, s62, 4
	s_add_u32 s54, s54, 32
	s_addc_u32 s55, s55, 0
	v_add_u32_e32 v3, v1, v3
	v_lshrrev_b32_e32 v3, s18, v3
	v_mul_lo_u32 v4, v3, s16
	v_mul_hi_u32 v5, s20, v3
	s_cmp_lg_u32 s58, s62
	v_sub_u32_e32 v1, v1, v4
	v_add_u32_e32 v4, v3, v5
	v_mul_lo_u32 v5, v1, s8
	v_mul_lo_u32 v6, v1, s9
	v_lshrrev_b32_e32 v1, s21, v4
	v_mul_lo_u32 v4, v1, s19
	v_mul_hi_u32 v7, s23, v1
	v_sub_u32_e32 v3, v3, v4
	v_add_u32_e32 v4, v1, v7
	v_lshrrev_b32_e32 v4, s0, v4
	v_mul_hi_u32 v8, s2, v4
	v_mul_lo_u32 v9, v4, s22
	v_mul_lo_u32 v7, v3, s10
	;; [unrolled: 1-line block ×3, first 2 shown]
	v_sub_u32_e32 v9, v1, v9
	v_add_u32_e32 v1, v4, v8
	v_lshrrev_b32_e32 v1, s3, v1
	v_mul_lo_u32 v8, v1, s1
	v_mul_lo_u32 v10, v9, s12
	;; [unrolled: 1-line block ×3, first 2 shown]
	v_add3_u32 v2, v5, v2, v7
	v_sub_u32_e32 v4, v4, v8
	v_mul_lo_u32 v8, v4, s14
	v_mul_lo_u32 v4, v4, s15
	v_add3_u32 v0, v6, v0, v3
	v_add3_u32 v2, v10, v2, v8
	;; [unrolled: 1-line block ×3, first 2 shown]
	s_cbranch_scc1 .LBB9_6
	s_branch .LBB9_10
.LBB9_7:
                                        ; implicit-def: $vgpr2
                                        ; implicit-def: $vgpr0
	s_branch .LBB9_14
.LBB9_8:
	v_mov_b32_e32 v2, 0
	v_mov_b32_e32 v0, 0
	s_branch .LBB9_13
.LBB9_9:
	s_mov_b32 s58, 0
	v_mov_b32_e32 v2, 0
	v_mov_b32_e32 v0, 0
	;; [unrolled: 1-line block ×3, first 2 shown]
.LBB9_10:
	s_and_b32 s8, s59, 3
	s_cmp_eq_u32 s8, 0
	s_cbranch_scc1 .LBB9_13
; %bb.11:
	s_lshl_b32 s0, s58, 3
	s_add_u32 s0, s34, s0
	s_addc_u32 s1, s35, 0
	s_add_u32 s0, s0, 0xc4
	s_addc_u32 s1, s1, 0
	s_mul_i32 s2, s58, 12
	s_add_u32 s2, s34, s2
	s_addc_u32 s3, s35, 0
.LBB9_12:                               ; =>This Inner Loop Header: Depth=1
	s_load_dwordx2 s[10:11], s[2:3], 0x4
	s_load_dword s9, s[2:3], 0xc
	s_load_dwordx2 s[12:13], s[0:1], 0x0
	s_add_u32 s2, s2, 12
	s_addc_u32 s3, s3, 0
	s_waitcnt lgkmcnt(0)
	v_mul_hi_u32 v3, s11, v1
	s_add_u32 s0, s0, 8
	s_addc_u32 s1, s1, 0
	s_add_i32 s8, s8, -1
	v_add_u32_e32 v3, v1, v3
	v_lshrrev_b32_e32 v4, s9, v3
	v_mul_lo_u32 v3, v4, s10
	s_cmp_lg_u32 s8, 0
	v_sub_u32_e32 v1, v1, v3
	v_mad_u64_u32 v[2:3], s[10:11], v1, s12, v[2:3]
	v_mad_u64_u32 v[0:1], s[10:11], v1, s13, v[0:1]
	v_mov_b32_e32 v1, v4
	s_cbranch_scc1 .LBB9_12
.LBB9_13:
	s_cbranch_execnz .LBB9_16
.LBB9_14:
	s_waitcnt lgkmcnt(0)
	v_mul_hi_u32 v0, s37, v11
	s_andn2_b64 vcc, exec, s[46:47]
	v_add_u32_e32 v0, v11, v0
	v_lshrrev_b32_e32 v1, s38, v0
	v_mul_lo_u32 v0, v1, s36
	v_sub_u32_e32 v0, v11, v0
	v_mul_lo_u32 v2, v0, s28
	v_mul_lo_u32 v0, v0, s29
	s_cbranch_vccnz .LBB9_16
; %bb.15:
	v_mul_hi_u32 v3, s44, v1
	v_add_u32_e32 v3, v1, v3
	v_lshrrev_b32_e32 v3, s45, v3
	v_mul_lo_u32 v3, v3, s39
	v_sub_u32_e32 v1, v1, v3
	v_mad_u64_u32 v[2:3], s[0:1], v1, s30, v[2:3]
	v_mad_u64_u32 v[0:1], s[0:1], v1, s31, v[0:1]
.LBB9_16:
	s_waitcnt lgkmcnt(0)
	v_mov_b32_e32 v1, s27
	s_and_b32 s12, 0xffff, s74
	v_add_co_u32_e32 v0, vcc, s26, v0
	s_cmp_lt_i32 s12, 11
	v_addc_co_u32_e32 v1, vcc, 0, v1, vcc
	s_cbranch_scc1 .LBB9_23
; %bb.17:
	s_cmp_gt_i32 s12, 25
	s_cbranch_scc0 .LBB9_56
; %bb.18:
	s_cmp_gt_i32 s12, 28
	s_cbranch_scc0 .LBB9_59
	;; [unrolled: 3-line block ×4, first 2 shown]
; %bb.21:
	s_cmp_eq_u32 s12, 46
	s_mov_b64 s[8:9], 0
	s_cbranch_scc0 .LBB9_65
; %bb.22:
	global_load_dword v3, v[0:1], off
	s_mov_b64 s[0:1], -1
	s_mov_b64 s[2:3], 0
	s_waitcnt vmcnt(0)
	v_lshlrev_b32_e32 v3, 16, v3
	v_cvt_f64_f32_e32 v[3:4], v3
	s_branch .LBB9_67
.LBB9_23:
	s_mov_b64 s[2:3], 0
                                        ; implicit-def: $vgpr3_vgpr4
	s_mov_b64 s[0:1], 0
	s_cbranch_execnz .LBB9_240
.LBB9_24:
	s_andn2_b64 vcc, exec, s[0:1]
	s_cbranch_vccnz .LBB9_287
.LBB9_25:
	s_waitcnt vmcnt(0)
	v_cmp_neq_f64_e32 vcc, 0, v[3:4]
                                        ; implicit-def: $vgpr0_vgpr1
	s_and_saveexec_b64 s[0:1], vcc
	s_xor_b64 s[8:9], exec, s[0:1]
	s_cbranch_execz .LBB9_47
; %bb.26:
	v_cmp_gt_f64_e32 vcc, 0, v[3:4]
	v_mov_b32_e32 v5, 0
	v_mov_b32_e32 v6, 0
	s_mov_b64 s[12:13], -1
	s_and_saveexec_b64 s[10:11], vcc
	s_cbranch_execz .LBB9_34
; %bb.27:
	v_trunc_f64_e32 v[0:1], v[3:4]
	v_mov_b32_e32 v5, 0
	v_mov_b32_e32 v6, 0
	s_mov_b64 s[14:15], 0
	v_cmp_neq_f64_e32 vcc, v[3:4], v[0:1]
	s_and_saveexec_b64 s[12:13], vcc
	s_cbranch_execz .LBB9_33
; %bb.28:
	v_add_f64 v[0:1], v[3:4], -v[0:1]
	s_mov_b32 s0, 0
	s_mov_b32 s15, 0xc00921fb
	;; [unrolled: 1-line block ×4, first 2 shown]
	v_cmp_neq_f64_e64 vcc, |v[3:4]|, s[0:1]
	v_bfrev_b32_e32 v5, 1
	s_mov_b32 s16, 0
	v_mul_f64 v[0:1], |v[0:1]|, s[14:15]
	s_mov_b32 s17, 0x41d00000
                                        ; implicit-def: $vgpr9
                                        ; implicit-def: $vgpr7_vgpr8
	v_cndmask_b32_e32 v1, v5, v1, vcc
	v_cndmask_b32_e32 v0, 0, v0, vcc
	v_cmp_nlt_f64_e64 s[16:17], |v[0:1]|, s[16:17]
                                        ; implicit-def: $vgpr5_vgpr6
	s_and_saveexec_b64 s[18:19], s[16:17]
	s_xor_b64 s[16:17], exec, s[18:19]
	s_cbranch_execz .LBB9_30
; %bb.29:
	v_trig_preop_f64 v[5:6], |v[0:1]|, 0
	s_mov_b32 s18, 0
	s_mov_b32 s19, 0x7b000000
	s_movk_i32 s15, 0xff80
	v_ldexp_f64 v[9:10], |v[0:1]|, s15
	v_cmp_ge_f64_e64 vcc, |v[0:1]|, s[18:19]
	v_trig_preop_f64 v[7:8], |v[0:1]|, 1
	v_and_b32_e32 v12, 0x7fffffff, v1
	v_trig_preop_f64 v[18:19], |v[0:1]|, 2
	v_mov_b32_e32 v29, 0x40100000
	v_mov_b32_e32 v28, 0
	s_mov_b32 s15, 0x3ff921fb
	v_cndmask_b32_e32 v10, v12, v10, vcc
	v_cndmask_b32_e32 v9, v0, v9, vcc
	v_mul_f64 v[12:13], v[5:6], v[9:10]
	v_mul_f64 v[14:15], v[7:8], v[9:10]
	;; [unrolled: 1-line block ×3, first 2 shown]
	v_fma_f64 v[5:6], v[5:6], v[9:10], -v[12:13]
	v_fma_f64 v[7:8], v[7:8], v[9:10], -v[14:15]
	;; [unrolled: 1-line block ×3, first 2 shown]
	v_add_f64 v[16:17], v[14:15], v[5:6]
	v_add_f64 v[20:21], v[16:17], -v[14:15]
	v_add_f64 v[26:27], v[12:13], v[16:17]
	v_add_f64 v[22:23], v[16:17], -v[20:21]
	v_add_f64 v[5:6], v[5:6], -v[20:21]
	v_add_f64 v[20:21], v[24:25], v[7:8]
	v_add_f64 v[12:13], v[26:27], -v[12:13]
	v_add_f64 v[14:15], v[14:15], -v[22:23]
	v_ldexp_f64 v[22:23], v[26:27], -2
	v_add_f64 v[30:31], v[20:21], -v[24:25]
	v_add_f64 v[12:13], v[16:17], -v[12:13]
	v_add_f64 v[5:6], v[5:6], v[14:15]
	v_fract_f64_e32 v[14:15], v[22:23]
	v_cmp_neq_f64_e64 vcc, |v[22:23]|, s[0:1]
	v_add_f64 v[7:8], v[7:8], -v[30:31]
	v_add_f64 v[16:17], v[20:21], v[5:6]
	v_ldexp_f64 v[14:15], v[14:15], 2
	v_add_f64 v[22:23], v[12:13], v[16:17]
	v_cndmask_b32_e32 v15, 0, v15, vcc
	v_cndmask_b32_e32 v14, 0, v14, vcc
	v_add_f64 v[32:33], v[16:17], -v[20:21]
	v_add_f64 v[26:27], v[22:23], v[14:15]
	v_add_f64 v[12:13], v[22:23], -v[12:13]
	v_add_f64 v[34:35], v[16:17], -v[32:33]
	;; [unrolled: 1-line block ×3, first 2 shown]
	v_cmp_gt_f64_e32 vcc, 0, v[26:27]
	v_add_f64 v[26:27], v[20:21], -v[30:31]
	v_add_f64 v[12:13], v[16:17], -v[12:13]
	;; [unrolled: 1-line block ×3, first 2 shown]
	v_cndmask_b32_e32 v29, 0, v29, vcc
	v_add_f64 v[14:15], v[14:15], v[28:29]
	v_add_f64 v[26:27], v[24:25], -v[26:27]
	v_add_f64 v[5:6], v[5:6], v[20:21]
	v_add_f64 v[36:37], v[22:23], v[14:15]
	;; [unrolled: 1-line block ×3, first 2 shown]
	v_cvt_i32_f64_e32 v31, v[36:37]
	v_add_f64 v[5:6], v[7:8], v[5:6]
	v_cvt_f64_i32_e32 v[29:30], v31
	v_add_f64 v[14:15], v[14:15], -v[29:30]
	v_add_f64 v[5:6], v[9:10], v[5:6]
	v_add_f64 v[7:8], v[22:23], v[14:15]
	;; [unrolled: 1-line block ×3, first 2 shown]
	v_add_f64 v[9:10], v[7:8], -v[14:15]
	v_cmp_le_f64_e32 vcc, 0.5, v[7:8]
	v_add_f64 v[12:13], v[22:23], -v[9:10]
	v_mov_b32_e32 v10, 0x3ff00000
	v_cndmask_b32_e32 v29, 0, v10, vcc
	v_add_f64 v[7:8], v[7:8], -v[28:29]
	v_addc_co_u32_e64 v9, s[0:1], 0, v31, vcc
	s_mov_b32 s0, 0x33145c07
	s_mov_b32 s1, 0x3c91a626
	v_add_f64 v[5:6], v[5:6], v[12:13]
	v_add_f64 v[12:13], v[7:8], v[5:6]
	v_mul_f64 v[14:15], v[12:13], s[14:15]
	v_add_f64 v[7:8], v[12:13], -v[7:8]
	v_fma_f64 v[16:17], v[12:13], s[14:15], -v[14:15]
	v_add_f64 v[5:6], v[5:6], -v[7:8]
	v_fma_f64 v[7:8], v[12:13], s[0:1], v[16:17]
	v_fma_f64 v[7:8], v[5:6], s[14:15], v[7:8]
	v_add_f64 v[5:6], v[14:15], v[7:8]
	v_add_f64 v[12:13], v[5:6], -v[14:15]
	v_add_f64 v[7:8], v[7:8], -v[12:13]
.LBB9_30:
	s_andn2_saveexec_b64 s[0:1], s[16:17]
	s_cbranch_execz .LBB9_32
; %bb.31:
	s_mov_b32 s14, 0x6dc9c883
	s_mov_b32 s15, 0x3fe45f30
	v_mul_f64 v[5:6], |v[0:1]|, s[14:15]
	s_mov_b32 s14, 0x54442d18
	s_mov_b32 s15, 0xbff921fb
	s_mov_b32 s17, 0xbc91a626
	s_mov_b32 s16, 0x33145c00
	v_rndne_f64_e32 v[9:10], v[5:6]
	v_fma_f64 v[5:6], v[9:10], s[14:15], |v[0:1]|
	v_mul_f64 v[7:8], v[9:10], s[16:17]
	s_mov_b32 s14, 0x252049c0
	s_mov_b32 s15, 0xb97b839a
	v_fma_f64 v[16:17], v[9:10], s[16:17], v[5:6]
	v_add_f64 v[12:13], v[5:6], v[7:8]
	s_mov_b32 s17, 0x3c91a626
	v_add_f64 v[14:15], v[5:6], -v[12:13]
	v_add_f64 v[12:13], v[12:13], -v[16:17]
	v_add_f64 v[5:6], v[14:15], v[7:8]
	v_fma_f64 v[7:8], v[9:10], s[16:17], v[7:8]
	v_add_f64 v[5:6], v[12:13], v[5:6]
	v_add_f64 v[5:6], v[5:6], -v[7:8]
	v_fma_f64 v[7:8], v[9:10], s[14:15], v[5:6]
	v_cvt_i32_f64_e32 v9, v[9:10]
	v_add_f64 v[5:6], v[16:17], v[7:8]
	v_add_f64 v[12:13], v[5:6], -v[16:17]
	v_add_f64 v[7:8], v[7:8], -v[12:13]
.LBB9_32:
	s_or_b64 exec, exec, s[0:1]
	v_mul_f64 v[12:13], v[5:6], v[5:6]
	v_add_f64 v[14:15], v[7:8], v[7:8]
	s_mov_b32 s0, 0xc751c08c
	s_mov_b32 s1, 0x3ef5e089
	v_and_b32_e32 v9, 1, v9
	v_cmp_eq_u32_e32 vcc, 0, v9
	v_and_b32_e32 v10, 0x80000000, v1
	s_mov_b32 s16, 0x54442d18
	v_fma_f64 v[16:17], v[5:6], v[5:6], -v[12:13]
	s_mov_b32 s17, 0xc00921fb
	v_add_f64 v[3:4], -v[3:4], 1.0
	s_mov_b64 s[14:15], exec
	v_fma_f64 v[14:15], v[5:6], v[14:15], v[16:17]
	v_add_f64 v[12:13], v[12:13], v[14:15]
	v_mov_b32_e32 v14, 0xa9a29f71
	v_mov_b32_e32 v15, 0xbf078809
	v_fma_f64 v[14:15], v[12:13], s[0:1], v[14:15]
	s_mov_b32 s0, 0x90a8aae0
	s_mov_b32 s1, 0x3f17746f
	v_fma_f64 v[14:15], v[12:13], v[14:15], s[0:1]
	s_mov_b32 s0, 0xa6fbf144
	s_mov_b32 s1, 0xbefbb44d
	;; [unrolled: 3-line block ×12, first 2 shown]
	v_fma_f64 v[14:15], v[12:13], v[14:15], s[0:1]
	s_movk_i32 s0, 0x1f8
	v_cmp_class_f64_e64 s[0:1], v[0:1], s0
	v_mov_b32_e32 v1, 0x7ff80000
	v_mul_f64 v[12:13], v[12:13], v[14:15]
	v_mul_f64 v[14:15], v[5:6], v[12:13]
	v_add_f64 v[16:17], v[5:6], v[14:15]
	v_fma_f64 v[12:13], v[5:6], v[12:13], -v[14:15]
	v_add_f64 v[5:6], v[16:17], -v[5:6]
	v_add_f64 v[7:8], v[7:8], v[12:13]
	v_add_f64 v[5:6], v[14:15], -v[5:6]
	v_add_f64 v[5:6], v[7:8], v[5:6]
	v_add_f64 v[7:8], v[16:17], v[5:6]
	v_rcp_f64_e32 v[12:13], v[7:8]
	v_fma_f64 v[14:15], -v[7:8], v[12:13], 1.0
	v_fma_f64 v[12:13], v[14:15], v[12:13], v[12:13]
	v_fma_f64 v[14:15], -v[7:8], v[12:13], 1.0
	v_fma_f64 v[12:13], v[14:15], v[12:13], v[12:13]
	v_add_f64 v[14:15], v[7:8], -v[16:17]
	v_mul_f64 v[16:17], v[7:8], v[12:13]
	v_add_f64 v[5:6], v[5:6], -v[14:15]
	v_fma_f64 v[14:15], v[12:13], v[7:8], -v[16:17]
	v_fma_f64 v[5:6], v[12:13], v[5:6], v[14:15]
	v_add_f64 v[14:15], v[16:17], v[5:6]
	v_add_f64 v[18:19], -v[14:15], 1.0
	v_add_f64 v[16:17], v[14:15], -v[16:17]
	v_add_f64 v[20:21], -v[18:19], 1.0
	v_add_f64 v[5:6], v[16:17], -v[5:6]
	v_add_f64 v[14:15], v[20:21], -v[14:15]
	v_add_f64 v[5:6], v[5:6], v[14:15]
	v_add_f64 v[5:6], v[18:19], v[5:6]
	v_mul_f64 v[5:6], v[12:13], v[5:6]
	v_add_f64 v[5:6], v[12:13], v[5:6]
	v_xor_b32_e32 v0, 0x80000000, v6
	v_cndmask_b32_e32 v5, v5, v7, vcc
	v_cndmask_b32_e32 v6, v0, v8, vcc
	v_cndmask_b32_e64 v0, 0, v5, s[0:1]
	v_xor_b32_e32 v5, v6, v10
	v_cndmask_b32_e64 v1, v1, v5, s[0:1]
	v_div_scale_f64 v[5:6], s[0:1], v[0:1], v[0:1], s[16:17]
	v_rcp_f64_e32 v[7:8], v[5:6]
	v_fma_f64 v[9:10], -v[5:6], v[7:8], 1.0
	v_fma_f64 v[7:8], v[7:8], v[9:10], v[7:8]
	v_div_scale_f64 v[9:10], vcc, s[16:17], v[0:1], s[16:17]
	v_fma_f64 v[12:13], -v[5:6], v[7:8], 1.0
	v_fma_f64 v[7:8], v[7:8], v[12:13], v[7:8]
	v_mul_f64 v[12:13], v[9:10], v[7:8]
	v_fma_f64 v[5:6], -v[5:6], v[12:13], v[9:10]
	v_div_fmas_f64 v[5:6], v[5:6], v[7:8], v[12:13]
	v_div_fixup_f64 v[5:6], v[5:6], v[0:1], s[16:17]
.LBB9_33:
	s_or_b64 exec, exec, s[12:13]
	s_orn2_b64 s[12:13], s[14:15], exec
.LBB9_34:
	s_or_b64 exec, exec, s[10:11]
	v_mov_b32_e32 v0, 0
	v_mov_b32_e32 v1, 0x7ff80000
	s_and_saveexec_b64 s[0:1], s[12:13]
	s_cbranch_execz .LBB9_46
; %bb.35:
	s_mov_b32 s12, 0
	s_mov_b32 s13, 0x40240000
	v_cmp_gt_f64_e32 vcc, s[12:13], v[3:4]
	s_and_saveexec_b64 s[10:11], vcc
	s_cbranch_execz .LBB9_39
; %bb.36:
	s_mov_b64 s[14:15], 0
.LBB9_37:                               ; =>This Inner Loop Header: Depth=1
	v_div_scale_f64 v[0:1], s[16:17], v[3:4], v[3:4], 1.0
	v_rcp_f64_e32 v[7:8], v[0:1]
	v_fma_f64 v[9:10], -v[0:1], v[7:8], 1.0
	v_fma_f64 v[7:8], v[7:8], v[9:10], v[7:8]
	v_div_scale_f64 v[9:10], vcc, 1.0, v[3:4], 1.0
	v_fma_f64 v[12:13], -v[0:1], v[7:8], 1.0
	v_fma_f64 v[7:8], v[7:8], v[12:13], v[7:8]
	v_mul_f64 v[12:13], v[9:10], v[7:8]
	v_fma_f64 v[0:1], -v[0:1], v[12:13], v[9:10]
	v_div_fmas_f64 v[0:1], v[0:1], v[7:8], v[12:13]
	v_div_fixup_f64 v[0:1], v[0:1], v[3:4], 1.0
	v_add_f64 v[3:4], v[3:4], 1.0
	v_add_f64 v[5:6], v[5:6], -v[0:1]
	v_cmp_ngt_f64_e32 vcc, s[12:13], v[3:4]
	s_or_b64 s[14:15], vcc, s[14:15]
	s_andn2_b64 exec, exec, s[14:15]
	s_cbranch_execnz .LBB9_37
; %bb.38:
	s_or_b64 exec, exec, s[14:15]
.LBB9_39:
	s_or_b64 exec, exec, s[10:11]
	s_mov_b32 s10, 0
	s_mov_b32 s11, 0x40240000
	v_cmp_neq_f64_e32 vcc, s[10:11], v[3:4]
                                        ; implicit-def: $vgpr0_vgpr1
	s_and_saveexec_b64 s[10:11], vcc
	s_xor_b64 s[10:11], exec, s[10:11]
	s_cbranch_execz .LBB9_43
; %bb.40:
	s_mov_b32 s12, 0x85d8a000
	s_mov_b32 s13, 0x43763457
	v_cmp_gt_f64_e32 vcc, s[12:13], v[3:4]
	v_mov_b32_e32 v0, 0
	v_mov_b32_e32 v1, 0
	s_and_saveexec_b64 s[12:13], vcc
	s_cbranch_execz .LBB9_42
; %bb.41:
	v_mul_f64 v[0:1], v[3:4], v[3:4]
	s_mov_b32 s16, 0x95995996
	s_mov_b32 s17, 0xbf959959
	;; [unrolled: 1-line block ×4, first 2 shown]
	v_div_scale_f64 v[7:8], s[14:15], v[0:1], v[0:1], 1.0
	v_div_scale_f64 v[14:15], vcc, 1.0, v[0:1], 1.0
	s_mov_b32 s14, 0x55555555
	s_mov_b32 s15, 0x3fb55555
	v_rcp_f64_e32 v[9:10], v[7:8]
	v_fma_f64 v[12:13], -v[7:8], v[9:10], 1.0
	v_fma_f64 v[9:10], v[9:10], v[12:13], v[9:10]
	v_fma_f64 v[12:13], -v[7:8], v[9:10], 1.0
	v_fma_f64 v[9:10], v[9:10], v[12:13], v[9:10]
	v_mul_f64 v[12:13], v[14:15], v[9:10]
	v_fma_f64 v[7:8], -v[7:8], v[12:13], v[14:15]
	v_div_fmas_f64 v[7:8], v[7:8], v[9:10], v[12:13]
	v_div_fixup_f64 v[0:1], v[7:8], v[0:1], 1.0
	v_fma_f64 v[7:8], v[0:1], 0, s[14:15]
	v_fma_f64 v[7:8], v[0:1], v[7:8], s[16:17]
	s_mov_b32 s16, 0xf07c1f08
	s_mov_b32 s17, 0x3f7f07c1
	v_fma_f64 v[7:8], v[0:1], v[7:8], s[16:17]
	s_mov_b32 s17, 0xbf711111
	s_mov_b32 s16, 0x11111111
	v_fma_f64 v[7:8], v[0:1], v[7:8], s[16:17]
	s_mov_b32 s17, 0xbf811111
	v_fma_f64 v[7:8], v[0:1], v[7:8], s[18:19]
	v_fma_f64 v[7:8], v[0:1], v[7:8], s[16:17]
	;; [unrolled: 1-line block ×3, first 2 shown]
	v_mul_f64 v[0:1], v[0:1], v[7:8]
.LBB9_42:
	s_or_b64 exec, exec, s[12:13]
	v_frexp_mant_f64_e32 v[7:8], v[3:4]
	s_mov_b32 s13, 0x3fe55555
	s_mov_b32 s12, 0x55555555
	;; [unrolled: 1-line block ×4, first 2 shown]
	v_cmp_gt_f64_e32 vcc, s[12:13], v[7:8]
	s_mov_b32 s12, 0x55555780
	v_cndmask_b32_e64 v9, 0, 1, vcc
	v_ldexp_f64 v[7:8], v[7:8], v9
	v_add_f64 v[9:10], v[7:8], 1.0
	v_add_f64 v[16:17], v[7:8], -1.0
	v_rcp_f64_e32 v[12:13], v[9:10]
	v_add_f64 v[18:19], v[9:10], -1.0
	v_add_f64 v[7:8], v[7:8], -v[18:19]
	v_fma_f64 v[14:15], -v[9:10], v[12:13], 1.0
	v_fma_f64 v[12:13], v[14:15], v[12:13], v[12:13]
	v_fma_f64 v[14:15], -v[9:10], v[12:13], 1.0
	v_fma_f64 v[12:13], v[14:15], v[12:13], v[12:13]
	v_mul_f64 v[14:15], v[16:17], v[12:13]
	v_mul_f64 v[20:21], v[9:10], v[14:15]
	v_fma_f64 v[9:10], v[14:15], v[9:10], -v[20:21]
	v_fma_f64 v[7:8], v[14:15], v[7:8], v[9:10]
	v_add_f64 v[9:10], v[20:21], v[7:8]
	v_add_f64 v[18:19], v[16:17], -v[9:10]
	v_add_f64 v[20:21], v[9:10], -v[20:21]
	v_add_f64 v[16:17], v[16:17], -v[18:19]
	v_add_f64 v[7:8], v[20:21], -v[7:8]
	v_add_f64 v[9:10], v[16:17], -v[9:10]
	v_mov_b32_e32 v16, 0x6b47b09a
	v_mov_b32_e32 v17, 0x3fc38538
	v_add_f64 v[7:8], v[7:8], v[9:10]
	v_add_f64 v[7:8], v[18:19], v[7:8]
	v_mul_f64 v[7:8], v[12:13], v[7:8]
	v_add_f64 v[9:10], v[14:15], v[7:8]
	v_mul_f64 v[12:13], v[9:10], v[9:10]
	v_fma_f64 v[16:17], v[12:13], s[14:15], v[16:17]
	s_mov_b32 s14, 0xd7f4df2e
	s_mov_b32 s15, 0x3fc7474d
	v_mul_f64 v[18:19], v[9:10], v[12:13]
	v_fma_f64 v[16:17], v[12:13], v[16:17], s[14:15]
	s_mov_b32 s14, 0x16291751
	s_mov_b32 s15, 0x3fcc71c0
	v_fma_f64 v[16:17], v[12:13], v[16:17], s[14:15]
	s_mov_b32 s14, 0x9b27acf1
	s_mov_b32 s15, 0x3fd24924
	;; [unrolled: 3-line block ×3, first 2 shown]
	v_fma_f64 v[16:17], v[12:13], v[16:17], s[14:15]
	v_fma_f64 v[12:13], v[12:13], v[16:17], s[12:13]
	v_ldexp_f64 v[16:17], v[9:10], 1
	v_add_f64 v[9:10], v[9:10], -v[14:15]
	s_mov_b32 s12, 0xfefa39ef
	s_mov_b32 s13, 0x3fe62e42
	v_mul_f64 v[12:13], v[18:19], v[12:13]
	v_frexp_exp_i32_f64_e32 v18, v[3:4]
	v_add_f64 v[7:8], v[7:8], -v[9:10]
	v_add_f64 v[14:15], v[16:17], v[12:13]
	v_subbrev_co_u32_e32 v18, vcc, 0, v18, vcc
	v_cvt_f64_i32_e32 v[18:19], v18
	v_ldexp_f64 v[7:8], v[7:8], 1
	v_mul_f64 v[20:21], v[18:19], s[12:13]
	v_add_f64 v[9:10], v[14:15], -v[16:17]
	v_fma_f64 v[16:17], v[18:19], s[12:13], -v[20:21]
	v_add_f64 v[9:10], v[12:13], -v[9:10]
	s_mov_b32 s12, 0x3b39803f
	s_mov_b32 s13, 0x3c7abc9e
	v_fma_f64 v[12:13], v[18:19], s[12:13], v[16:17]
	v_add_f64 v[7:8], v[7:8], v[9:10]
	v_div_scale_f64 v[9:10], s[12:13], v[3:4], v[3:4], -0.5
	s_movk_i32 s12, 0x204
	v_add_f64 v[16:17], v[20:21], v[12:13]
	v_add_f64 v[18:19], v[14:15], v[7:8]
	v_add_f64 v[20:21], v[16:17], -v[20:21]
	v_add_f64 v[22:23], v[16:17], v[18:19]
	v_rcp_f64_e32 v[24:25], v[9:10]
	v_add_f64 v[14:15], v[18:19], -v[14:15]
	v_add_f64 v[12:13], v[12:13], -v[20:21]
	;; [unrolled: 1-line block ×5, first 2 shown]
	v_fma_f64 v[30:31], -v[9:10], v[24:25], 1.0
	v_add_f64 v[14:15], v[18:19], -v[26:27]
	v_add_f64 v[20:21], v[12:13], v[7:8]
	v_add_f64 v[16:17], v[16:17], -v[28:29]
	v_fma_f64 v[18:19], v[24:25], v[30:31], v[24:25]
	v_add_f64 v[26:27], v[20:21], -v[12:13]
	v_add_f64 v[14:15], v[14:15], v[16:17]
	v_div_scale_f64 v[16:17], vcc, -0.5, v[3:4], -0.5
	v_fma_f64 v[24:25], -v[9:10], v[18:19], 1.0
	v_add_f64 v[7:8], v[7:8], -v[26:27]
	v_add_f64 v[14:15], v[20:21], v[14:15]
	v_add_f64 v[20:21], v[20:21], -v[26:27]
	v_fma_f64 v[18:19], v[18:19], v[24:25], v[18:19]
	v_add_f64 v[24:25], v[22:23], v[14:15]
	v_add_f64 v[12:13], v[12:13], -v[20:21]
	v_mul_f64 v[28:29], v[16:17], v[18:19]
	v_add_f64 v[20:21], v[24:25], -v[22:23]
	v_add_f64 v[7:8], v[7:8], v[12:13]
	v_fma_f64 v[9:10], -v[9:10], v[28:29], v[16:17]
	v_add_f64 v[12:13], v[14:15], -v[20:21]
	v_div_fmas_f64 v[9:10], v[9:10], v[18:19], v[28:29]
	v_cmp_class_f64_e64 vcc, v[3:4], s12
	v_add_f64 v[7:8], v[7:8], v[12:13]
	v_add_f64 v[7:8], v[24:25], v[7:8]
	v_div_fixup_f64 v[9:10], v[9:10], v[3:4], -0.5
	v_cndmask_b32_e32 v4, v8, v4, vcc
	v_cndmask_b32_e32 v3, v7, v3, vcc
	v_add_f64 v[3:4], v[3:4], v[9:10]
	v_add_f64 v[0:1], v[3:4], -v[0:1]
	v_add_f64 v[0:1], v[5:6], v[0:1]
                                        ; implicit-def: $vgpr5_vgpr6
.LBB9_43:
	s_andn2_saveexec_b64 s[10:11], s[10:11]
	s_cbranch_execz .LBB9_45
; %bb.44:
	s_mov_b32 s12, 0xdc85cc95
	s_mov_b32 s13, 0x40020396
	v_add_f64 v[0:1], v[5:6], s[12:13]
.LBB9_45:
	s_or_b64 exec, exec, s[10:11]
.LBB9_46:
	s_or_b64 exec, exec, s[0:1]
                                        ; implicit-def: $vgpr3_vgpr4
.LBB9_47:
	s_andn2_saveexec_b64 s[0:1], s[8:9]
; %bb.48:
	v_xor_b32_e32 v0, 0x80000000, v4
	s_brev_b32 s8, -2
	v_mov_b32_e32 v1, 0x7ff00000
	v_bfi_b32 v1, s8, v1, v0
	v_mov_b32_e32 v0, 0
; %bb.49:
	s_or_b64 exec, exec, s[0:1]
	v_mov_b32_e32 v3, s25
	s_and_b32 s14, s73, 0xff
	v_add_co_u32_e32 v4, vcc, s24, v2
	s_cmp_lt_i32 s14, 11
	v_addc_co_u32_e32 v5, vcc, 0, v3, vcc
	s_cbranch_scc1 .LBB9_57
; %bb.50:
	s_and_b32 s15, 0xffff, s14
	s_cmp_gt_i32 s15, 25
	s_cbranch_scc0 .LBB9_60
; %bb.51:
	s_cmp_gt_i32 s15, 28
	s_cbranch_scc0 .LBB9_62
; %bb.52:
	s_cmp_gt_i32 s15, 43
	s_cbranch_scc0 .LBB9_64
; %bb.53:
	s_cmp_gt_i32 s15, 45
	s_cbranch_scc0 .LBB9_70
; %bb.54:
	s_mov_b64 s[10:11], 0
	s_mov_b64 s[0:1], -1
	s_cmp_eq_u32 s15, 46
	s_mov_b64 s[8:9], 0
	s_cbranch_scc0 .LBB9_71
; %bb.55:
	v_cvt_f32_f64_e32 v2, v[0:1]
	s_movk_i32 s0, 0x7fff
	v_mov_b32_e32 v3, 0x7fc0
	s_mov_b64 s[8:9], -1
	v_bfe_u32 v6, v2, 16, 1
	v_cmp_o_f32_e32 vcc, v2, v2
	v_add3_u32 v2, v2, v6, s0
	v_cndmask_b32_sdwa v2, v3, v2, vcc dst_sel:DWORD dst_unused:UNUSED_PAD src0_sel:DWORD src1_sel:WORD_1
	global_store_dword v[4:5], v2, off
	s_mov_b64 s[0:1], 0
	s_branch .LBB9_71
.LBB9_56:
	s_mov_b64 s[2:3], 0
	s_mov_b64 s[0:1], 0
                                        ; implicit-def: $vgpr3_vgpr4
	s_cbranch_execnz .LBB9_207
	s_branch .LBB9_239
.LBB9_57:
	s_mov_b64 s[0:1], 0
	s_mov_b64 s[8:9], 0
	s_cbranch_execnz .LBB9_140
.LBB9_58:
	s_andn2_b64 vcc, exec, s[8:9]
	s_cbranch_vccnz .LBB9_288
	s_branch .LBB9_178
.LBB9_59:
	s_mov_b64 s[8:9], -1
	s_mov_b64 s[2:3], 0
	s_mov_b64 s[0:1], 0
                                        ; implicit-def: $vgpr3_vgpr4
	s_branch .LBB9_186
.LBB9_60:
	s_mov_b64 s[10:11], -1
	s_mov_b64 s[0:1], 0
	s_mov_b64 s[8:9], 0
	s_branch .LBB9_98
.LBB9_61:
	s_mov_b64 s[8:9], -1
	s_mov_b64 s[2:3], 0
	s_mov_b64 s[0:1], 0
                                        ; implicit-def: $vgpr3_vgpr4
	s_branch .LBB9_181
.LBB9_62:
	s_mov_b64 s[10:11], -1
	s_mov_b64 s[0:1], 0
	s_mov_b64 s[8:9], 0
	s_branch .LBB9_81
.LBB9_63:
	s_mov_b64 s[8:9], -1
	s_mov_b64 s[2:3], 0
	s_branch .LBB9_66
.LBB9_64:
	s_mov_b64 s[10:11], -1
	s_mov_b64 s[0:1], 0
	s_mov_b64 s[8:9], 0
	s_branch .LBB9_77
.LBB9_65:
	s_mov_b64 s[2:3], -1
.LBB9_66:
	s_mov_b64 s[0:1], 0
                                        ; implicit-def: $vgpr3_vgpr4
.LBB9_67:
	s_and_b64 vcc, exec, s[8:9]
	s_cbranch_vccz .LBB9_180
; %bb.68:
	s_cmp_eq_u32 s12, 44
	s_cbranch_scc0 .LBB9_179
; %bb.69:
	global_load_ubyte v5, v[0:1], off
	s_movk_i32 s2, 0xff
	v_bfrev_b32_e32 v6, 4
	v_mov_b32_e32 v7, 0x7ff80000
	v_bfrev_b32_e32 v8, 28
	s_mov_b64 s[0:1], -1
	s_waitcnt vmcnt(0)
	v_lshlrev_b32_e32 v3, 23, v5
	v_cvt_f64_f32_e32 v[3:4], v3
	v_cmp_ne_u32_e32 vcc, s2, v5
	s_mov_b64 s[2:3], 0
	v_cndmask_b32_e32 v3, v6, v3, vcc
	v_cndmask_b32_e32 v4, v7, v4, vcc
	v_cmp_ne_u32_e32 vcc, 0, v5
	v_cndmask_b32_e32 v4, v8, v4, vcc
	v_cndmask_b32_e32 v3, 0, v3, vcc
	s_branch .LBB9_180
.LBB9_70:
	s_mov_b64 s[10:11], -1
	s_mov_b64 s[0:1], 0
	s_mov_b64 s[8:9], 0
.LBB9_71:
	s_and_b64 vcc, exec, s[10:11]
	s_cbranch_vccz .LBB9_76
; %bb.72:
	s_cmp_eq_u32 s15, 44
	s_mov_b64 s[0:1], -1
	s_cbranch_scc0 .LBB9_76
; %bb.73:
	v_cvt_f32_f64_e32 v2, v[0:1]
	s_movk_i32 s0, 0xff
	v_mov_b32_e32 v6, 0xff
	v_bfe_u32 v3, v2, 23, 8
	v_cmp_ne_u32_e32 vcc, s0, v3
	s_and_saveexec_b64 s[8:9], vcc
; %bb.74:
	s_mov_b32 s0, 0x3fffff
	v_lshrrev_b32_e32 v6, 23, v2
	v_and_b32_e32 v7, 0x400000, v2
	v_and_or_b32 v2, v2, s0, v3
	v_cmp_ne_u32_e32 vcc, 0, v7
	v_cmp_ne_u32_e64 s[0:1], 0, v2
	s_and_b64 s[0:1], vcc, s[0:1]
	v_cndmask_b32_e64 v2, 0, 1, s[0:1]
	v_add_u32_e32 v6, v6, v2
; %bb.75:
	s_or_b64 exec, exec, s[8:9]
	s_mov_b64 s[8:9], -1
	s_mov_b64 s[0:1], 0
	global_store_byte v[4:5], v6, off
.LBB9_76:
	s_mov_b64 s[10:11], 0
.LBB9_77:
	s_and_b64 vcc, exec, s[10:11]
	s_cbranch_vccz .LBB9_80
; %bb.78:
	s_cmp_eq_u32 s15, 29
	s_mov_b64 s[0:1], -1
	s_cbranch_scc0 .LBB9_80
; %bb.79:
	v_trunc_f64_e32 v[2:3], v[0:1]
	s_movk_i32 s0, 0xffe0
	s_mov_b64 s[8:9], -1
	s_mov_b64 s[10:11], 0
	v_ldexp_f64 v[6:7], v[2:3], s0
	s_mov_b32 s0, 0
	s_mov_b32 s1, 0xc1f00000
	v_floor_f64_e32 v[6:7], v[6:7]
	v_fma_f64 v[2:3], v[6:7], s[0:1], v[2:3]
	v_cvt_u32_f64_e32 v7, v[6:7]
	s_mov_b64 s[0:1], 0
	v_cvt_u32_f64_e32 v6, v[2:3]
	global_store_dwordx2 v[4:5], v[6:7], off
	s_branch .LBB9_81
.LBB9_80:
	s_mov_b64 s[10:11], 0
.LBB9_81:
	s_and_b64 vcc, exec, s[10:11]
	s_cbranch_vccz .LBB9_97
; %bb.82:
	s_cmp_lt_i32 s15, 27
	s_mov_b64 s[8:9], -1
	s_cbranch_scc1 .LBB9_88
; %bb.83:
	v_cvt_u32_f64_e32 v2, v[0:1]
	s_cmp_gt_i32 s15, 27
	s_cbranch_scc0 .LBB9_85
; %bb.84:
	s_mov_b64 s[8:9], 0
	global_store_dword v[4:5], v2, off
.LBB9_85:
	s_andn2_b64 vcc, exec, s[8:9]
	s_cbranch_vccnz .LBB9_87
; %bb.86:
	global_store_short v[4:5], v2, off
.LBB9_87:
	s_mov_b64 s[8:9], 0
.LBB9_88:
	s_andn2_b64 vcc, exec, s[8:9]
	s_cbranch_vccnz .LBB9_96
; %bb.89:
	v_cvt_f32_f64_e32 v2, v[0:1]
	s_mov_b32 s8, 0x43800000
	v_mov_b32_e32 v6, 0x80
	v_and_b32_e32 v3, 0x7fffffff, v2
	v_cmp_gt_u32_e32 vcc, s8, v3
	s_and_saveexec_b64 s[8:9], vcc
	s_cbranch_execz .LBB9_95
; %bb.90:
	s_mov_b32 s10, 0x3bffffff
	v_cmp_lt_u32_e32 vcc, s10, v3
	s_mov_b64 s[10:11], 0
                                        ; implicit-def: $vgpr3
	s_and_saveexec_b64 s[12:13], vcc
	s_xor_b64 s[12:13], exec, s[12:13]
	s_cbranch_execz .LBB9_355
; %bb.91:
	v_bfe_u32 v3, v2, 20, 1
	s_mov_b32 s16, 0x487ffff
	v_add3_u32 v3, v2, v3, s16
	s_mov_b64 s[10:11], exec
	v_lshrrev_b32_e32 v3, 20, v3
	s_andn2_saveexec_b64 s[12:13], s[12:13]
	s_cbranch_execnz .LBB9_356
.LBB9_92:
	s_or_b64 exec, exec, s[12:13]
	v_mov_b32_e32 v6, 0
	s_and_saveexec_b64 s[12:13], s[10:11]
.LBB9_93:
	v_lshrrev_b32_e32 v2, 24, v2
	s_movk_i32 s10, 0x80
	v_and_or_b32 v6, v2, s10, v3
.LBB9_94:
	s_or_b64 exec, exec, s[12:13]
.LBB9_95:
	s_or_b64 exec, exec, s[8:9]
	global_store_byte v[4:5], v6, off
.LBB9_96:
	s_mov_b64 s[8:9], -1
.LBB9_97:
	s_mov_b64 s[10:11], 0
.LBB9_98:
	s_and_b64 vcc, exec, s[10:11]
	s_cbranch_vccz .LBB9_139
; %bb.99:
	s_cmp_gt_i32 s15, 22
	s_mov_b64 s[10:11], -1
	s_cbranch_scc0 .LBB9_131
; %bb.100:
	s_cmp_lt_i32 s15, 24
	s_mov_b64 s[8:9], -1
	s_cbranch_scc1 .LBB9_120
; %bb.101:
	s_cmp_gt_i32 s15, 24
	s_cbranch_scc0 .LBB9_109
; %bb.102:
	v_cvt_f32_f64_e32 v2, v[0:1]
	s_mov_b32 s8, 0x47800000
	v_mov_b32_e32 v6, 0x80
	v_and_b32_e32 v3, 0x7fffffff, v2
	v_cmp_gt_u32_e32 vcc, s8, v3
	s_and_saveexec_b64 s[8:9], vcc
	s_cbranch_execz .LBB9_108
; %bb.103:
	s_mov_b32 s10, 0x37ffffff
	v_cmp_lt_u32_e32 vcc, s10, v3
	s_mov_b64 s[10:11], 0
                                        ; implicit-def: $vgpr3
	s_and_saveexec_b64 s[12:13], vcc
	s_xor_b64 s[12:13], exec, s[12:13]
	s_cbranch_execz .LBB9_359
; %bb.104:
	v_bfe_u32 v3, v2, 21, 1
	s_mov_b32 s16, 0x88fffff
	v_add3_u32 v3, v2, v3, s16
	s_mov_b64 s[10:11], exec
	v_lshrrev_b32_e32 v3, 21, v3
	s_andn2_saveexec_b64 s[12:13], s[12:13]
	s_cbranch_execnz .LBB9_360
.LBB9_105:
	s_or_b64 exec, exec, s[12:13]
	v_mov_b32_e32 v6, 0
	s_and_saveexec_b64 s[12:13], s[10:11]
.LBB9_106:
	v_lshrrev_b32_e32 v2, 24, v2
	s_movk_i32 s10, 0x80
	v_and_or_b32 v6, v2, s10, v3
.LBB9_107:
	s_or_b64 exec, exec, s[12:13]
.LBB9_108:
	s_or_b64 exec, exec, s[8:9]
	s_mov_b64 s[8:9], 0
	global_store_byte v[4:5], v6, off
.LBB9_109:
	s_and_b64 vcc, exec, s[8:9]
	s_cbranch_vccz .LBB9_119
; %bb.110:
	v_cvt_f32_f64_e32 v2, v[0:1]
	s_mov_b32 s8, 0x43f00000
                                        ; implicit-def: $vgpr3
	v_and_b32_e32 v6, 0x7fffffff, v2
	v_cmp_gt_u32_e32 vcc, s8, v6
	s_and_saveexec_b64 s[8:9], vcc
	s_xor_b64 s[8:9], exec, s[8:9]
	s_cbranch_execz .LBB9_116
; %bb.111:
	s_mov_b32 s10, 0x3c7fffff
	v_cmp_lt_u32_e32 vcc, s10, v6
                                        ; implicit-def: $vgpr3
	s_and_saveexec_b64 s[10:11], vcc
	s_xor_b64 s[10:11], exec, s[10:11]
; %bb.112:
	v_bfe_u32 v3, v2, 20, 1
	s_mov_b32 s12, 0x407ffff
	v_add3_u32 v3, v2, v3, s12
	v_lshrrev_b32_e32 v6, 20, v3
	v_and_b32_e32 v3, 0xff00000, v3
	s_mov_b32 s12, 0x7f00000
	v_mov_b32_e32 v7, 0x7e
	v_cmp_ne_u32_e32 vcc, s12, v3
	v_cndmask_b32_e32 v3, v7, v6, vcc
; %bb.113:
	s_andn2_saveexec_b64 s[10:11], s[10:11]
; %bb.114:
	s_mov_b32 s12, 0x46800000
	v_add_f32_e64 v3, |v2|, s12
; %bb.115:
	s_or_b64 exec, exec, s[10:11]
                                        ; implicit-def: $vgpr6
.LBB9_116:
	s_andn2_saveexec_b64 s[8:9], s[8:9]
; %bb.117:
	s_mov_b32 s10, 0x7f800000
	v_mov_b32_e32 v3, 0x7e
	v_mov_b32_e32 v7, 0x7f
	v_cmp_lt_u32_e32 vcc, s10, v6
	v_cndmask_b32_e32 v3, v3, v7, vcc
; %bb.118:
	s_or_b64 exec, exec, s[8:9]
	v_lshrrev_b32_e32 v2, 24, v2
	s_movk_i32 s8, 0x80
	v_and_or_b32 v2, v2, s8, v3
	global_store_byte v[4:5], v2, off
.LBB9_119:
	s_mov_b64 s[8:9], 0
.LBB9_120:
	s_andn2_b64 vcc, exec, s[8:9]
	s_cbranch_vccnz .LBB9_130
; %bb.121:
	v_cvt_f32_f64_e32 v2, v[0:1]
	s_mov_b32 s8, 0x47800000
                                        ; implicit-def: $vgpr3
	v_and_b32_e32 v6, 0x7fffffff, v2
	v_cmp_gt_u32_e32 vcc, s8, v6
	s_and_saveexec_b64 s[8:9], vcc
	s_xor_b64 s[8:9], exec, s[8:9]
	s_cbranch_execz .LBB9_127
; %bb.122:
	s_mov_b32 s10, 0x387fffff
	v_cmp_lt_u32_e32 vcc, s10, v6
                                        ; implicit-def: $vgpr3
	s_and_saveexec_b64 s[10:11], vcc
	s_xor_b64 s[10:11], exec, s[10:11]
; %bb.123:
	v_bfe_u32 v3, v2, 21, 1
	s_mov_b32 s12, 0x80fffff
	v_add3_u32 v3, v2, v3, s12
	v_lshrrev_b32_e32 v3, 21, v3
; %bb.124:
	s_andn2_saveexec_b64 s[10:11], s[10:11]
; %bb.125:
	s_mov_b32 s12, 0x43000000
	v_add_f32_e64 v3, |v2|, s12
; %bb.126:
	s_or_b64 exec, exec, s[10:11]
                                        ; implicit-def: $vgpr6
.LBB9_127:
	s_andn2_saveexec_b64 s[8:9], s[8:9]
; %bb.128:
	s_mov_b32 s10, 0x7f800000
	v_mov_b32_e32 v3, 0x7c
	v_mov_b32_e32 v7, 0x7f
	v_cmp_lt_u32_e32 vcc, s10, v6
	v_cndmask_b32_e32 v3, v3, v7, vcc
; %bb.129:
	s_or_b64 exec, exec, s[8:9]
	v_lshrrev_b32_e32 v2, 24, v2
	s_movk_i32 s8, 0x80
	v_and_or_b32 v2, v2, s8, v3
	global_store_byte v[4:5], v2, off
.LBB9_130:
	s_mov_b64 s[10:11], 0
	s_mov_b64 s[8:9], -1
.LBB9_131:
	s_andn2_b64 vcc, exec, s[10:11]
	s_cbranch_vccnz .LBB9_139
; %bb.132:
	s_cmp_gt_i32 s15, 14
	s_mov_b64 s[10:11], -1
	s_cbranch_scc0 .LBB9_136
; %bb.133:
	s_cmp_eq_u32 s15, 15
	s_mov_b64 s[0:1], -1
	s_cbranch_scc0 .LBB9_135
; %bb.134:
	v_cvt_f32_f64_e32 v2, v[0:1]
	s_movk_i32 s0, 0x7fff
	v_mov_b32_e32 v3, 0x7fc0
	s_mov_b64 s[8:9], -1
	v_bfe_u32 v6, v2, 16, 1
	v_cmp_o_f32_e32 vcc, v2, v2
	v_add3_u32 v2, v2, v6, s0
	v_cndmask_b32_sdwa v2, v3, v2, vcc dst_sel:DWORD dst_unused:UNUSED_PAD src0_sel:DWORD src1_sel:WORD_1
	global_store_short v[4:5], v2, off
	s_mov_b64 s[0:1], 0
.LBB9_135:
	s_mov_b64 s[10:11], 0
.LBB9_136:
	s_and_b64 vcc, exec, s[10:11]
	s_cbranch_vccz .LBB9_139
; %bb.137:
	s_cmp_eq_u32 s15, 11
	s_mov_b64 s[0:1], -1
	s_cbranch_scc0 .LBB9_139
; %bb.138:
	v_cmp_neq_f64_e32 vcc, 0, v[0:1]
	s_mov_b64 s[0:1], 0
	s_mov_b64 s[8:9], -1
	v_cndmask_b32_e64 v2, 0, 1, vcc
	global_store_byte v[4:5], v2, off
.LBB9_139:
	s_branch .LBB9_58
.LBB9_140:
	s_and_b32 s10, 0xffff, s14
	s_cmp_lt_i32 s10, 5
	s_mov_b64 s[8:9], -1
	s_cbranch_scc1 .LBB9_161
; %bb.141:
	s_cmp_lt_i32 s10, 8
	s_cbranch_scc1 .LBB9_151
; %bb.142:
	s_cmp_lt_i32 s10, 9
	s_cbranch_scc1 .LBB9_148
; %bb.143:
	s_cmp_gt_i32 s10, 9
	s_cbranch_scc0 .LBB9_145
; %bb.144:
	v_mov_b32_e32 v2, 0
	v_mov_b32_e32 v3, v2
	global_store_dwordx4 v[4:5], v[0:3], off
	s_mov_b64 s[8:9], 0
.LBB9_145:
	s_andn2_b64 vcc, exec, s[8:9]
	s_cbranch_vccnz .LBB9_147
; %bb.146:
	v_cvt_f32_f64_e32 v2, v[0:1]
	v_mov_b32_e32 v3, 0
	global_store_dwordx2 v[4:5], v[2:3], off
.LBB9_147:
	s_mov_b64 s[8:9], 0
.LBB9_148:
	s_andn2_b64 vcc, exec, s[8:9]
	s_cbranch_vccnz .LBB9_150
; %bb.149:
	s_movk_i32 s8, 0x1ff
	v_and_or_b32 v2, v1, s8, v0
	v_cmp_ne_u32_e32 vcc, 0, v2
	v_cndmask_b32_e64 v2, 0, 1, vcc
	v_lshrrev_b32_e32 v3, 8, v1
	s_movk_i32 s8, 0xffe
	v_bfe_u32 v6, v1, 20, 11
	v_and_or_b32 v2, v3, s8, v2
	v_sub_u32_e32 v7, 0x3f1, v6
	v_or_b32_e32 v3, 0x1000, v2
	v_med3_i32 v7, v7, 0, 13
	v_lshrrev_b32_e32 v8, v7, v3
	v_lshlrev_b32_e32 v7, v7, v8
	v_cmp_ne_u32_e32 vcc, v7, v3
	v_cndmask_b32_e64 v3, 0, 1, vcc
	v_add_u32_e32 v6, 0xfffffc10, v6
	v_or_b32_e32 v3, v8, v3
	v_lshl_or_b32 v7, v6, 12, v2
	v_cmp_gt_i32_e32 vcc, 1, v6
	v_cndmask_b32_e32 v3, v7, v3, vcc
	v_and_b32_e32 v7, 7, v3
	v_cmp_lt_i32_e32 vcc, 5, v7
	v_cndmask_b32_e64 v8, 0, 1, vcc
	v_cmp_eq_u32_e32 vcc, 3, v7
	v_cndmask_b32_e64 v7, 0, 1, vcc
	v_or_b32_e32 v7, v7, v8
	v_lshrrev_b32_e32 v3, 2, v3
	v_add_u32_e32 v3, v3, v7
	v_mov_b32_e32 v7, 0x7c00
	v_cmp_gt_i32_e32 vcc, 31, v6
	v_cndmask_b32_e32 v3, v7, v3, vcc
	v_mov_b32_e32 v8, 0x7e00
	v_cmp_ne_u32_e32 vcc, 0, v2
	s_movk_i32 s8, 0x40f
	v_cndmask_b32_e32 v2, v7, v8, vcc
	v_cmp_eq_u32_e32 vcc, s8, v6
	v_cndmask_b32_e32 v2, v3, v2, vcc
	v_lshrrev_b32_e32 v3, 16, v1
	s_mov_b32 s8, 0x8000
	v_and_or_b32 v2, v3, s8, v2
	v_and_b32_e32 v2, 0xffff, v2
	global_store_dword v[4:5], v2, off
.LBB9_150:
	s_mov_b64 s[8:9], 0
.LBB9_151:
	s_andn2_b64 vcc, exec, s[8:9]
	s_cbranch_vccnz .LBB9_160
; %bb.152:
	s_cmp_lt_i32 s10, 6
	s_mov_b64 s[8:9], -1
	s_cbranch_scc1 .LBB9_158
; %bb.153:
	s_cmp_gt_i32 s10, 6
	s_cbranch_scc0 .LBB9_155
; %bb.154:
	global_store_dwordx2 v[4:5], v[0:1], off
	s_mov_b64 s[8:9], 0
.LBB9_155:
	s_andn2_b64 vcc, exec, s[8:9]
	s_cbranch_vccnz .LBB9_157
; %bb.156:
	v_cvt_f32_f64_e32 v2, v[0:1]
	global_store_dword v[4:5], v2, off
.LBB9_157:
	s_mov_b64 s[8:9], 0
.LBB9_158:
	s_andn2_b64 vcc, exec, s[8:9]
	s_cbranch_vccnz .LBB9_160
; %bb.159:
	s_movk_i32 s8, 0x1ff
	v_and_or_b32 v2, v1, s8, v0
	v_cmp_ne_u32_e32 vcc, 0, v2
	v_cndmask_b32_e64 v2, 0, 1, vcc
	v_lshrrev_b32_e32 v3, 8, v1
	s_movk_i32 s8, 0xffe
	v_bfe_u32 v6, v1, 20, 11
	v_and_or_b32 v2, v3, s8, v2
	v_sub_u32_e32 v7, 0x3f1, v6
	v_or_b32_e32 v3, 0x1000, v2
	v_med3_i32 v7, v7, 0, 13
	v_lshrrev_b32_e32 v8, v7, v3
	v_lshlrev_b32_e32 v7, v7, v8
	v_cmp_ne_u32_e32 vcc, v7, v3
	v_cndmask_b32_e64 v3, 0, 1, vcc
	v_add_u32_e32 v6, 0xfffffc10, v6
	v_or_b32_e32 v3, v8, v3
	v_lshl_or_b32 v7, v6, 12, v2
	v_cmp_gt_i32_e32 vcc, 1, v6
	v_cndmask_b32_e32 v3, v7, v3, vcc
	v_and_b32_e32 v7, 7, v3
	v_cmp_lt_i32_e32 vcc, 5, v7
	v_cndmask_b32_e64 v8, 0, 1, vcc
	v_cmp_eq_u32_e32 vcc, 3, v7
	v_cndmask_b32_e64 v7, 0, 1, vcc
	v_or_b32_e32 v7, v7, v8
	v_lshrrev_b32_e32 v3, 2, v3
	v_add_u32_e32 v3, v3, v7
	v_mov_b32_e32 v7, 0x7c00
	v_cmp_gt_i32_e32 vcc, 31, v6
	v_cndmask_b32_e32 v3, v7, v3, vcc
	v_mov_b32_e32 v8, 0x7e00
	v_cmp_ne_u32_e32 vcc, 0, v2
	s_movk_i32 s8, 0x40f
	v_cndmask_b32_e32 v2, v7, v8, vcc
	v_cmp_eq_u32_e32 vcc, s8, v6
	v_cndmask_b32_e32 v2, v3, v2, vcc
	v_lshrrev_b32_e32 v3, 16, v1
	s_mov_b32 s8, 0x8000
	v_and_or_b32 v2, v3, s8, v2
	global_store_short v[4:5], v2, off
.LBB9_160:
	s_mov_b64 s[8:9], 0
.LBB9_161:
	s_andn2_b64 vcc, exec, s[8:9]
	s_cbranch_vccnz .LBB9_177
; %bb.162:
	s_cmp_lt_i32 s10, 2
	s_mov_b64 s[8:9], -1
	s_cbranch_scc1 .LBB9_172
; %bb.163:
	s_cmp_lt_i32 s10, 3
	s_cbranch_scc1 .LBB9_169
; %bb.164:
	s_cmp_gt_i32 s10, 3
	s_cbranch_scc0 .LBB9_166
; %bb.165:
	v_trunc_f64_e32 v[2:3], v[0:1]
	s_movk_i32 s8, 0xffe0
	v_ldexp_f64 v[6:7], v[2:3], s8
	s_mov_b32 s8, 0
	s_mov_b32 s9, 0xc1f00000
	v_floor_f64_e32 v[6:7], v[6:7]
	v_fma_f64 v[2:3], v[6:7], s[8:9], v[2:3]
	v_cvt_i32_f64_e32 v7, v[6:7]
	s_mov_b64 s[8:9], 0
	v_cvt_u32_f64_e32 v6, v[2:3]
	global_store_dwordx2 v[4:5], v[6:7], off
.LBB9_166:
	s_andn2_b64 vcc, exec, s[8:9]
	s_cbranch_vccnz .LBB9_168
; %bb.167:
	v_cvt_i32_f64_e32 v2, v[0:1]
	global_store_dword v[4:5], v2, off
.LBB9_168:
	s_mov_b64 s[8:9], 0
.LBB9_169:
	s_andn2_b64 vcc, exec, s[8:9]
	s_cbranch_vccnz .LBB9_171
; %bb.170:
	v_cvt_i32_f64_e32 v2, v[0:1]
	global_store_short v[4:5], v2, off
.LBB9_171:
	s_mov_b64 s[8:9], 0
.LBB9_172:
	s_andn2_b64 vcc, exec, s[8:9]
	s_cbranch_vccnz .LBB9_177
; %bb.173:
	s_cmp_gt_i32 s10, 0
	s_mov_b64 s[8:9], -1
	s_cbranch_scc0 .LBB9_175
; %bb.174:
	v_cvt_i32_f64_e32 v2, v[0:1]
	s_mov_b64 s[8:9], 0
	global_store_byte v[4:5], v2, off
.LBB9_175:
	s_andn2_b64 vcc, exec, s[8:9]
	s_cbranch_vccnz .LBB9_177
; %bb.176:
	v_trunc_f64_e32 v[0:1], v[0:1]
	s_movk_i32 s8, 0xffe0
	v_ldexp_f64 v[2:3], v[0:1], s8
	s_mov_b32 s8, 0
	s_mov_b32 s9, 0xc1f00000
	v_floor_f64_e32 v[2:3], v[2:3]
	v_fma_f64 v[0:1], v[2:3], s[8:9], v[0:1]
	v_cvt_u32_f64_e32 v0, v[0:1]
	global_store_byte v[4:5], v0, off
.LBB9_177:
.LBB9_178:
	v_add_u32_e32 v11, 0x80, v11
	s_mov_b64 s[8:9], -1
	s_branch .LBB9_289
.LBB9_179:
	s_mov_b64 s[2:3], -1
                                        ; implicit-def: $vgpr3_vgpr4
.LBB9_180:
	s_mov_b64 s[8:9], 0
.LBB9_181:
	s_and_b64 vcc, exec, s[8:9]
	s_cbranch_vccz .LBB9_185
; %bb.182:
	s_cmp_eq_u32 s12, 29
	s_cbranch_scc0 .LBB9_184
; %bb.183:
	global_load_dwordx2 v[3:4], v[0:1], off
	s_mov_b64 s[0:1], -1
	s_mov_b64 s[2:3], 0
	s_mov_b64 s[8:9], 0
	s_waitcnt vmcnt(0)
	v_cvt_f64_u32_e32 v[4:5], v4
	v_cvt_f64_u32_e32 v[6:7], v3
	v_ldexp_f64 v[4:5], v[4:5], 32
	v_add_f64 v[3:4], v[4:5], v[6:7]
	s_branch .LBB9_186
.LBB9_184:
	s_mov_b64 s[2:3], -1
                                        ; implicit-def: $vgpr3_vgpr4
.LBB9_185:
	s_mov_b64 s[8:9], 0
.LBB9_186:
	s_and_b64 vcc, exec, s[8:9]
	s_cbranch_vccz .LBB9_206
; %bb.187:
	s_cmp_lt_i32 s12, 27
	s_cbranch_scc1 .LBB9_190
; %bb.188:
	s_cmp_gt_i32 s12, 27
	s_cbranch_scc0 .LBB9_191
; %bb.189:
	global_load_dword v3, v[0:1], off
	s_mov_b64 s[0:1], 0
	s_waitcnt vmcnt(0)
	v_cvt_f64_u32_e32 v[3:4], v3
	s_branch .LBB9_192
.LBB9_190:
	s_mov_b64 s[0:1], -1
                                        ; implicit-def: $vgpr3_vgpr4
	s_branch .LBB9_195
.LBB9_191:
	s_mov_b64 s[0:1], -1
                                        ; implicit-def: $vgpr3_vgpr4
.LBB9_192:
	s_andn2_b64 vcc, exec, s[0:1]
	s_cbranch_vccnz .LBB9_194
; %bb.193:
	global_load_ushort v3, v[0:1], off
	s_waitcnt vmcnt(0)
	v_cvt_f64_u32_e32 v[3:4], v3
.LBB9_194:
	s_mov_b64 s[0:1], 0
.LBB9_195:
	s_andn2_b64 vcc, exec, s[0:1]
	s_cbranch_vccnz .LBB9_205
; %bb.196:
	global_load_ubyte v5, v[0:1], off
	s_movk_i32 s0, 0x7f
	s_waitcnt vmcnt(0)
	v_cmp_lt_i16_e32 vcc, s0, v5
	s_mov_b64 s[0:1], 0
	s_and_saveexec_b64 s[8:9], vcc
	s_xor_b64 s[8:9], exec, s[8:9]
	s_cbranch_execz .LBB9_200
; %bb.197:
	s_movk_i32 s0, 0x80
	v_cmp_eq_u16_e32 vcc, s0, v5
	s_mov_b64 s[0:1], -1
	s_and_saveexec_b64 s[10:11], vcc
; %bb.198:
	s_xor_b64 s[0:1], exec, -1
; %bb.199:
	s_or_b64 exec, exec, s[10:11]
	s_and_b64 s[0:1], s[0:1], exec
.LBB9_200:
	s_or_saveexec_b64 s[8:9], s[8:9]
	v_bfrev_b32_e32 v3, 4
	v_mov_b32_e32 v4, 0x7ff80000
	s_xor_b64 exec, exec, s[8:9]
; %bb.201:
	v_cmp_ne_u16_e32 vcc, 0, v5
	v_mov_b32_e32 v3, 0
	s_andn2_b64 s[0:1], s[0:1], exec
	s_and_b64 s[10:11], vcc, exec
	v_mov_b32_e32 v4, 0
	s_or_b64 s[0:1], s[0:1], s[10:11]
; %bb.202:
	s_or_b64 exec, exec, s[8:9]
	s_and_saveexec_b64 s[8:9], s[0:1]
	s_cbranch_execz .LBB9_204
; %bb.203:
	v_and_b32_e32 v4, 0xffff, v5
	v_lshlrev_b32_e32 v3, 24, v5
	v_and_b32_e32 v5, 7, v4
	v_ffbh_u32_e32 v7, v5
	v_min_u32_e32 v7, 32, v7
	v_subrev_u32_e32 v8, 28, v7
	v_bfe_u32 v6, v4, 3, 4
	v_lshlrev_b32_e32 v4, v8, v4
	v_sub_u32_e32 v7, 29, v7
	v_and_b32_e32 v4, 7, v4
	v_cmp_eq_u32_e32 vcc, 0, v6
	v_cndmask_b32_e32 v6, v6, v7, vcc
	v_cndmask_b32_e32 v4, v5, v4, vcc
	v_mov_b32_e32 v5, 0x3b800000
	v_lshlrev_b32_e32 v4, 20, v4
	v_and_b32_e32 v3, 0x80000000, v3
	v_lshl_add_u32 v5, v6, 23, v5
	v_or3_b32 v3, v3, v5, v4
	v_cvt_f64_f32_e32 v[3:4], v3
.LBB9_204:
	s_or_b64 exec, exec, s[8:9]
.LBB9_205:
	s_mov_b64 s[0:1], -1
.LBB9_206:
	s_branch .LBB9_239
.LBB9_207:
	s_cmp_gt_i32 s12, 22
	s_cbranch_scc0 .LBB9_219
; %bb.208:
	s_cmp_lt_i32 s12, 24
	s_cbranch_scc1 .LBB9_220
; %bb.209:
	s_cmp_gt_i32 s12, 24
	s_cbranch_scc0 .LBB9_221
; %bb.210:
	global_load_ubyte v5, v[0:1], off
	s_movk_i32 s0, 0x7f
	s_waitcnt vmcnt(0)
	v_cmp_lt_i16_e32 vcc, s0, v5
	s_mov_b64 s[0:1], 0
	s_and_saveexec_b64 s[8:9], vcc
	s_xor_b64 s[8:9], exec, s[8:9]
	s_cbranch_execz .LBB9_214
; %bb.211:
	s_movk_i32 s0, 0x80
	v_cmp_eq_u16_e32 vcc, s0, v5
	s_mov_b64 s[0:1], -1
	s_and_saveexec_b64 s[10:11], vcc
; %bb.212:
	s_xor_b64 s[0:1], exec, -1
; %bb.213:
	s_or_b64 exec, exec, s[10:11]
	s_and_b64 s[0:1], s[0:1], exec
.LBB9_214:
	s_or_saveexec_b64 s[8:9], s[8:9]
	v_bfrev_b32_e32 v3, 4
	v_mov_b32_e32 v4, 0x7ff80000
	s_xor_b64 exec, exec, s[8:9]
; %bb.215:
	v_cmp_ne_u16_e32 vcc, 0, v5
	v_mov_b32_e32 v3, 0
	s_andn2_b64 s[0:1], s[0:1], exec
	s_and_b64 s[10:11], vcc, exec
	v_mov_b32_e32 v4, 0
	s_or_b64 s[0:1], s[0:1], s[10:11]
; %bb.216:
	s_or_b64 exec, exec, s[8:9]
	s_and_saveexec_b64 s[8:9], s[0:1]
	s_cbranch_execz .LBB9_218
; %bb.217:
	v_and_b32_e32 v4, 0xffff, v5
	v_lshlrev_b32_e32 v3, 24, v5
	v_and_b32_e32 v5, 3, v4
	v_ffbh_u32_e32 v7, v5
	v_min_u32_e32 v7, 32, v7
	v_subrev_u32_e32 v8, 29, v7
	v_bfe_u32 v6, v4, 2, 5
	v_lshlrev_b32_e32 v4, v8, v4
	v_sub_u32_e32 v7, 30, v7
	v_and_b32_e32 v4, 3, v4
	v_cmp_eq_u32_e32 vcc, 0, v6
	v_cndmask_b32_e32 v6, v6, v7, vcc
	v_cndmask_b32_e32 v4, v5, v4, vcc
	v_mov_b32_e32 v5, 0x37800000
	v_lshlrev_b32_e32 v4, 21, v4
	v_and_b32_e32 v3, 0x80000000, v3
	v_lshl_add_u32 v5, v6, 23, v5
	v_or3_b32 v3, v3, v5, v4
	v_cvt_f64_f32_e32 v[3:4], v3
.LBB9_218:
	s_or_b64 exec, exec, s[8:9]
	s_mov_b64 s[0:1], 0
	s_branch .LBB9_222
.LBB9_219:
	s_mov_b64 s[8:9], -1
                                        ; implicit-def: $vgpr3_vgpr4
	s_branch .LBB9_228
.LBB9_220:
	s_mov_b64 s[0:1], -1
                                        ; implicit-def: $vgpr3_vgpr4
	s_branch .LBB9_225
.LBB9_221:
	s_mov_b64 s[0:1], -1
                                        ; implicit-def: $vgpr3_vgpr4
.LBB9_222:
	s_and_b64 vcc, exec, s[0:1]
	s_cbranch_vccz .LBB9_224
; %bb.223:
	global_load_ubyte v3, v[0:1], off
	s_mov_b32 s0, 0x7f800000
	s_waitcnt vmcnt(0)
	v_lshlrev_b32_e32 v3, 24, v3
	v_and_b32_e32 v4, 0x7f000000, v3
	v_ffbh_u32_e32 v5, v4
	v_min_u32_e32 v5, 32, v5
	v_sub_u32_e64 v5, v5, 4 clamp
	v_lshlrev_b32_e32 v7, v5, v4
	v_lshlrev_b32_e32 v5, 23, v5
	v_lshrrev_b32_e32 v7, 4, v7
	v_add_u32_e32 v6, 0x1000000, v4
	v_sub_u32_e32 v5, v7, v5
	v_ashrrev_i32_e32 v6, 8, v6
	v_add_u32_e32 v5, 0x3c000000, v5
	v_and_or_b32 v5, v6, s0, v5
	v_cmp_ne_u32_e32 vcc, 0, v4
	v_cndmask_b32_e32 v4, 0, v5, vcc
	s_brev_b32 s0, 1
	v_and_or_b32 v3, v3, s0, v4
	v_cvt_f64_f32_e32 v[3:4], v3
.LBB9_224:
	s_mov_b64 s[0:1], 0
.LBB9_225:
	s_andn2_b64 vcc, exec, s[0:1]
	s_cbranch_vccnz .LBB9_227
; %bb.226:
	global_load_ubyte v3, v[0:1], off
	s_movk_i32 s0, 0x7f00
	s_brev_b32 s1, 16
	s_waitcnt vmcnt(0)
	v_lshlrev_b16_e32 v4, 8, v3
	v_lshlrev_b32_e32 v3, 25, v3
	v_lshrrev_b32_e32 v5, 4, v3
	v_and_or_b32 v6, v4, s0, 0.5
	v_or_b32_e32 v5, 0x70000000, v5
	v_add_f32_e32 v6, -0.5, v6
	v_mul_f32_e32 v5, 0x7800000, v5
	v_cmp_gt_u32_e32 vcc, s1, v3
	v_bfe_i32 v4, v4, 0, 16
	v_cndmask_b32_e32 v3, v5, v6, vcc
	s_brev_b32 s0, 1
	v_and_or_b32 v3, v4, s0, v3
	v_cvt_f64_f32_e32 v[3:4], v3
.LBB9_227:
	s_mov_b64 s[8:9], 0
	s_mov_b64 s[0:1], -1
.LBB9_228:
	s_andn2_b64 vcc, exec, s[8:9]
	s_cbranch_vccnz .LBB9_239
; %bb.229:
	s_cmp_gt_i32 s12, 14
	s_cbranch_scc0 .LBB9_232
; %bb.230:
	s_cmp_eq_u32 s12, 15
	s_cbranch_scc0 .LBB9_233
; %bb.231:
	global_load_ushort v3, v[0:1], off
	s_mov_b64 s[0:1], -1
	s_mov_b64 s[2:3], 0
	s_waitcnt vmcnt(0)
	v_lshlrev_b32_e32 v3, 16, v3
	v_cvt_f64_f32_e32 v[3:4], v3
	s_branch .LBB9_234
.LBB9_232:
	s_mov_b64 s[8:9], -1
                                        ; implicit-def: $vgpr3_vgpr4
	s_branch .LBB9_235
.LBB9_233:
	s_mov_b64 s[2:3], -1
                                        ; implicit-def: $vgpr3_vgpr4
.LBB9_234:
	s_mov_b64 s[8:9], 0
.LBB9_235:
	s_and_b64 vcc, exec, s[8:9]
	s_cbranch_vccz .LBB9_239
; %bb.236:
	s_cmp_eq_u32 s12, 11
	s_cbranch_scc0 .LBB9_238
; %bb.237:
	global_load_ubyte v4, v[0:1], off
	v_mov_b32_e32 v5, 0x3ff00000
	v_mov_b32_e32 v3, 0
	s_mov_b64 s[0:1], -1
	s_mov_b64 s[2:3], 0
	s_waitcnt vmcnt(0)
	v_cmp_ne_u16_e32 vcc, 0, v4
	v_cndmask_b32_e32 v4, 0, v5, vcc
	s_branch .LBB9_239
.LBB9_238:
	s_mov_b64 s[2:3], -1
                                        ; implicit-def: $vgpr3_vgpr4
.LBB9_239:
	s_branch .LBB9_24
.LBB9_240:
	s_cmp_lt_i32 s12, 5
	s_cbranch_scc1 .LBB9_245
; %bb.241:
	s_cmp_lt_i32 s12, 8
	s_cbranch_scc1 .LBB9_246
; %bb.242:
	;; [unrolled: 3-line block ×3, first 2 shown]
	s_cmp_gt_i32 s12, 9
	s_cbranch_scc0 .LBB9_248
; %bb.244:
	global_load_dwordx2 v[3:4], v[0:1], off
	s_mov_b64 s[0:1], 0
	s_branch .LBB9_249
.LBB9_245:
                                        ; implicit-def: $vgpr3_vgpr4
	s_branch .LBB9_267
.LBB9_246:
	s_mov_b64 s[0:1], -1
                                        ; implicit-def: $vgpr3_vgpr4
	s_branch .LBB9_255
.LBB9_247:
	s_mov_b64 s[0:1], -1
                                        ; implicit-def: $vgpr3_vgpr4
	s_branch .LBB9_252
.LBB9_248:
	s_mov_b64 s[0:1], -1
                                        ; implicit-def: $vgpr3_vgpr4
.LBB9_249:
	s_andn2_b64 vcc, exec, s[0:1]
	s_cbranch_vccnz .LBB9_251
; %bb.250:
	global_load_dword v3, v[0:1], off
	s_waitcnt vmcnt(0)
	v_cvt_f64_f32_e32 v[3:4], v3
.LBB9_251:
	s_mov_b64 s[0:1], 0
.LBB9_252:
	s_andn2_b64 vcc, exec, s[0:1]
	s_cbranch_vccnz .LBB9_254
; %bb.253:
	global_load_dword v3, v[0:1], off
	s_waitcnt vmcnt(0)
	v_cvt_f32_f16_e32 v3, v3
	v_cvt_f64_f32_e32 v[3:4], v3
.LBB9_254:
	s_mov_b64 s[0:1], 0
.LBB9_255:
	s_andn2_b64 vcc, exec, s[0:1]
	s_cbranch_vccnz .LBB9_266
; %bb.256:
	s_cmp_lt_i32 s12, 6
	s_cbranch_scc1 .LBB9_259
; %bb.257:
	s_cmp_gt_i32 s12, 6
	s_cbranch_scc0 .LBB9_260
; %bb.258:
	global_load_dwordx2 v[3:4], v[0:1], off
	s_mov_b64 s[0:1], 0
	s_branch .LBB9_261
.LBB9_259:
	s_mov_b64 s[0:1], -1
                                        ; implicit-def: $vgpr3_vgpr4
	s_branch .LBB9_264
.LBB9_260:
	s_mov_b64 s[0:1], -1
                                        ; implicit-def: $vgpr3_vgpr4
.LBB9_261:
	s_andn2_b64 vcc, exec, s[0:1]
	s_cbranch_vccnz .LBB9_263
; %bb.262:
	global_load_dword v3, v[0:1], off
	s_waitcnt vmcnt(0)
	v_cvt_f64_f32_e32 v[3:4], v3
.LBB9_263:
	s_mov_b64 s[0:1], 0
.LBB9_264:
	s_andn2_b64 vcc, exec, s[0:1]
	s_cbranch_vccnz .LBB9_266
; %bb.265:
	global_load_ushort v3, v[0:1], off
	s_waitcnt vmcnt(0)
	v_cvt_f32_f16_e32 v3, v3
	v_cvt_f64_f32_e32 v[3:4], v3
.LBB9_266:
	s_cbranch_execnz .LBB9_286
.LBB9_267:
	s_cmp_lt_i32 s12, 2
	s_cbranch_scc1 .LBB9_271
; %bb.268:
	s_cmp_lt_i32 s12, 3
	s_cbranch_scc1 .LBB9_272
; %bb.269:
	s_cmp_gt_i32 s12, 3
	s_cbranch_scc0 .LBB9_273
; %bb.270:
	global_load_dwordx2 v[3:4], v[0:1], off
	s_mov_b64 s[0:1], 0
	s_waitcnt vmcnt(0)
	v_cvt_f64_i32_e32 v[4:5], v4
	v_cvt_f64_u32_e32 v[6:7], v3
	v_ldexp_f64 v[4:5], v[4:5], 32
	v_add_f64 v[3:4], v[4:5], v[6:7]
	s_branch .LBB9_274
.LBB9_271:
	s_mov_b64 s[0:1], -1
                                        ; implicit-def: $vgpr3_vgpr4
	s_branch .LBB9_280
.LBB9_272:
	s_mov_b64 s[0:1], -1
                                        ; implicit-def: $vgpr3_vgpr4
	s_branch .LBB9_277
.LBB9_273:
	s_mov_b64 s[0:1], -1
                                        ; implicit-def: $vgpr3_vgpr4
.LBB9_274:
	s_andn2_b64 vcc, exec, s[0:1]
	s_cbranch_vccnz .LBB9_276
; %bb.275:
	global_load_dword v3, v[0:1], off
	s_waitcnt vmcnt(0)
	v_cvt_f64_i32_e32 v[3:4], v3
.LBB9_276:
	s_mov_b64 s[0:1], 0
.LBB9_277:
	s_andn2_b64 vcc, exec, s[0:1]
	s_cbranch_vccnz .LBB9_279
; %bb.278:
	global_load_sshort v3, v[0:1], off
	s_waitcnt vmcnt(0)
	v_cvt_f64_i32_e32 v[3:4], v3
.LBB9_279:
	s_mov_b64 s[0:1], 0
.LBB9_280:
	s_andn2_b64 vcc, exec, s[0:1]
	s_cbranch_vccnz .LBB9_286
; %bb.281:
	s_cmp_gt_i32 s12, 0
	s_cbranch_scc0 .LBB9_283
; %bb.282:
	global_load_sbyte v3, v[0:1], off
	s_mov_b64 s[0:1], 0
	s_waitcnt vmcnt(0)
	v_cvt_f64_i32_e32 v[3:4], v3
	s_branch .LBB9_284
.LBB9_283:
	s_mov_b64 s[0:1], -1
                                        ; implicit-def: $vgpr3_vgpr4
.LBB9_284:
	s_andn2_b64 vcc, exec, s[0:1]
	s_cbranch_vccnz .LBB9_286
; %bb.285:
	global_load_ubyte v0, v[0:1], off
	s_waitcnt vmcnt(0)
	v_cvt_f64_u32_e32 v[3:4], v0
.LBB9_286:
	s_branch .LBB9_25
.LBB9_287:
	s_mov_b64 s[0:1], 0
.LBB9_288:
	s_mov_b64 s[8:9], 0
                                        ; implicit-def: $vgpr11
.LBB9_289:
	s_and_b64 s[52:53], s[0:1], exec
	s_and_b64 s[54:55], s[2:3], exec
	s_orn2_b64 s[2:3], s[8:9], exec
.LBB9_290:
	s_or_b64 exec, exec, s[56:57]
	s_mov_b64 s[10:11], 0
	s_mov_b64 s[0:1], 0
                                        ; implicit-def: $vgpr0_vgpr1
                                        ; implicit-def: $vgpr2
                                        ; implicit-def: $vgpr3_vgpr4
	s_and_saveexec_b64 s[56:57], s[2:3]
	s_cbranch_execz .LBB9_297
; %bb.291:
	v_cmp_gt_i32_e32 vcc, s70, v11
	s_mov_b64 s[0:1], -1
	s_mov_b64 s[58:59], s[54:55]
	s_mov_b64 s[60:61], s[52:53]
	s_and_saveexec_b64 s[62:63], vcc
	s_cbranch_execz .LBB9_590
; %bb.292:
	s_andn2_b64 vcc, exec, s[40:41]
	s_cbranch_vccnz .LBB9_300
; %bb.293:
	s_andn2_b64 vcc, exec, s[50:51]
	s_cbranch_vccnz .LBB9_301
; %bb.294:
	s_add_i32 s65, s75, 1
	s_cmp_eq_u32 s72, 2
	s_cbranch_scc1 .LBB9_302
; %bb.295:
	s_and_b32 s64, s65, 28
	v_mov_b32_e32 v0, 0
	s_mov_b32 s66, 0
	s_mov_b64 s[58:59], s[34:35]
	s_mov_b64 s[60:61], s[48:49]
	v_mov_b32_e32 v2, 0
	v_mov_b32_e32 v1, v11
.LBB9_296:                              ; =>This Inner Loop Header: Depth=1
	s_load_dwordx8 s[16:23], s[58:59], 0x4
	s_load_dwordx4 s[0:3], s[58:59], 0x24
	s_load_dwordx8 s[8:15], s[60:61], 0x0
	s_add_u32 s58, s58, 48
	s_addc_u32 s59, s59, 0
	s_waitcnt vmcnt(0) lgkmcnt(0)
	v_mul_hi_u32 v3, s17, v1
	s_add_i32 s66, s66, 4
	s_add_u32 s60, s60, 32
	s_addc_u32 s61, s61, 0
	v_add_u32_e32 v3, v1, v3
	v_lshrrev_b32_e32 v3, s18, v3
	v_mul_lo_u32 v4, v3, s16
	v_mul_hi_u32 v5, s20, v3
	s_cmp_eq_u32 s64, s66
	v_sub_u32_e32 v1, v1, v4
	v_add_u32_e32 v4, v3, v5
	v_mul_lo_u32 v5, v1, s8
	v_mul_lo_u32 v6, v1, s9
	v_lshrrev_b32_e32 v1, s21, v4
	v_mul_lo_u32 v4, v1, s19
	v_mul_hi_u32 v7, s23, v1
	v_sub_u32_e32 v3, v3, v4
	v_add_u32_e32 v4, v1, v7
	v_lshrrev_b32_e32 v4, s0, v4
	v_mul_hi_u32 v8, s2, v4
	v_mul_lo_u32 v9, v4, s22
	v_mul_lo_u32 v7, v3, s10
	;; [unrolled: 1-line block ×3, first 2 shown]
	v_sub_u32_e32 v9, v1, v9
	v_add_u32_e32 v1, v4, v8
	v_lshrrev_b32_e32 v1, s3, v1
	v_mul_lo_u32 v8, v1, s1
	v_mul_lo_u32 v10, v9, s12
	;; [unrolled: 1-line block ×3, first 2 shown]
	v_add3_u32 v2, v5, v2, v7
	v_sub_u32_e32 v4, v4, v8
	v_mul_lo_u32 v8, v4, s14
	v_mul_lo_u32 v4, v4, s15
	v_add3_u32 v0, v6, v0, v3
	v_add3_u32 v2, v10, v2, v8
	v_add3_u32 v0, v9, v0, v4
	s_cbranch_scc0 .LBB9_296
	s_branch .LBB9_303
.LBB9_297:
	s_or_b64 exec, exec, s[56:57]
	s_mov_b64 s[2:3], 0
	s_and_saveexec_b64 s[8:9], s[54:55]
	s_cbranch_execnz .LBB9_990
.LBB9_298:
	s_or_b64 exec, exec, s[8:9]
	s_and_saveexec_b64 s[8:9], s[60:61]
	s_xor_b64 s[8:9], exec, s[8:9]
	s_cbranch_execz .LBB9_991
.LBB9_299:
	global_load_ubyte v4, v[0:1], off
	v_mov_b32_e32 v5, 0x3ff00000
	s_waitcnt vmcnt(1)
	v_mov_b32_e32 v3, 0
	s_or_b64 s[0:1], s[0:1], exec
	s_waitcnt vmcnt(0)
	v_cmp_ne_u16_e32 vcc, 0, v4
	v_cndmask_b32_e32 v4, 0, v5, vcc
	s_or_b64 exec, exec, s[8:9]
	s_and_saveexec_b64 s[8:9], s[10:11]
	s_cbranch_execz .LBB9_1037
	s_branch .LBB9_992
.LBB9_300:
                                        ; implicit-def: $vgpr2
                                        ; implicit-def: $vgpr0
	s_andn2_b64 vcc, exec, s[0:1]
	s_cbranch_vccz .LBB9_307
	s_branch .LBB9_309
.LBB9_301:
	v_mov_b32_e32 v2, 0
	v_mov_b32_e32 v0, 0
	s_branch .LBB9_306
.LBB9_302:
	s_mov_b32 s64, 0
	v_mov_b32_e32 v2, 0
	v_mov_b32_e32 v0, 0
	;; [unrolled: 1-line block ×3, first 2 shown]
.LBB9_303:
	s_and_b32 s8, s65, 3
	s_cmp_eq_u32 s8, 0
	s_cbranch_scc1 .LBB9_306
; %bb.304:
	s_lshl_b32 s0, s64, 3
	s_add_u32 s0, s34, s0
	s_addc_u32 s1, s35, 0
	s_add_u32 s0, s0, 0xc4
	s_addc_u32 s1, s1, 0
	s_mul_i32 s2, s64, 12
	s_add_u32 s2, s34, s2
	s_addc_u32 s3, s35, 0
.LBB9_305:                              ; =>This Inner Loop Header: Depth=1
	s_load_dwordx2 s[10:11], s[2:3], 0x4
	s_load_dword s9, s[2:3], 0xc
	s_load_dwordx2 s[12:13], s[0:1], 0x0
	s_add_u32 s2, s2, 12
	s_addc_u32 s3, s3, 0
	s_waitcnt vmcnt(0) lgkmcnt(0)
	v_mul_hi_u32 v3, s11, v1
	s_add_u32 s0, s0, 8
	s_addc_u32 s1, s1, 0
	s_add_i32 s8, s8, -1
	v_add_u32_e32 v3, v1, v3
	v_lshrrev_b32_e32 v4, s9, v3
	v_mul_lo_u32 v3, v4, s10
	s_cmp_lg_u32 s8, 0
	v_sub_u32_e32 v1, v1, v3
	v_mad_u64_u32 v[2:3], s[10:11], v1, s12, v[2:3]
	v_mad_u64_u32 v[0:1], s[10:11], v1, s13, v[0:1]
	v_mov_b32_e32 v1, v4
	s_cbranch_scc1 .LBB9_305
.LBB9_306:
	s_cbranch_execnz .LBB9_309
.LBB9_307:
	s_waitcnt lgkmcnt(0)
	v_mul_hi_u32 v0, s37, v11
	s_andn2_b64 vcc, exec, s[46:47]
	v_add_u32_e32 v0, v11, v0
	v_lshrrev_b32_e32 v1, s38, v0
	v_mul_lo_u32 v0, v1, s36
	v_sub_u32_e32 v0, v11, v0
	v_mul_lo_u32 v2, v0, s28
	v_mul_lo_u32 v0, v0, s29
	s_cbranch_vccnz .LBB9_309
; %bb.308:
	s_waitcnt vmcnt(0)
	v_mul_hi_u32 v3, s44, v1
	v_add_u32_e32 v3, v1, v3
	v_lshrrev_b32_e32 v3, s45, v3
	v_mul_lo_u32 v3, v3, s39
	v_sub_u32_e32 v1, v1, v3
	v_mad_u64_u32 v[2:3], s[0:1], v1, s30, v[2:3]
	v_mad_u64_u32 v[0:1], s[0:1], v1, s31, v[0:1]
.LBB9_309:
	s_waitcnt lgkmcnt(0)
	v_mov_b32_e32 v1, s27
	s_and_b32 s12, 0xffff, s74
	v_add_co_u32_e32 v0, vcc, s26, v0
	s_cmp_lt_i32 s12, 11
	v_addc_co_u32_e32 v1, vcc, 0, v1, vcc
	s_cbranch_scc1 .LBB9_316
; %bb.310:
	s_cmp_gt_i32 s12, 25
	s_cbranch_scc0 .LBB9_349
; %bb.311:
	s_cmp_gt_i32 s12, 28
	s_cbranch_scc0 .LBB9_351
	;; [unrolled: 3-line block ×4, first 2 shown]
; %bb.314:
	s_cmp_eq_u32 s12, 46
	s_mov_b64 s[8:9], 0
	s_cbranch_scc0 .LBB9_361
; %bb.315:
	global_load_dword v3, v[0:1], off
	s_mov_b64 s[0:1], -1
	s_mov_b64 s[2:3], 0
	s_waitcnt vmcnt(0)
	v_lshlrev_b32_e32 v3, 16, v3
	v_cvt_f64_f32_e32 v[3:4], v3
	s_branch .LBB9_362
.LBB9_316:
	s_mov_b64 s[0:1], 0
                                        ; implicit-def: $vgpr3_vgpr4
	s_mov_b64 s[2:3], s[54:55]
	s_cbranch_execnz .LBB9_539
.LBB9_317:
	s_andn2_b64 vcc, exec, s[0:1]
	s_cbranch_vccnz .LBB9_587
.LBB9_318:
	s_waitcnt vmcnt(0)
	v_cmp_neq_f64_e32 vcc, 0, v[3:4]
                                        ; implicit-def: $vgpr0_vgpr1
	s_and_saveexec_b64 s[0:1], vcc
	s_xor_b64 s[8:9], exec, s[0:1]
	s_cbranch_execz .LBB9_340
; %bb.319:
	v_cmp_gt_f64_e32 vcc, 0, v[3:4]
	v_mov_b32_e32 v5, 0
	v_mov_b32_e32 v6, 0
	s_mov_b64 s[12:13], -1
	s_and_saveexec_b64 s[10:11], vcc
	s_cbranch_execz .LBB9_327
; %bb.320:
	v_trunc_f64_e32 v[0:1], v[3:4]
	v_mov_b32_e32 v5, 0
	v_mov_b32_e32 v6, 0
	s_mov_b64 s[14:15], 0
	v_cmp_neq_f64_e32 vcc, v[3:4], v[0:1]
	s_and_saveexec_b64 s[12:13], vcc
	s_cbranch_execz .LBB9_326
; %bb.321:
	v_add_f64 v[0:1], v[3:4], -v[0:1]
	s_mov_b32 s0, 0
	s_mov_b32 s15, 0xc00921fb
	;; [unrolled: 1-line block ×4, first 2 shown]
	v_cmp_neq_f64_e64 vcc, |v[3:4]|, s[0:1]
	v_bfrev_b32_e32 v5, 1
	s_mov_b32 s16, 0
	v_mul_f64 v[0:1], |v[0:1]|, s[14:15]
	s_mov_b32 s17, 0x41d00000
                                        ; implicit-def: $vgpr9
                                        ; implicit-def: $vgpr7_vgpr8
	v_cndmask_b32_e32 v1, v5, v1, vcc
	v_cndmask_b32_e32 v0, 0, v0, vcc
	v_cmp_nlt_f64_e64 s[16:17], |v[0:1]|, s[16:17]
                                        ; implicit-def: $vgpr5_vgpr6
	s_and_saveexec_b64 s[18:19], s[16:17]
	s_xor_b64 s[16:17], exec, s[18:19]
	s_cbranch_execz .LBB9_323
; %bb.322:
	v_trig_preop_f64 v[5:6], |v[0:1]|, 0
	s_mov_b32 s18, 0
	s_mov_b32 s19, 0x7b000000
	s_movk_i32 s15, 0xff80
	v_ldexp_f64 v[9:10], |v[0:1]|, s15
	v_cmp_ge_f64_e64 vcc, |v[0:1]|, s[18:19]
	v_trig_preop_f64 v[7:8], |v[0:1]|, 1
	v_and_b32_e32 v12, 0x7fffffff, v1
	v_trig_preop_f64 v[18:19], |v[0:1]|, 2
	v_mov_b32_e32 v29, 0x40100000
	v_mov_b32_e32 v28, 0
	s_mov_b32 s15, 0x3ff921fb
	v_cndmask_b32_e32 v10, v12, v10, vcc
	v_cndmask_b32_e32 v9, v0, v9, vcc
	v_mul_f64 v[12:13], v[5:6], v[9:10]
	v_mul_f64 v[14:15], v[7:8], v[9:10]
	;; [unrolled: 1-line block ×3, first 2 shown]
	v_fma_f64 v[5:6], v[5:6], v[9:10], -v[12:13]
	v_fma_f64 v[7:8], v[7:8], v[9:10], -v[14:15]
	;; [unrolled: 1-line block ×3, first 2 shown]
	v_add_f64 v[16:17], v[14:15], v[5:6]
	v_add_f64 v[20:21], v[16:17], -v[14:15]
	v_add_f64 v[26:27], v[12:13], v[16:17]
	v_add_f64 v[22:23], v[16:17], -v[20:21]
	v_add_f64 v[5:6], v[5:6], -v[20:21]
	v_add_f64 v[20:21], v[24:25], v[7:8]
	v_add_f64 v[12:13], v[26:27], -v[12:13]
	v_add_f64 v[14:15], v[14:15], -v[22:23]
	v_ldexp_f64 v[22:23], v[26:27], -2
	v_add_f64 v[30:31], v[20:21], -v[24:25]
	v_add_f64 v[12:13], v[16:17], -v[12:13]
	v_add_f64 v[5:6], v[5:6], v[14:15]
	v_fract_f64_e32 v[14:15], v[22:23]
	v_cmp_neq_f64_e64 vcc, |v[22:23]|, s[0:1]
	v_add_f64 v[7:8], v[7:8], -v[30:31]
	v_add_f64 v[16:17], v[20:21], v[5:6]
	v_ldexp_f64 v[14:15], v[14:15], 2
	v_add_f64 v[22:23], v[12:13], v[16:17]
	v_cndmask_b32_e32 v15, 0, v15, vcc
	v_cndmask_b32_e32 v14, 0, v14, vcc
	v_add_f64 v[32:33], v[16:17], -v[20:21]
	v_add_f64 v[26:27], v[22:23], v[14:15]
	v_add_f64 v[12:13], v[22:23], -v[12:13]
	v_add_f64 v[34:35], v[16:17], -v[32:33]
	;; [unrolled: 1-line block ×3, first 2 shown]
	v_cmp_gt_f64_e32 vcc, 0, v[26:27]
	v_add_f64 v[26:27], v[20:21], -v[30:31]
	v_add_f64 v[12:13], v[16:17], -v[12:13]
	;; [unrolled: 1-line block ×3, first 2 shown]
	v_cndmask_b32_e32 v29, 0, v29, vcc
	v_add_f64 v[14:15], v[14:15], v[28:29]
	v_add_f64 v[26:27], v[24:25], -v[26:27]
	v_add_f64 v[5:6], v[5:6], v[20:21]
	v_add_f64 v[36:37], v[22:23], v[14:15]
	;; [unrolled: 1-line block ×3, first 2 shown]
	v_cvt_i32_f64_e32 v31, v[36:37]
	v_add_f64 v[5:6], v[7:8], v[5:6]
	v_cvt_f64_i32_e32 v[29:30], v31
	v_add_f64 v[14:15], v[14:15], -v[29:30]
	v_add_f64 v[5:6], v[9:10], v[5:6]
	v_add_f64 v[7:8], v[22:23], v[14:15]
	;; [unrolled: 1-line block ×3, first 2 shown]
	v_add_f64 v[9:10], v[7:8], -v[14:15]
	v_cmp_le_f64_e32 vcc, 0.5, v[7:8]
	v_add_f64 v[12:13], v[22:23], -v[9:10]
	v_mov_b32_e32 v10, 0x3ff00000
	v_cndmask_b32_e32 v29, 0, v10, vcc
	v_add_f64 v[7:8], v[7:8], -v[28:29]
	v_addc_co_u32_e64 v9, s[0:1], 0, v31, vcc
	s_mov_b32 s0, 0x33145c07
	s_mov_b32 s1, 0x3c91a626
	v_add_f64 v[5:6], v[5:6], v[12:13]
	v_add_f64 v[12:13], v[7:8], v[5:6]
	v_mul_f64 v[14:15], v[12:13], s[14:15]
	v_add_f64 v[7:8], v[12:13], -v[7:8]
	v_fma_f64 v[16:17], v[12:13], s[14:15], -v[14:15]
	v_add_f64 v[5:6], v[5:6], -v[7:8]
	v_fma_f64 v[7:8], v[12:13], s[0:1], v[16:17]
	v_fma_f64 v[7:8], v[5:6], s[14:15], v[7:8]
	v_add_f64 v[5:6], v[14:15], v[7:8]
	v_add_f64 v[12:13], v[5:6], -v[14:15]
	v_add_f64 v[7:8], v[7:8], -v[12:13]
.LBB9_323:
	s_andn2_saveexec_b64 s[0:1], s[16:17]
	s_cbranch_execz .LBB9_325
; %bb.324:
	s_mov_b32 s14, 0x6dc9c883
	s_mov_b32 s15, 0x3fe45f30
	v_mul_f64 v[5:6], |v[0:1]|, s[14:15]
	s_mov_b32 s14, 0x54442d18
	s_mov_b32 s15, 0xbff921fb
	;; [unrolled: 1-line block ×4, first 2 shown]
	v_rndne_f64_e32 v[9:10], v[5:6]
	v_fma_f64 v[5:6], v[9:10], s[14:15], |v[0:1]|
	v_mul_f64 v[7:8], v[9:10], s[16:17]
	s_mov_b32 s14, 0x252049c0
	s_mov_b32 s15, 0xb97b839a
	v_fma_f64 v[16:17], v[9:10], s[16:17], v[5:6]
	v_add_f64 v[12:13], v[5:6], v[7:8]
	s_mov_b32 s17, 0x3c91a626
	v_add_f64 v[14:15], v[5:6], -v[12:13]
	v_add_f64 v[12:13], v[12:13], -v[16:17]
	v_add_f64 v[5:6], v[14:15], v[7:8]
	v_fma_f64 v[7:8], v[9:10], s[16:17], v[7:8]
	v_add_f64 v[5:6], v[12:13], v[5:6]
	v_add_f64 v[5:6], v[5:6], -v[7:8]
	v_fma_f64 v[7:8], v[9:10], s[14:15], v[5:6]
	v_cvt_i32_f64_e32 v9, v[9:10]
	v_add_f64 v[5:6], v[16:17], v[7:8]
	v_add_f64 v[12:13], v[5:6], -v[16:17]
	v_add_f64 v[7:8], v[7:8], -v[12:13]
.LBB9_325:
	s_or_b64 exec, exec, s[0:1]
	v_mul_f64 v[12:13], v[5:6], v[5:6]
	v_add_f64 v[14:15], v[7:8], v[7:8]
	s_mov_b32 s0, 0xc751c08c
	s_mov_b32 s1, 0x3ef5e089
	v_and_b32_e32 v9, 1, v9
	v_cmp_eq_u32_e32 vcc, 0, v9
	v_and_b32_e32 v10, 0x80000000, v1
	s_mov_b32 s16, 0x54442d18
	v_fma_f64 v[16:17], v[5:6], v[5:6], -v[12:13]
	s_mov_b32 s17, 0xc00921fb
	v_add_f64 v[3:4], -v[3:4], 1.0
	s_mov_b64 s[14:15], exec
	v_fma_f64 v[14:15], v[5:6], v[14:15], v[16:17]
	v_add_f64 v[12:13], v[12:13], v[14:15]
	v_mov_b32_e32 v14, 0xa9a29f71
	v_mov_b32_e32 v15, 0xbf078809
	v_fma_f64 v[14:15], v[12:13], s[0:1], v[14:15]
	s_mov_b32 s0, 0x90a8aae0
	s_mov_b32 s1, 0x3f17746f
	v_fma_f64 v[14:15], v[12:13], v[14:15], s[0:1]
	s_mov_b32 s0, 0xa6fbf144
	s_mov_b32 s1, 0xbefbb44d
	;; [unrolled: 3-line block ×12, first 2 shown]
	v_fma_f64 v[14:15], v[12:13], v[14:15], s[0:1]
	s_movk_i32 s0, 0x1f8
	v_cmp_class_f64_e64 s[0:1], v[0:1], s0
	v_mov_b32_e32 v1, 0x7ff80000
	v_mul_f64 v[12:13], v[12:13], v[14:15]
	v_mul_f64 v[14:15], v[5:6], v[12:13]
	v_add_f64 v[16:17], v[5:6], v[14:15]
	v_fma_f64 v[12:13], v[5:6], v[12:13], -v[14:15]
	v_add_f64 v[5:6], v[16:17], -v[5:6]
	v_add_f64 v[7:8], v[7:8], v[12:13]
	v_add_f64 v[5:6], v[14:15], -v[5:6]
	v_add_f64 v[5:6], v[7:8], v[5:6]
	v_add_f64 v[7:8], v[16:17], v[5:6]
	v_rcp_f64_e32 v[12:13], v[7:8]
	v_fma_f64 v[14:15], -v[7:8], v[12:13], 1.0
	v_fma_f64 v[12:13], v[14:15], v[12:13], v[12:13]
	v_fma_f64 v[14:15], -v[7:8], v[12:13], 1.0
	v_fma_f64 v[12:13], v[14:15], v[12:13], v[12:13]
	v_add_f64 v[14:15], v[7:8], -v[16:17]
	v_mul_f64 v[16:17], v[7:8], v[12:13]
	v_add_f64 v[5:6], v[5:6], -v[14:15]
	v_fma_f64 v[14:15], v[12:13], v[7:8], -v[16:17]
	v_fma_f64 v[5:6], v[12:13], v[5:6], v[14:15]
	v_add_f64 v[14:15], v[16:17], v[5:6]
	v_add_f64 v[18:19], -v[14:15], 1.0
	v_add_f64 v[16:17], v[14:15], -v[16:17]
	v_add_f64 v[20:21], -v[18:19], 1.0
	v_add_f64 v[5:6], v[16:17], -v[5:6]
	v_add_f64 v[14:15], v[20:21], -v[14:15]
	v_add_f64 v[5:6], v[5:6], v[14:15]
	v_add_f64 v[5:6], v[18:19], v[5:6]
	v_mul_f64 v[5:6], v[12:13], v[5:6]
	v_add_f64 v[5:6], v[12:13], v[5:6]
	v_xor_b32_e32 v0, 0x80000000, v6
	v_cndmask_b32_e32 v5, v5, v7, vcc
	v_cndmask_b32_e32 v6, v0, v8, vcc
	v_cndmask_b32_e64 v0, 0, v5, s[0:1]
	v_xor_b32_e32 v5, v6, v10
	v_cndmask_b32_e64 v1, v1, v5, s[0:1]
	v_div_scale_f64 v[5:6], s[0:1], v[0:1], v[0:1], s[16:17]
	v_rcp_f64_e32 v[7:8], v[5:6]
	v_fma_f64 v[9:10], -v[5:6], v[7:8], 1.0
	v_fma_f64 v[7:8], v[7:8], v[9:10], v[7:8]
	v_div_scale_f64 v[9:10], vcc, s[16:17], v[0:1], s[16:17]
	v_fma_f64 v[12:13], -v[5:6], v[7:8], 1.0
	v_fma_f64 v[7:8], v[7:8], v[12:13], v[7:8]
	v_mul_f64 v[12:13], v[9:10], v[7:8]
	v_fma_f64 v[5:6], -v[5:6], v[12:13], v[9:10]
	v_div_fmas_f64 v[5:6], v[5:6], v[7:8], v[12:13]
	v_div_fixup_f64 v[5:6], v[5:6], v[0:1], s[16:17]
.LBB9_326:
	s_or_b64 exec, exec, s[12:13]
	s_orn2_b64 s[12:13], s[14:15], exec
.LBB9_327:
	s_or_b64 exec, exec, s[10:11]
	v_mov_b32_e32 v0, 0
	v_mov_b32_e32 v1, 0x7ff80000
	s_and_saveexec_b64 s[0:1], s[12:13]
	s_cbranch_execz .LBB9_339
; %bb.328:
	s_mov_b32 s12, 0
	s_mov_b32 s13, 0x40240000
	v_cmp_gt_f64_e32 vcc, s[12:13], v[3:4]
	s_and_saveexec_b64 s[10:11], vcc
	s_cbranch_execz .LBB9_332
; %bb.329:
	s_mov_b64 s[14:15], 0
.LBB9_330:                              ; =>This Inner Loop Header: Depth=1
	v_div_scale_f64 v[0:1], s[16:17], v[3:4], v[3:4], 1.0
	v_rcp_f64_e32 v[7:8], v[0:1]
	v_fma_f64 v[9:10], -v[0:1], v[7:8], 1.0
	v_fma_f64 v[7:8], v[7:8], v[9:10], v[7:8]
	v_div_scale_f64 v[9:10], vcc, 1.0, v[3:4], 1.0
	v_fma_f64 v[12:13], -v[0:1], v[7:8], 1.0
	v_fma_f64 v[7:8], v[7:8], v[12:13], v[7:8]
	v_mul_f64 v[12:13], v[9:10], v[7:8]
	v_fma_f64 v[0:1], -v[0:1], v[12:13], v[9:10]
	v_div_fmas_f64 v[0:1], v[0:1], v[7:8], v[12:13]
	v_div_fixup_f64 v[0:1], v[0:1], v[3:4], 1.0
	v_add_f64 v[3:4], v[3:4], 1.0
	v_add_f64 v[5:6], v[5:6], -v[0:1]
	v_cmp_ngt_f64_e32 vcc, s[12:13], v[3:4]
	s_or_b64 s[14:15], vcc, s[14:15]
	s_andn2_b64 exec, exec, s[14:15]
	s_cbranch_execnz .LBB9_330
; %bb.331:
	s_or_b64 exec, exec, s[14:15]
.LBB9_332:
	s_or_b64 exec, exec, s[10:11]
	s_mov_b32 s10, 0
	s_mov_b32 s11, 0x40240000
	v_cmp_neq_f64_e32 vcc, s[10:11], v[3:4]
                                        ; implicit-def: $vgpr0_vgpr1
	s_and_saveexec_b64 s[10:11], vcc
	s_xor_b64 s[10:11], exec, s[10:11]
	s_cbranch_execz .LBB9_336
; %bb.333:
	s_mov_b32 s12, 0x85d8a000
	s_mov_b32 s13, 0x43763457
	v_cmp_gt_f64_e32 vcc, s[12:13], v[3:4]
	v_mov_b32_e32 v0, 0
	v_mov_b32_e32 v1, 0
	s_and_saveexec_b64 s[12:13], vcc
	s_cbranch_execz .LBB9_335
; %bb.334:
	v_mul_f64 v[0:1], v[3:4], v[3:4]
	s_mov_b32 s16, 0x95995996
	s_mov_b32 s17, 0xbf959959
	;; [unrolled: 1-line block ×4, first 2 shown]
	v_div_scale_f64 v[7:8], s[14:15], v[0:1], v[0:1], 1.0
	v_div_scale_f64 v[14:15], vcc, 1.0, v[0:1], 1.0
	s_mov_b32 s14, 0x55555555
	s_mov_b32 s15, 0x3fb55555
	v_rcp_f64_e32 v[9:10], v[7:8]
	v_fma_f64 v[12:13], -v[7:8], v[9:10], 1.0
	v_fma_f64 v[9:10], v[9:10], v[12:13], v[9:10]
	v_fma_f64 v[12:13], -v[7:8], v[9:10], 1.0
	v_fma_f64 v[9:10], v[9:10], v[12:13], v[9:10]
	v_mul_f64 v[12:13], v[14:15], v[9:10]
	v_fma_f64 v[7:8], -v[7:8], v[12:13], v[14:15]
	v_div_fmas_f64 v[7:8], v[7:8], v[9:10], v[12:13]
	v_div_fixup_f64 v[0:1], v[7:8], v[0:1], 1.0
	v_fma_f64 v[7:8], v[0:1], 0, s[14:15]
	v_fma_f64 v[7:8], v[0:1], v[7:8], s[16:17]
	s_mov_b32 s16, 0xf07c1f08
	s_mov_b32 s17, 0x3f7f07c1
	v_fma_f64 v[7:8], v[0:1], v[7:8], s[16:17]
	s_mov_b32 s17, 0xbf711111
	s_mov_b32 s16, 0x11111111
	v_fma_f64 v[7:8], v[0:1], v[7:8], s[16:17]
	s_mov_b32 s17, 0xbf811111
	v_fma_f64 v[7:8], v[0:1], v[7:8], s[18:19]
	v_fma_f64 v[7:8], v[0:1], v[7:8], s[16:17]
	;; [unrolled: 1-line block ×3, first 2 shown]
	v_mul_f64 v[0:1], v[0:1], v[7:8]
.LBB9_335:
	s_or_b64 exec, exec, s[12:13]
	v_frexp_mant_f64_e32 v[7:8], v[3:4]
	s_mov_b32 s13, 0x3fe55555
	s_mov_b32 s12, 0x55555555
	;; [unrolled: 1-line block ×4, first 2 shown]
	v_cmp_gt_f64_e32 vcc, s[12:13], v[7:8]
	s_mov_b32 s12, 0x55555780
	v_cndmask_b32_e64 v9, 0, 1, vcc
	v_ldexp_f64 v[7:8], v[7:8], v9
	v_add_f64 v[9:10], v[7:8], 1.0
	v_add_f64 v[16:17], v[7:8], -1.0
	v_rcp_f64_e32 v[12:13], v[9:10]
	v_add_f64 v[18:19], v[9:10], -1.0
	v_add_f64 v[7:8], v[7:8], -v[18:19]
	v_fma_f64 v[14:15], -v[9:10], v[12:13], 1.0
	v_fma_f64 v[12:13], v[14:15], v[12:13], v[12:13]
	v_fma_f64 v[14:15], -v[9:10], v[12:13], 1.0
	v_fma_f64 v[12:13], v[14:15], v[12:13], v[12:13]
	v_mul_f64 v[14:15], v[16:17], v[12:13]
	v_mul_f64 v[20:21], v[9:10], v[14:15]
	v_fma_f64 v[9:10], v[14:15], v[9:10], -v[20:21]
	v_fma_f64 v[7:8], v[14:15], v[7:8], v[9:10]
	v_add_f64 v[9:10], v[20:21], v[7:8]
	v_add_f64 v[18:19], v[16:17], -v[9:10]
	v_add_f64 v[20:21], v[9:10], -v[20:21]
	v_add_f64 v[16:17], v[16:17], -v[18:19]
	v_add_f64 v[7:8], v[20:21], -v[7:8]
	v_add_f64 v[9:10], v[16:17], -v[9:10]
	v_mov_b32_e32 v16, 0x6b47b09a
	v_mov_b32_e32 v17, 0x3fc38538
	v_add_f64 v[7:8], v[7:8], v[9:10]
	v_add_f64 v[7:8], v[18:19], v[7:8]
	v_mul_f64 v[7:8], v[12:13], v[7:8]
	v_add_f64 v[9:10], v[14:15], v[7:8]
	v_mul_f64 v[12:13], v[9:10], v[9:10]
	v_fma_f64 v[16:17], v[12:13], s[14:15], v[16:17]
	s_mov_b32 s14, 0xd7f4df2e
	s_mov_b32 s15, 0x3fc7474d
	v_mul_f64 v[18:19], v[9:10], v[12:13]
	v_fma_f64 v[16:17], v[12:13], v[16:17], s[14:15]
	s_mov_b32 s14, 0x16291751
	s_mov_b32 s15, 0x3fcc71c0
	v_fma_f64 v[16:17], v[12:13], v[16:17], s[14:15]
	s_mov_b32 s14, 0x9b27acf1
	s_mov_b32 s15, 0x3fd24924
	;; [unrolled: 3-line block ×3, first 2 shown]
	v_fma_f64 v[16:17], v[12:13], v[16:17], s[14:15]
	v_fma_f64 v[12:13], v[12:13], v[16:17], s[12:13]
	v_ldexp_f64 v[16:17], v[9:10], 1
	v_add_f64 v[9:10], v[9:10], -v[14:15]
	s_mov_b32 s12, 0xfefa39ef
	s_mov_b32 s13, 0x3fe62e42
	v_mul_f64 v[12:13], v[18:19], v[12:13]
	v_frexp_exp_i32_f64_e32 v18, v[3:4]
	v_add_f64 v[7:8], v[7:8], -v[9:10]
	v_add_f64 v[14:15], v[16:17], v[12:13]
	v_subbrev_co_u32_e32 v18, vcc, 0, v18, vcc
	v_cvt_f64_i32_e32 v[18:19], v18
	v_ldexp_f64 v[7:8], v[7:8], 1
	v_mul_f64 v[20:21], v[18:19], s[12:13]
	v_add_f64 v[9:10], v[14:15], -v[16:17]
	v_fma_f64 v[16:17], v[18:19], s[12:13], -v[20:21]
	v_add_f64 v[9:10], v[12:13], -v[9:10]
	s_mov_b32 s12, 0x3b39803f
	s_mov_b32 s13, 0x3c7abc9e
	v_fma_f64 v[12:13], v[18:19], s[12:13], v[16:17]
	v_add_f64 v[7:8], v[7:8], v[9:10]
	v_div_scale_f64 v[9:10], s[12:13], v[3:4], v[3:4], -0.5
	s_movk_i32 s12, 0x204
	v_add_f64 v[16:17], v[20:21], v[12:13]
	v_add_f64 v[18:19], v[14:15], v[7:8]
	v_add_f64 v[20:21], v[16:17], -v[20:21]
	v_add_f64 v[22:23], v[16:17], v[18:19]
	v_rcp_f64_e32 v[24:25], v[9:10]
	v_add_f64 v[14:15], v[18:19], -v[14:15]
	v_add_f64 v[12:13], v[12:13], -v[20:21]
	;; [unrolled: 1-line block ×5, first 2 shown]
	v_fma_f64 v[30:31], -v[9:10], v[24:25], 1.0
	v_add_f64 v[14:15], v[18:19], -v[26:27]
	v_add_f64 v[20:21], v[12:13], v[7:8]
	v_add_f64 v[16:17], v[16:17], -v[28:29]
	v_fma_f64 v[18:19], v[24:25], v[30:31], v[24:25]
	v_add_f64 v[26:27], v[20:21], -v[12:13]
	v_add_f64 v[14:15], v[14:15], v[16:17]
	v_div_scale_f64 v[16:17], vcc, -0.5, v[3:4], -0.5
	v_fma_f64 v[24:25], -v[9:10], v[18:19], 1.0
	v_add_f64 v[7:8], v[7:8], -v[26:27]
	v_add_f64 v[14:15], v[20:21], v[14:15]
	v_add_f64 v[20:21], v[20:21], -v[26:27]
	v_fma_f64 v[18:19], v[18:19], v[24:25], v[18:19]
	v_add_f64 v[24:25], v[22:23], v[14:15]
	v_add_f64 v[12:13], v[12:13], -v[20:21]
	v_mul_f64 v[28:29], v[16:17], v[18:19]
	v_add_f64 v[20:21], v[24:25], -v[22:23]
	v_add_f64 v[7:8], v[7:8], v[12:13]
	v_fma_f64 v[9:10], -v[9:10], v[28:29], v[16:17]
	v_add_f64 v[12:13], v[14:15], -v[20:21]
	v_div_fmas_f64 v[9:10], v[9:10], v[18:19], v[28:29]
	v_cmp_class_f64_e64 vcc, v[3:4], s12
	v_add_f64 v[7:8], v[7:8], v[12:13]
	v_add_f64 v[7:8], v[24:25], v[7:8]
	v_div_fixup_f64 v[9:10], v[9:10], v[3:4], -0.5
	v_cndmask_b32_e32 v4, v8, v4, vcc
	v_cndmask_b32_e32 v3, v7, v3, vcc
	v_add_f64 v[3:4], v[3:4], v[9:10]
	v_add_f64 v[0:1], v[3:4], -v[0:1]
	v_add_f64 v[0:1], v[5:6], v[0:1]
                                        ; implicit-def: $vgpr5_vgpr6
.LBB9_336:
	s_andn2_saveexec_b64 s[10:11], s[10:11]
	s_cbranch_execz .LBB9_338
; %bb.337:
	s_mov_b32 s12, 0xdc85cc95
	s_mov_b32 s13, 0x40020396
	v_add_f64 v[0:1], v[5:6], s[12:13]
.LBB9_338:
	s_or_b64 exec, exec, s[10:11]
.LBB9_339:
	s_or_b64 exec, exec, s[0:1]
                                        ; implicit-def: $vgpr3_vgpr4
.LBB9_340:
	s_andn2_saveexec_b64 s[0:1], s[8:9]
; %bb.341:
	v_xor_b32_e32 v0, 0x80000000, v4
	s_brev_b32 s8, -2
	v_mov_b32_e32 v1, 0x7ff00000
	v_bfi_b32 v1, s8, v1, v0
	v_mov_b32_e32 v0, 0
; %bb.342:
	s_or_b64 exec, exec, s[0:1]
	v_mov_b32_e32 v3, s25
	s_and_b32 s14, s73, 0xff
	v_add_co_u32_e32 v4, vcc, s24, v2
	s_cmp_lt_i32 s14, 11
	v_addc_co_u32_e32 v5, vcc, 0, v3, vcc
	s_cbranch_scc1 .LBB9_350
; %bb.343:
	s_and_b32 s15, 0xffff, s14
	s_cmp_gt_i32 s15, 25
	s_cbranch_scc0 .LBB9_352
; %bb.344:
	s_cmp_gt_i32 s15, 28
	s_cbranch_scc0 .LBB9_354
; %bb.345:
	;; [unrolled: 3-line block ×4, first 2 shown]
	s_mov_b64 s[10:11], 0
	s_mov_b64 s[0:1], -1
	s_cmp_eq_u32 s15, 46
	s_mov_b64 s[8:9], 0
	s_cbranch_scc0 .LBB9_366
; %bb.348:
	v_cvt_f32_f64_e32 v2, v[0:1]
	s_movk_i32 s0, 0x7fff
	v_mov_b32_e32 v3, 0x7fc0
	s_mov_b64 s[8:9], -1
	v_bfe_u32 v6, v2, 16, 1
	v_cmp_o_f32_e32 vcc, v2, v2
	v_add3_u32 v2, v2, v6, s0
	v_cndmask_b32_sdwa v2, v3, v2, vcc dst_sel:DWORD dst_unused:UNUSED_PAD src0_sel:DWORD src1_sel:WORD_1
	global_store_dword v[4:5], v2, off
	s_mov_b64 s[0:1], 0
	s_branch .LBB9_366
.LBB9_349:
	s_mov_b64 s[8:9], -1
	s_mov_b64 s[0:1], 0
	s_mov_b64 s[2:3], s[54:55]
                                        ; implicit-def: $vgpr3_vgpr4
	s_branch .LBB9_505
.LBB9_350:
	s_mov_b64 s[10:11], -1
	s_mov_b64 s[8:9], 0
	s_mov_b64 s[0:1], s[52:53]
	s_branch .LBB9_435
.LBB9_351:
	s_mov_b64 s[8:9], -1
	s_mov_b64 s[0:1], 0
	s_mov_b64 s[2:3], s[54:55]
                                        ; implicit-def: $vgpr3_vgpr4
	s_branch .LBB9_484
.LBB9_352:
	s_mov_b64 s[10:11], -1
	s_mov_b64 s[8:9], 0
	s_mov_b64 s[0:1], s[52:53]
	s_branch .LBB9_393
.LBB9_353:
	s_mov_b64 s[8:9], -1
	s_mov_b64 s[0:1], 0
	s_mov_b64 s[2:3], s[54:55]
                                        ; implicit-def: $vgpr3_vgpr4
	s_branch .LBB9_479
.LBB9_354:
	s_mov_b64 s[10:11], -1
	s_mov_b64 s[8:9], 0
	s_mov_b64 s[0:1], s[52:53]
	s_branch .LBB9_376
.LBB9_355:
	s_andn2_saveexec_b64 s[12:13], s[12:13]
	s_cbranch_execz .LBB9_92
.LBB9_356:
	s_mov_b32 s16, 0x46000000
	v_add_f32_e64 v3, |v2|, s16
	v_and_b32_e32 v3, 0xff, v3
	v_cmp_ne_u32_e32 vcc, 0, v3
	s_andn2_b64 s[10:11], s[10:11], exec
	s_and_b64 s[16:17], vcc, exec
	s_or_b64 s[10:11], s[10:11], s[16:17]
	s_or_b64 exec, exec, s[12:13]
	v_mov_b32_e32 v6, 0
	s_and_saveexec_b64 s[12:13], s[10:11]
	s_cbranch_execnz .LBB9_93
	s_branch .LBB9_94
.LBB9_357:
	s_mov_b64 s[8:9], -1
	s_mov_b64 s[0:1], 0
	s_mov_b64 s[2:3], s[54:55]
                                        ; implicit-def: $vgpr3_vgpr4
	s_branch .LBB9_362
.LBB9_358:
	s_mov_b64 s[10:11], -1
	s_mov_b64 s[8:9], 0
	s_mov_b64 s[0:1], s[52:53]
	s_branch .LBB9_372
.LBB9_359:
	s_andn2_saveexec_b64 s[12:13], s[12:13]
	s_cbranch_execz .LBB9_105
.LBB9_360:
	s_mov_b32 s16, 0x42800000
	v_add_f32_e64 v3, |v2|, s16
	v_and_b32_e32 v3, 0xff, v3
	v_cmp_ne_u32_e32 vcc, 0, v3
	s_andn2_b64 s[10:11], s[10:11], exec
	s_and_b64 s[16:17], vcc, exec
	s_or_b64 s[10:11], s[10:11], s[16:17]
	s_or_b64 exec, exec, s[12:13]
	v_mov_b32_e32 v6, 0
	s_and_saveexec_b64 s[12:13], s[10:11]
	s_cbranch_execnz .LBB9_106
	s_branch .LBB9_107
.LBB9_361:
	s_mov_b64 s[2:3], -1
                                        ; implicit-def: $vgpr3_vgpr4
	s_mov_b64 s[0:1], 0
.LBB9_362:
	s_and_b64 vcc, exec, s[8:9]
	s_cbranch_vccz .LBB9_478
; %bb.363:
	s_cmp_eq_u32 s12, 44
	s_cbranch_scc0 .LBB9_477
; %bb.364:
	global_load_ubyte v5, v[0:1], off
	s_movk_i32 s2, 0xff
	v_bfrev_b32_e32 v6, 4
	v_mov_b32_e32 v7, 0x7ff80000
	v_bfrev_b32_e32 v8, 28
	s_mov_b64 s[0:1], -1
	s_waitcnt vmcnt(0)
	v_lshlrev_b32_e32 v3, 23, v5
	v_cvt_f64_f32_e32 v[3:4], v3
	v_cmp_ne_u32_e32 vcc, s2, v5
	s_mov_b64 s[2:3], 0
	v_cndmask_b32_e32 v3, v6, v3, vcc
	v_cndmask_b32_e32 v4, v7, v4, vcc
	v_cmp_ne_u32_e32 vcc, 0, v5
	v_cndmask_b32_e32 v4, v8, v4, vcc
	v_cndmask_b32_e32 v3, 0, v3, vcc
	s_branch .LBB9_478
.LBB9_365:
	s_mov_b64 s[10:11], -1
	s_mov_b64 s[8:9], 0
	s_mov_b64 s[0:1], s[52:53]
.LBB9_366:
	s_and_b64 vcc, exec, s[10:11]
	s_cbranch_vccz .LBB9_371
; %bb.367:
	s_cmp_eq_u32 s15, 44
	s_mov_b64 s[0:1], -1
	s_cbranch_scc0 .LBB9_371
; %bb.368:
	v_cvt_f32_f64_e32 v2, v[0:1]
	s_movk_i32 s0, 0xff
	v_mov_b32_e32 v6, 0xff
	v_bfe_u32 v3, v2, 23, 8
	v_cmp_ne_u32_e32 vcc, s0, v3
	s_and_saveexec_b64 s[8:9], vcc
; %bb.369:
	s_mov_b32 s0, 0x3fffff
	v_lshrrev_b32_e32 v6, 23, v2
	v_and_b32_e32 v7, 0x400000, v2
	v_and_or_b32 v2, v2, s0, v3
	v_cmp_ne_u32_e32 vcc, 0, v7
	v_cmp_ne_u32_e64 s[0:1], 0, v2
	s_and_b64 s[0:1], vcc, s[0:1]
	v_cndmask_b32_e64 v2, 0, 1, s[0:1]
	v_add_u32_e32 v6, v6, v2
; %bb.370:
	s_or_b64 exec, exec, s[8:9]
	s_mov_b64 s[8:9], -1
	s_mov_b64 s[0:1], 0
	global_store_byte v[4:5], v6, off
.LBB9_371:
	s_mov_b64 s[10:11], 0
.LBB9_372:
	s_and_b64 vcc, exec, s[10:11]
	s_cbranch_vccz .LBB9_375
; %bb.373:
	s_cmp_eq_u32 s15, 29
	s_mov_b64 s[0:1], -1
	s_cbranch_scc0 .LBB9_375
; %bb.374:
	v_trunc_f64_e32 v[2:3], v[0:1]
	s_movk_i32 s0, 0xffe0
	s_mov_b64 s[8:9], -1
	s_mov_b64 s[10:11], 0
	v_ldexp_f64 v[6:7], v[2:3], s0
	s_mov_b32 s0, 0
	s_mov_b32 s1, 0xc1f00000
	v_floor_f64_e32 v[6:7], v[6:7]
	v_fma_f64 v[2:3], v[6:7], s[0:1], v[2:3]
	v_cvt_u32_f64_e32 v7, v[6:7]
	s_mov_b64 s[0:1], 0
	v_cvt_u32_f64_e32 v6, v[2:3]
	global_store_dwordx2 v[4:5], v[6:7], off
	s_branch .LBB9_376
.LBB9_375:
	s_mov_b64 s[10:11], 0
.LBB9_376:
	s_and_b64 vcc, exec, s[10:11]
	s_cbranch_vccz .LBB9_392
; %bb.377:
	s_cmp_lt_i32 s15, 27
	s_mov_b64 s[8:9], -1
	s_cbranch_scc1 .LBB9_383
; %bb.378:
	v_cvt_u32_f64_e32 v2, v[0:1]
	s_cmp_gt_i32 s15, 27
	s_cbranch_scc0 .LBB9_380
; %bb.379:
	s_mov_b64 s[8:9], 0
	global_store_dword v[4:5], v2, off
.LBB9_380:
	s_andn2_b64 vcc, exec, s[8:9]
	s_cbranch_vccnz .LBB9_382
; %bb.381:
	global_store_short v[4:5], v2, off
.LBB9_382:
	s_mov_b64 s[8:9], 0
.LBB9_383:
	s_andn2_b64 vcc, exec, s[8:9]
	s_cbranch_vccnz .LBB9_391
; %bb.384:
	v_cvt_f32_f64_e32 v2, v[0:1]
	s_mov_b32 s8, 0x43800000
	v_mov_b32_e32 v6, 0x80
	v_and_b32_e32 v3, 0x7fffffff, v2
	v_cmp_gt_u32_e32 vcc, s8, v3
	s_and_saveexec_b64 s[8:9], vcc
	s_cbranch_execz .LBB9_390
; %bb.385:
	s_mov_b32 s10, 0x3bffffff
	v_cmp_lt_u32_e32 vcc, s10, v3
	s_mov_b64 s[10:11], 0
                                        ; implicit-def: $vgpr3
	s_and_saveexec_b64 s[12:13], vcc
	s_xor_b64 s[12:13], exec, s[12:13]
	s_cbranch_execz .LBB9_618
; %bb.386:
	v_bfe_u32 v3, v2, 20, 1
	s_mov_b32 s16, 0x487ffff
	v_add3_u32 v3, v2, v3, s16
	s_mov_b64 s[10:11], exec
	v_lshrrev_b32_e32 v3, 20, v3
	s_andn2_saveexec_b64 s[12:13], s[12:13]
	s_cbranch_execnz .LBB9_619
.LBB9_387:
	s_or_b64 exec, exec, s[12:13]
	v_mov_b32_e32 v6, 0
	s_and_saveexec_b64 s[12:13], s[10:11]
.LBB9_388:
	v_lshrrev_b32_e32 v2, 24, v2
	s_movk_i32 s10, 0x80
	v_and_or_b32 v6, v2, s10, v3
.LBB9_389:
	s_or_b64 exec, exec, s[12:13]
.LBB9_390:
	s_or_b64 exec, exec, s[8:9]
	global_store_byte v[4:5], v6, off
.LBB9_391:
	s_mov_b64 s[8:9], -1
.LBB9_392:
	s_mov_b64 s[10:11], 0
.LBB9_393:
	s_and_b64 vcc, exec, s[10:11]
	s_cbranch_vccz .LBB9_434
; %bb.394:
	s_cmp_gt_i32 s15, 22
	s_mov_b64 s[10:11], -1
	s_cbranch_scc0 .LBB9_426
; %bb.395:
	s_cmp_lt_i32 s15, 24
	s_mov_b64 s[8:9], -1
	s_cbranch_scc1 .LBB9_415
; %bb.396:
	s_cmp_gt_i32 s15, 24
	s_cbranch_scc0 .LBB9_404
; %bb.397:
	v_cvt_f32_f64_e32 v2, v[0:1]
	s_mov_b32 s8, 0x47800000
	v_mov_b32_e32 v6, 0x80
	v_and_b32_e32 v3, 0x7fffffff, v2
	v_cmp_gt_u32_e32 vcc, s8, v3
	s_and_saveexec_b64 s[8:9], vcc
	s_cbranch_execz .LBB9_403
; %bb.398:
	s_mov_b32 s10, 0x37ffffff
	v_cmp_lt_u32_e32 vcc, s10, v3
	s_mov_b64 s[10:11], 0
                                        ; implicit-def: $vgpr3
	s_and_saveexec_b64 s[12:13], vcc
	s_xor_b64 s[12:13], exec, s[12:13]
	s_cbranch_execz .LBB9_621
; %bb.399:
	v_bfe_u32 v3, v2, 21, 1
	s_mov_b32 s16, 0x88fffff
	v_add3_u32 v3, v2, v3, s16
	s_mov_b64 s[10:11], exec
	v_lshrrev_b32_e32 v3, 21, v3
	s_andn2_saveexec_b64 s[12:13], s[12:13]
	s_cbranch_execnz .LBB9_622
.LBB9_400:
	s_or_b64 exec, exec, s[12:13]
	v_mov_b32_e32 v6, 0
	s_and_saveexec_b64 s[12:13], s[10:11]
.LBB9_401:
	v_lshrrev_b32_e32 v2, 24, v2
	s_movk_i32 s10, 0x80
	v_and_or_b32 v6, v2, s10, v3
.LBB9_402:
	s_or_b64 exec, exec, s[12:13]
.LBB9_403:
	s_or_b64 exec, exec, s[8:9]
	s_mov_b64 s[8:9], 0
	global_store_byte v[4:5], v6, off
.LBB9_404:
	s_and_b64 vcc, exec, s[8:9]
	s_cbranch_vccz .LBB9_414
; %bb.405:
	v_cvt_f32_f64_e32 v2, v[0:1]
	s_mov_b32 s8, 0x43f00000
                                        ; implicit-def: $vgpr3
	v_and_b32_e32 v6, 0x7fffffff, v2
	v_cmp_gt_u32_e32 vcc, s8, v6
	s_and_saveexec_b64 s[8:9], vcc
	s_xor_b64 s[8:9], exec, s[8:9]
	s_cbranch_execz .LBB9_411
; %bb.406:
	s_mov_b32 s10, 0x3c7fffff
	v_cmp_lt_u32_e32 vcc, s10, v6
                                        ; implicit-def: $vgpr3
	s_and_saveexec_b64 s[10:11], vcc
	s_xor_b64 s[10:11], exec, s[10:11]
; %bb.407:
	v_bfe_u32 v3, v2, 20, 1
	s_mov_b32 s12, 0x407ffff
	v_add3_u32 v3, v2, v3, s12
	v_lshrrev_b32_e32 v6, 20, v3
	v_and_b32_e32 v3, 0xff00000, v3
	s_mov_b32 s12, 0x7f00000
	v_mov_b32_e32 v7, 0x7e
	v_cmp_ne_u32_e32 vcc, s12, v3
	v_cndmask_b32_e32 v3, v7, v6, vcc
; %bb.408:
	s_andn2_saveexec_b64 s[10:11], s[10:11]
; %bb.409:
	s_mov_b32 s12, 0x46800000
	v_add_f32_e64 v3, |v2|, s12
; %bb.410:
	s_or_b64 exec, exec, s[10:11]
                                        ; implicit-def: $vgpr6
.LBB9_411:
	s_andn2_saveexec_b64 s[8:9], s[8:9]
; %bb.412:
	s_mov_b32 s10, 0x7f800000
	v_mov_b32_e32 v3, 0x7e
	v_mov_b32_e32 v7, 0x7f
	v_cmp_lt_u32_e32 vcc, s10, v6
	v_cndmask_b32_e32 v3, v3, v7, vcc
; %bb.413:
	s_or_b64 exec, exec, s[8:9]
	v_lshrrev_b32_e32 v2, 24, v2
	s_movk_i32 s8, 0x80
	v_and_or_b32 v2, v2, s8, v3
	global_store_byte v[4:5], v2, off
.LBB9_414:
	s_mov_b64 s[8:9], 0
.LBB9_415:
	s_andn2_b64 vcc, exec, s[8:9]
	s_cbranch_vccnz .LBB9_425
; %bb.416:
	v_cvt_f32_f64_e32 v2, v[0:1]
	s_mov_b32 s8, 0x47800000
                                        ; implicit-def: $vgpr3
	v_and_b32_e32 v6, 0x7fffffff, v2
	v_cmp_gt_u32_e32 vcc, s8, v6
	s_and_saveexec_b64 s[8:9], vcc
	s_xor_b64 s[8:9], exec, s[8:9]
	s_cbranch_execz .LBB9_422
; %bb.417:
	s_mov_b32 s10, 0x387fffff
	v_cmp_lt_u32_e32 vcc, s10, v6
                                        ; implicit-def: $vgpr3
	s_and_saveexec_b64 s[10:11], vcc
	s_xor_b64 s[10:11], exec, s[10:11]
; %bb.418:
	v_bfe_u32 v3, v2, 21, 1
	s_mov_b32 s12, 0x80fffff
	v_add3_u32 v3, v2, v3, s12
	v_lshrrev_b32_e32 v3, 21, v3
; %bb.419:
	s_andn2_saveexec_b64 s[10:11], s[10:11]
; %bb.420:
	s_mov_b32 s12, 0x43000000
	v_add_f32_e64 v3, |v2|, s12
; %bb.421:
	s_or_b64 exec, exec, s[10:11]
                                        ; implicit-def: $vgpr6
.LBB9_422:
	s_andn2_saveexec_b64 s[8:9], s[8:9]
; %bb.423:
	s_mov_b32 s10, 0x7f800000
	v_mov_b32_e32 v3, 0x7c
	v_mov_b32_e32 v7, 0x7f
	v_cmp_lt_u32_e32 vcc, s10, v6
	v_cndmask_b32_e32 v3, v3, v7, vcc
; %bb.424:
	s_or_b64 exec, exec, s[8:9]
	v_lshrrev_b32_e32 v2, 24, v2
	s_movk_i32 s8, 0x80
	v_and_or_b32 v2, v2, s8, v3
	global_store_byte v[4:5], v2, off
.LBB9_425:
	s_mov_b64 s[10:11], 0
	s_mov_b64 s[8:9], -1
.LBB9_426:
	s_andn2_b64 vcc, exec, s[10:11]
	s_cbranch_vccnz .LBB9_434
; %bb.427:
	s_cmp_gt_i32 s15, 14
	s_mov_b64 s[10:11], -1
	s_cbranch_scc0 .LBB9_431
; %bb.428:
	s_cmp_eq_u32 s15, 15
	s_mov_b64 s[0:1], -1
	s_cbranch_scc0 .LBB9_430
; %bb.429:
	v_cvt_f32_f64_e32 v2, v[0:1]
	s_movk_i32 s0, 0x7fff
	v_mov_b32_e32 v3, 0x7fc0
	s_mov_b64 s[8:9], -1
	v_bfe_u32 v6, v2, 16, 1
	v_cmp_o_f32_e32 vcc, v2, v2
	v_add3_u32 v2, v2, v6, s0
	v_cndmask_b32_sdwa v2, v3, v2, vcc dst_sel:DWORD dst_unused:UNUSED_PAD src0_sel:DWORD src1_sel:WORD_1
	global_store_short v[4:5], v2, off
	s_mov_b64 s[0:1], 0
.LBB9_430:
	s_mov_b64 s[10:11], 0
.LBB9_431:
	s_and_b64 vcc, exec, s[10:11]
	s_cbranch_vccz .LBB9_434
; %bb.432:
	s_cmp_eq_u32 s15, 11
	s_mov_b64 s[0:1], -1
	s_cbranch_scc0 .LBB9_434
; %bb.433:
	v_cmp_neq_f64_e32 vcc, 0, v[0:1]
	s_mov_b64 s[0:1], 0
	s_mov_b64 s[8:9], -1
	v_cndmask_b32_e64 v2, 0, 1, vcc
	global_store_byte v[4:5], v2, off
.LBB9_434:
	s_mov_b64 s[10:11], 0
.LBB9_435:
	s_and_b64 vcc, exec, s[10:11]
	s_cbranch_vccz .LBB9_474
; %bb.436:
	s_and_b32 s10, 0xffff, s14
	s_cmp_lt_i32 s10, 5
	s_mov_b64 s[8:9], -1
	s_cbranch_scc1 .LBB9_457
; %bb.437:
	s_cmp_lt_i32 s10, 8
	s_cbranch_scc1 .LBB9_447
; %bb.438:
	s_cmp_lt_i32 s10, 9
	s_cbranch_scc1 .LBB9_444
; %bb.439:
	s_cmp_gt_i32 s10, 9
	s_cbranch_scc0 .LBB9_441
; %bb.440:
	v_mov_b32_e32 v2, 0
	v_mov_b32_e32 v3, v2
	s_mov_b64 s[8:9], 0
	global_store_dwordx4 v[4:5], v[0:3], off
.LBB9_441:
	s_andn2_b64 vcc, exec, s[8:9]
	s_cbranch_vccnz .LBB9_443
; %bb.442:
	v_cvt_f32_f64_e32 v2, v[0:1]
	v_mov_b32_e32 v3, 0
	global_store_dwordx2 v[4:5], v[2:3], off
.LBB9_443:
	s_mov_b64 s[8:9], 0
.LBB9_444:
	s_andn2_b64 vcc, exec, s[8:9]
	s_cbranch_vccnz .LBB9_446
; %bb.445:
	s_movk_i32 s8, 0x1ff
	v_and_or_b32 v2, v1, s8, v0
	v_cmp_ne_u32_e32 vcc, 0, v2
	v_cndmask_b32_e64 v2, 0, 1, vcc
	v_lshrrev_b32_e32 v3, 8, v1
	s_movk_i32 s8, 0xffe
	v_bfe_u32 v6, v1, 20, 11
	v_and_or_b32 v2, v3, s8, v2
	v_sub_u32_e32 v7, 0x3f1, v6
	v_or_b32_e32 v3, 0x1000, v2
	v_med3_i32 v7, v7, 0, 13
	v_lshrrev_b32_e32 v8, v7, v3
	v_lshlrev_b32_e32 v7, v7, v8
	v_cmp_ne_u32_e32 vcc, v7, v3
	v_cndmask_b32_e64 v3, 0, 1, vcc
	v_add_u32_e32 v6, 0xfffffc10, v6
	v_or_b32_e32 v3, v8, v3
	v_lshl_or_b32 v7, v6, 12, v2
	v_cmp_gt_i32_e32 vcc, 1, v6
	v_cndmask_b32_e32 v3, v7, v3, vcc
	v_and_b32_e32 v7, 7, v3
	v_cmp_lt_i32_e32 vcc, 5, v7
	v_cndmask_b32_e64 v8, 0, 1, vcc
	v_cmp_eq_u32_e32 vcc, 3, v7
	v_cndmask_b32_e64 v7, 0, 1, vcc
	v_or_b32_e32 v7, v7, v8
	v_lshrrev_b32_e32 v3, 2, v3
	v_add_u32_e32 v3, v3, v7
	v_mov_b32_e32 v7, 0x7c00
	v_cmp_gt_i32_e32 vcc, 31, v6
	v_cndmask_b32_e32 v3, v7, v3, vcc
	v_mov_b32_e32 v8, 0x7e00
	v_cmp_ne_u32_e32 vcc, 0, v2
	s_movk_i32 s8, 0x40f
	v_cndmask_b32_e32 v2, v7, v8, vcc
	v_cmp_eq_u32_e32 vcc, s8, v6
	v_cndmask_b32_e32 v2, v3, v2, vcc
	v_lshrrev_b32_e32 v3, 16, v1
	s_mov_b32 s8, 0x8000
	v_and_or_b32 v2, v3, s8, v2
	v_and_b32_e32 v2, 0xffff, v2
	global_store_dword v[4:5], v2, off
.LBB9_446:
	s_mov_b64 s[8:9], 0
.LBB9_447:
	s_andn2_b64 vcc, exec, s[8:9]
	s_cbranch_vccnz .LBB9_456
; %bb.448:
	s_cmp_lt_i32 s10, 6
	s_mov_b64 s[8:9], -1
	s_cbranch_scc1 .LBB9_454
; %bb.449:
	s_cmp_gt_i32 s10, 6
	s_cbranch_scc0 .LBB9_451
; %bb.450:
	s_mov_b64 s[8:9], 0
	global_store_dwordx2 v[4:5], v[0:1], off
.LBB9_451:
	s_andn2_b64 vcc, exec, s[8:9]
	s_cbranch_vccnz .LBB9_453
; %bb.452:
	v_cvt_f32_f64_e32 v2, v[0:1]
	global_store_dword v[4:5], v2, off
.LBB9_453:
	s_mov_b64 s[8:9], 0
.LBB9_454:
	s_andn2_b64 vcc, exec, s[8:9]
	s_cbranch_vccnz .LBB9_456
; %bb.455:
	s_movk_i32 s8, 0x1ff
	v_and_or_b32 v2, v1, s8, v0
	v_cmp_ne_u32_e32 vcc, 0, v2
	v_cndmask_b32_e64 v2, 0, 1, vcc
	v_lshrrev_b32_e32 v3, 8, v1
	s_movk_i32 s8, 0xffe
	v_bfe_u32 v6, v1, 20, 11
	v_and_or_b32 v2, v3, s8, v2
	v_sub_u32_e32 v7, 0x3f1, v6
	v_or_b32_e32 v3, 0x1000, v2
	v_med3_i32 v7, v7, 0, 13
	v_lshrrev_b32_e32 v8, v7, v3
	v_lshlrev_b32_e32 v7, v7, v8
	v_cmp_ne_u32_e32 vcc, v7, v3
	v_cndmask_b32_e64 v3, 0, 1, vcc
	v_add_u32_e32 v6, 0xfffffc10, v6
	v_or_b32_e32 v3, v8, v3
	v_lshl_or_b32 v7, v6, 12, v2
	v_cmp_gt_i32_e32 vcc, 1, v6
	v_cndmask_b32_e32 v3, v7, v3, vcc
	v_and_b32_e32 v7, 7, v3
	v_cmp_lt_i32_e32 vcc, 5, v7
	v_cndmask_b32_e64 v8, 0, 1, vcc
	v_cmp_eq_u32_e32 vcc, 3, v7
	v_cndmask_b32_e64 v7, 0, 1, vcc
	v_or_b32_e32 v7, v7, v8
	v_lshrrev_b32_e32 v3, 2, v3
	v_add_u32_e32 v3, v3, v7
	v_mov_b32_e32 v7, 0x7c00
	v_cmp_gt_i32_e32 vcc, 31, v6
	v_cndmask_b32_e32 v3, v7, v3, vcc
	v_mov_b32_e32 v8, 0x7e00
	v_cmp_ne_u32_e32 vcc, 0, v2
	s_movk_i32 s8, 0x40f
	v_cndmask_b32_e32 v2, v7, v8, vcc
	v_cmp_eq_u32_e32 vcc, s8, v6
	v_cndmask_b32_e32 v2, v3, v2, vcc
	v_lshrrev_b32_e32 v3, 16, v1
	s_mov_b32 s8, 0x8000
	v_and_or_b32 v2, v3, s8, v2
	global_store_short v[4:5], v2, off
.LBB9_456:
	s_mov_b64 s[8:9], 0
.LBB9_457:
	s_andn2_b64 vcc, exec, s[8:9]
	s_cbranch_vccnz .LBB9_473
; %bb.458:
	s_cmp_lt_i32 s10, 2
	s_mov_b64 s[8:9], -1
	s_cbranch_scc1 .LBB9_468
; %bb.459:
	s_cmp_lt_i32 s10, 3
	s_cbranch_scc1 .LBB9_465
; %bb.460:
	s_cmp_gt_i32 s10, 3
	s_cbranch_scc0 .LBB9_462
; %bb.461:
	v_trunc_f64_e32 v[2:3], v[0:1]
	s_movk_i32 s8, 0xffe0
	v_ldexp_f64 v[6:7], v[2:3], s8
	s_mov_b32 s8, 0
	s_mov_b32 s9, 0xc1f00000
	v_floor_f64_e32 v[6:7], v[6:7]
	v_fma_f64 v[2:3], v[6:7], s[8:9], v[2:3]
	v_cvt_i32_f64_e32 v7, v[6:7]
	s_mov_b64 s[8:9], 0
	v_cvt_u32_f64_e32 v6, v[2:3]
	global_store_dwordx2 v[4:5], v[6:7], off
.LBB9_462:
	s_andn2_b64 vcc, exec, s[8:9]
	s_cbranch_vccnz .LBB9_464
; %bb.463:
	v_cvt_i32_f64_e32 v2, v[0:1]
	global_store_dword v[4:5], v2, off
.LBB9_464:
	s_mov_b64 s[8:9], 0
.LBB9_465:
	s_andn2_b64 vcc, exec, s[8:9]
	s_cbranch_vccnz .LBB9_467
; %bb.466:
	v_cvt_i32_f64_e32 v2, v[0:1]
	global_store_short v[4:5], v2, off
.LBB9_467:
	s_mov_b64 s[8:9], 0
.LBB9_468:
	s_andn2_b64 vcc, exec, s[8:9]
	s_cbranch_vccnz .LBB9_473
; %bb.469:
	s_cmp_gt_i32 s10, 0
	s_mov_b64 s[8:9], -1
	s_cbranch_scc0 .LBB9_471
; %bb.470:
	v_cvt_i32_f64_e32 v2, v[0:1]
	s_mov_b64 s[8:9], 0
	global_store_byte v[4:5], v2, off
.LBB9_471:
	s_andn2_b64 vcc, exec, s[8:9]
	s_cbranch_vccnz .LBB9_473
; %bb.472:
	v_trunc_f64_e32 v[0:1], v[0:1]
	s_movk_i32 s8, 0xffe0
	v_ldexp_f64 v[2:3], v[0:1], s8
	s_mov_b32 s8, 0
	s_mov_b32 s9, 0xc1f00000
	v_floor_f64_e32 v[2:3], v[2:3]
	v_fma_f64 v[0:1], v[2:3], s[8:9], v[0:1]
	v_cvt_u32_f64_e32 v0, v[0:1]
	global_store_byte v[4:5], v0, off
.LBB9_473:
	s_mov_b64 s[8:9], -1
.LBB9_474:
	s_andn2_b64 vcc, exec, s[8:9]
	s_cbranch_vccnz .LBB9_476
; %bb.475:
	v_add_u32_e32 v11, 0x80, v11
	s_mov_b64 s[8:9], -1
	s_branch .LBB9_589
.LBB9_476:
	s_mov_b64 s[8:9], 0
	s_branch .LBB9_588
.LBB9_477:
	s_mov_b64 s[2:3], -1
                                        ; implicit-def: $vgpr3_vgpr4
.LBB9_478:
	s_mov_b64 s[8:9], 0
.LBB9_479:
	s_and_b64 vcc, exec, s[8:9]
	s_cbranch_vccz .LBB9_483
; %bb.480:
	s_cmp_eq_u32 s12, 29
	s_cbranch_scc0 .LBB9_482
; %bb.481:
	global_load_dwordx2 v[3:4], v[0:1], off
	s_mov_b64 s[0:1], -1
	s_mov_b64 s[2:3], 0
	s_mov_b64 s[8:9], 0
	s_waitcnt vmcnt(0)
	v_cvt_f64_u32_e32 v[4:5], v4
	v_cvt_f64_u32_e32 v[6:7], v3
	v_ldexp_f64 v[4:5], v[4:5], 32
	v_add_f64 v[3:4], v[4:5], v[6:7]
	s_branch .LBB9_484
.LBB9_482:
	s_mov_b64 s[2:3], -1
                                        ; implicit-def: $vgpr3_vgpr4
.LBB9_483:
	s_mov_b64 s[8:9], 0
.LBB9_484:
	s_and_b64 vcc, exec, s[8:9]
	s_cbranch_vccz .LBB9_504
; %bb.485:
	s_cmp_lt_i32 s12, 27
	s_cbranch_scc1 .LBB9_488
; %bb.486:
	s_cmp_gt_i32 s12, 27
	s_cbranch_scc0 .LBB9_489
; %bb.487:
	global_load_dword v3, v[0:1], off
	s_mov_b64 s[0:1], 0
	s_waitcnt vmcnt(0)
	v_cvt_f64_u32_e32 v[3:4], v3
	s_branch .LBB9_490
.LBB9_488:
	s_mov_b64 s[0:1], -1
                                        ; implicit-def: $vgpr3_vgpr4
	s_branch .LBB9_493
.LBB9_489:
	s_mov_b64 s[0:1], -1
                                        ; implicit-def: $vgpr3_vgpr4
.LBB9_490:
	s_andn2_b64 vcc, exec, s[0:1]
	s_cbranch_vccnz .LBB9_492
; %bb.491:
	global_load_ushort v3, v[0:1], off
	s_waitcnt vmcnt(0)
	v_cvt_f64_u32_e32 v[3:4], v3
.LBB9_492:
	s_mov_b64 s[0:1], 0
.LBB9_493:
	s_andn2_b64 vcc, exec, s[0:1]
	s_cbranch_vccnz .LBB9_503
; %bb.494:
	global_load_ubyte v5, v[0:1], off
	s_movk_i32 s0, 0x7f
	s_waitcnt vmcnt(0)
	v_cmp_lt_i16_e32 vcc, s0, v5
	s_mov_b64 s[0:1], 0
	s_and_saveexec_b64 s[8:9], vcc
	s_xor_b64 s[8:9], exec, s[8:9]
	s_cbranch_execz .LBB9_498
; %bb.495:
	s_movk_i32 s0, 0x80
	v_cmp_eq_u16_e32 vcc, s0, v5
	s_mov_b64 s[0:1], -1
	s_and_saveexec_b64 s[10:11], vcc
; %bb.496:
	s_xor_b64 s[0:1], exec, -1
; %bb.497:
	s_or_b64 exec, exec, s[10:11]
	s_and_b64 s[0:1], s[0:1], exec
.LBB9_498:
	s_or_saveexec_b64 s[8:9], s[8:9]
	v_bfrev_b32_e32 v3, 4
	v_mov_b32_e32 v4, 0x7ff80000
	s_xor_b64 exec, exec, s[8:9]
; %bb.499:
	v_cmp_ne_u16_e32 vcc, 0, v5
	v_mov_b32_e32 v3, 0
	s_andn2_b64 s[0:1], s[0:1], exec
	s_and_b64 s[10:11], vcc, exec
	v_mov_b32_e32 v4, 0
	s_or_b64 s[0:1], s[0:1], s[10:11]
; %bb.500:
	s_or_b64 exec, exec, s[8:9]
	s_and_saveexec_b64 s[8:9], s[0:1]
	s_cbranch_execz .LBB9_502
; %bb.501:
	v_and_b32_e32 v4, 0xffff, v5
	v_lshlrev_b32_e32 v3, 24, v5
	v_and_b32_e32 v5, 7, v4
	v_ffbh_u32_e32 v7, v5
	v_min_u32_e32 v7, 32, v7
	v_subrev_u32_e32 v8, 28, v7
	v_bfe_u32 v6, v4, 3, 4
	v_lshlrev_b32_e32 v4, v8, v4
	v_sub_u32_e32 v7, 29, v7
	v_and_b32_e32 v4, 7, v4
	v_cmp_eq_u32_e32 vcc, 0, v6
	v_cndmask_b32_e32 v6, v6, v7, vcc
	v_cndmask_b32_e32 v4, v5, v4, vcc
	v_mov_b32_e32 v5, 0x3b800000
	v_lshlrev_b32_e32 v4, 20, v4
	v_and_b32_e32 v3, 0x80000000, v3
	v_lshl_add_u32 v5, v6, 23, v5
	v_or3_b32 v3, v3, v5, v4
	v_cvt_f64_f32_e32 v[3:4], v3
.LBB9_502:
	s_or_b64 exec, exec, s[8:9]
.LBB9_503:
	s_mov_b64 s[0:1], -1
.LBB9_504:
	s_mov_b64 s[8:9], 0
.LBB9_505:
	s_and_b64 vcc, exec, s[8:9]
	s_cbranch_vccz .LBB9_538
; %bb.506:
	s_cmp_gt_i32 s12, 22
	s_cbranch_scc0 .LBB9_518
; %bb.507:
	s_cmp_lt_i32 s12, 24
	s_cbranch_scc1 .LBB9_519
; %bb.508:
	s_cmp_gt_i32 s12, 24
	s_cbranch_scc0 .LBB9_520
; %bb.509:
	global_load_ubyte v5, v[0:1], off
	s_movk_i32 s0, 0x7f
	s_waitcnt vmcnt(0)
	v_cmp_lt_i16_e32 vcc, s0, v5
	s_mov_b64 s[0:1], 0
	s_and_saveexec_b64 s[8:9], vcc
	s_xor_b64 s[8:9], exec, s[8:9]
	s_cbranch_execz .LBB9_513
; %bb.510:
	s_movk_i32 s0, 0x80
	v_cmp_eq_u16_e32 vcc, s0, v5
	s_mov_b64 s[0:1], -1
	s_and_saveexec_b64 s[10:11], vcc
; %bb.511:
	s_xor_b64 s[0:1], exec, -1
; %bb.512:
	s_or_b64 exec, exec, s[10:11]
	s_and_b64 s[0:1], s[0:1], exec
.LBB9_513:
	s_or_saveexec_b64 s[8:9], s[8:9]
	v_bfrev_b32_e32 v3, 4
	v_mov_b32_e32 v4, 0x7ff80000
	s_xor_b64 exec, exec, s[8:9]
; %bb.514:
	v_cmp_ne_u16_e32 vcc, 0, v5
	v_mov_b32_e32 v3, 0
	s_andn2_b64 s[0:1], s[0:1], exec
	s_and_b64 s[10:11], vcc, exec
	v_mov_b32_e32 v4, 0
	s_or_b64 s[0:1], s[0:1], s[10:11]
; %bb.515:
	s_or_b64 exec, exec, s[8:9]
	s_and_saveexec_b64 s[8:9], s[0:1]
	s_cbranch_execz .LBB9_517
; %bb.516:
	v_and_b32_e32 v4, 0xffff, v5
	v_lshlrev_b32_e32 v3, 24, v5
	v_and_b32_e32 v5, 3, v4
	v_ffbh_u32_e32 v7, v5
	v_min_u32_e32 v7, 32, v7
	v_subrev_u32_e32 v8, 29, v7
	v_bfe_u32 v6, v4, 2, 5
	v_lshlrev_b32_e32 v4, v8, v4
	v_sub_u32_e32 v7, 30, v7
	v_and_b32_e32 v4, 3, v4
	v_cmp_eq_u32_e32 vcc, 0, v6
	v_cndmask_b32_e32 v6, v6, v7, vcc
	v_cndmask_b32_e32 v4, v5, v4, vcc
	v_mov_b32_e32 v5, 0x37800000
	v_lshlrev_b32_e32 v4, 21, v4
	v_and_b32_e32 v3, 0x80000000, v3
	v_lshl_add_u32 v5, v6, 23, v5
	v_or3_b32 v3, v3, v5, v4
	v_cvt_f64_f32_e32 v[3:4], v3
.LBB9_517:
	s_or_b64 exec, exec, s[8:9]
	s_mov_b64 s[0:1], 0
	s_branch .LBB9_521
.LBB9_518:
	s_mov_b64 s[8:9], -1
                                        ; implicit-def: $vgpr3_vgpr4
	s_branch .LBB9_527
.LBB9_519:
	s_mov_b64 s[0:1], -1
                                        ; implicit-def: $vgpr3_vgpr4
	s_branch .LBB9_524
.LBB9_520:
	s_mov_b64 s[0:1], -1
                                        ; implicit-def: $vgpr3_vgpr4
.LBB9_521:
	s_and_b64 vcc, exec, s[0:1]
	s_cbranch_vccz .LBB9_523
; %bb.522:
	global_load_ubyte v3, v[0:1], off
	s_mov_b32 s0, 0x7f800000
	s_waitcnt vmcnt(0)
	v_lshlrev_b32_e32 v3, 24, v3
	v_and_b32_e32 v4, 0x7f000000, v3
	v_ffbh_u32_e32 v5, v4
	v_min_u32_e32 v5, 32, v5
	v_sub_u32_e64 v5, v5, 4 clamp
	v_lshlrev_b32_e32 v7, v5, v4
	v_lshlrev_b32_e32 v5, 23, v5
	v_lshrrev_b32_e32 v7, 4, v7
	v_add_u32_e32 v6, 0x1000000, v4
	v_sub_u32_e32 v5, v7, v5
	v_ashrrev_i32_e32 v6, 8, v6
	v_add_u32_e32 v5, 0x3c000000, v5
	v_and_or_b32 v5, v6, s0, v5
	v_cmp_ne_u32_e32 vcc, 0, v4
	v_cndmask_b32_e32 v4, 0, v5, vcc
	s_brev_b32 s0, 1
	v_and_or_b32 v3, v3, s0, v4
	v_cvt_f64_f32_e32 v[3:4], v3
.LBB9_523:
	s_mov_b64 s[0:1], 0
.LBB9_524:
	s_andn2_b64 vcc, exec, s[0:1]
	s_cbranch_vccnz .LBB9_526
; %bb.525:
	global_load_ubyte v3, v[0:1], off
	s_movk_i32 s0, 0x7f00
	s_brev_b32 s1, 16
	s_waitcnt vmcnt(0)
	v_lshlrev_b16_e32 v4, 8, v3
	v_lshlrev_b32_e32 v3, 25, v3
	v_lshrrev_b32_e32 v5, 4, v3
	v_and_or_b32 v6, v4, s0, 0.5
	v_or_b32_e32 v5, 0x70000000, v5
	v_add_f32_e32 v6, -0.5, v6
	v_mul_f32_e32 v5, 0x7800000, v5
	v_cmp_gt_u32_e32 vcc, s1, v3
	v_bfe_i32 v4, v4, 0, 16
	v_cndmask_b32_e32 v3, v5, v6, vcc
	s_brev_b32 s0, 1
	v_and_or_b32 v3, v4, s0, v3
	v_cvt_f64_f32_e32 v[3:4], v3
.LBB9_526:
	s_mov_b64 s[8:9], 0
	s_mov_b64 s[0:1], -1
.LBB9_527:
	s_andn2_b64 vcc, exec, s[8:9]
	s_cbranch_vccnz .LBB9_538
; %bb.528:
	s_cmp_gt_i32 s12, 14
	s_cbranch_scc0 .LBB9_531
; %bb.529:
	s_cmp_eq_u32 s12, 15
	s_cbranch_scc0 .LBB9_532
; %bb.530:
	global_load_ushort v3, v[0:1], off
	s_mov_b64 s[0:1], -1
	s_mov_b64 s[2:3], 0
	s_waitcnt vmcnt(0)
	v_lshlrev_b32_e32 v3, 16, v3
	v_cvt_f64_f32_e32 v[3:4], v3
	s_branch .LBB9_533
.LBB9_531:
	s_mov_b64 s[8:9], -1
                                        ; implicit-def: $vgpr3_vgpr4
	s_branch .LBB9_534
.LBB9_532:
	s_mov_b64 s[2:3], -1
                                        ; implicit-def: $vgpr3_vgpr4
.LBB9_533:
	s_mov_b64 s[8:9], 0
.LBB9_534:
	s_and_b64 vcc, exec, s[8:9]
	s_cbranch_vccz .LBB9_538
; %bb.535:
	s_cmp_eq_u32 s12, 11
	s_cbranch_scc0 .LBB9_537
; %bb.536:
	global_load_ubyte v4, v[0:1], off
	v_mov_b32_e32 v5, 0x3ff00000
	s_waitcnt vmcnt(1)
	v_mov_b32_e32 v3, 0
	s_mov_b64 s[0:1], -1
	s_mov_b64 s[2:3], 0
	s_waitcnt vmcnt(0)
	v_cmp_ne_u16_e32 vcc, 0, v4
	v_cndmask_b32_e32 v4, 0, v5, vcc
	s_branch .LBB9_538
.LBB9_537:
	s_mov_b64 s[2:3], -1
                                        ; implicit-def: $vgpr3_vgpr4
.LBB9_538:
	s_branch .LBB9_317
.LBB9_539:
	s_cmp_lt_i32 s12, 5
	s_cbranch_scc1 .LBB9_544
; %bb.540:
	s_cmp_lt_i32 s12, 8
	s_cbranch_scc1 .LBB9_545
; %bb.541:
	;; [unrolled: 3-line block ×3, first 2 shown]
	s_cmp_gt_i32 s12, 9
	s_cbranch_scc0 .LBB9_547
; %bb.543:
	global_load_dwordx2 v[3:4], v[0:1], off
	s_mov_b64 s[0:1], 0
	s_branch .LBB9_548
.LBB9_544:
	s_mov_b64 s[0:1], -1
                                        ; implicit-def: $vgpr3_vgpr4
	s_branch .LBB9_566
.LBB9_545:
	s_mov_b64 s[0:1], -1
                                        ; implicit-def: $vgpr3_vgpr4
	s_branch .LBB9_554
.LBB9_546:
	s_mov_b64 s[0:1], -1
                                        ; implicit-def: $vgpr3_vgpr4
	s_branch .LBB9_551
.LBB9_547:
	s_mov_b64 s[0:1], -1
                                        ; implicit-def: $vgpr3_vgpr4
.LBB9_548:
	s_andn2_b64 vcc, exec, s[0:1]
	s_cbranch_vccnz .LBB9_550
; %bb.549:
	global_load_dword v3, v[0:1], off
	s_waitcnt vmcnt(0)
	v_cvt_f64_f32_e32 v[3:4], v3
.LBB9_550:
	s_mov_b64 s[0:1], 0
.LBB9_551:
	s_andn2_b64 vcc, exec, s[0:1]
	s_cbranch_vccnz .LBB9_553
; %bb.552:
	global_load_dword v3, v[0:1], off
	s_waitcnt vmcnt(0)
	v_cvt_f32_f16_e32 v3, v3
	v_cvt_f64_f32_e32 v[3:4], v3
.LBB9_553:
	s_mov_b64 s[0:1], 0
.LBB9_554:
	s_andn2_b64 vcc, exec, s[0:1]
	s_cbranch_vccnz .LBB9_565
; %bb.555:
	s_cmp_lt_i32 s12, 6
	s_cbranch_scc1 .LBB9_558
; %bb.556:
	s_cmp_gt_i32 s12, 6
	s_cbranch_scc0 .LBB9_559
; %bb.557:
	global_load_dwordx2 v[3:4], v[0:1], off
	s_mov_b64 s[0:1], 0
	s_branch .LBB9_560
.LBB9_558:
	s_mov_b64 s[0:1], -1
                                        ; implicit-def: $vgpr3_vgpr4
	s_branch .LBB9_563
.LBB9_559:
	s_mov_b64 s[0:1], -1
                                        ; implicit-def: $vgpr3_vgpr4
.LBB9_560:
	s_andn2_b64 vcc, exec, s[0:1]
	s_cbranch_vccnz .LBB9_562
; %bb.561:
	global_load_dword v3, v[0:1], off
	s_waitcnt vmcnt(0)
	v_cvt_f64_f32_e32 v[3:4], v3
.LBB9_562:
	s_mov_b64 s[0:1], 0
.LBB9_563:
	s_andn2_b64 vcc, exec, s[0:1]
	s_cbranch_vccnz .LBB9_565
; %bb.564:
	global_load_ushort v3, v[0:1], off
	s_waitcnt vmcnt(0)
	v_cvt_f32_f16_e32 v3, v3
	v_cvt_f64_f32_e32 v[3:4], v3
.LBB9_565:
	s_mov_b64 s[0:1], 0
.LBB9_566:
	s_andn2_b64 vcc, exec, s[0:1]
	s_cbranch_vccnz .LBB9_586
; %bb.567:
	s_cmp_lt_i32 s12, 2
	s_cbranch_scc1 .LBB9_571
; %bb.568:
	s_cmp_lt_i32 s12, 3
	s_cbranch_scc1 .LBB9_572
; %bb.569:
	s_cmp_gt_i32 s12, 3
	s_cbranch_scc0 .LBB9_573
; %bb.570:
	global_load_dwordx2 v[3:4], v[0:1], off
	s_mov_b64 s[0:1], 0
	s_waitcnt vmcnt(0)
	v_cvt_f64_i32_e32 v[4:5], v4
	v_cvt_f64_u32_e32 v[6:7], v3
	v_ldexp_f64 v[4:5], v[4:5], 32
	v_add_f64 v[3:4], v[4:5], v[6:7]
	s_branch .LBB9_574
.LBB9_571:
	s_mov_b64 s[0:1], -1
                                        ; implicit-def: $vgpr3_vgpr4
	s_branch .LBB9_580
.LBB9_572:
	s_mov_b64 s[0:1], -1
                                        ; implicit-def: $vgpr3_vgpr4
	s_branch .LBB9_577
.LBB9_573:
	s_mov_b64 s[0:1], -1
                                        ; implicit-def: $vgpr3_vgpr4
.LBB9_574:
	s_andn2_b64 vcc, exec, s[0:1]
	s_cbranch_vccnz .LBB9_576
; %bb.575:
	global_load_dword v3, v[0:1], off
	s_waitcnt vmcnt(0)
	v_cvt_f64_i32_e32 v[3:4], v3
.LBB9_576:
	s_mov_b64 s[0:1], 0
.LBB9_577:
	s_andn2_b64 vcc, exec, s[0:1]
	s_cbranch_vccnz .LBB9_579
; %bb.578:
	global_load_sshort v3, v[0:1], off
	s_waitcnt vmcnt(0)
	v_cvt_f64_i32_e32 v[3:4], v3
.LBB9_579:
	s_mov_b64 s[0:1], 0
.LBB9_580:
	s_andn2_b64 vcc, exec, s[0:1]
	s_cbranch_vccnz .LBB9_586
; %bb.581:
	s_cmp_gt_i32 s12, 0
	s_cbranch_scc0 .LBB9_583
; %bb.582:
	global_load_sbyte v3, v[0:1], off
	s_mov_b64 s[0:1], 0
	s_waitcnt vmcnt(0)
	v_cvt_f64_i32_e32 v[3:4], v3
	s_branch .LBB9_584
.LBB9_583:
	s_mov_b64 s[0:1], -1
                                        ; implicit-def: $vgpr3_vgpr4
.LBB9_584:
	s_andn2_b64 vcc, exec, s[0:1]
	s_cbranch_vccnz .LBB9_586
; %bb.585:
	global_load_ubyte v0, v[0:1], off
	s_waitcnt vmcnt(0)
	v_cvt_f64_u32_e32 v[3:4], v0
.LBB9_586:
	s_branch .LBB9_318
.LBB9_587:
	s_mov_b64 s[8:9], 0
	s_mov_b64 s[0:1], s[52:53]
.LBB9_588:
                                        ; implicit-def: $vgpr11
.LBB9_589:
	s_andn2_b64 s[10:11], s[52:53], exec
	s_and_b64 s[0:1], s[0:1], exec
	s_or_b64 s[60:61], s[10:11], s[0:1]
	s_andn2_b64 s[0:1], s[54:55], exec
	s_and_b64 s[2:3], s[2:3], exec
	s_or_b64 s[58:59], s[0:1], s[2:3]
	s_orn2_b64 s[0:1], s[8:9], exec
.LBB9_590:
	s_or_b64 exec, exec, s[62:63]
	s_mov_b64 s[2:3], 0
	s_mov_b64 s[8:9], 0
	;; [unrolled: 1-line block ×3, first 2 shown]
                                        ; implicit-def: $vgpr0_vgpr1
                                        ; implicit-def: $vgpr2
                                        ; implicit-def: $vgpr3_vgpr4
	s_and_saveexec_b64 s[62:63], s[0:1]
	s_cbranch_execz .LBB9_989
; %bb.591:
	v_cmp_gt_i32_e32 vcc, s70, v11
	s_mov_b64 s[2:3], -1
	s_mov_b64 s[66:67], s[58:59]
	s_mov_b64 s[68:69], s[60:61]
	s_and_saveexec_b64 s[64:65], vcc
	s_cbranch_execz .LBB9_889
; %bb.592:
	s_andn2_b64 vcc, exec, s[40:41]
	s_cbranch_vccnz .LBB9_597
; %bb.593:
	s_andn2_b64 vcc, exec, s[50:51]
	s_cbranch_vccnz .LBB9_598
; %bb.594:
	s_add_i32 s76, s75, 1
	s_cmp_eq_u32 s72, 2
	s_cbranch_scc1 .LBB9_599
; %bb.595:
	s_and_b32 s71, s76, 28
	v_mov_b32_e32 v0, 0
	s_mov_b32 s77, 0
	s_mov_b64 s[66:67], s[34:35]
	s_mov_b64 s[68:69], s[48:49]
	v_mov_b32_e32 v2, 0
	v_mov_b32_e32 v1, v11
.LBB9_596:                              ; =>This Inner Loop Header: Depth=1
	s_load_dwordx8 s[16:23], s[66:67], 0x4
	s_load_dwordx4 s[0:3], s[66:67], 0x24
	s_load_dwordx8 s[8:15], s[68:69], 0x0
	s_add_u32 s66, s66, 48
	s_addc_u32 s67, s67, 0
	s_waitcnt vmcnt(0) lgkmcnt(0)
	v_mul_hi_u32 v3, s17, v1
	s_add_i32 s77, s77, 4
	s_add_u32 s68, s68, 32
	s_addc_u32 s69, s69, 0
	v_add_u32_e32 v3, v1, v3
	v_lshrrev_b32_e32 v3, s18, v3
	v_mul_lo_u32 v4, v3, s16
	v_mul_hi_u32 v5, s20, v3
	s_cmp_eq_u32 s71, s77
	v_sub_u32_e32 v1, v1, v4
	v_add_u32_e32 v4, v3, v5
	v_mul_lo_u32 v5, v1, s8
	v_mul_lo_u32 v6, v1, s9
	v_lshrrev_b32_e32 v1, s21, v4
	v_mul_lo_u32 v4, v1, s19
	v_mul_hi_u32 v7, s23, v1
	v_sub_u32_e32 v3, v3, v4
	v_add_u32_e32 v4, v1, v7
	v_lshrrev_b32_e32 v4, s0, v4
	v_mul_hi_u32 v8, s2, v4
	v_mul_lo_u32 v9, v4, s22
	v_mul_lo_u32 v7, v3, s10
	;; [unrolled: 1-line block ×3, first 2 shown]
	v_sub_u32_e32 v9, v1, v9
	v_add_u32_e32 v1, v4, v8
	v_lshrrev_b32_e32 v1, s3, v1
	v_mul_lo_u32 v8, v1, s1
	v_mul_lo_u32 v10, v9, s12
	;; [unrolled: 1-line block ×3, first 2 shown]
	v_add3_u32 v2, v5, v2, v7
	v_sub_u32_e32 v4, v4, v8
	v_mul_lo_u32 v8, v4, s14
	v_mul_lo_u32 v4, v4, s15
	v_add3_u32 v0, v6, v0, v3
	v_add3_u32 v2, v10, v2, v8
	;; [unrolled: 1-line block ×3, first 2 shown]
	s_cbranch_scc0 .LBB9_596
	s_branch .LBB9_600
.LBB9_597:
	s_mov_b64 s[0:1], -1
                                        ; implicit-def: $vgpr2
                                        ; implicit-def: $vgpr0
	s_branch .LBB9_604
.LBB9_598:
	v_mov_b32_e32 v2, 0
	v_mov_b32_e32 v0, 0
	s_branch .LBB9_603
.LBB9_599:
	s_mov_b32 s71, 0
	v_mov_b32_e32 v2, 0
	v_mov_b32_e32 v0, 0
	;; [unrolled: 1-line block ×3, first 2 shown]
.LBB9_600:
	s_and_b32 s8, s76, 3
	s_cmp_eq_u32 s8, 0
	s_cbranch_scc1 .LBB9_603
; %bb.601:
	s_lshl_b32 s0, s71, 3
	s_add_u32 s0, s34, s0
	s_addc_u32 s1, s35, 0
	s_add_u32 s0, s0, 0xc4
	s_addc_u32 s1, s1, 0
	s_mul_i32 s2, s71, 12
	s_add_u32 s2, s34, s2
	s_addc_u32 s3, s35, 0
.LBB9_602:                              ; =>This Inner Loop Header: Depth=1
	s_load_dwordx2 s[10:11], s[2:3], 0x4
	s_load_dword s9, s[2:3], 0xc
	s_load_dwordx2 s[12:13], s[0:1], 0x0
	s_add_u32 s2, s2, 12
	s_addc_u32 s3, s3, 0
	s_waitcnt vmcnt(0) lgkmcnt(0)
	v_mul_hi_u32 v3, s11, v1
	s_add_u32 s0, s0, 8
	s_addc_u32 s1, s1, 0
	s_add_i32 s8, s8, -1
	v_add_u32_e32 v3, v1, v3
	v_lshrrev_b32_e32 v4, s9, v3
	v_mul_lo_u32 v3, v4, s10
	s_cmp_lg_u32 s8, 0
	v_sub_u32_e32 v1, v1, v3
	v_mad_u64_u32 v[2:3], s[10:11], v1, s12, v[2:3]
	v_mad_u64_u32 v[0:1], s[10:11], v1, s13, v[0:1]
	v_mov_b32_e32 v1, v4
	s_cbranch_scc1 .LBB9_602
.LBB9_603:
	s_mov_b64 s[0:1], 0
.LBB9_604:
	s_andn2_b64 vcc, exec, s[0:1]
	s_cbranch_vccnz .LBB9_607
; %bb.605:
	s_waitcnt lgkmcnt(0)
	v_mul_hi_u32 v0, s37, v11
	s_andn2_b64 vcc, exec, s[46:47]
	v_add_u32_e32 v0, v11, v0
	v_lshrrev_b32_e32 v1, s38, v0
	v_mul_lo_u32 v0, v1, s36
	v_sub_u32_e32 v0, v11, v0
	v_mul_lo_u32 v2, v0, s28
	v_mul_lo_u32 v0, v0, s29
	s_cbranch_vccnz .LBB9_607
; %bb.606:
	s_waitcnt vmcnt(0)
	v_mul_hi_u32 v3, s44, v1
	v_add_u32_e32 v3, v1, v3
	v_lshrrev_b32_e32 v3, s45, v3
	v_mul_lo_u32 v3, v3, s39
	v_sub_u32_e32 v1, v1, v3
	v_mad_u64_u32 v[2:3], s[0:1], v1, s30, v[2:3]
	v_mad_u64_u32 v[0:1], s[0:1], v1, s31, v[0:1]
.LBB9_607:
	s_waitcnt lgkmcnt(0)
	v_mov_b32_e32 v1, s27
	s_and_b32 s12, 0xffff, s74
	v_add_co_u32_e32 v0, vcc, s26, v0
	s_cmp_lt_i32 s12, 11
	v_addc_co_u32_e32 v1, vcc, 0, v1, vcc
	s_cbranch_scc1 .LBB9_614
; %bb.608:
	s_cmp_gt_i32 s12, 25
	s_cbranch_scc0 .LBB9_615
; %bb.609:
	s_cmp_gt_i32 s12, 28
	s_cbranch_scc0 .LBB9_616
; %bb.610:
	s_cmp_gt_i32 s12, 43
	s_cbranch_scc0 .LBB9_617
; %bb.611:
	s_cmp_gt_i32 s12, 45
	s_cbranch_scc0 .LBB9_620
; %bb.612:
	s_cmp_eq_u32 s12, 46
	s_mov_b64 s[8:9], 0
	s_cbranch_scc0 .LBB9_623
; %bb.613:
	global_load_dword v3, v[0:1], off
	s_mov_b64 s[0:1], -1
	s_mov_b64 s[2:3], 0
	s_waitcnt vmcnt(0)
	v_lshlrev_b32_e32 v3, 16, v3
	v_cvt_f64_f32_e32 v[3:4], v3
	s_branch .LBB9_624
.LBB9_614:
	s_mov_b64 s[8:9], -1
	s_mov_b64 s[0:1], 0
                                        ; implicit-def: $vgpr3_vgpr4
	s_mov_b64 s[2:3], s[58:59]
	s_branch .LBB9_689
.LBB9_615:
	s_mov_b64 s[8:9], -1
	s_mov_b64 s[0:1], 0
	s_mov_b64 s[2:3], s[58:59]
                                        ; implicit-def: $vgpr3_vgpr4
	s_branch .LBB9_655
.LBB9_616:
	s_mov_b64 s[8:9], -1
	s_mov_b64 s[0:1], 0
	s_mov_b64 s[2:3], s[58:59]
                                        ; implicit-def: $vgpr3_vgpr4
	s_branch .LBB9_634
.LBB9_617:
	s_mov_b64 s[8:9], -1
	s_mov_b64 s[0:1], 0
	s_mov_b64 s[2:3], s[58:59]
                                        ; implicit-def: $vgpr3_vgpr4
	s_branch .LBB9_629
.LBB9_618:
	s_andn2_saveexec_b64 s[12:13], s[12:13]
	s_cbranch_execz .LBB9_387
.LBB9_619:
	s_mov_b32 s16, 0x46000000
	v_add_f32_e64 v3, |v2|, s16
	v_and_b32_e32 v3, 0xff, v3
	v_cmp_ne_u32_e32 vcc, 0, v3
	s_andn2_b64 s[10:11], s[10:11], exec
	s_and_b64 s[16:17], vcc, exec
	s_or_b64 s[10:11], s[10:11], s[16:17]
	s_or_b64 exec, exec, s[12:13]
	v_mov_b32_e32 v6, 0
	s_and_saveexec_b64 s[12:13], s[10:11]
	s_cbranch_execnz .LBB9_388
	s_branch .LBB9_389
.LBB9_620:
	s_mov_b64 s[8:9], -1
	s_mov_b64 s[0:1], 0
	s_mov_b64 s[2:3], s[58:59]
                                        ; implicit-def: $vgpr3_vgpr4
	s_branch .LBB9_624
.LBB9_621:
	s_andn2_saveexec_b64 s[12:13], s[12:13]
	s_cbranch_execz .LBB9_400
.LBB9_622:
	s_mov_b32 s16, 0x42800000
	v_add_f32_e64 v3, |v2|, s16
	v_and_b32_e32 v3, 0xff, v3
	v_cmp_ne_u32_e32 vcc, 0, v3
	s_andn2_b64 s[10:11], s[10:11], exec
	s_and_b64 s[16:17], vcc, exec
	s_or_b64 s[10:11], s[10:11], s[16:17]
	s_or_b64 exec, exec, s[12:13]
	v_mov_b32_e32 v6, 0
	s_and_saveexec_b64 s[12:13], s[10:11]
	s_cbranch_execnz .LBB9_401
	s_branch .LBB9_402
.LBB9_623:
	s_mov_b64 s[2:3], -1
                                        ; implicit-def: $vgpr3_vgpr4
	s_mov_b64 s[0:1], 0
.LBB9_624:
	s_and_b64 vcc, exec, s[8:9]
	s_cbranch_vccz .LBB9_628
; %bb.625:
	s_cmp_eq_u32 s12, 44
	s_cbranch_scc0 .LBB9_627
; %bb.626:
	global_load_ubyte v5, v[0:1], off
	s_movk_i32 s2, 0xff
	v_bfrev_b32_e32 v6, 4
	v_mov_b32_e32 v7, 0x7ff80000
	v_bfrev_b32_e32 v8, 28
	s_mov_b64 s[0:1], -1
	s_waitcnt vmcnt(0)
	v_lshlrev_b32_e32 v3, 23, v5
	v_cvt_f64_f32_e32 v[3:4], v3
	v_cmp_ne_u32_e32 vcc, s2, v5
	s_mov_b64 s[2:3], 0
	v_cndmask_b32_e32 v3, v6, v3, vcc
	v_cndmask_b32_e32 v4, v7, v4, vcc
	v_cmp_ne_u32_e32 vcc, 0, v5
	v_cndmask_b32_e32 v4, v8, v4, vcc
	v_cndmask_b32_e32 v3, 0, v3, vcc
	s_branch .LBB9_628
.LBB9_627:
	s_mov_b64 s[2:3], -1
                                        ; implicit-def: $vgpr3_vgpr4
.LBB9_628:
	s_mov_b64 s[8:9], 0
.LBB9_629:
	s_and_b64 vcc, exec, s[8:9]
	s_cbranch_vccz .LBB9_633
; %bb.630:
	s_cmp_eq_u32 s12, 29
	s_cbranch_scc0 .LBB9_632
; %bb.631:
	global_load_dwordx2 v[3:4], v[0:1], off
	s_mov_b64 s[0:1], -1
	s_mov_b64 s[2:3], 0
	s_mov_b64 s[8:9], 0
	s_waitcnt vmcnt(0)
	v_cvt_f64_u32_e32 v[4:5], v4
	v_cvt_f64_u32_e32 v[6:7], v3
	v_ldexp_f64 v[4:5], v[4:5], 32
	v_add_f64 v[3:4], v[4:5], v[6:7]
	s_branch .LBB9_634
.LBB9_632:
	s_mov_b64 s[2:3], -1
                                        ; implicit-def: $vgpr3_vgpr4
.LBB9_633:
	s_mov_b64 s[8:9], 0
.LBB9_634:
	s_and_b64 vcc, exec, s[8:9]
	s_cbranch_vccz .LBB9_654
; %bb.635:
	s_cmp_lt_i32 s12, 27
	s_cbranch_scc1 .LBB9_638
; %bb.636:
	s_cmp_gt_i32 s12, 27
	s_cbranch_scc0 .LBB9_639
; %bb.637:
	global_load_dword v3, v[0:1], off
	s_mov_b64 s[0:1], 0
	s_waitcnt vmcnt(0)
	v_cvt_f64_u32_e32 v[3:4], v3
	s_branch .LBB9_640
.LBB9_638:
	s_mov_b64 s[0:1], -1
                                        ; implicit-def: $vgpr3_vgpr4
	s_branch .LBB9_643
.LBB9_639:
	s_mov_b64 s[0:1], -1
                                        ; implicit-def: $vgpr3_vgpr4
.LBB9_640:
	s_andn2_b64 vcc, exec, s[0:1]
	s_cbranch_vccnz .LBB9_642
; %bb.641:
	global_load_ushort v3, v[0:1], off
	s_waitcnt vmcnt(0)
	v_cvt_f64_u32_e32 v[3:4], v3
.LBB9_642:
	s_mov_b64 s[0:1], 0
.LBB9_643:
	s_andn2_b64 vcc, exec, s[0:1]
	s_cbranch_vccnz .LBB9_653
; %bb.644:
	global_load_ubyte v5, v[0:1], off
	s_movk_i32 s0, 0x7f
	s_waitcnt vmcnt(0)
	v_cmp_lt_i16_e32 vcc, s0, v5
	s_mov_b64 s[0:1], 0
	s_and_saveexec_b64 s[8:9], vcc
	s_xor_b64 s[8:9], exec, s[8:9]
	s_cbranch_execz .LBB9_648
; %bb.645:
	s_movk_i32 s0, 0x80
	v_cmp_eq_u16_e32 vcc, s0, v5
	s_mov_b64 s[0:1], -1
	s_and_saveexec_b64 s[10:11], vcc
; %bb.646:
	s_xor_b64 s[0:1], exec, -1
; %bb.647:
	s_or_b64 exec, exec, s[10:11]
	s_and_b64 s[0:1], s[0:1], exec
.LBB9_648:
	s_or_saveexec_b64 s[8:9], s[8:9]
	v_bfrev_b32_e32 v3, 4
	v_mov_b32_e32 v4, 0x7ff80000
	s_xor_b64 exec, exec, s[8:9]
; %bb.649:
	v_cmp_ne_u16_e32 vcc, 0, v5
	v_mov_b32_e32 v3, 0
	s_andn2_b64 s[0:1], s[0:1], exec
	s_and_b64 s[10:11], vcc, exec
	v_mov_b32_e32 v4, 0
	s_or_b64 s[0:1], s[0:1], s[10:11]
; %bb.650:
	s_or_b64 exec, exec, s[8:9]
	s_and_saveexec_b64 s[8:9], s[0:1]
	s_cbranch_execz .LBB9_652
; %bb.651:
	v_and_b32_e32 v4, 0xffff, v5
	v_lshlrev_b32_e32 v3, 24, v5
	v_and_b32_e32 v5, 7, v4
	v_ffbh_u32_e32 v7, v5
	v_min_u32_e32 v7, 32, v7
	v_subrev_u32_e32 v8, 28, v7
	v_bfe_u32 v6, v4, 3, 4
	v_lshlrev_b32_e32 v4, v8, v4
	v_sub_u32_e32 v7, 29, v7
	v_and_b32_e32 v4, 7, v4
	v_cmp_eq_u32_e32 vcc, 0, v6
	v_cndmask_b32_e32 v6, v6, v7, vcc
	v_cndmask_b32_e32 v4, v5, v4, vcc
	v_mov_b32_e32 v5, 0x3b800000
	v_lshlrev_b32_e32 v4, 20, v4
	v_and_b32_e32 v3, 0x80000000, v3
	v_lshl_add_u32 v5, v6, 23, v5
	v_or3_b32 v3, v3, v5, v4
	v_cvt_f64_f32_e32 v[3:4], v3
.LBB9_652:
	s_or_b64 exec, exec, s[8:9]
.LBB9_653:
	s_mov_b64 s[0:1], -1
.LBB9_654:
	s_mov_b64 s[8:9], 0
.LBB9_655:
	s_and_b64 vcc, exec, s[8:9]
	s_cbranch_vccz .LBB9_688
; %bb.656:
	s_cmp_gt_i32 s12, 22
	s_cbranch_scc0 .LBB9_668
; %bb.657:
	s_cmp_lt_i32 s12, 24
	s_cbranch_scc1 .LBB9_669
; %bb.658:
	s_cmp_gt_i32 s12, 24
	s_cbranch_scc0 .LBB9_670
; %bb.659:
	global_load_ubyte v5, v[0:1], off
	s_movk_i32 s0, 0x7f
	s_waitcnt vmcnt(0)
	v_cmp_lt_i16_e32 vcc, s0, v5
	s_mov_b64 s[0:1], 0
	s_and_saveexec_b64 s[8:9], vcc
	s_xor_b64 s[8:9], exec, s[8:9]
	s_cbranch_execz .LBB9_663
; %bb.660:
	s_movk_i32 s0, 0x80
	v_cmp_eq_u16_e32 vcc, s0, v5
	s_mov_b64 s[0:1], -1
	s_and_saveexec_b64 s[10:11], vcc
; %bb.661:
	s_xor_b64 s[0:1], exec, -1
; %bb.662:
	s_or_b64 exec, exec, s[10:11]
	s_and_b64 s[0:1], s[0:1], exec
.LBB9_663:
	s_or_saveexec_b64 s[8:9], s[8:9]
	v_bfrev_b32_e32 v3, 4
	v_mov_b32_e32 v4, 0x7ff80000
	s_xor_b64 exec, exec, s[8:9]
; %bb.664:
	v_cmp_ne_u16_e32 vcc, 0, v5
	v_mov_b32_e32 v3, 0
	s_andn2_b64 s[0:1], s[0:1], exec
	s_and_b64 s[10:11], vcc, exec
	v_mov_b32_e32 v4, 0
	s_or_b64 s[0:1], s[0:1], s[10:11]
; %bb.665:
	s_or_b64 exec, exec, s[8:9]
	s_and_saveexec_b64 s[8:9], s[0:1]
	s_cbranch_execz .LBB9_667
; %bb.666:
	v_and_b32_e32 v4, 0xffff, v5
	v_lshlrev_b32_e32 v3, 24, v5
	v_and_b32_e32 v5, 3, v4
	v_ffbh_u32_e32 v7, v5
	v_min_u32_e32 v7, 32, v7
	v_subrev_u32_e32 v8, 29, v7
	v_bfe_u32 v6, v4, 2, 5
	v_lshlrev_b32_e32 v4, v8, v4
	v_sub_u32_e32 v7, 30, v7
	v_and_b32_e32 v4, 3, v4
	v_cmp_eq_u32_e32 vcc, 0, v6
	v_cndmask_b32_e32 v6, v6, v7, vcc
	v_cndmask_b32_e32 v4, v5, v4, vcc
	v_mov_b32_e32 v5, 0x37800000
	v_lshlrev_b32_e32 v4, 21, v4
	v_and_b32_e32 v3, 0x80000000, v3
	v_lshl_add_u32 v5, v6, 23, v5
	v_or3_b32 v3, v3, v5, v4
	v_cvt_f64_f32_e32 v[3:4], v3
.LBB9_667:
	s_or_b64 exec, exec, s[8:9]
	s_mov_b64 s[0:1], 0
	s_branch .LBB9_671
.LBB9_668:
	s_mov_b64 s[8:9], -1
                                        ; implicit-def: $vgpr3_vgpr4
	s_branch .LBB9_677
.LBB9_669:
	s_mov_b64 s[0:1], -1
                                        ; implicit-def: $vgpr3_vgpr4
	s_branch .LBB9_674
.LBB9_670:
	s_mov_b64 s[0:1], -1
                                        ; implicit-def: $vgpr3_vgpr4
.LBB9_671:
	s_and_b64 vcc, exec, s[0:1]
	s_cbranch_vccz .LBB9_673
; %bb.672:
	global_load_ubyte v3, v[0:1], off
	s_mov_b32 s0, 0x7f800000
	s_waitcnt vmcnt(0)
	v_lshlrev_b32_e32 v3, 24, v3
	v_and_b32_e32 v4, 0x7f000000, v3
	v_ffbh_u32_e32 v5, v4
	v_min_u32_e32 v5, 32, v5
	v_sub_u32_e64 v5, v5, 4 clamp
	v_lshlrev_b32_e32 v7, v5, v4
	v_lshlrev_b32_e32 v5, 23, v5
	v_lshrrev_b32_e32 v7, 4, v7
	v_add_u32_e32 v6, 0x1000000, v4
	v_sub_u32_e32 v5, v7, v5
	v_ashrrev_i32_e32 v6, 8, v6
	v_add_u32_e32 v5, 0x3c000000, v5
	v_and_or_b32 v5, v6, s0, v5
	v_cmp_ne_u32_e32 vcc, 0, v4
	v_cndmask_b32_e32 v4, 0, v5, vcc
	s_brev_b32 s0, 1
	v_and_or_b32 v3, v3, s0, v4
	v_cvt_f64_f32_e32 v[3:4], v3
.LBB9_673:
	s_mov_b64 s[0:1], 0
.LBB9_674:
	s_andn2_b64 vcc, exec, s[0:1]
	s_cbranch_vccnz .LBB9_676
; %bb.675:
	global_load_ubyte v3, v[0:1], off
	s_movk_i32 s0, 0x7f00
	s_brev_b32 s1, 16
	s_waitcnt vmcnt(0)
	v_lshlrev_b16_e32 v4, 8, v3
	v_lshlrev_b32_e32 v3, 25, v3
	v_lshrrev_b32_e32 v5, 4, v3
	v_and_or_b32 v6, v4, s0, 0.5
	v_or_b32_e32 v5, 0x70000000, v5
	v_add_f32_e32 v6, -0.5, v6
	v_mul_f32_e32 v5, 0x7800000, v5
	v_cmp_gt_u32_e32 vcc, s1, v3
	v_bfe_i32 v4, v4, 0, 16
	v_cndmask_b32_e32 v3, v5, v6, vcc
	s_brev_b32 s0, 1
	v_and_or_b32 v3, v4, s0, v3
	v_cvt_f64_f32_e32 v[3:4], v3
.LBB9_676:
	s_mov_b64 s[8:9], 0
	s_mov_b64 s[0:1], -1
.LBB9_677:
	s_andn2_b64 vcc, exec, s[8:9]
	s_cbranch_vccnz .LBB9_688
; %bb.678:
	s_cmp_gt_i32 s12, 14
	s_cbranch_scc0 .LBB9_681
; %bb.679:
	s_cmp_eq_u32 s12, 15
	s_cbranch_scc0 .LBB9_682
; %bb.680:
	global_load_ushort v3, v[0:1], off
	s_mov_b64 s[0:1], -1
	s_mov_b64 s[2:3], 0
	s_waitcnt vmcnt(0)
	v_lshlrev_b32_e32 v3, 16, v3
	v_cvt_f64_f32_e32 v[3:4], v3
	s_branch .LBB9_683
.LBB9_681:
	s_mov_b64 s[8:9], -1
                                        ; implicit-def: $vgpr3_vgpr4
	s_branch .LBB9_684
.LBB9_682:
	s_mov_b64 s[2:3], -1
                                        ; implicit-def: $vgpr3_vgpr4
.LBB9_683:
	s_mov_b64 s[8:9], 0
.LBB9_684:
	s_and_b64 vcc, exec, s[8:9]
	s_cbranch_vccz .LBB9_688
; %bb.685:
	s_cmp_eq_u32 s12, 11
	s_cbranch_scc0 .LBB9_687
; %bb.686:
	global_load_ubyte v4, v[0:1], off
	v_mov_b32_e32 v5, 0x3ff00000
	s_waitcnt vmcnt(1)
	v_mov_b32_e32 v3, 0
	s_mov_b64 s[0:1], -1
	s_mov_b64 s[2:3], 0
	s_waitcnt vmcnt(0)
	v_cmp_ne_u16_e32 vcc, 0, v4
	v_cndmask_b32_e32 v4, 0, v5, vcc
	s_branch .LBB9_688
.LBB9_687:
	s_mov_b64 s[2:3], -1
                                        ; implicit-def: $vgpr3_vgpr4
.LBB9_688:
	s_mov_b64 s[8:9], 0
.LBB9_689:
	s_and_b64 vcc, exec, s[8:9]
	s_cbranch_vccz .LBB9_738
; %bb.690:
	s_cmp_lt_i32 s12, 5
	s_cbranch_scc1 .LBB9_695
; %bb.691:
	s_cmp_lt_i32 s12, 8
	s_cbranch_scc1 .LBB9_696
	;; [unrolled: 3-line block ×3, first 2 shown]
; %bb.693:
	s_cmp_gt_i32 s12, 9
	s_cbranch_scc0 .LBB9_698
; %bb.694:
	global_load_dwordx2 v[3:4], v[0:1], off
	s_mov_b64 s[0:1], 0
	s_branch .LBB9_699
.LBB9_695:
	s_mov_b64 s[0:1], -1
                                        ; implicit-def: $vgpr3_vgpr4
	s_branch .LBB9_717
.LBB9_696:
	s_mov_b64 s[0:1], -1
                                        ; implicit-def: $vgpr3_vgpr4
	s_branch .LBB9_705
.LBB9_697:
	s_mov_b64 s[0:1], -1
                                        ; implicit-def: $vgpr3_vgpr4
	s_branch .LBB9_702
.LBB9_698:
	s_mov_b64 s[0:1], -1
                                        ; implicit-def: $vgpr3_vgpr4
.LBB9_699:
	s_andn2_b64 vcc, exec, s[0:1]
	s_cbranch_vccnz .LBB9_701
; %bb.700:
	global_load_dword v3, v[0:1], off
	s_waitcnt vmcnt(0)
	v_cvt_f64_f32_e32 v[3:4], v3
.LBB9_701:
	s_mov_b64 s[0:1], 0
.LBB9_702:
	s_andn2_b64 vcc, exec, s[0:1]
	s_cbranch_vccnz .LBB9_704
; %bb.703:
	global_load_dword v3, v[0:1], off
	s_waitcnt vmcnt(0)
	v_cvt_f32_f16_e32 v3, v3
	v_cvt_f64_f32_e32 v[3:4], v3
.LBB9_704:
	s_mov_b64 s[0:1], 0
.LBB9_705:
	s_andn2_b64 vcc, exec, s[0:1]
	s_cbranch_vccnz .LBB9_716
; %bb.706:
	s_cmp_lt_i32 s12, 6
	s_cbranch_scc1 .LBB9_709
; %bb.707:
	s_cmp_gt_i32 s12, 6
	s_cbranch_scc0 .LBB9_710
; %bb.708:
	global_load_dwordx2 v[3:4], v[0:1], off
	s_mov_b64 s[0:1], 0
	s_branch .LBB9_711
.LBB9_709:
	s_mov_b64 s[0:1], -1
                                        ; implicit-def: $vgpr3_vgpr4
	s_branch .LBB9_714
.LBB9_710:
	s_mov_b64 s[0:1], -1
                                        ; implicit-def: $vgpr3_vgpr4
.LBB9_711:
	s_andn2_b64 vcc, exec, s[0:1]
	s_cbranch_vccnz .LBB9_713
; %bb.712:
	global_load_dword v3, v[0:1], off
	s_waitcnt vmcnt(0)
	v_cvt_f64_f32_e32 v[3:4], v3
.LBB9_713:
	s_mov_b64 s[0:1], 0
.LBB9_714:
	s_andn2_b64 vcc, exec, s[0:1]
	s_cbranch_vccnz .LBB9_716
; %bb.715:
	global_load_ushort v3, v[0:1], off
	s_waitcnt vmcnt(0)
	v_cvt_f32_f16_e32 v3, v3
	v_cvt_f64_f32_e32 v[3:4], v3
.LBB9_716:
	s_mov_b64 s[0:1], 0
.LBB9_717:
	s_andn2_b64 vcc, exec, s[0:1]
	s_cbranch_vccnz .LBB9_737
; %bb.718:
	s_cmp_lt_i32 s12, 2
	s_cbranch_scc1 .LBB9_722
; %bb.719:
	s_cmp_lt_i32 s12, 3
	s_cbranch_scc1 .LBB9_723
; %bb.720:
	s_cmp_gt_i32 s12, 3
	s_cbranch_scc0 .LBB9_724
; %bb.721:
	global_load_dwordx2 v[3:4], v[0:1], off
	s_mov_b64 s[0:1], 0
	s_waitcnt vmcnt(0)
	v_cvt_f64_i32_e32 v[4:5], v4
	v_cvt_f64_u32_e32 v[6:7], v3
	v_ldexp_f64 v[4:5], v[4:5], 32
	v_add_f64 v[3:4], v[4:5], v[6:7]
	s_branch .LBB9_725
.LBB9_722:
	s_mov_b64 s[0:1], -1
                                        ; implicit-def: $vgpr3_vgpr4
	s_branch .LBB9_731
.LBB9_723:
	s_mov_b64 s[0:1], -1
                                        ; implicit-def: $vgpr3_vgpr4
	s_branch .LBB9_728
.LBB9_724:
	s_mov_b64 s[0:1], -1
                                        ; implicit-def: $vgpr3_vgpr4
.LBB9_725:
	s_andn2_b64 vcc, exec, s[0:1]
	s_cbranch_vccnz .LBB9_727
; %bb.726:
	global_load_dword v3, v[0:1], off
	s_waitcnt vmcnt(0)
	v_cvt_f64_i32_e32 v[3:4], v3
.LBB9_727:
	s_mov_b64 s[0:1], 0
.LBB9_728:
	s_andn2_b64 vcc, exec, s[0:1]
	s_cbranch_vccnz .LBB9_730
; %bb.729:
	global_load_sshort v3, v[0:1], off
	s_waitcnt vmcnt(0)
	v_cvt_f64_i32_e32 v[3:4], v3
.LBB9_730:
	s_mov_b64 s[0:1], 0
.LBB9_731:
	s_andn2_b64 vcc, exec, s[0:1]
	s_cbranch_vccnz .LBB9_737
; %bb.732:
	s_cmp_gt_i32 s12, 0
	s_cbranch_scc0 .LBB9_734
; %bb.733:
	global_load_sbyte v3, v[0:1], off
	s_mov_b64 s[0:1], 0
	s_waitcnt vmcnt(0)
	v_cvt_f64_i32_e32 v[3:4], v3
	s_branch .LBB9_735
.LBB9_734:
	s_mov_b64 s[0:1], -1
                                        ; implicit-def: $vgpr3_vgpr4
.LBB9_735:
	s_andn2_b64 vcc, exec, s[0:1]
	s_cbranch_vccnz .LBB9_737
; %bb.736:
	global_load_ubyte v0, v[0:1], off
	s_waitcnt vmcnt(0)
	v_cvt_f64_u32_e32 v[3:4], v0
.LBB9_737:
	s_mov_b64 s[0:1], -1
.LBB9_738:
	s_andn2_b64 vcc, exec, s[0:1]
	s_cbranch_vccnz .LBB9_770
; %bb.739:
	s_waitcnt vmcnt(0)
	v_cmp_neq_f64_e32 vcc, 0, v[3:4]
                                        ; implicit-def: $vgpr0_vgpr1
	s_and_saveexec_b64 s[0:1], vcc
	s_xor_b64 s[8:9], exec, s[0:1]
	s_cbranch_execz .LBB9_761
; %bb.740:
	v_cmp_gt_f64_e32 vcc, 0, v[3:4]
	v_mov_b32_e32 v5, 0
	v_mov_b32_e32 v6, 0
	s_mov_b64 s[12:13], -1
	s_and_saveexec_b64 s[10:11], vcc
	s_cbranch_execz .LBB9_748
; %bb.741:
	v_trunc_f64_e32 v[0:1], v[3:4]
	v_mov_b32_e32 v5, 0
	v_mov_b32_e32 v6, 0
	s_mov_b64 s[14:15], 0
	v_cmp_neq_f64_e32 vcc, v[3:4], v[0:1]
	s_and_saveexec_b64 s[12:13], vcc
	s_cbranch_execz .LBB9_747
; %bb.742:
	v_add_f64 v[0:1], v[3:4], -v[0:1]
	s_mov_b32 s0, 0
	s_mov_b32 s15, 0xc00921fb
	;; [unrolled: 1-line block ×4, first 2 shown]
	v_cmp_neq_f64_e64 vcc, |v[3:4]|, s[0:1]
	v_bfrev_b32_e32 v5, 1
	s_mov_b32 s16, 0
	v_mul_f64 v[0:1], |v[0:1]|, s[14:15]
	s_mov_b32 s17, 0x41d00000
                                        ; implicit-def: $vgpr9
                                        ; implicit-def: $vgpr7_vgpr8
	v_cndmask_b32_e32 v1, v5, v1, vcc
	v_cndmask_b32_e32 v0, 0, v0, vcc
	v_cmp_nlt_f64_e64 s[16:17], |v[0:1]|, s[16:17]
                                        ; implicit-def: $vgpr5_vgpr6
	s_and_saveexec_b64 s[18:19], s[16:17]
	s_xor_b64 s[16:17], exec, s[18:19]
	s_cbranch_execz .LBB9_744
; %bb.743:
	v_trig_preop_f64 v[5:6], |v[0:1]|, 0
	s_mov_b32 s18, 0
	s_mov_b32 s19, 0x7b000000
	s_movk_i32 s15, 0xff80
	v_ldexp_f64 v[9:10], |v[0:1]|, s15
	v_cmp_ge_f64_e64 vcc, |v[0:1]|, s[18:19]
	v_trig_preop_f64 v[7:8], |v[0:1]|, 1
	v_and_b32_e32 v12, 0x7fffffff, v1
	v_trig_preop_f64 v[18:19], |v[0:1]|, 2
	v_mov_b32_e32 v29, 0x40100000
	v_mov_b32_e32 v28, 0
	s_mov_b32 s15, 0x3ff921fb
	v_cndmask_b32_e32 v10, v12, v10, vcc
	v_cndmask_b32_e32 v9, v0, v9, vcc
	v_mul_f64 v[12:13], v[5:6], v[9:10]
	v_mul_f64 v[14:15], v[7:8], v[9:10]
	;; [unrolled: 1-line block ×3, first 2 shown]
	v_fma_f64 v[5:6], v[5:6], v[9:10], -v[12:13]
	v_fma_f64 v[7:8], v[7:8], v[9:10], -v[14:15]
	;; [unrolled: 1-line block ×3, first 2 shown]
	v_add_f64 v[16:17], v[14:15], v[5:6]
	v_add_f64 v[20:21], v[16:17], -v[14:15]
	v_add_f64 v[26:27], v[12:13], v[16:17]
	v_add_f64 v[22:23], v[16:17], -v[20:21]
	v_add_f64 v[5:6], v[5:6], -v[20:21]
	v_add_f64 v[20:21], v[24:25], v[7:8]
	v_add_f64 v[12:13], v[26:27], -v[12:13]
	v_add_f64 v[14:15], v[14:15], -v[22:23]
	v_ldexp_f64 v[22:23], v[26:27], -2
	v_add_f64 v[30:31], v[20:21], -v[24:25]
	v_add_f64 v[12:13], v[16:17], -v[12:13]
	v_add_f64 v[5:6], v[5:6], v[14:15]
	v_fract_f64_e32 v[14:15], v[22:23]
	v_cmp_neq_f64_e64 vcc, |v[22:23]|, s[0:1]
	v_add_f64 v[7:8], v[7:8], -v[30:31]
	v_add_f64 v[16:17], v[20:21], v[5:6]
	v_ldexp_f64 v[14:15], v[14:15], 2
	v_add_f64 v[22:23], v[12:13], v[16:17]
	v_cndmask_b32_e32 v15, 0, v15, vcc
	v_cndmask_b32_e32 v14, 0, v14, vcc
	v_add_f64 v[32:33], v[16:17], -v[20:21]
	v_add_f64 v[26:27], v[22:23], v[14:15]
	v_add_f64 v[12:13], v[22:23], -v[12:13]
	v_add_f64 v[34:35], v[16:17], -v[32:33]
	;; [unrolled: 1-line block ×3, first 2 shown]
	v_cmp_gt_f64_e32 vcc, 0, v[26:27]
	v_add_f64 v[26:27], v[20:21], -v[30:31]
	v_add_f64 v[12:13], v[16:17], -v[12:13]
	;; [unrolled: 1-line block ×3, first 2 shown]
	v_cndmask_b32_e32 v29, 0, v29, vcc
	v_add_f64 v[14:15], v[14:15], v[28:29]
	v_add_f64 v[26:27], v[24:25], -v[26:27]
	v_add_f64 v[5:6], v[5:6], v[20:21]
	v_add_f64 v[36:37], v[22:23], v[14:15]
	;; [unrolled: 1-line block ×3, first 2 shown]
	v_cvt_i32_f64_e32 v31, v[36:37]
	v_add_f64 v[5:6], v[7:8], v[5:6]
	v_cvt_f64_i32_e32 v[29:30], v31
	v_add_f64 v[14:15], v[14:15], -v[29:30]
	v_add_f64 v[5:6], v[9:10], v[5:6]
	v_add_f64 v[7:8], v[22:23], v[14:15]
	;; [unrolled: 1-line block ×3, first 2 shown]
	v_add_f64 v[9:10], v[7:8], -v[14:15]
	v_cmp_le_f64_e32 vcc, 0.5, v[7:8]
	v_add_f64 v[12:13], v[22:23], -v[9:10]
	v_mov_b32_e32 v10, 0x3ff00000
	v_cndmask_b32_e32 v29, 0, v10, vcc
	v_add_f64 v[7:8], v[7:8], -v[28:29]
	v_addc_co_u32_e64 v9, s[0:1], 0, v31, vcc
	s_mov_b32 s0, 0x33145c07
	s_mov_b32 s1, 0x3c91a626
	v_add_f64 v[5:6], v[5:6], v[12:13]
	v_add_f64 v[12:13], v[7:8], v[5:6]
	v_mul_f64 v[14:15], v[12:13], s[14:15]
	v_add_f64 v[7:8], v[12:13], -v[7:8]
	v_fma_f64 v[16:17], v[12:13], s[14:15], -v[14:15]
	v_add_f64 v[5:6], v[5:6], -v[7:8]
	v_fma_f64 v[7:8], v[12:13], s[0:1], v[16:17]
	v_fma_f64 v[7:8], v[5:6], s[14:15], v[7:8]
	v_add_f64 v[5:6], v[14:15], v[7:8]
	v_add_f64 v[12:13], v[5:6], -v[14:15]
	v_add_f64 v[7:8], v[7:8], -v[12:13]
.LBB9_744:
	s_andn2_saveexec_b64 s[0:1], s[16:17]
	s_cbranch_execz .LBB9_746
; %bb.745:
	s_mov_b32 s14, 0x6dc9c883
	s_mov_b32 s15, 0x3fe45f30
	v_mul_f64 v[5:6], |v[0:1]|, s[14:15]
	s_mov_b32 s14, 0x54442d18
	s_mov_b32 s15, 0xbff921fb
	;; [unrolled: 1-line block ×4, first 2 shown]
	v_rndne_f64_e32 v[9:10], v[5:6]
	v_fma_f64 v[5:6], v[9:10], s[14:15], |v[0:1]|
	v_mul_f64 v[7:8], v[9:10], s[16:17]
	s_mov_b32 s14, 0x252049c0
	s_mov_b32 s15, 0xb97b839a
	v_fma_f64 v[16:17], v[9:10], s[16:17], v[5:6]
	v_add_f64 v[12:13], v[5:6], v[7:8]
	s_mov_b32 s17, 0x3c91a626
	v_add_f64 v[14:15], v[5:6], -v[12:13]
	v_add_f64 v[12:13], v[12:13], -v[16:17]
	v_add_f64 v[5:6], v[14:15], v[7:8]
	v_fma_f64 v[7:8], v[9:10], s[16:17], v[7:8]
	v_add_f64 v[5:6], v[12:13], v[5:6]
	v_add_f64 v[5:6], v[5:6], -v[7:8]
	v_fma_f64 v[7:8], v[9:10], s[14:15], v[5:6]
	v_cvt_i32_f64_e32 v9, v[9:10]
	v_add_f64 v[5:6], v[16:17], v[7:8]
	v_add_f64 v[12:13], v[5:6], -v[16:17]
	v_add_f64 v[7:8], v[7:8], -v[12:13]
.LBB9_746:
	s_or_b64 exec, exec, s[0:1]
	v_mul_f64 v[12:13], v[5:6], v[5:6]
	v_add_f64 v[14:15], v[7:8], v[7:8]
	s_mov_b32 s0, 0xc751c08c
	s_mov_b32 s1, 0x3ef5e089
	v_and_b32_e32 v9, 1, v9
	v_cmp_eq_u32_e32 vcc, 0, v9
	v_and_b32_e32 v10, 0x80000000, v1
	s_mov_b32 s16, 0x54442d18
	v_fma_f64 v[16:17], v[5:6], v[5:6], -v[12:13]
	s_mov_b32 s17, 0xc00921fb
	v_add_f64 v[3:4], -v[3:4], 1.0
	s_mov_b64 s[14:15], exec
	v_fma_f64 v[14:15], v[5:6], v[14:15], v[16:17]
	v_add_f64 v[12:13], v[12:13], v[14:15]
	v_mov_b32_e32 v14, 0xa9a29f71
	v_mov_b32_e32 v15, 0xbf078809
	v_fma_f64 v[14:15], v[12:13], s[0:1], v[14:15]
	s_mov_b32 s0, 0x90a8aae0
	s_mov_b32 s1, 0x3f17746f
	v_fma_f64 v[14:15], v[12:13], v[14:15], s[0:1]
	s_mov_b32 s0, 0xa6fbf144
	s_mov_b32 s1, 0xbefbb44d
	;; [unrolled: 3-line block ×12, first 2 shown]
	v_fma_f64 v[14:15], v[12:13], v[14:15], s[0:1]
	s_movk_i32 s0, 0x1f8
	v_cmp_class_f64_e64 s[0:1], v[0:1], s0
	v_mov_b32_e32 v1, 0x7ff80000
	v_mul_f64 v[12:13], v[12:13], v[14:15]
	v_mul_f64 v[14:15], v[5:6], v[12:13]
	v_add_f64 v[16:17], v[5:6], v[14:15]
	v_fma_f64 v[12:13], v[5:6], v[12:13], -v[14:15]
	v_add_f64 v[5:6], v[16:17], -v[5:6]
	v_add_f64 v[7:8], v[7:8], v[12:13]
	v_add_f64 v[5:6], v[14:15], -v[5:6]
	v_add_f64 v[5:6], v[7:8], v[5:6]
	v_add_f64 v[7:8], v[16:17], v[5:6]
	v_rcp_f64_e32 v[12:13], v[7:8]
	v_fma_f64 v[14:15], -v[7:8], v[12:13], 1.0
	v_fma_f64 v[12:13], v[14:15], v[12:13], v[12:13]
	v_fma_f64 v[14:15], -v[7:8], v[12:13], 1.0
	v_fma_f64 v[12:13], v[14:15], v[12:13], v[12:13]
	v_add_f64 v[14:15], v[7:8], -v[16:17]
	v_mul_f64 v[16:17], v[7:8], v[12:13]
	v_add_f64 v[5:6], v[5:6], -v[14:15]
	v_fma_f64 v[14:15], v[12:13], v[7:8], -v[16:17]
	v_fma_f64 v[5:6], v[12:13], v[5:6], v[14:15]
	v_add_f64 v[14:15], v[16:17], v[5:6]
	v_add_f64 v[18:19], -v[14:15], 1.0
	v_add_f64 v[16:17], v[14:15], -v[16:17]
	v_add_f64 v[20:21], -v[18:19], 1.0
	v_add_f64 v[5:6], v[16:17], -v[5:6]
	v_add_f64 v[14:15], v[20:21], -v[14:15]
	v_add_f64 v[5:6], v[5:6], v[14:15]
	v_add_f64 v[5:6], v[18:19], v[5:6]
	v_mul_f64 v[5:6], v[12:13], v[5:6]
	v_add_f64 v[5:6], v[12:13], v[5:6]
	v_xor_b32_e32 v0, 0x80000000, v6
	v_cndmask_b32_e32 v5, v5, v7, vcc
	v_cndmask_b32_e32 v6, v0, v8, vcc
	v_cndmask_b32_e64 v0, 0, v5, s[0:1]
	v_xor_b32_e32 v5, v6, v10
	v_cndmask_b32_e64 v1, v1, v5, s[0:1]
	v_div_scale_f64 v[5:6], s[0:1], v[0:1], v[0:1], s[16:17]
	v_rcp_f64_e32 v[7:8], v[5:6]
	v_fma_f64 v[9:10], -v[5:6], v[7:8], 1.0
	v_fma_f64 v[7:8], v[7:8], v[9:10], v[7:8]
	v_div_scale_f64 v[9:10], vcc, s[16:17], v[0:1], s[16:17]
	v_fma_f64 v[12:13], -v[5:6], v[7:8], 1.0
	v_fma_f64 v[7:8], v[7:8], v[12:13], v[7:8]
	v_mul_f64 v[12:13], v[9:10], v[7:8]
	v_fma_f64 v[5:6], -v[5:6], v[12:13], v[9:10]
	v_div_fmas_f64 v[5:6], v[5:6], v[7:8], v[12:13]
	v_div_fixup_f64 v[5:6], v[5:6], v[0:1], s[16:17]
.LBB9_747:
	s_or_b64 exec, exec, s[12:13]
	s_orn2_b64 s[12:13], s[14:15], exec
.LBB9_748:
	s_or_b64 exec, exec, s[10:11]
	v_mov_b32_e32 v0, 0
	v_mov_b32_e32 v1, 0x7ff80000
	s_and_saveexec_b64 s[0:1], s[12:13]
	s_cbranch_execz .LBB9_760
; %bb.749:
	s_mov_b32 s12, 0
	s_mov_b32 s13, 0x40240000
	v_cmp_gt_f64_e32 vcc, s[12:13], v[3:4]
	s_and_saveexec_b64 s[10:11], vcc
	s_cbranch_execz .LBB9_753
; %bb.750:
	s_mov_b64 s[14:15], 0
.LBB9_751:                              ; =>This Inner Loop Header: Depth=1
	v_div_scale_f64 v[0:1], s[16:17], v[3:4], v[3:4], 1.0
	v_rcp_f64_e32 v[7:8], v[0:1]
	v_fma_f64 v[9:10], -v[0:1], v[7:8], 1.0
	v_fma_f64 v[7:8], v[7:8], v[9:10], v[7:8]
	v_div_scale_f64 v[9:10], vcc, 1.0, v[3:4], 1.0
	v_fma_f64 v[12:13], -v[0:1], v[7:8], 1.0
	v_fma_f64 v[7:8], v[7:8], v[12:13], v[7:8]
	v_mul_f64 v[12:13], v[9:10], v[7:8]
	v_fma_f64 v[0:1], -v[0:1], v[12:13], v[9:10]
	v_div_fmas_f64 v[0:1], v[0:1], v[7:8], v[12:13]
	v_div_fixup_f64 v[0:1], v[0:1], v[3:4], 1.0
	v_add_f64 v[3:4], v[3:4], 1.0
	v_add_f64 v[5:6], v[5:6], -v[0:1]
	v_cmp_ngt_f64_e32 vcc, s[12:13], v[3:4]
	s_or_b64 s[14:15], vcc, s[14:15]
	s_andn2_b64 exec, exec, s[14:15]
	s_cbranch_execnz .LBB9_751
; %bb.752:
	s_or_b64 exec, exec, s[14:15]
.LBB9_753:
	s_or_b64 exec, exec, s[10:11]
	s_mov_b32 s10, 0
	s_mov_b32 s11, 0x40240000
	v_cmp_neq_f64_e32 vcc, s[10:11], v[3:4]
                                        ; implicit-def: $vgpr0_vgpr1
	s_and_saveexec_b64 s[10:11], vcc
	s_xor_b64 s[10:11], exec, s[10:11]
	s_cbranch_execz .LBB9_757
; %bb.754:
	s_mov_b32 s12, 0x85d8a000
	s_mov_b32 s13, 0x43763457
	v_cmp_gt_f64_e32 vcc, s[12:13], v[3:4]
	v_mov_b32_e32 v0, 0
	v_mov_b32_e32 v1, 0
	s_and_saveexec_b64 s[12:13], vcc
	s_cbranch_execz .LBB9_756
; %bb.755:
	v_mul_f64 v[0:1], v[3:4], v[3:4]
	s_mov_b32 s16, 0x95995996
	s_mov_b32 s17, 0xbf959959
	;; [unrolled: 1-line block ×4, first 2 shown]
	v_div_scale_f64 v[7:8], s[14:15], v[0:1], v[0:1], 1.0
	v_div_scale_f64 v[14:15], vcc, 1.0, v[0:1], 1.0
	s_mov_b32 s14, 0x55555555
	s_mov_b32 s15, 0x3fb55555
	v_rcp_f64_e32 v[9:10], v[7:8]
	v_fma_f64 v[12:13], -v[7:8], v[9:10], 1.0
	v_fma_f64 v[9:10], v[9:10], v[12:13], v[9:10]
	v_fma_f64 v[12:13], -v[7:8], v[9:10], 1.0
	v_fma_f64 v[9:10], v[9:10], v[12:13], v[9:10]
	v_mul_f64 v[12:13], v[14:15], v[9:10]
	v_fma_f64 v[7:8], -v[7:8], v[12:13], v[14:15]
	v_div_fmas_f64 v[7:8], v[7:8], v[9:10], v[12:13]
	v_div_fixup_f64 v[0:1], v[7:8], v[0:1], 1.0
	v_fma_f64 v[7:8], v[0:1], 0, s[14:15]
	v_fma_f64 v[7:8], v[0:1], v[7:8], s[16:17]
	s_mov_b32 s16, 0xf07c1f08
	s_mov_b32 s17, 0x3f7f07c1
	v_fma_f64 v[7:8], v[0:1], v[7:8], s[16:17]
	s_mov_b32 s17, 0xbf711111
	s_mov_b32 s16, 0x11111111
	v_fma_f64 v[7:8], v[0:1], v[7:8], s[16:17]
	s_mov_b32 s17, 0xbf811111
	v_fma_f64 v[7:8], v[0:1], v[7:8], s[18:19]
	v_fma_f64 v[7:8], v[0:1], v[7:8], s[16:17]
	;; [unrolled: 1-line block ×3, first 2 shown]
	v_mul_f64 v[0:1], v[0:1], v[7:8]
.LBB9_756:
	s_or_b64 exec, exec, s[12:13]
	v_frexp_mant_f64_e32 v[7:8], v[3:4]
	s_mov_b32 s13, 0x3fe55555
	s_mov_b32 s12, 0x55555555
	;; [unrolled: 1-line block ×4, first 2 shown]
	v_cmp_gt_f64_e32 vcc, s[12:13], v[7:8]
	s_mov_b32 s12, 0x55555780
	v_cndmask_b32_e64 v9, 0, 1, vcc
	v_ldexp_f64 v[7:8], v[7:8], v9
	v_add_f64 v[9:10], v[7:8], 1.0
	v_add_f64 v[16:17], v[7:8], -1.0
	v_rcp_f64_e32 v[12:13], v[9:10]
	v_add_f64 v[18:19], v[9:10], -1.0
	v_add_f64 v[7:8], v[7:8], -v[18:19]
	v_fma_f64 v[14:15], -v[9:10], v[12:13], 1.0
	v_fma_f64 v[12:13], v[14:15], v[12:13], v[12:13]
	v_fma_f64 v[14:15], -v[9:10], v[12:13], 1.0
	v_fma_f64 v[12:13], v[14:15], v[12:13], v[12:13]
	v_mul_f64 v[14:15], v[16:17], v[12:13]
	v_mul_f64 v[20:21], v[9:10], v[14:15]
	v_fma_f64 v[9:10], v[14:15], v[9:10], -v[20:21]
	v_fma_f64 v[7:8], v[14:15], v[7:8], v[9:10]
	v_add_f64 v[9:10], v[20:21], v[7:8]
	v_add_f64 v[18:19], v[16:17], -v[9:10]
	v_add_f64 v[20:21], v[9:10], -v[20:21]
	;; [unrolled: 1-line block ×5, first 2 shown]
	v_mov_b32_e32 v16, 0x6b47b09a
	v_mov_b32_e32 v17, 0x3fc38538
	v_add_f64 v[7:8], v[7:8], v[9:10]
	v_add_f64 v[7:8], v[18:19], v[7:8]
	v_mul_f64 v[7:8], v[12:13], v[7:8]
	v_add_f64 v[9:10], v[14:15], v[7:8]
	v_mul_f64 v[12:13], v[9:10], v[9:10]
	v_fma_f64 v[16:17], v[12:13], s[14:15], v[16:17]
	s_mov_b32 s14, 0xd7f4df2e
	s_mov_b32 s15, 0x3fc7474d
	v_mul_f64 v[18:19], v[9:10], v[12:13]
	v_fma_f64 v[16:17], v[12:13], v[16:17], s[14:15]
	s_mov_b32 s14, 0x16291751
	s_mov_b32 s15, 0x3fcc71c0
	v_fma_f64 v[16:17], v[12:13], v[16:17], s[14:15]
	s_mov_b32 s14, 0x9b27acf1
	s_mov_b32 s15, 0x3fd24924
	;; [unrolled: 3-line block ×3, first 2 shown]
	v_fma_f64 v[16:17], v[12:13], v[16:17], s[14:15]
	v_fma_f64 v[12:13], v[12:13], v[16:17], s[12:13]
	v_ldexp_f64 v[16:17], v[9:10], 1
	v_add_f64 v[9:10], v[9:10], -v[14:15]
	s_mov_b32 s12, 0xfefa39ef
	s_mov_b32 s13, 0x3fe62e42
	v_mul_f64 v[12:13], v[18:19], v[12:13]
	v_frexp_exp_i32_f64_e32 v18, v[3:4]
	v_add_f64 v[7:8], v[7:8], -v[9:10]
	v_add_f64 v[14:15], v[16:17], v[12:13]
	v_subbrev_co_u32_e32 v18, vcc, 0, v18, vcc
	v_cvt_f64_i32_e32 v[18:19], v18
	v_ldexp_f64 v[7:8], v[7:8], 1
	v_mul_f64 v[20:21], v[18:19], s[12:13]
	v_add_f64 v[9:10], v[14:15], -v[16:17]
	v_fma_f64 v[16:17], v[18:19], s[12:13], -v[20:21]
	v_add_f64 v[9:10], v[12:13], -v[9:10]
	s_mov_b32 s12, 0x3b39803f
	s_mov_b32 s13, 0x3c7abc9e
	v_fma_f64 v[12:13], v[18:19], s[12:13], v[16:17]
	v_add_f64 v[7:8], v[7:8], v[9:10]
	v_div_scale_f64 v[9:10], s[12:13], v[3:4], v[3:4], -0.5
	s_movk_i32 s12, 0x204
	v_add_f64 v[16:17], v[20:21], v[12:13]
	v_add_f64 v[18:19], v[14:15], v[7:8]
	v_add_f64 v[20:21], v[16:17], -v[20:21]
	v_add_f64 v[22:23], v[16:17], v[18:19]
	v_rcp_f64_e32 v[24:25], v[9:10]
	v_add_f64 v[14:15], v[18:19], -v[14:15]
	v_add_f64 v[12:13], v[12:13], -v[20:21]
	;; [unrolled: 1-line block ×5, first 2 shown]
	v_fma_f64 v[30:31], -v[9:10], v[24:25], 1.0
	v_add_f64 v[14:15], v[18:19], -v[26:27]
	v_add_f64 v[20:21], v[12:13], v[7:8]
	v_add_f64 v[16:17], v[16:17], -v[28:29]
	v_fma_f64 v[18:19], v[24:25], v[30:31], v[24:25]
	v_add_f64 v[26:27], v[20:21], -v[12:13]
	v_add_f64 v[14:15], v[14:15], v[16:17]
	v_div_scale_f64 v[16:17], vcc, -0.5, v[3:4], -0.5
	v_fma_f64 v[24:25], -v[9:10], v[18:19], 1.0
	v_add_f64 v[7:8], v[7:8], -v[26:27]
	v_add_f64 v[14:15], v[20:21], v[14:15]
	v_add_f64 v[20:21], v[20:21], -v[26:27]
	v_fma_f64 v[18:19], v[18:19], v[24:25], v[18:19]
	v_add_f64 v[24:25], v[22:23], v[14:15]
	v_add_f64 v[12:13], v[12:13], -v[20:21]
	v_mul_f64 v[28:29], v[16:17], v[18:19]
	v_add_f64 v[20:21], v[24:25], -v[22:23]
	v_add_f64 v[7:8], v[7:8], v[12:13]
	v_fma_f64 v[9:10], -v[9:10], v[28:29], v[16:17]
	v_add_f64 v[12:13], v[14:15], -v[20:21]
	v_div_fmas_f64 v[9:10], v[9:10], v[18:19], v[28:29]
	v_cmp_class_f64_e64 vcc, v[3:4], s12
	v_add_f64 v[7:8], v[7:8], v[12:13]
	v_add_f64 v[7:8], v[24:25], v[7:8]
	v_div_fixup_f64 v[9:10], v[9:10], v[3:4], -0.5
	v_cndmask_b32_e32 v4, v8, v4, vcc
	v_cndmask_b32_e32 v3, v7, v3, vcc
	v_add_f64 v[3:4], v[3:4], v[9:10]
	v_add_f64 v[0:1], v[3:4], -v[0:1]
	v_add_f64 v[0:1], v[5:6], v[0:1]
                                        ; implicit-def: $vgpr5_vgpr6
.LBB9_757:
	s_andn2_saveexec_b64 s[10:11], s[10:11]
	s_cbranch_execz .LBB9_759
; %bb.758:
	s_mov_b32 s12, 0xdc85cc95
	s_mov_b32 s13, 0x40020396
	v_add_f64 v[0:1], v[5:6], s[12:13]
.LBB9_759:
	s_or_b64 exec, exec, s[10:11]
.LBB9_760:
	s_or_b64 exec, exec, s[0:1]
                                        ; implicit-def: $vgpr3_vgpr4
.LBB9_761:
	s_andn2_saveexec_b64 s[0:1], s[8:9]
; %bb.762:
	v_xor_b32_e32 v0, 0x80000000, v4
	s_brev_b32 s8, -2
	v_mov_b32_e32 v1, 0x7ff00000
	v_bfi_b32 v1, s8, v1, v0
	v_mov_b32_e32 v0, 0
; %bb.763:
	s_or_b64 exec, exec, s[0:1]
	v_mov_b32_e32 v3, s25
	s_and_b32 s14, s73, 0xff
	v_add_co_u32_e32 v4, vcc, s24, v2
	s_cmp_lt_i32 s14, 11
	v_addc_co_u32_e32 v5, vcc, 0, v3, vcc
	s_cbranch_scc1 .LBB9_771
; %bb.764:
	s_and_b32 s15, 0xffff, s14
	s_cmp_gt_i32 s15, 25
	s_cbranch_scc0 .LBB9_772
; %bb.765:
	s_cmp_gt_i32 s15, 28
	s_cbranch_scc0 .LBB9_773
; %bb.766:
	;; [unrolled: 3-line block ×4, first 2 shown]
	s_mov_b64 s[10:11], 0
	s_mov_b64 s[0:1], -1
	s_cmp_eq_u32 s15, 46
	s_mov_b64 s[8:9], 0
	s_cbranch_scc0 .LBB9_776
; %bb.769:
	v_cvt_f32_f64_e32 v2, v[0:1]
	s_movk_i32 s0, 0x7fff
	v_mov_b32_e32 v3, 0x7fc0
	s_mov_b64 s[8:9], -1
	v_bfe_u32 v6, v2, 16, 1
	v_cmp_o_f32_e32 vcc, v2, v2
	v_add3_u32 v2, v2, v6, s0
	v_cndmask_b32_sdwa v2, v3, v2, vcc dst_sel:DWORD dst_unused:UNUSED_PAD src0_sel:DWORD src1_sel:WORD_1
	global_store_dword v[4:5], v2, off
	s_mov_b64 s[0:1], 0
	s_branch .LBB9_776
.LBB9_770:
	s_mov_b64 s[8:9], 0
	s_mov_b64 s[0:1], s[60:61]
	s_branch .LBB9_887
.LBB9_771:
	s_mov_b64 s[10:11], -1
	s_mov_b64 s[8:9], 0
	s_mov_b64 s[0:1], s[60:61]
	s_branch .LBB9_845
.LBB9_772:
	s_mov_b64 s[10:11], -1
	s_mov_b64 s[8:9], 0
	s_mov_b64 s[0:1], s[60:61]
	s_branch .LBB9_803
.LBB9_773:
	s_mov_b64 s[10:11], -1
	s_mov_b64 s[8:9], 0
	s_mov_b64 s[0:1], s[60:61]
	s_branch .LBB9_786
.LBB9_774:
	s_mov_b64 s[10:11], -1
	s_mov_b64 s[8:9], 0
	s_mov_b64 s[0:1], s[60:61]
	s_branch .LBB9_782
.LBB9_775:
	s_mov_b64 s[10:11], -1
	s_mov_b64 s[8:9], 0
	s_mov_b64 s[0:1], s[60:61]
.LBB9_776:
	s_and_b64 vcc, exec, s[10:11]
	s_cbranch_vccz .LBB9_781
; %bb.777:
	s_cmp_eq_u32 s15, 44
	s_mov_b64 s[0:1], -1
	s_cbranch_scc0 .LBB9_781
; %bb.778:
	v_cvt_f32_f64_e32 v2, v[0:1]
	s_movk_i32 s0, 0xff
	v_mov_b32_e32 v6, 0xff
	v_bfe_u32 v3, v2, 23, 8
	v_cmp_ne_u32_e32 vcc, s0, v3
	s_and_saveexec_b64 s[8:9], vcc
; %bb.779:
	s_mov_b32 s0, 0x3fffff
	v_lshrrev_b32_e32 v6, 23, v2
	v_and_b32_e32 v7, 0x400000, v2
	v_and_or_b32 v2, v2, s0, v3
	v_cmp_ne_u32_e32 vcc, 0, v7
	v_cmp_ne_u32_e64 s[0:1], 0, v2
	s_and_b64 s[0:1], vcc, s[0:1]
	v_cndmask_b32_e64 v2, 0, 1, s[0:1]
	v_add_u32_e32 v6, v6, v2
; %bb.780:
	s_or_b64 exec, exec, s[8:9]
	s_mov_b64 s[8:9], -1
	s_mov_b64 s[0:1], 0
	global_store_byte v[4:5], v6, off
.LBB9_781:
	s_mov_b64 s[10:11], 0
.LBB9_782:
	s_and_b64 vcc, exec, s[10:11]
	s_cbranch_vccz .LBB9_785
; %bb.783:
	s_cmp_eq_u32 s15, 29
	s_mov_b64 s[0:1], -1
	s_cbranch_scc0 .LBB9_785
; %bb.784:
	v_trunc_f64_e32 v[2:3], v[0:1]
	s_movk_i32 s0, 0xffe0
	s_mov_b64 s[8:9], -1
	s_mov_b64 s[10:11], 0
	v_ldexp_f64 v[6:7], v[2:3], s0
	s_mov_b32 s0, 0
	s_mov_b32 s1, 0xc1f00000
	v_floor_f64_e32 v[6:7], v[6:7]
	v_fma_f64 v[2:3], v[6:7], s[0:1], v[2:3]
	v_cvt_u32_f64_e32 v7, v[6:7]
	s_mov_b64 s[0:1], 0
	v_cvt_u32_f64_e32 v6, v[2:3]
	global_store_dwordx2 v[4:5], v[6:7], off
	s_branch .LBB9_786
.LBB9_785:
	s_mov_b64 s[10:11], 0
.LBB9_786:
	s_and_b64 vcc, exec, s[10:11]
	s_cbranch_vccz .LBB9_802
; %bb.787:
	s_cmp_lt_i32 s15, 27
	s_mov_b64 s[8:9], -1
	s_cbranch_scc1 .LBB9_793
; %bb.788:
	v_cvt_u32_f64_e32 v2, v[0:1]
	s_cmp_gt_i32 s15, 27
	s_cbranch_scc0 .LBB9_790
; %bb.789:
	s_mov_b64 s[8:9], 0
	global_store_dword v[4:5], v2, off
.LBB9_790:
	s_andn2_b64 vcc, exec, s[8:9]
	s_cbranch_vccnz .LBB9_792
; %bb.791:
	global_store_short v[4:5], v2, off
.LBB9_792:
	s_mov_b64 s[8:9], 0
.LBB9_793:
	s_andn2_b64 vcc, exec, s[8:9]
	s_cbranch_vccnz .LBB9_801
; %bb.794:
	v_cvt_f32_f64_e32 v2, v[0:1]
	s_mov_b32 s8, 0x43800000
	v_mov_b32_e32 v6, 0x80
	v_and_b32_e32 v3, 0x7fffffff, v2
	v_cmp_gt_u32_e32 vcc, s8, v3
	s_and_saveexec_b64 s[8:9], vcc
	s_cbranch_execz .LBB9_800
; %bb.795:
	s_mov_b32 s10, 0x3bffffff
	v_cmp_lt_u32_e32 vcc, s10, v3
	s_mov_b64 s[10:11], 0
                                        ; implicit-def: $vgpr3
	s_and_saveexec_b64 s[12:13], vcc
	s_xor_b64 s[12:13], exec, s[12:13]
	s_cbranch_execz .LBB9_917
; %bb.796:
	v_bfe_u32 v3, v2, 20, 1
	s_mov_b32 s16, 0x487ffff
	v_add3_u32 v3, v2, v3, s16
	s_mov_b64 s[10:11], exec
	v_lshrrev_b32_e32 v3, 20, v3
	s_andn2_saveexec_b64 s[12:13], s[12:13]
	s_cbranch_execnz .LBB9_918
.LBB9_797:
	s_or_b64 exec, exec, s[12:13]
	v_mov_b32_e32 v6, 0
	s_and_saveexec_b64 s[12:13], s[10:11]
.LBB9_798:
	v_lshrrev_b32_e32 v2, 24, v2
	s_movk_i32 s10, 0x80
	v_and_or_b32 v6, v2, s10, v3
.LBB9_799:
	s_or_b64 exec, exec, s[12:13]
.LBB9_800:
	s_or_b64 exec, exec, s[8:9]
	global_store_byte v[4:5], v6, off
.LBB9_801:
	s_mov_b64 s[8:9], -1
.LBB9_802:
	s_mov_b64 s[10:11], 0
.LBB9_803:
	s_and_b64 vcc, exec, s[10:11]
	s_cbranch_vccz .LBB9_844
; %bb.804:
	s_cmp_gt_i32 s15, 22
	s_mov_b64 s[10:11], -1
	s_cbranch_scc0 .LBB9_836
; %bb.805:
	s_cmp_lt_i32 s15, 24
	s_mov_b64 s[8:9], -1
	s_cbranch_scc1 .LBB9_825
; %bb.806:
	s_cmp_gt_i32 s15, 24
	s_cbranch_scc0 .LBB9_814
; %bb.807:
	v_cvt_f32_f64_e32 v2, v[0:1]
	s_mov_b32 s8, 0x47800000
	v_mov_b32_e32 v6, 0x80
	v_and_b32_e32 v3, 0x7fffffff, v2
	v_cmp_gt_u32_e32 vcc, s8, v3
	s_and_saveexec_b64 s[8:9], vcc
	s_cbranch_execz .LBB9_813
; %bb.808:
	s_mov_b32 s10, 0x37ffffff
	v_cmp_lt_u32_e32 vcc, s10, v3
	s_mov_b64 s[10:11], 0
                                        ; implicit-def: $vgpr3
	s_and_saveexec_b64 s[12:13], vcc
	s_xor_b64 s[12:13], exec, s[12:13]
	s_cbranch_execz .LBB9_920
; %bb.809:
	v_bfe_u32 v3, v2, 21, 1
	s_mov_b32 s16, 0x88fffff
	v_add3_u32 v3, v2, v3, s16
	s_mov_b64 s[10:11], exec
	v_lshrrev_b32_e32 v3, 21, v3
	s_andn2_saveexec_b64 s[12:13], s[12:13]
	s_cbranch_execnz .LBB9_921
.LBB9_810:
	s_or_b64 exec, exec, s[12:13]
	v_mov_b32_e32 v6, 0
	s_and_saveexec_b64 s[12:13], s[10:11]
.LBB9_811:
	v_lshrrev_b32_e32 v2, 24, v2
	s_movk_i32 s10, 0x80
	v_and_or_b32 v6, v2, s10, v3
.LBB9_812:
	s_or_b64 exec, exec, s[12:13]
.LBB9_813:
	s_or_b64 exec, exec, s[8:9]
	s_mov_b64 s[8:9], 0
	global_store_byte v[4:5], v6, off
.LBB9_814:
	s_and_b64 vcc, exec, s[8:9]
	s_cbranch_vccz .LBB9_824
; %bb.815:
	v_cvt_f32_f64_e32 v2, v[0:1]
	s_mov_b32 s8, 0x43f00000
                                        ; implicit-def: $vgpr3
	v_and_b32_e32 v6, 0x7fffffff, v2
	v_cmp_gt_u32_e32 vcc, s8, v6
	s_and_saveexec_b64 s[8:9], vcc
	s_xor_b64 s[8:9], exec, s[8:9]
	s_cbranch_execz .LBB9_821
; %bb.816:
	s_mov_b32 s10, 0x3c7fffff
	v_cmp_lt_u32_e32 vcc, s10, v6
                                        ; implicit-def: $vgpr3
	s_and_saveexec_b64 s[10:11], vcc
	s_xor_b64 s[10:11], exec, s[10:11]
; %bb.817:
	v_bfe_u32 v3, v2, 20, 1
	s_mov_b32 s12, 0x407ffff
	v_add3_u32 v3, v2, v3, s12
	v_lshrrev_b32_e32 v6, 20, v3
	v_and_b32_e32 v3, 0xff00000, v3
	s_mov_b32 s12, 0x7f00000
	v_mov_b32_e32 v7, 0x7e
	v_cmp_ne_u32_e32 vcc, s12, v3
	v_cndmask_b32_e32 v3, v7, v6, vcc
; %bb.818:
	s_andn2_saveexec_b64 s[10:11], s[10:11]
; %bb.819:
	s_mov_b32 s12, 0x46800000
	v_add_f32_e64 v3, |v2|, s12
; %bb.820:
	s_or_b64 exec, exec, s[10:11]
                                        ; implicit-def: $vgpr6
.LBB9_821:
	s_andn2_saveexec_b64 s[8:9], s[8:9]
; %bb.822:
	s_mov_b32 s10, 0x7f800000
	v_mov_b32_e32 v3, 0x7e
	v_mov_b32_e32 v7, 0x7f
	v_cmp_lt_u32_e32 vcc, s10, v6
	v_cndmask_b32_e32 v3, v3, v7, vcc
; %bb.823:
	s_or_b64 exec, exec, s[8:9]
	v_lshrrev_b32_e32 v2, 24, v2
	s_movk_i32 s8, 0x80
	v_and_or_b32 v2, v2, s8, v3
	global_store_byte v[4:5], v2, off
.LBB9_824:
	s_mov_b64 s[8:9], 0
.LBB9_825:
	s_andn2_b64 vcc, exec, s[8:9]
	s_cbranch_vccnz .LBB9_835
; %bb.826:
	v_cvt_f32_f64_e32 v2, v[0:1]
	s_mov_b32 s8, 0x47800000
                                        ; implicit-def: $vgpr3
	v_and_b32_e32 v6, 0x7fffffff, v2
	v_cmp_gt_u32_e32 vcc, s8, v6
	s_and_saveexec_b64 s[8:9], vcc
	s_xor_b64 s[8:9], exec, s[8:9]
	s_cbranch_execz .LBB9_832
; %bb.827:
	s_mov_b32 s10, 0x387fffff
	v_cmp_lt_u32_e32 vcc, s10, v6
                                        ; implicit-def: $vgpr3
	s_and_saveexec_b64 s[10:11], vcc
	s_xor_b64 s[10:11], exec, s[10:11]
; %bb.828:
	v_bfe_u32 v3, v2, 21, 1
	s_mov_b32 s12, 0x80fffff
	v_add3_u32 v3, v2, v3, s12
	v_lshrrev_b32_e32 v3, 21, v3
; %bb.829:
	s_andn2_saveexec_b64 s[10:11], s[10:11]
; %bb.830:
	s_mov_b32 s12, 0x43000000
	v_add_f32_e64 v3, |v2|, s12
; %bb.831:
	s_or_b64 exec, exec, s[10:11]
                                        ; implicit-def: $vgpr6
.LBB9_832:
	s_andn2_saveexec_b64 s[8:9], s[8:9]
; %bb.833:
	s_mov_b32 s10, 0x7f800000
	v_mov_b32_e32 v3, 0x7c
	v_mov_b32_e32 v7, 0x7f
	v_cmp_lt_u32_e32 vcc, s10, v6
	v_cndmask_b32_e32 v3, v3, v7, vcc
; %bb.834:
	s_or_b64 exec, exec, s[8:9]
	v_lshrrev_b32_e32 v2, 24, v2
	s_movk_i32 s8, 0x80
	v_and_or_b32 v2, v2, s8, v3
	global_store_byte v[4:5], v2, off
.LBB9_835:
	s_mov_b64 s[10:11], 0
	s_mov_b64 s[8:9], -1
.LBB9_836:
	s_andn2_b64 vcc, exec, s[10:11]
	s_cbranch_vccnz .LBB9_844
; %bb.837:
	s_cmp_gt_i32 s15, 14
	s_mov_b64 s[10:11], -1
	s_cbranch_scc0 .LBB9_841
; %bb.838:
	s_cmp_eq_u32 s15, 15
	s_mov_b64 s[0:1], -1
	s_cbranch_scc0 .LBB9_840
; %bb.839:
	v_cvt_f32_f64_e32 v2, v[0:1]
	s_movk_i32 s0, 0x7fff
	v_mov_b32_e32 v3, 0x7fc0
	s_mov_b64 s[8:9], -1
	v_bfe_u32 v6, v2, 16, 1
	v_cmp_o_f32_e32 vcc, v2, v2
	v_add3_u32 v2, v2, v6, s0
	v_cndmask_b32_sdwa v2, v3, v2, vcc dst_sel:DWORD dst_unused:UNUSED_PAD src0_sel:DWORD src1_sel:WORD_1
	global_store_short v[4:5], v2, off
	s_mov_b64 s[0:1], 0
.LBB9_840:
	s_mov_b64 s[10:11], 0
.LBB9_841:
	s_and_b64 vcc, exec, s[10:11]
	s_cbranch_vccz .LBB9_844
; %bb.842:
	s_cmp_eq_u32 s15, 11
	s_mov_b64 s[0:1], -1
	s_cbranch_scc0 .LBB9_844
; %bb.843:
	v_cmp_neq_f64_e32 vcc, 0, v[0:1]
	s_mov_b64 s[0:1], 0
	s_mov_b64 s[8:9], -1
	v_cndmask_b32_e64 v2, 0, 1, vcc
	global_store_byte v[4:5], v2, off
.LBB9_844:
	s_mov_b64 s[10:11], 0
.LBB9_845:
	s_and_b64 vcc, exec, s[10:11]
	s_cbranch_vccz .LBB9_884
; %bb.846:
	s_and_b32 s10, 0xffff, s14
	s_cmp_lt_i32 s10, 5
	s_mov_b64 s[8:9], -1
	s_cbranch_scc1 .LBB9_867
; %bb.847:
	s_cmp_lt_i32 s10, 8
	s_cbranch_scc1 .LBB9_857
; %bb.848:
	s_cmp_lt_i32 s10, 9
	s_cbranch_scc1 .LBB9_854
; %bb.849:
	s_cmp_gt_i32 s10, 9
	s_cbranch_scc0 .LBB9_851
; %bb.850:
	v_mov_b32_e32 v2, 0
	v_mov_b32_e32 v3, v2
	s_mov_b64 s[8:9], 0
	global_store_dwordx4 v[4:5], v[0:3], off
.LBB9_851:
	s_andn2_b64 vcc, exec, s[8:9]
	s_cbranch_vccnz .LBB9_853
; %bb.852:
	v_cvt_f32_f64_e32 v2, v[0:1]
	v_mov_b32_e32 v3, 0
	global_store_dwordx2 v[4:5], v[2:3], off
.LBB9_853:
	s_mov_b64 s[8:9], 0
.LBB9_854:
	s_andn2_b64 vcc, exec, s[8:9]
	s_cbranch_vccnz .LBB9_856
; %bb.855:
	s_movk_i32 s8, 0x1ff
	v_and_or_b32 v2, v1, s8, v0
	v_cmp_ne_u32_e32 vcc, 0, v2
	v_cndmask_b32_e64 v2, 0, 1, vcc
	v_lshrrev_b32_e32 v3, 8, v1
	s_movk_i32 s8, 0xffe
	v_bfe_u32 v6, v1, 20, 11
	v_and_or_b32 v2, v3, s8, v2
	v_sub_u32_e32 v7, 0x3f1, v6
	v_or_b32_e32 v3, 0x1000, v2
	v_med3_i32 v7, v7, 0, 13
	v_lshrrev_b32_e32 v8, v7, v3
	v_lshlrev_b32_e32 v7, v7, v8
	v_cmp_ne_u32_e32 vcc, v7, v3
	v_cndmask_b32_e64 v3, 0, 1, vcc
	v_add_u32_e32 v6, 0xfffffc10, v6
	v_or_b32_e32 v3, v8, v3
	v_lshl_or_b32 v7, v6, 12, v2
	v_cmp_gt_i32_e32 vcc, 1, v6
	v_cndmask_b32_e32 v3, v7, v3, vcc
	v_and_b32_e32 v7, 7, v3
	v_cmp_lt_i32_e32 vcc, 5, v7
	v_cndmask_b32_e64 v8, 0, 1, vcc
	v_cmp_eq_u32_e32 vcc, 3, v7
	v_cndmask_b32_e64 v7, 0, 1, vcc
	v_or_b32_e32 v7, v7, v8
	v_lshrrev_b32_e32 v3, 2, v3
	v_add_u32_e32 v3, v3, v7
	v_mov_b32_e32 v7, 0x7c00
	v_cmp_gt_i32_e32 vcc, 31, v6
	v_cndmask_b32_e32 v3, v7, v3, vcc
	v_mov_b32_e32 v8, 0x7e00
	v_cmp_ne_u32_e32 vcc, 0, v2
	s_movk_i32 s8, 0x40f
	v_cndmask_b32_e32 v2, v7, v8, vcc
	v_cmp_eq_u32_e32 vcc, s8, v6
	v_cndmask_b32_e32 v2, v3, v2, vcc
	v_lshrrev_b32_e32 v3, 16, v1
	s_mov_b32 s8, 0x8000
	v_and_or_b32 v2, v3, s8, v2
	v_and_b32_e32 v2, 0xffff, v2
	global_store_dword v[4:5], v2, off
.LBB9_856:
	s_mov_b64 s[8:9], 0
.LBB9_857:
	s_andn2_b64 vcc, exec, s[8:9]
	s_cbranch_vccnz .LBB9_866
; %bb.858:
	s_cmp_lt_i32 s10, 6
	s_mov_b64 s[8:9], -1
	s_cbranch_scc1 .LBB9_864
; %bb.859:
	s_cmp_gt_i32 s10, 6
	s_cbranch_scc0 .LBB9_861
; %bb.860:
	s_mov_b64 s[8:9], 0
	global_store_dwordx2 v[4:5], v[0:1], off
.LBB9_861:
	s_andn2_b64 vcc, exec, s[8:9]
	s_cbranch_vccnz .LBB9_863
; %bb.862:
	v_cvt_f32_f64_e32 v2, v[0:1]
	global_store_dword v[4:5], v2, off
.LBB9_863:
	s_mov_b64 s[8:9], 0
.LBB9_864:
	s_andn2_b64 vcc, exec, s[8:9]
	s_cbranch_vccnz .LBB9_866
; %bb.865:
	s_movk_i32 s8, 0x1ff
	v_and_or_b32 v2, v1, s8, v0
	v_cmp_ne_u32_e32 vcc, 0, v2
	v_cndmask_b32_e64 v2, 0, 1, vcc
	v_lshrrev_b32_e32 v3, 8, v1
	s_movk_i32 s8, 0xffe
	v_bfe_u32 v6, v1, 20, 11
	v_and_or_b32 v2, v3, s8, v2
	v_sub_u32_e32 v7, 0x3f1, v6
	v_or_b32_e32 v3, 0x1000, v2
	v_med3_i32 v7, v7, 0, 13
	v_lshrrev_b32_e32 v8, v7, v3
	v_lshlrev_b32_e32 v7, v7, v8
	v_cmp_ne_u32_e32 vcc, v7, v3
	v_cndmask_b32_e64 v3, 0, 1, vcc
	v_add_u32_e32 v6, 0xfffffc10, v6
	v_or_b32_e32 v3, v8, v3
	v_lshl_or_b32 v7, v6, 12, v2
	v_cmp_gt_i32_e32 vcc, 1, v6
	v_cndmask_b32_e32 v3, v7, v3, vcc
	v_and_b32_e32 v7, 7, v3
	v_cmp_lt_i32_e32 vcc, 5, v7
	v_cndmask_b32_e64 v8, 0, 1, vcc
	v_cmp_eq_u32_e32 vcc, 3, v7
	v_cndmask_b32_e64 v7, 0, 1, vcc
	v_or_b32_e32 v7, v7, v8
	v_lshrrev_b32_e32 v3, 2, v3
	v_add_u32_e32 v3, v3, v7
	v_mov_b32_e32 v7, 0x7c00
	v_cmp_gt_i32_e32 vcc, 31, v6
	v_cndmask_b32_e32 v3, v7, v3, vcc
	v_mov_b32_e32 v8, 0x7e00
	v_cmp_ne_u32_e32 vcc, 0, v2
	s_movk_i32 s8, 0x40f
	v_cndmask_b32_e32 v2, v7, v8, vcc
	v_cmp_eq_u32_e32 vcc, s8, v6
	v_cndmask_b32_e32 v2, v3, v2, vcc
	v_lshrrev_b32_e32 v3, 16, v1
	s_mov_b32 s8, 0x8000
	v_and_or_b32 v2, v3, s8, v2
	global_store_short v[4:5], v2, off
.LBB9_866:
	s_mov_b64 s[8:9], 0
.LBB9_867:
	s_andn2_b64 vcc, exec, s[8:9]
	s_cbranch_vccnz .LBB9_883
; %bb.868:
	s_cmp_lt_i32 s10, 2
	s_mov_b64 s[8:9], -1
	s_cbranch_scc1 .LBB9_878
; %bb.869:
	s_cmp_lt_i32 s10, 3
	s_cbranch_scc1 .LBB9_875
; %bb.870:
	s_cmp_gt_i32 s10, 3
	s_cbranch_scc0 .LBB9_872
; %bb.871:
	v_trunc_f64_e32 v[2:3], v[0:1]
	s_movk_i32 s8, 0xffe0
	v_ldexp_f64 v[6:7], v[2:3], s8
	s_mov_b32 s8, 0
	s_mov_b32 s9, 0xc1f00000
	v_floor_f64_e32 v[6:7], v[6:7]
	v_fma_f64 v[2:3], v[6:7], s[8:9], v[2:3]
	v_cvt_i32_f64_e32 v7, v[6:7]
	s_mov_b64 s[8:9], 0
	v_cvt_u32_f64_e32 v6, v[2:3]
	global_store_dwordx2 v[4:5], v[6:7], off
.LBB9_872:
	s_andn2_b64 vcc, exec, s[8:9]
	s_cbranch_vccnz .LBB9_874
; %bb.873:
	v_cvt_i32_f64_e32 v2, v[0:1]
	global_store_dword v[4:5], v2, off
.LBB9_874:
	s_mov_b64 s[8:9], 0
.LBB9_875:
	s_andn2_b64 vcc, exec, s[8:9]
	s_cbranch_vccnz .LBB9_877
; %bb.876:
	v_cvt_i32_f64_e32 v2, v[0:1]
	global_store_short v[4:5], v2, off
.LBB9_877:
	s_mov_b64 s[8:9], 0
.LBB9_878:
	s_andn2_b64 vcc, exec, s[8:9]
	s_cbranch_vccnz .LBB9_883
; %bb.879:
	s_cmp_gt_i32 s10, 0
	s_mov_b64 s[8:9], -1
	s_cbranch_scc0 .LBB9_881
; %bb.880:
	v_cvt_i32_f64_e32 v2, v[0:1]
	s_mov_b64 s[8:9], 0
	global_store_byte v[4:5], v2, off
.LBB9_881:
	s_andn2_b64 vcc, exec, s[8:9]
	s_cbranch_vccnz .LBB9_883
; %bb.882:
	v_trunc_f64_e32 v[0:1], v[0:1]
	s_movk_i32 s8, 0xffe0
	v_ldexp_f64 v[2:3], v[0:1], s8
	s_mov_b32 s8, 0
	s_mov_b32 s9, 0xc1f00000
	v_floor_f64_e32 v[2:3], v[2:3]
	v_fma_f64 v[0:1], v[2:3], s[8:9], v[0:1]
	v_cvt_u32_f64_e32 v0, v[0:1]
	global_store_byte v[4:5], v0, off
.LBB9_883:
	s_mov_b64 s[8:9], -1
.LBB9_884:
	s_andn2_b64 vcc, exec, s[8:9]
	s_cbranch_vccnz .LBB9_886
; %bb.885:
	v_add_u32_e32 v11, 0x80, v11
	s_mov_b64 s[8:9], -1
	s_branch .LBB9_888
.LBB9_886:
	s_mov_b64 s[8:9], 0
.LBB9_887:
                                        ; implicit-def: $vgpr11
.LBB9_888:
	s_andn2_b64 s[10:11], s[60:61], exec
	s_and_b64 s[0:1], s[0:1], exec
	s_or_b64 s[68:69], s[10:11], s[0:1]
	s_andn2_b64 s[0:1], s[58:59], exec
	s_and_b64 s[2:3], s[2:3], exec
	s_or_b64 s[66:67], s[0:1], s[2:3]
	s_orn2_b64 s[2:3], s[8:9], exec
.LBB9_889:
	s_or_b64 exec, exec, s[64:65]
	s_mov_b64 s[0:1], 0
	s_mov_b64 s[8:9], 0
	;; [unrolled: 1-line block ×3, first 2 shown]
                                        ; implicit-def: $vgpr0_vgpr1
                                        ; implicit-def: $vgpr2
                                        ; implicit-def: $vgpr3_vgpr4
	s_and_saveexec_b64 s[64:65], s[2:3]
	s_cbranch_execz .LBB9_988
; %bb.890:
	v_cmp_gt_i32_e32 vcc, s70, v11
	s_mov_b64 s[2:3], 0
	s_mov_b64 s[12:13], s[66:67]
                                        ; implicit-def: $vgpr0_vgpr1
                                        ; implicit-def: $vgpr2
                                        ; implicit-def: $vgpr3_vgpr4
	s_and_saveexec_b64 s[70:71], vcc
	s_cbranch_execz .LBB9_987
; %bb.891:
	s_andn2_b64 vcc, exec, s[40:41]
	s_cbranch_vccnz .LBB9_896
; %bb.892:
	s_andn2_b64 vcc, exec, s[50:51]
	s_cbranch_vccnz .LBB9_897
; %bb.893:
	s_add_i32 s76, s75, 1
	s_cmp_eq_u32 s72, 2
	s_cbranch_scc1 .LBB9_898
; %bb.894:
	s_and_b32 s75, s76, 28
	v_mov_b32_e32 v0, 0
	s_mov_b32 s77, 0
	s_mov_b64 s[50:51], s[34:35]
	v_mov_b32_e32 v2, 0
	v_mov_b32_e32 v1, v11
.LBB9_895:                              ; =>This Inner Loop Header: Depth=1
	s_load_dwordx8 s[16:23], s[50:51], 0x4
	s_load_dwordx4 s[0:3], s[50:51], 0x24
	s_load_dwordx8 s[8:15], s[48:49], 0x0
	s_add_u32 s50, s50, 48
	s_addc_u32 s51, s51, 0
	s_waitcnt vmcnt(0) lgkmcnt(0)
	v_mul_hi_u32 v3, s17, v1
	s_add_i32 s77, s77, 4
	s_add_u32 s48, s48, 32
	s_addc_u32 s49, s49, 0
	v_add_u32_e32 v3, v1, v3
	v_lshrrev_b32_e32 v3, s18, v3
	v_mul_lo_u32 v4, v3, s16
	v_mul_hi_u32 v5, s20, v3
	s_cmp_eq_u32 s75, s77
	v_sub_u32_e32 v1, v1, v4
	v_add_u32_e32 v4, v3, v5
	v_mul_lo_u32 v5, v1, s8
	v_mul_lo_u32 v6, v1, s9
	v_lshrrev_b32_e32 v1, s21, v4
	v_mul_lo_u32 v4, v1, s19
	v_mul_hi_u32 v7, s23, v1
	v_sub_u32_e32 v3, v3, v4
	v_add_u32_e32 v4, v1, v7
	v_lshrrev_b32_e32 v4, s0, v4
	v_mul_hi_u32 v8, s2, v4
	v_mul_lo_u32 v9, v4, s22
	v_mul_lo_u32 v7, v3, s10
	;; [unrolled: 1-line block ×3, first 2 shown]
	v_sub_u32_e32 v9, v1, v9
	v_add_u32_e32 v1, v4, v8
	v_lshrrev_b32_e32 v1, s3, v1
	v_mul_lo_u32 v8, v1, s1
	v_mul_lo_u32 v10, v9, s12
	v_mul_lo_u32 v9, v9, s13
	v_add3_u32 v2, v5, v2, v7
	v_sub_u32_e32 v4, v4, v8
	v_mul_lo_u32 v8, v4, s14
	v_mul_lo_u32 v4, v4, s15
	v_add3_u32 v0, v6, v0, v3
	v_add3_u32 v2, v10, v2, v8
	v_add3_u32 v0, v9, v0, v4
	s_cbranch_scc0 .LBB9_895
	s_branch .LBB9_899
.LBB9_896:
	s_mov_b64 s[0:1], -1
                                        ; implicit-def: $vgpr2
                                        ; implicit-def: $vgpr0
	s_branch .LBB9_903
.LBB9_897:
	v_mov_b32_e32 v2, 0
	v_mov_b32_e32 v0, 0
	s_branch .LBB9_902
.LBB9_898:
	s_mov_b32 s75, 0
	v_mov_b32_e32 v2, 0
	v_mov_b32_e32 v0, 0
	v_mov_b32_e32 v1, v11
.LBB9_899:
	s_and_b32 s8, s76, 3
	s_cmp_eq_u32 s8, 0
	s_cbranch_scc1 .LBB9_902
; %bb.900:
	s_lshl_b32 s0, s75, 3
	s_add_u32 s0, s34, s0
	s_addc_u32 s1, s35, 0
	s_add_u32 s0, s0, 0xc4
	s_addc_u32 s1, s1, 0
	s_mul_i32 s2, s75, 12
	s_add_u32 s2, s34, s2
	s_addc_u32 s3, s35, 0
.LBB9_901:                              ; =>This Inner Loop Header: Depth=1
	s_load_dwordx2 s[10:11], s[2:3], 0x4
	s_load_dword s9, s[2:3], 0xc
	s_load_dwordx2 s[12:13], s[0:1], 0x0
	s_add_u32 s2, s2, 12
	s_addc_u32 s3, s3, 0
	s_waitcnt vmcnt(0) lgkmcnt(0)
	v_mul_hi_u32 v3, s11, v1
	s_add_u32 s0, s0, 8
	s_addc_u32 s1, s1, 0
	s_add_i32 s8, s8, -1
	v_add_u32_e32 v3, v1, v3
	v_lshrrev_b32_e32 v4, s9, v3
	v_mul_lo_u32 v3, v4, s10
	s_cmp_lg_u32 s8, 0
	v_sub_u32_e32 v1, v1, v3
	v_mad_u64_u32 v[2:3], s[10:11], v1, s12, v[2:3]
	v_mad_u64_u32 v[0:1], s[10:11], v1, s13, v[0:1]
	v_mov_b32_e32 v1, v4
	s_cbranch_scc1 .LBB9_901
.LBB9_902:
	s_mov_b64 s[0:1], 0
.LBB9_903:
	s_andn2_b64 vcc, exec, s[0:1]
	s_cbranch_vccnz .LBB9_906
; %bb.904:
	s_waitcnt lgkmcnt(0)
	v_mul_hi_u32 v0, s37, v11
	s_andn2_b64 vcc, exec, s[46:47]
	v_add_u32_e32 v0, v11, v0
	v_lshrrev_b32_e32 v1, s38, v0
	v_mul_lo_u32 v0, v1, s36
	v_sub_u32_e32 v0, v11, v0
	v_mul_lo_u32 v2, v0, s28
	v_mul_lo_u32 v0, v0, s29
	s_cbranch_vccnz .LBB9_906
; %bb.905:
	s_waitcnt vmcnt(0)
	v_mul_hi_u32 v3, s44, v1
	v_add_u32_e32 v3, v1, v3
	v_lshrrev_b32_e32 v3, s45, v3
	v_mul_lo_u32 v3, v3, s39
	v_sub_u32_e32 v1, v1, v3
	v_mad_u64_u32 v[2:3], s[0:1], v1, s30, v[2:3]
	v_mad_u64_u32 v[0:1], s[0:1], v1, s31, v[0:1]
.LBB9_906:
	s_waitcnt lgkmcnt(0)
	v_mov_b32_e32 v1, s27
	s_and_b32 s14, 0xffff, s74
	v_add_co_u32_e32 v0, vcc, s26, v0
	s_cmp_lt_i32 s14, 11
	v_addc_co_u32_e32 v1, vcc, 0, v1, vcc
	s_cbranch_scc1 .LBB9_913
; %bb.907:
	s_cmp_gt_i32 s14, 25
	s_mov_b64 s[2:3], 0
	s_cbranch_scc0 .LBB9_914
; %bb.908:
	s_cmp_gt_i32 s14, 28
	s_cbranch_scc0 .LBB9_915
; %bb.909:
	s_cmp_gt_i32 s14, 43
	;; [unrolled: 3-line block ×3, first 2 shown]
	s_cbranch_scc0 .LBB9_919
; %bb.911:
	s_cmp_eq_u32 s14, 46
	s_mov_b64 s[10:11], 0
	s_cbranch_scc0 .LBB9_922
; %bb.912:
	global_load_dword v3, v[0:1], off
	s_mov_b64 s[0:1], 0
	s_mov_b64 s[8:9], -1
	s_waitcnt vmcnt(0)
	v_lshlrev_b32_e32 v3, 16, v3
	v_cvt_f64_f32_e32 v[3:4], v3
	s_branch .LBB9_923
.LBB9_913:
	s_mov_b64 s[12:13], -1
	s_mov_b64 s[8:9], 0
	s_mov_b64 s[2:3], 0
	;; [unrolled: 1-line block ×3, first 2 shown]
                                        ; implicit-def: $vgpr3_vgpr4
	s_branch .LBB9_986
.LBB9_914:
	s_mov_b64 s[10:11], -1
	s_mov_b64 s[8:9], 0
	s_mov_b64 s[0:1], s[66:67]
                                        ; implicit-def: $vgpr3_vgpr4
	s_branch .LBB9_954
.LBB9_915:
	s_mov_b64 s[10:11], -1
	s_mov_b64 s[8:9], 0
	s_mov_b64 s[0:1], s[66:67]
                                        ; implicit-def: $vgpr3_vgpr4
	s_branch .LBB9_933
.LBB9_916:
	s_mov_b64 s[10:11], -1
	s_mov_b64 s[8:9], 0
	s_mov_b64 s[0:1], s[66:67]
                                        ; implicit-def: $vgpr3_vgpr4
	s_branch .LBB9_928
.LBB9_917:
	s_andn2_saveexec_b64 s[12:13], s[12:13]
	s_cbranch_execz .LBB9_797
.LBB9_918:
	s_mov_b32 s16, 0x46000000
	v_add_f32_e64 v3, |v2|, s16
	v_and_b32_e32 v3, 0xff, v3
	v_cmp_ne_u32_e32 vcc, 0, v3
	s_andn2_b64 s[10:11], s[10:11], exec
	s_and_b64 s[16:17], vcc, exec
	s_or_b64 s[10:11], s[10:11], s[16:17]
	s_or_b64 exec, exec, s[12:13]
	v_mov_b32_e32 v6, 0
	s_and_saveexec_b64 s[12:13], s[10:11]
	s_cbranch_execnz .LBB9_798
	s_branch .LBB9_799
.LBB9_919:
	s_mov_b64 s[10:11], -1
	s_mov_b64 s[8:9], 0
	s_mov_b64 s[0:1], s[66:67]
                                        ; implicit-def: $vgpr3_vgpr4
	s_branch .LBB9_923
.LBB9_920:
	s_andn2_saveexec_b64 s[12:13], s[12:13]
	s_cbranch_execz .LBB9_810
.LBB9_921:
	s_mov_b32 s16, 0x42800000
	v_add_f32_e64 v3, |v2|, s16
	v_and_b32_e32 v3, 0xff, v3
	v_cmp_ne_u32_e32 vcc, 0, v3
	s_andn2_b64 s[10:11], s[10:11], exec
	s_and_b64 s[16:17], vcc, exec
	s_or_b64 s[10:11], s[10:11], s[16:17]
	s_or_b64 exec, exec, s[12:13]
	v_mov_b32_e32 v6, 0
	s_and_saveexec_b64 s[12:13], s[10:11]
	s_cbranch_execnz .LBB9_811
	s_branch .LBB9_812
.LBB9_922:
	s_mov_b64 s[0:1], -1
                                        ; implicit-def: $vgpr3_vgpr4
	s_mov_b64 s[8:9], 0
.LBB9_923:
	s_and_b64 vcc, exec, s[10:11]
	s_cbranch_vccz .LBB9_927
; %bb.924:
	s_cmp_eq_u32 s14, 44
	s_cbranch_scc0 .LBB9_926
; %bb.925:
	global_load_ubyte v5, v[0:1], off
	s_movk_i32 s8, 0xff
	v_bfrev_b32_e32 v6, 4
	v_mov_b32_e32 v7, 0x7ff80000
	v_bfrev_b32_e32 v8, 28
	s_mov_b64 s[0:1], 0
	s_waitcnt vmcnt(0)
	v_lshlrev_b32_e32 v3, 23, v5
	v_cvt_f64_f32_e32 v[3:4], v3
	v_cmp_ne_u32_e32 vcc, s8, v5
	s_mov_b64 s[8:9], -1
	v_cndmask_b32_e32 v3, v6, v3, vcc
	v_cndmask_b32_e32 v4, v7, v4, vcc
	v_cmp_ne_u32_e32 vcc, 0, v5
	v_cndmask_b32_e32 v4, v8, v4, vcc
	v_cndmask_b32_e32 v3, 0, v3, vcc
	s_branch .LBB9_927
.LBB9_926:
	s_mov_b64 s[0:1], -1
                                        ; implicit-def: $vgpr3_vgpr4
.LBB9_927:
	s_mov_b64 s[10:11], 0
.LBB9_928:
	s_and_b64 vcc, exec, s[10:11]
	s_cbranch_vccz .LBB9_932
; %bb.929:
	s_cmp_eq_u32 s14, 29
	s_cbranch_scc0 .LBB9_931
; %bb.930:
	global_load_dwordx2 v[3:4], v[0:1], off
	s_mov_b64 s[0:1], 0
	s_mov_b64 s[8:9], -1
	s_mov_b64 s[10:11], 0
	s_waitcnt vmcnt(0)
	v_cvt_f64_u32_e32 v[4:5], v4
	v_cvt_f64_u32_e32 v[6:7], v3
	v_ldexp_f64 v[4:5], v[4:5], 32
	v_add_f64 v[3:4], v[4:5], v[6:7]
	s_branch .LBB9_933
.LBB9_931:
	s_mov_b64 s[0:1], -1
                                        ; implicit-def: $vgpr3_vgpr4
.LBB9_932:
	s_mov_b64 s[10:11], 0
.LBB9_933:
	s_and_b64 vcc, exec, s[10:11]
	s_cbranch_vccz .LBB9_953
; %bb.934:
	s_cmp_lt_i32 s14, 27
	s_cbranch_scc1 .LBB9_937
; %bb.935:
	s_cmp_gt_i32 s14, 27
	s_cbranch_scc0 .LBB9_938
; %bb.936:
	global_load_dword v3, v[0:1], off
	s_mov_b64 s[8:9], 0
	s_waitcnt vmcnt(0)
	v_cvt_f64_u32_e32 v[3:4], v3
	s_branch .LBB9_939
.LBB9_937:
	s_mov_b64 s[8:9], -1
                                        ; implicit-def: $vgpr3_vgpr4
	s_branch .LBB9_942
.LBB9_938:
	s_mov_b64 s[8:9], -1
                                        ; implicit-def: $vgpr3_vgpr4
.LBB9_939:
	s_andn2_b64 vcc, exec, s[8:9]
	s_cbranch_vccnz .LBB9_941
; %bb.940:
	global_load_ushort v3, v[0:1], off
	s_waitcnt vmcnt(0)
	v_cvt_f64_u32_e32 v[3:4], v3
.LBB9_941:
	s_mov_b64 s[8:9], 0
.LBB9_942:
	s_andn2_b64 vcc, exec, s[8:9]
	s_cbranch_vccnz .LBB9_952
; %bb.943:
	global_load_ubyte v5, v[0:1], off
	s_movk_i32 s8, 0x7f
	s_waitcnt vmcnt(0)
	v_cmp_lt_i16_e32 vcc, s8, v5
	s_mov_b64 s[8:9], 0
	s_and_saveexec_b64 s[10:11], vcc
	s_xor_b64 s[10:11], exec, s[10:11]
	s_cbranch_execz .LBB9_947
; %bb.944:
	s_movk_i32 s8, 0x80
	v_cmp_eq_u16_e32 vcc, s8, v5
	s_mov_b64 s[8:9], -1
	s_and_saveexec_b64 s[12:13], vcc
; %bb.945:
	s_xor_b64 s[8:9], exec, -1
; %bb.946:
	s_or_b64 exec, exec, s[12:13]
	s_and_b64 s[8:9], s[8:9], exec
.LBB9_947:
	s_or_saveexec_b64 s[10:11], s[10:11]
	v_bfrev_b32_e32 v3, 4
	v_mov_b32_e32 v4, 0x7ff80000
	s_xor_b64 exec, exec, s[10:11]
; %bb.948:
	v_cmp_ne_u16_e32 vcc, 0, v5
	v_mov_b32_e32 v3, 0
	s_andn2_b64 s[8:9], s[8:9], exec
	s_and_b64 s[12:13], vcc, exec
	v_mov_b32_e32 v4, 0
	s_or_b64 s[8:9], s[8:9], s[12:13]
; %bb.949:
	s_or_b64 exec, exec, s[10:11]
	s_and_saveexec_b64 s[10:11], s[8:9]
	s_cbranch_execz .LBB9_951
; %bb.950:
	v_and_b32_e32 v4, 0xffff, v5
	v_lshlrev_b32_e32 v3, 24, v5
	v_and_b32_e32 v5, 7, v4
	v_ffbh_u32_e32 v7, v5
	v_min_u32_e32 v7, 32, v7
	v_subrev_u32_e32 v8, 28, v7
	v_bfe_u32 v6, v4, 3, 4
	v_lshlrev_b32_e32 v4, v8, v4
	v_sub_u32_e32 v7, 29, v7
	v_and_b32_e32 v4, 7, v4
	v_cmp_eq_u32_e32 vcc, 0, v6
	v_cndmask_b32_e32 v6, v6, v7, vcc
	v_cndmask_b32_e32 v4, v5, v4, vcc
	v_mov_b32_e32 v5, 0x3b800000
	v_lshlrev_b32_e32 v4, 20, v4
	v_and_b32_e32 v3, 0x80000000, v3
	v_lshl_add_u32 v5, v6, 23, v5
	v_or3_b32 v3, v3, v5, v4
	v_cvt_f64_f32_e32 v[3:4], v3
.LBB9_951:
	s_or_b64 exec, exec, s[10:11]
.LBB9_952:
	s_mov_b64 s[8:9], -1
.LBB9_953:
	s_mov_b64 s[10:11], 0
.LBB9_954:
	s_and_b64 vcc, exec, s[10:11]
	s_cbranch_vccz .LBB9_985
; %bb.955:
	s_cmp_gt_i32 s14, 22
	s_cbranch_scc0 .LBB9_967
; %bb.956:
	s_cmp_lt_i32 s14, 24
	s_cbranch_scc1 .LBB9_968
; %bb.957:
	s_cmp_gt_i32 s14, 24
	s_cbranch_scc0 .LBB9_969
; %bb.958:
	global_load_ubyte v5, v[0:1], off
	s_movk_i32 s2, 0x7f
	s_waitcnt vmcnt(0)
	v_cmp_lt_i16_e32 vcc, s2, v5
	s_mov_b64 s[2:3], 0
	s_and_saveexec_b64 s[8:9], vcc
	s_xor_b64 s[8:9], exec, s[8:9]
	s_cbranch_execz .LBB9_962
; %bb.959:
	s_movk_i32 s2, 0x80
	v_cmp_eq_u16_e32 vcc, s2, v5
	s_mov_b64 s[2:3], -1
	s_and_saveexec_b64 s[10:11], vcc
; %bb.960:
	s_xor_b64 s[2:3], exec, -1
; %bb.961:
	s_or_b64 exec, exec, s[10:11]
	s_and_b64 s[2:3], s[2:3], exec
.LBB9_962:
	s_or_saveexec_b64 s[8:9], s[8:9]
	v_bfrev_b32_e32 v3, 4
	v_mov_b32_e32 v4, 0x7ff80000
	s_xor_b64 exec, exec, s[8:9]
; %bb.963:
	v_cmp_ne_u16_e32 vcc, 0, v5
	v_mov_b32_e32 v3, 0
	s_andn2_b64 s[2:3], s[2:3], exec
	s_and_b64 s[10:11], vcc, exec
	v_mov_b32_e32 v4, 0
	s_or_b64 s[2:3], s[2:3], s[10:11]
; %bb.964:
	s_or_b64 exec, exec, s[8:9]
	s_and_saveexec_b64 s[8:9], s[2:3]
	s_cbranch_execz .LBB9_966
; %bb.965:
	v_and_b32_e32 v4, 0xffff, v5
	v_lshlrev_b32_e32 v3, 24, v5
	v_and_b32_e32 v5, 3, v4
	v_ffbh_u32_e32 v7, v5
	v_min_u32_e32 v7, 32, v7
	v_subrev_u32_e32 v8, 29, v7
	v_bfe_u32 v6, v4, 2, 5
	v_lshlrev_b32_e32 v4, v8, v4
	v_sub_u32_e32 v7, 30, v7
	v_and_b32_e32 v4, 3, v4
	v_cmp_eq_u32_e32 vcc, 0, v6
	v_cndmask_b32_e32 v6, v6, v7, vcc
	v_cndmask_b32_e32 v4, v5, v4, vcc
	v_mov_b32_e32 v5, 0x37800000
	v_lshlrev_b32_e32 v4, 21, v4
	v_and_b32_e32 v3, 0x80000000, v3
	v_lshl_add_u32 v5, v6, 23, v5
	v_or3_b32 v3, v3, v5, v4
	v_cvt_f64_f32_e32 v[3:4], v3
.LBB9_966:
	s_or_b64 exec, exec, s[8:9]
	s_mov_b64 s[2:3], 0
	s_branch .LBB9_970
.LBB9_967:
	s_mov_b64 s[2:3], -1
                                        ; implicit-def: $vgpr3_vgpr4
	s_branch .LBB9_976
.LBB9_968:
	s_mov_b64 s[2:3], -1
                                        ; implicit-def: $vgpr3_vgpr4
	s_branch .LBB9_973
.LBB9_969:
	s_mov_b64 s[2:3], -1
                                        ; implicit-def: $vgpr3_vgpr4
.LBB9_970:
	s_and_b64 vcc, exec, s[2:3]
	s_cbranch_vccz .LBB9_972
; %bb.971:
	global_load_ubyte v3, v[0:1], off
	s_mov_b32 s2, 0x7f800000
	s_waitcnt vmcnt(0)
	v_lshlrev_b32_e32 v3, 24, v3
	v_and_b32_e32 v4, 0x7f000000, v3
	v_ffbh_u32_e32 v5, v4
	v_min_u32_e32 v5, 32, v5
	v_sub_u32_e64 v5, v5, 4 clamp
	v_lshlrev_b32_e32 v7, v5, v4
	v_lshlrev_b32_e32 v5, 23, v5
	v_lshrrev_b32_e32 v7, 4, v7
	v_add_u32_e32 v6, 0x1000000, v4
	v_sub_u32_e32 v5, v7, v5
	v_ashrrev_i32_e32 v6, 8, v6
	v_add_u32_e32 v5, 0x3c000000, v5
	v_and_or_b32 v5, v6, s2, v5
	v_cmp_ne_u32_e32 vcc, 0, v4
	v_cndmask_b32_e32 v4, 0, v5, vcc
	s_brev_b32 s2, 1
	v_and_or_b32 v3, v3, s2, v4
	v_cvt_f64_f32_e32 v[3:4], v3
.LBB9_972:
	s_mov_b64 s[2:3], 0
.LBB9_973:
	s_andn2_b64 vcc, exec, s[2:3]
	s_cbranch_vccnz .LBB9_975
; %bb.974:
	global_load_ubyte v3, v[0:1], off
	s_movk_i32 s2, 0x7f00
	s_brev_b32 s3, 16
	s_waitcnt vmcnt(0)
	v_lshlrev_b16_e32 v4, 8, v3
	v_lshlrev_b32_e32 v3, 25, v3
	v_lshrrev_b32_e32 v5, 4, v3
	v_and_or_b32 v6, v4, s2, 0.5
	v_or_b32_e32 v5, 0x70000000, v5
	v_add_f32_e32 v6, -0.5, v6
	v_mul_f32_e32 v5, 0x7800000, v5
	v_cmp_gt_u32_e32 vcc, s3, v3
	v_bfe_i32 v4, v4, 0, 16
	v_cndmask_b32_e32 v3, v5, v6, vcc
	s_brev_b32 s2, 1
	v_and_or_b32 v3, v4, s2, v3
	v_cvt_f64_f32_e32 v[3:4], v3
.LBB9_975:
	s_mov_b64 s[2:3], 0
	s_mov_b64 s[8:9], -1
.LBB9_976:
	s_andn2_b64 vcc, exec, s[2:3]
	s_mov_b64 s[2:3], 0
	s_cbranch_vccnz .LBB9_985
; %bb.977:
	s_cmp_gt_i32 s14, 14
	s_cbranch_scc0 .LBB9_980
; %bb.978:
	s_cmp_eq_u32 s14, 15
	s_cbranch_scc0 .LBB9_981
; %bb.979:
	global_load_ushort v3, v[0:1], off
	s_mov_b64 s[0:1], 0
	s_mov_b64 s[8:9], -1
	s_waitcnt vmcnt(0)
	v_lshlrev_b32_e32 v3, 16, v3
	v_cvt_f64_f32_e32 v[3:4], v3
	s_branch .LBB9_982
.LBB9_980:
	s_mov_b64 s[10:11], -1
                                        ; implicit-def: $vgpr3_vgpr4
	s_branch .LBB9_983
.LBB9_981:
	s_mov_b64 s[0:1], -1
                                        ; implicit-def: $vgpr3_vgpr4
.LBB9_982:
	s_mov_b64 s[10:11], 0
.LBB9_983:
	s_and_b64 vcc, exec, s[10:11]
	s_cbranch_vccz .LBB9_985
; %bb.984:
	s_cmp_lg_u32 s14, 11
	s_cselect_b64 s[10:11], -1, 0
	s_andn2_b64 s[0:1], s[0:1], exec
	s_and_b64 s[10:11], s[10:11], exec
	s_mov_b64 s[2:3], -1
	s_or_b64 s[0:1], s[0:1], s[10:11]
.LBB9_985:
	s_mov_b64 s[12:13], 0
.LBB9_986:
	s_and_b64 s[10:11], s[8:9], exec
	s_and_b64 s[8:9], s[12:13], exec
	s_andn2_b64 s[12:13], s[66:67], exec
	s_and_b64 s[0:1], s[0:1], exec
	s_and_b64 s[2:3], s[2:3], exec
	s_or_b64 s[12:13], s[12:13], s[0:1]
.LBB9_987:
	s_or_b64 exec, exec, s[70:71]
	s_and_b64 s[0:1], s[2:3], exec
	s_andn2_b64 s[2:3], s[66:67], exec
	s_and_b64 s[12:13], s[12:13], exec
	s_and_b64 s[10:11], s[10:11], exec
	s_and_b64 s[8:9], s[8:9], exec
	s_or_b64 s[66:67], s[2:3], s[12:13]
.LBB9_988:
	s_or_b64 exec, exec, s[64:65]
	s_andn2_b64 s[2:3], s[60:61], exec
	s_and_b64 s[12:13], s[68:69], exec
	s_or_b64 s[60:61], s[2:3], s[12:13]
	s_and_b64 s[2:3], s[0:1], exec
	s_andn2_b64 s[0:1], s[58:59], exec
	s_and_b64 s[12:13], s[66:67], exec
	s_and_b64 s[10:11], s[10:11], exec
	;; [unrolled: 1-line block ×3, first 2 shown]
	s_or_b64 s[58:59], s[0:1], s[12:13]
.LBB9_989:
	s_or_b64 exec, exec, s[62:63]
	s_andn2_b64 s[0:1], s[52:53], exec
	s_and_b64 s[12:13], s[60:61], exec
	s_or_b64 s[52:53], s[0:1], s[12:13]
	s_and_b64 s[0:1], s[10:11], exec
	s_and_b64 s[10:11], s[8:9], exec
	;; [unrolled: 1-line block ×3, first 2 shown]
	s_andn2_b64 s[2:3], s[54:55], exec
	s_and_b64 s[8:9], s[58:59], exec
	s_or_b64 s[54:55], s[2:3], s[8:9]
	s_or_b64 exec, exec, s[56:57]
	s_mov_b64 s[2:3], 0
	s_and_saveexec_b64 s[8:9], s[54:55]
	s_cbranch_execz .LBB9_298
.LBB9_990:
	s_mov_b64 s[2:3], exec
	s_andn2_b64 s[60:61], s[60:61], exec
	s_trap 2
	s_or_b64 exec, exec, s[8:9]
	s_and_saveexec_b64 s[8:9], s[60:61]
	s_xor_b64 s[8:9], exec, s[8:9]
	s_cbranch_execnz .LBB9_299
.LBB9_991:
	s_or_b64 exec, exec, s[8:9]
	s_and_saveexec_b64 s[8:9], s[10:11]
	s_cbranch_execz .LBB9_1037
.LBB9_992:
	s_sext_i32_i16 s10, s74
	s_cmp_lt_i32 s10, 5
	s_cbranch_scc1 .LBB9_997
; %bb.993:
	s_cmp_lt_i32 s10, 8
	s_cbranch_scc1 .LBB9_998
; %bb.994:
	s_cmp_lt_i32 s10, 9
	s_cbranch_scc1 .LBB9_999
; %bb.995:
	s_cmp_gt_i32 s10, 9
	s_cbranch_scc0 .LBB9_1000
; %bb.996:
	global_load_dwordx2 v[3:4], v[0:1], off
	s_mov_b64 s[10:11], 0
	s_branch .LBB9_1001
.LBB9_997:
                                        ; implicit-def: $vgpr3_vgpr4
	s_branch .LBB9_1018
.LBB9_998:
                                        ; implicit-def: $vgpr3_vgpr4
	s_branch .LBB9_1007
.LBB9_999:
	s_mov_b64 s[10:11], -1
                                        ; implicit-def: $vgpr3_vgpr4
	s_branch .LBB9_1004
.LBB9_1000:
	s_mov_b64 s[10:11], -1
                                        ; implicit-def: $vgpr3_vgpr4
.LBB9_1001:
	s_andn2_b64 vcc, exec, s[10:11]
	s_cbranch_vccnz .LBB9_1003
; %bb.1002:
	global_load_dword v3, v[0:1], off
	s_waitcnt vmcnt(0)
	v_cvt_f64_f32_e32 v[3:4], v3
.LBB9_1003:
	s_mov_b64 s[10:11], 0
.LBB9_1004:
	s_andn2_b64 vcc, exec, s[10:11]
	s_cbranch_vccnz .LBB9_1006
; %bb.1005:
	global_load_dword v3, v[0:1], off
	s_waitcnt vmcnt(0)
	v_cvt_f32_f16_e32 v3, v3
	v_cvt_f64_f32_e32 v[3:4], v3
.LBB9_1006:
	s_cbranch_execnz .LBB9_1017
.LBB9_1007:
	s_sext_i32_i16 s10, s74
	s_cmp_lt_i32 s10, 6
	s_cbranch_scc1 .LBB9_1010
; %bb.1008:
	s_cmp_gt_i32 s10, 6
	s_cbranch_scc0 .LBB9_1011
; %bb.1009:
	global_load_dwordx2 v[3:4], v[0:1], off
	s_mov_b64 s[10:11], 0
	s_branch .LBB9_1012
.LBB9_1010:
	s_mov_b64 s[10:11], -1
                                        ; implicit-def: $vgpr3_vgpr4
	s_branch .LBB9_1015
.LBB9_1011:
	s_mov_b64 s[10:11], -1
                                        ; implicit-def: $vgpr3_vgpr4
.LBB9_1012:
	s_andn2_b64 vcc, exec, s[10:11]
	s_cbranch_vccnz .LBB9_1014
; %bb.1013:
	global_load_dword v3, v[0:1], off
	s_waitcnt vmcnt(0)
	v_cvt_f64_f32_e32 v[3:4], v3
.LBB9_1014:
	s_mov_b64 s[10:11], 0
.LBB9_1015:
	s_andn2_b64 vcc, exec, s[10:11]
	s_cbranch_vccnz .LBB9_1017
; %bb.1016:
	global_load_ushort v3, v[0:1], off
	s_waitcnt vmcnt(0)
	v_cvt_f32_f16_e32 v3, v3
	v_cvt_f64_f32_e32 v[3:4], v3
.LBB9_1017:
	s_cbranch_execnz .LBB9_1036
.LBB9_1018:
	s_sext_i32_i16 s10, s74
	s_cmp_lt_i32 s10, 2
	s_cbranch_scc1 .LBB9_1022
; %bb.1019:
	s_cmp_lt_i32 s10, 3
	s_cbranch_scc1 .LBB9_1023
; %bb.1020:
	s_cmp_gt_i32 s10, 3
	s_cbranch_scc0 .LBB9_1024
; %bb.1021:
	global_load_dwordx2 v[3:4], v[0:1], off
	s_mov_b64 s[10:11], 0
	s_waitcnt vmcnt(0)
	v_cvt_f64_i32_e32 v[4:5], v4
	v_cvt_f64_u32_e32 v[6:7], v3
	v_ldexp_f64 v[4:5], v[4:5], 32
	v_add_f64 v[3:4], v[4:5], v[6:7]
	s_branch .LBB9_1025
.LBB9_1022:
                                        ; implicit-def: $vgpr3_vgpr4
	s_branch .LBB9_1031
.LBB9_1023:
	s_mov_b64 s[10:11], -1
                                        ; implicit-def: $vgpr3_vgpr4
	s_branch .LBB9_1028
.LBB9_1024:
	s_mov_b64 s[10:11], -1
                                        ; implicit-def: $vgpr3_vgpr4
.LBB9_1025:
	s_andn2_b64 vcc, exec, s[10:11]
	s_cbranch_vccnz .LBB9_1027
; %bb.1026:
	global_load_dword v3, v[0:1], off
	s_waitcnt vmcnt(0)
	v_cvt_f64_i32_e32 v[3:4], v3
.LBB9_1027:
	s_mov_b64 s[10:11], 0
.LBB9_1028:
	s_andn2_b64 vcc, exec, s[10:11]
	s_cbranch_vccnz .LBB9_1030
; %bb.1029:
	global_load_sshort v3, v[0:1], off
	s_waitcnt vmcnt(0)
	v_cvt_f64_i32_e32 v[3:4], v3
.LBB9_1030:
	s_cbranch_execnz .LBB9_1036
.LBB9_1031:
	s_sext_i32_i16 s10, s74
	s_cmp_gt_i32 s10, 0
	s_cbranch_scc0 .LBB9_1033
; %bb.1032:
	global_load_sbyte v3, v[0:1], off
	s_mov_b64 s[10:11], 0
	s_waitcnt vmcnt(0)
	v_cvt_f64_i32_e32 v[3:4], v3
	s_branch .LBB9_1034
.LBB9_1033:
	s_mov_b64 s[10:11], -1
                                        ; implicit-def: $vgpr3_vgpr4
.LBB9_1034:
	s_andn2_b64 vcc, exec, s[10:11]
	s_cbranch_vccnz .LBB9_1036
; %bb.1035:
	global_load_ubyte v0, v[0:1], off
	s_waitcnt vmcnt(0)
	v_cvt_f64_u32_e32 v[3:4], v0
.LBB9_1036:
	s_or_b64 s[0:1], s[0:1], exec
.LBB9_1037:
	s_or_b64 exec, exec, s[8:9]
	s_mov_b64 s[12:13], 0
	s_mov_b64 s[10:11], 0
                                        ; implicit-def: $sgpr18
                                        ; implicit-def: $vgpr5_vgpr6
                                        ; implicit-def: $vgpr0_vgpr1
	s_and_saveexec_b64 s[8:9], s[0:1]
	s_cbranch_execz .LBB9_1069
; %bb.1038:
	s_waitcnt vmcnt(0)
	v_cmp_neq_f64_e32 vcc, 0, v[3:4]
                                        ; implicit-def: $vgpr0_vgpr1
	s_and_saveexec_b64 s[0:1], vcc
	s_xor_b64 s[10:11], exec, s[0:1]
	s_cbranch_execz .LBB9_1060
; %bb.1039:
	v_cmp_gt_f64_e32 vcc, 0, v[3:4]
	v_mov_b32_e32 v5, 0
	v_mov_b32_e32 v6, 0
	s_mov_b64 s[14:15], -1
	s_and_saveexec_b64 s[12:13], vcc
	s_cbranch_execz .LBB9_1047
; %bb.1040:
	v_trunc_f64_e32 v[0:1], v[3:4]
	v_mov_b32_e32 v5, 0
	v_mov_b32_e32 v6, 0
	s_mov_b64 s[16:17], 0
	v_cmp_neq_f64_e32 vcc, v[3:4], v[0:1]
	s_and_saveexec_b64 s[14:15], vcc
	s_cbranch_execz .LBB9_1046
; %bb.1041:
	v_add_f64 v[0:1], v[3:4], -v[0:1]
	s_mov_b32 s0, 0
	s_mov_b32 s17, 0xc00921fb
	;; [unrolled: 1-line block ×4, first 2 shown]
	v_cmp_neq_f64_e64 vcc, |v[3:4]|, s[0:1]
	v_bfrev_b32_e32 v5, 1
	s_mov_b32 s18, 0
	v_mul_f64 v[0:1], |v[0:1]|, s[16:17]
	s_mov_b32 s19, 0x41d00000
                                        ; implicit-def: $vgpr9
                                        ; implicit-def: $vgpr7_vgpr8
	v_cndmask_b32_e32 v1, v5, v1, vcc
	v_cndmask_b32_e32 v0, 0, v0, vcc
	v_cmp_nlt_f64_e64 s[18:19], |v[0:1]|, s[18:19]
                                        ; implicit-def: $vgpr5_vgpr6
	s_and_saveexec_b64 s[20:21], s[18:19]
	s_xor_b64 s[18:19], exec, s[20:21]
	s_cbranch_execz .LBB9_1043
; %bb.1042:
	v_trig_preop_f64 v[5:6], |v[0:1]|, 0
	s_mov_b32 s20, 0
	s_mov_b32 s21, 0x7b000000
	s_movk_i32 s17, 0xff80
	v_ldexp_f64 v[9:10], |v[0:1]|, s17
	v_cmp_ge_f64_e64 vcc, |v[0:1]|, s[20:21]
	v_trig_preop_f64 v[7:8], |v[0:1]|, 1
	v_and_b32_e32 v11, 0x7fffffff, v1
	v_trig_preop_f64 v[17:18], |v[0:1]|, 2
	v_mov_b32_e32 v28, 0x40100000
	v_mov_b32_e32 v27, 0
	s_mov_b32 s17, 0x3ff921fb
	v_cndmask_b32_e32 v10, v11, v10, vcc
	v_cndmask_b32_e32 v9, v0, v9, vcc
	v_mul_f64 v[11:12], v[5:6], v[9:10]
	v_mul_f64 v[13:14], v[7:8], v[9:10]
	;; [unrolled: 1-line block ×3, first 2 shown]
	v_fma_f64 v[5:6], v[5:6], v[9:10], -v[11:12]
	v_fma_f64 v[7:8], v[7:8], v[9:10], -v[13:14]
	;; [unrolled: 1-line block ×3, first 2 shown]
	v_add_f64 v[15:16], v[13:14], v[5:6]
	v_add_f64 v[19:20], v[15:16], -v[13:14]
	v_add_f64 v[25:26], v[11:12], v[15:16]
	v_add_f64 v[21:22], v[15:16], -v[19:20]
	v_add_f64 v[5:6], v[5:6], -v[19:20]
	v_add_f64 v[19:20], v[23:24], v[7:8]
	v_add_f64 v[11:12], v[25:26], -v[11:12]
	v_add_f64 v[13:14], v[13:14], -v[21:22]
	v_ldexp_f64 v[21:22], v[25:26], -2
	v_add_f64 v[29:30], v[19:20], -v[23:24]
	v_add_f64 v[11:12], v[15:16], -v[11:12]
	v_add_f64 v[5:6], v[5:6], v[13:14]
	v_fract_f64_e32 v[13:14], v[21:22]
	v_cmp_neq_f64_e64 vcc, |v[21:22]|, s[0:1]
	v_add_f64 v[7:8], v[7:8], -v[29:30]
	v_add_f64 v[15:16], v[19:20], v[5:6]
	v_ldexp_f64 v[13:14], v[13:14], 2
	v_add_f64 v[21:22], v[11:12], v[15:16]
	v_cndmask_b32_e32 v14, 0, v14, vcc
	v_cndmask_b32_e32 v13, 0, v13, vcc
	v_add_f64 v[31:32], v[15:16], -v[19:20]
	v_add_f64 v[25:26], v[21:22], v[13:14]
	v_add_f64 v[11:12], v[21:22], -v[11:12]
	v_add_f64 v[33:34], v[15:16], -v[31:32]
	;; [unrolled: 1-line block ×3, first 2 shown]
	v_cmp_gt_f64_e32 vcc, 0, v[25:26]
	v_add_f64 v[25:26], v[19:20], -v[29:30]
	v_add_f64 v[11:12], v[15:16], -v[11:12]
	v_add_f64 v[19:20], v[19:20], -v[33:34]
	v_cndmask_b32_e32 v28, 0, v28, vcc
	v_add_f64 v[13:14], v[13:14], v[27:28]
	v_add_f64 v[25:26], v[23:24], -v[25:26]
	v_add_f64 v[5:6], v[5:6], v[19:20]
	v_add_f64 v[35:36], v[21:22], v[13:14]
	;; [unrolled: 1-line block ×3, first 2 shown]
	v_cvt_i32_f64_e32 v30, v[35:36]
	v_add_f64 v[5:6], v[7:8], v[5:6]
	v_cvt_f64_i32_e32 v[28:29], v30
	v_add_f64 v[13:14], v[13:14], -v[28:29]
	v_add_f64 v[5:6], v[9:10], v[5:6]
	v_add_f64 v[7:8], v[21:22], v[13:14]
	;; [unrolled: 1-line block ×3, first 2 shown]
	v_mov_b32_e32 v12, 0x3ff00000
	v_add_f64 v[9:10], v[7:8], -v[13:14]
	v_cmp_le_f64_e32 vcc, 0.5, v[7:8]
	v_add_f64 v[10:11], v[21:22], -v[9:10]
	v_cndmask_b32_e32 v28, 0, v12, vcc
	v_add_f64 v[7:8], v[7:8], -v[27:28]
	v_addc_co_u32_e64 v9, s[0:1], 0, v30, vcc
	s_mov_b32 s0, 0x33145c07
	s_mov_b32 s1, 0x3c91a626
	v_add_f64 v[5:6], v[5:6], v[10:11]
	v_add_f64 v[10:11], v[7:8], v[5:6]
	v_mul_f64 v[12:13], v[10:11], s[16:17]
	v_add_f64 v[7:8], v[10:11], -v[7:8]
	v_fma_f64 v[14:15], v[10:11], s[16:17], -v[12:13]
	v_add_f64 v[5:6], v[5:6], -v[7:8]
	v_fma_f64 v[7:8], v[10:11], s[0:1], v[14:15]
	v_fma_f64 v[7:8], v[5:6], s[16:17], v[7:8]
	v_add_f64 v[5:6], v[12:13], v[7:8]
	v_add_f64 v[10:11], v[5:6], -v[12:13]
	v_add_f64 v[7:8], v[7:8], -v[10:11]
.LBB9_1043:
	s_andn2_saveexec_b64 s[0:1], s[18:19]
	s_cbranch_execz .LBB9_1045
; %bb.1044:
	s_mov_b32 s16, 0x6dc9c883
	s_mov_b32 s17, 0x3fe45f30
	v_mul_f64 v[5:6], |v[0:1]|, s[16:17]
	s_mov_b32 s16, 0x54442d18
	s_mov_b32 s17, 0xbff921fb
	;; [unrolled: 1-line block ×4, first 2 shown]
	v_rndne_f64_e32 v[9:10], v[5:6]
	v_fma_f64 v[5:6], v[9:10], s[16:17], |v[0:1]|
	v_mul_f64 v[7:8], v[9:10], s[18:19]
	s_mov_b32 s16, 0x252049c0
	s_mov_b32 s17, 0xb97b839a
	v_fma_f64 v[15:16], v[9:10], s[18:19], v[5:6]
	v_add_f64 v[11:12], v[5:6], v[7:8]
	s_mov_b32 s19, 0x3c91a626
	v_add_f64 v[13:14], v[5:6], -v[11:12]
	v_add_f64 v[11:12], v[11:12], -v[15:16]
	v_add_f64 v[5:6], v[13:14], v[7:8]
	v_fma_f64 v[7:8], v[9:10], s[18:19], v[7:8]
	v_add_f64 v[5:6], v[11:12], v[5:6]
	v_add_f64 v[5:6], v[5:6], -v[7:8]
	v_fma_f64 v[7:8], v[9:10], s[16:17], v[5:6]
	v_cvt_i32_f64_e32 v9, v[9:10]
	v_add_f64 v[5:6], v[15:16], v[7:8]
	v_add_f64 v[11:12], v[5:6], -v[15:16]
	v_add_f64 v[7:8], v[7:8], -v[11:12]
.LBB9_1045:
	s_or_b64 exec, exec, s[0:1]
	v_mul_f64 v[10:11], v[5:6], v[5:6]
	v_add_f64 v[12:13], v[7:8], v[7:8]
	s_mov_b32 s0, 0xc751c08c
	s_mov_b32 s1, 0x3ef5e089
	v_and_b32_e32 v9, 1, v9
	v_cmp_eq_u32_e32 vcc, 0, v9
	s_mov_b32 s18, 0x54442d18
	s_mov_b32 s19, 0xc00921fb
	v_fma_f64 v[14:15], v[5:6], v[5:6], -v[10:11]
	v_add_f64 v[3:4], -v[3:4], 1.0
	s_mov_b64 s[16:17], exec
	v_fma_f64 v[12:13], v[5:6], v[12:13], v[14:15]
	v_add_f64 v[10:11], v[10:11], v[12:13]
	v_mov_b32_e32 v12, 0xa9a29f71
	v_mov_b32_e32 v13, 0xbf078809
	v_fma_f64 v[12:13], v[10:11], s[0:1], v[12:13]
	s_mov_b32 s0, 0x90a8aae0
	s_mov_b32 s1, 0x3f17746f
	v_fma_f64 v[12:13], v[10:11], v[12:13], s[0:1]
	s_mov_b32 s0, 0xa6fbf144
	s_mov_b32 s1, 0xbefbb44d
	;; [unrolled: 3-line block ×12, first 2 shown]
	v_fma_f64 v[12:13], v[10:11], v[12:13], s[0:1]
	s_movk_i32 s0, 0x1f8
	v_cmp_class_f64_e64 s[0:1], v[0:1], s0
	v_mul_f64 v[10:11], v[10:11], v[12:13]
	v_mul_f64 v[12:13], v[5:6], v[10:11]
	v_add_f64 v[14:15], v[5:6], v[12:13]
	v_fma_f64 v[10:11], v[5:6], v[10:11], -v[12:13]
	v_add_f64 v[5:6], v[14:15], -v[5:6]
	v_add_f64 v[7:8], v[7:8], v[10:11]
	v_add_f64 v[5:6], v[12:13], -v[5:6]
	v_add_f64 v[5:6], v[7:8], v[5:6]
	v_add_f64 v[7:8], v[14:15], v[5:6]
	v_rcp_f64_e32 v[10:11], v[7:8]
	v_fma_f64 v[12:13], -v[7:8], v[10:11], 1.0
	v_fma_f64 v[10:11], v[12:13], v[10:11], v[10:11]
	v_fma_f64 v[12:13], -v[7:8], v[10:11], 1.0
	v_fma_f64 v[10:11], v[12:13], v[10:11], v[10:11]
	v_add_f64 v[12:13], v[7:8], -v[14:15]
	v_mul_f64 v[14:15], v[7:8], v[10:11]
	v_add_f64 v[5:6], v[5:6], -v[12:13]
	v_fma_f64 v[12:13], v[10:11], v[7:8], -v[14:15]
	v_fma_f64 v[5:6], v[10:11], v[5:6], v[12:13]
	v_add_f64 v[12:13], v[14:15], v[5:6]
	v_add_f64 v[16:17], -v[12:13], 1.0
	v_add_f64 v[14:15], v[12:13], -v[14:15]
	v_add_f64 v[18:19], -v[16:17], 1.0
	v_add_f64 v[5:6], v[14:15], -v[5:6]
	v_add_f64 v[12:13], v[18:19], -v[12:13]
	v_add_f64 v[5:6], v[5:6], v[12:13]
	v_add_f64 v[5:6], v[16:17], v[5:6]
	v_mul_f64 v[5:6], v[10:11], v[5:6]
	v_add_f64 v[5:6], v[10:11], v[5:6]
	v_and_b32_e32 v10, 0x80000000, v1
	v_mov_b32_e32 v1, 0x7ff80000
	v_xor_b32_e32 v0, 0x80000000, v6
	v_cndmask_b32_e32 v5, v5, v7, vcc
	v_cndmask_b32_e32 v6, v0, v8, vcc
	v_cndmask_b32_e64 v0, 0, v5, s[0:1]
	v_xor_b32_e32 v5, v6, v10
	v_cndmask_b32_e64 v1, v1, v5, s[0:1]
	v_div_scale_f64 v[5:6], s[0:1], v[0:1], v[0:1], s[18:19]
	v_rcp_f64_e32 v[7:8], v[5:6]
	v_fma_f64 v[9:10], -v[5:6], v[7:8], 1.0
	v_fma_f64 v[7:8], v[7:8], v[9:10], v[7:8]
	v_div_scale_f64 v[9:10], vcc, s[18:19], v[0:1], s[18:19]
	v_fma_f64 v[11:12], -v[5:6], v[7:8], 1.0
	v_fma_f64 v[7:8], v[7:8], v[11:12], v[7:8]
	v_mul_f64 v[11:12], v[9:10], v[7:8]
	v_fma_f64 v[5:6], -v[5:6], v[11:12], v[9:10]
	v_div_fmas_f64 v[5:6], v[5:6], v[7:8], v[11:12]
	v_div_fixup_f64 v[5:6], v[5:6], v[0:1], s[18:19]
.LBB9_1046:
	s_or_b64 exec, exec, s[14:15]
	s_orn2_b64 s[14:15], s[16:17], exec
.LBB9_1047:
	s_or_b64 exec, exec, s[12:13]
	v_mov_b32_e32 v0, 0
	v_mov_b32_e32 v1, 0x7ff80000
	s_and_saveexec_b64 s[0:1], s[14:15]
	s_cbranch_execz .LBB9_1059
; %bb.1048:
	s_mov_b32 s14, 0
	s_mov_b32 s15, 0x40240000
	v_cmp_gt_f64_e32 vcc, s[14:15], v[3:4]
	s_and_saveexec_b64 s[12:13], vcc
	s_cbranch_execz .LBB9_1052
; %bb.1049:
	s_mov_b64 s[16:17], 0
.LBB9_1050:                             ; =>This Inner Loop Header: Depth=1
	v_div_scale_f64 v[0:1], s[18:19], v[3:4], v[3:4], 1.0
	v_rcp_f64_e32 v[7:8], v[0:1]
	v_fma_f64 v[9:10], -v[0:1], v[7:8], 1.0
	v_fma_f64 v[7:8], v[7:8], v[9:10], v[7:8]
	v_div_scale_f64 v[9:10], vcc, 1.0, v[3:4], 1.0
	v_fma_f64 v[11:12], -v[0:1], v[7:8], 1.0
	v_fma_f64 v[7:8], v[7:8], v[11:12], v[7:8]
	v_mul_f64 v[11:12], v[9:10], v[7:8]
	v_fma_f64 v[0:1], -v[0:1], v[11:12], v[9:10]
	v_div_fmas_f64 v[0:1], v[0:1], v[7:8], v[11:12]
	v_div_fixup_f64 v[0:1], v[0:1], v[3:4], 1.0
	v_add_f64 v[3:4], v[3:4], 1.0
	v_add_f64 v[5:6], v[5:6], -v[0:1]
	v_cmp_ngt_f64_e32 vcc, s[14:15], v[3:4]
	s_or_b64 s[16:17], vcc, s[16:17]
	s_andn2_b64 exec, exec, s[16:17]
	s_cbranch_execnz .LBB9_1050
; %bb.1051:
	s_or_b64 exec, exec, s[16:17]
.LBB9_1052:
	s_or_b64 exec, exec, s[12:13]
	s_mov_b32 s12, 0
	s_mov_b32 s13, 0x40240000
	v_cmp_neq_f64_e32 vcc, s[12:13], v[3:4]
                                        ; implicit-def: $vgpr0_vgpr1
	s_and_saveexec_b64 s[12:13], vcc
	s_xor_b64 s[12:13], exec, s[12:13]
	s_cbranch_execz .LBB9_1056
; %bb.1053:
	s_mov_b32 s14, 0x85d8a000
	s_mov_b32 s15, 0x43763457
	v_cmp_gt_f64_e32 vcc, s[14:15], v[3:4]
	v_mov_b32_e32 v0, 0
	v_mov_b32_e32 v1, 0
	s_and_saveexec_b64 s[14:15], vcc
	s_cbranch_execz .LBB9_1055
; %bb.1054:
	v_mul_f64 v[0:1], v[3:4], v[3:4]
	s_mov_b32 s18, 0x95995996
	s_mov_b32 s19, 0xbf959959
	;; [unrolled: 1-line block ×4, first 2 shown]
	v_div_scale_f64 v[7:8], s[16:17], v[0:1], v[0:1], 1.0
	v_div_scale_f64 v[13:14], vcc, 1.0, v[0:1], 1.0
	s_mov_b32 s16, 0x55555555
	s_mov_b32 s17, 0x3fb55555
	v_rcp_f64_e32 v[9:10], v[7:8]
	v_fma_f64 v[11:12], -v[7:8], v[9:10], 1.0
	v_fma_f64 v[9:10], v[9:10], v[11:12], v[9:10]
	v_fma_f64 v[11:12], -v[7:8], v[9:10], 1.0
	v_fma_f64 v[9:10], v[9:10], v[11:12], v[9:10]
	v_mul_f64 v[11:12], v[13:14], v[9:10]
	v_fma_f64 v[7:8], -v[7:8], v[11:12], v[13:14]
	v_div_fmas_f64 v[7:8], v[7:8], v[9:10], v[11:12]
	v_div_fixup_f64 v[0:1], v[7:8], v[0:1], 1.0
	v_fma_f64 v[7:8], v[0:1], 0, s[16:17]
	v_fma_f64 v[7:8], v[0:1], v[7:8], s[18:19]
	s_mov_b32 s18, 0xf07c1f08
	s_mov_b32 s19, 0x3f7f07c1
	v_fma_f64 v[7:8], v[0:1], v[7:8], s[18:19]
	s_mov_b32 s19, 0xbf711111
	s_mov_b32 s18, 0x11111111
	v_fma_f64 v[7:8], v[0:1], v[7:8], s[18:19]
	s_mov_b32 s19, 0xbf811111
	v_fma_f64 v[7:8], v[0:1], v[7:8], s[20:21]
	v_fma_f64 v[7:8], v[0:1], v[7:8], s[18:19]
	;; [unrolled: 1-line block ×3, first 2 shown]
	v_mul_f64 v[0:1], v[0:1], v[7:8]
.LBB9_1055:
	s_or_b64 exec, exec, s[14:15]
	v_frexp_mant_f64_e32 v[7:8], v[3:4]
	s_mov_b32 s15, 0x3fe55555
	s_mov_b32 s14, 0x55555555
	;; [unrolled: 1-line block ×4, first 2 shown]
	v_cmp_gt_f64_e32 vcc, s[14:15], v[7:8]
	s_mov_b32 s14, 0x55555780
	v_cndmask_b32_e64 v9, 0, 1, vcc
	v_ldexp_f64 v[7:8], v[7:8], v9
	v_add_f64 v[9:10], v[7:8], 1.0
	v_add_f64 v[15:16], v[7:8], -1.0
	v_rcp_f64_e32 v[11:12], v[9:10]
	v_add_f64 v[17:18], v[9:10], -1.0
	v_add_f64 v[7:8], v[7:8], -v[17:18]
	v_fma_f64 v[13:14], -v[9:10], v[11:12], 1.0
	v_fma_f64 v[11:12], v[13:14], v[11:12], v[11:12]
	v_fma_f64 v[13:14], -v[9:10], v[11:12], 1.0
	v_fma_f64 v[11:12], v[13:14], v[11:12], v[11:12]
	v_mul_f64 v[13:14], v[15:16], v[11:12]
	v_mul_f64 v[19:20], v[9:10], v[13:14]
	v_fma_f64 v[9:10], v[13:14], v[9:10], -v[19:20]
	v_fma_f64 v[7:8], v[13:14], v[7:8], v[9:10]
	v_add_f64 v[9:10], v[19:20], v[7:8]
	v_add_f64 v[17:18], v[15:16], -v[9:10]
	v_add_f64 v[19:20], v[9:10], -v[19:20]
	;; [unrolled: 1-line block ×5, first 2 shown]
	v_mov_b32_e32 v15, 0x6b47b09a
	v_mov_b32_e32 v16, 0x3fc38538
	v_add_f64 v[7:8], v[7:8], v[9:10]
	v_add_f64 v[7:8], v[17:18], v[7:8]
	v_mul_f64 v[7:8], v[11:12], v[7:8]
	v_add_f64 v[9:10], v[13:14], v[7:8]
	v_mul_f64 v[11:12], v[9:10], v[9:10]
	v_fma_f64 v[15:16], v[11:12], s[16:17], v[15:16]
	s_mov_b32 s16, 0xd7f4df2e
	s_mov_b32 s17, 0x3fc7474d
	v_mul_f64 v[17:18], v[9:10], v[11:12]
	v_fma_f64 v[15:16], v[11:12], v[15:16], s[16:17]
	s_mov_b32 s16, 0x16291751
	s_mov_b32 s17, 0x3fcc71c0
	v_fma_f64 v[15:16], v[11:12], v[15:16], s[16:17]
	s_mov_b32 s16, 0x9b27acf1
	s_mov_b32 s17, 0x3fd24924
	;; [unrolled: 3-line block ×3, first 2 shown]
	v_fma_f64 v[15:16], v[11:12], v[15:16], s[16:17]
	v_fma_f64 v[11:12], v[11:12], v[15:16], s[14:15]
	v_ldexp_f64 v[15:16], v[9:10], 1
	v_add_f64 v[9:10], v[9:10], -v[13:14]
	s_mov_b32 s14, 0xfefa39ef
	s_mov_b32 s15, 0x3fe62e42
	v_mul_f64 v[11:12], v[17:18], v[11:12]
	v_frexp_exp_i32_f64_e32 v17, v[3:4]
	v_add_f64 v[7:8], v[7:8], -v[9:10]
	v_add_f64 v[13:14], v[15:16], v[11:12]
	v_subbrev_co_u32_e32 v17, vcc, 0, v17, vcc
	v_cvt_f64_i32_e32 v[17:18], v17
	v_ldexp_f64 v[7:8], v[7:8], 1
	v_mul_f64 v[19:20], v[17:18], s[14:15]
	v_add_f64 v[9:10], v[13:14], -v[15:16]
	v_fma_f64 v[15:16], v[17:18], s[14:15], -v[19:20]
	v_add_f64 v[9:10], v[11:12], -v[9:10]
	s_mov_b32 s14, 0x3b39803f
	s_mov_b32 s15, 0x3c7abc9e
	v_fma_f64 v[11:12], v[17:18], s[14:15], v[15:16]
	v_add_f64 v[7:8], v[7:8], v[9:10]
	v_div_scale_f64 v[9:10], s[14:15], v[3:4], v[3:4], -0.5
	s_movk_i32 s14, 0x204
	v_add_f64 v[15:16], v[19:20], v[11:12]
	v_add_f64 v[17:18], v[13:14], v[7:8]
	v_add_f64 v[19:20], v[15:16], -v[19:20]
	v_add_f64 v[21:22], v[15:16], v[17:18]
	v_rcp_f64_e32 v[23:24], v[9:10]
	v_add_f64 v[13:14], v[17:18], -v[13:14]
	v_add_f64 v[11:12], v[11:12], -v[19:20]
	;; [unrolled: 1-line block ×5, first 2 shown]
	v_fma_f64 v[29:30], -v[9:10], v[23:24], 1.0
	v_add_f64 v[13:14], v[17:18], -v[25:26]
	v_add_f64 v[19:20], v[11:12], v[7:8]
	v_add_f64 v[15:16], v[15:16], -v[27:28]
	v_fma_f64 v[17:18], v[23:24], v[29:30], v[23:24]
	v_add_f64 v[25:26], v[19:20], -v[11:12]
	v_add_f64 v[13:14], v[13:14], v[15:16]
	v_div_scale_f64 v[15:16], vcc, -0.5, v[3:4], -0.5
	v_fma_f64 v[23:24], -v[9:10], v[17:18], 1.0
	v_add_f64 v[7:8], v[7:8], -v[25:26]
	v_add_f64 v[13:14], v[19:20], v[13:14]
	v_add_f64 v[19:20], v[19:20], -v[25:26]
	v_fma_f64 v[17:18], v[17:18], v[23:24], v[17:18]
	v_add_f64 v[23:24], v[21:22], v[13:14]
	v_add_f64 v[11:12], v[11:12], -v[19:20]
	v_mul_f64 v[27:28], v[15:16], v[17:18]
	v_add_f64 v[19:20], v[23:24], -v[21:22]
	v_add_f64 v[7:8], v[7:8], v[11:12]
	v_fma_f64 v[9:10], -v[9:10], v[27:28], v[15:16]
	v_add_f64 v[11:12], v[13:14], -v[19:20]
	v_div_fmas_f64 v[9:10], v[9:10], v[17:18], v[27:28]
	v_cmp_class_f64_e64 vcc, v[3:4], s14
	v_add_f64 v[7:8], v[7:8], v[11:12]
	v_add_f64 v[7:8], v[23:24], v[7:8]
	v_div_fixup_f64 v[9:10], v[9:10], v[3:4], -0.5
	v_cndmask_b32_e32 v4, v8, v4, vcc
	v_cndmask_b32_e32 v3, v7, v3, vcc
	v_add_f64 v[3:4], v[3:4], v[9:10]
	v_add_f64 v[0:1], v[3:4], -v[0:1]
	v_add_f64 v[0:1], v[5:6], v[0:1]
                                        ; implicit-def: $vgpr5_vgpr6
.LBB9_1056:
	s_andn2_saveexec_b64 s[12:13], s[12:13]
	s_cbranch_execz .LBB9_1058
; %bb.1057:
	s_mov_b32 s14, 0xdc85cc95
	s_mov_b32 s15, 0x40020396
	v_add_f64 v[0:1], v[5:6], s[14:15]
.LBB9_1058:
	s_or_b64 exec, exec, s[12:13]
.LBB9_1059:
	s_or_b64 exec, exec, s[0:1]
                                        ; implicit-def: $vgpr3_vgpr4
.LBB9_1060:
	s_andn2_saveexec_b64 s[0:1], s[10:11]
; %bb.1061:
	v_xor_b32_e32 v0, 0x80000000, v4
	s_brev_b32 s10, -2
	v_mov_b32_e32 v1, 0x7ff00000
	v_bfi_b32 v1, s10, v1, v0
	v_mov_b32_e32 v0, 0
; %bb.1062:
	s_or_b64 exec, exec, s[0:1]
	s_waitcnt lgkmcnt(0)
	v_mov_b32_e32 v3, s25
	s_and_b32 s18, s73, 0xff
	v_add_co_u32_e32 v5, vcc, s24, v2
	s_cmp_lt_i32 s18, 11
	v_addc_co_u32_e32 v6, vcc, 0, v3, vcc
	s_cbranch_scc1 .LBB9_1072
; %bb.1063:
	s_and_b32 s19, 0xffff, s18
	s_mov_b64 s[12:13], -1
	s_cmp_gt_i32 s19, 25
	s_mov_b64 s[0:1], s[52:53]
	s_cbranch_scc0 .LBB9_1100
; %bb.1064:
	s_mov_b64 s[10:11], -1
	s_cmp_gt_i32 s19, 28
	s_mov_b64 s[0:1], s[52:53]
	s_cbranch_scc0 .LBB9_1084
; %bb.1065:
	s_cmp_gt_i32 s19, 43
	s_mov_b64 s[0:1], s[52:53]
	s_cbranch_scc0 .LBB9_1080
; %bb.1066:
	;; [unrolled: 4-line block ×3, first 2 shown]
	s_cmp_eq_u32 s19, 46
	s_mov_b64 s[0:1], -1
	s_cbranch_scc0 .LBB9_1073
; %bb.1068:
	v_cvt_f32_f64_e32 v2, v[0:1]
	s_movk_i32 s0, 0x7fff
	v_mov_b32_e32 v3, 0x7fc0
	s_mov_b64 s[10:11], 0
	v_bfe_u32 v4, v2, 16, 1
	v_cmp_o_f32_e32 vcc, v2, v2
	v_add3_u32 v2, v2, v4, s0
	v_cndmask_b32_sdwa v2, v3, v2, vcc dst_sel:DWORD dst_unused:UNUSED_PAD src0_sel:DWORD src1_sel:WORD_1
	global_store_dword v[5:6], v2, off
	s_mov_b64 s[0:1], 0
	s_branch .LBB9_1074
.LBB9_1069:
	s_or_b64 exec, exec, s[8:9]
	s_and_saveexec_b64 s[0:1], s[52:53]
	s_cbranch_execnz .LBB9_1142
.LBB9_1070:
	s_or_b64 exec, exec, s[0:1]
	s_and_saveexec_b64 s[0:1], s[12:13]
	s_xor_b64 s[0:1], exec, s[0:1]
	s_cbranch_execz .LBB9_1143
.LBB9_1071:
	v_cmp_neq_f64_e32 vcc, 0, v[0:1]
	v_cndmask_b32_e64 v2, 0, 1, vcc
	global_store_byte v[5:6], v2, off
	s_or_b64 exec, exec, s[0:1]
	s_and_saveexec_b64 s[0:1], s[10:11]
	s_xor_b64 s[0:1], exec, s[0:1]
	s_cbranch_execz .LBB9_1181
	s_branch .LBB9_1144
.LBB9_1072:
	s_mov_b64 s[12:13], 0
	s_mov_b64 s[10:11], -1
	s_mov_b64 s[0:1], s[52:53]
	s_branch .LBB9_1141
.LBB9_1073:
	s_mov_b64 s[10:11], 0
.LBB9_1074:
	s_and_b64 vcc, exec, s[10:11]
	s_cbranch_vccz .LBB9_1079
; %bb.1075:
	s_cmp_eq_u32 s19, 44
	s_mov_b64 s[0:1], -1
	s_cbranch_scc0 .LBB9_1079
; %bb.1076:
	v_cvt_f32_f64_e32 v2, v[0:1]
	s_movk_i32 s0, 0xff
	v_mov_b32_e32 v4, 0xff
	v_bfe_u32 v3, v2, 23, 8
	v_cmp_ne_u32_e32 vcc, s0, v3
	s_and_saveexec_b64 s[10:11], vcc
; %bb.1077:
	s_mov_b32 s0, 0x3fffff
	v_lshrrev_b32_e32 v4, 23, v2
	v_and_b32_e32 v7, 0x400000, v2
	v_and_or_b32 v2, v2, s0, v3
	v_cmp_ne_u32_e32 vcc, 0, v7
	v_cmp_ne_u32_e64 s[0:1], 0, v2
	s_and_b64 s[0:1], vcc, s[0:1]
	v_cndmask_b32_e64 v2, 0, 1, s[0:1]
	v_add_u32_e32 v4, v4, v2
; %bb.1078:
	s_or_b64 exec, exec, s[10:11]
	s_mov_b64 s[0:1], 0
	global_store_byte v[5:6], v4, off
.LBB9_1079:
	s_mov_b64 s[10:11], 0
.LBB9_1080:
	s_and_b64 vcc, exec, s[10:11]
	s_cbranch_vccz .LBB9_1083
; %bb.1081:
	s_cmp_eq_u32 s19, 29
	s_mov_b64 s[0:1], -1
	s_cbranch_scc0 .LBB9_1083
; %bb.1082:
	v_trunc_f64_e32 v[2:3], v[0:1]
	s_movk_i32 s0, 0xffe0
	s_mov_b64 s[10:11], 0
	v_ldexp_f64 v[7:8], v[2:3], s0
	s_mov_b32 s0, 0
	s_mov_b32 s1, 0xc1f00000
	v_floor_f64_e32 v[7:8], v[7:8]
	v_fma_f64 v[2:3], v[7:8], s[0:1], v[2:3]
	v_cvt_u32_f64_e32 v4, v[7:8]
	s_mov_b64 s[0:1], 0
	v_cvt_u32_f64_e32 v3, v[2:3]
	global_store_dwordx2 v[5:6], v[3:4], off
	s_branch .LBB9_1084
.LBB9_1083:
	s_mov_b64 s[10:11], 0
.LBB9_1084:
	s_and_b64 vcc, exec, s[10:11]
	s_cbranch_vccz .LBB9_1099
; %bb.1085:
	s_cmp_lt_i32 s19, 27
	s_mov_b64 s[10:11], -1
	s_cbranch_scc1 .LBB9_1091
; %bb.1086:
	s_cmp_gt_i32 s19, 27
	s_cbranch_scc0 .LBB9_1088
; %bb.1087:
	v_cvt_u32_f64_e32 v2, v[0:1]
	s_mov_b64 s[10:11], 0
	global_store_dword v[5:6], v2, off
.LBB9_1088:
	s_andn2_b64 vcc, exec, s[10:11]
	s_cbranch_vccnz .LBB9_1090
; %bb.1089:
	v_cvt_u32_f64_e32 v2, v[0:1]
	global_store_short v[5:6], v2, off
.LBB9_1090:
	s_mov_b64 s[10:11], 0
.LBB9_1091:
	s_andn2_b64 vcc, exec, s[10:11]
	s_cbranch_vccnz .LBB9_1099
; %bb.1092:
	v_cvt_f32_f64_e32 v2, v[0:1]
	s_mov_b32 s10, 0x43800000
	v_mov_b32_e32 v4, 0x80
	v_and_b32_e32 v3, 0x7fffffff, v2
	v_cmp_gt_u32_e32 vcc, s10, v3
	s_and_saveexec_b64 s[10:11], vcc
	s_cbranch_execz .LBB9_1098
; %bb.1093:
	s_mov_b32 s12, 0x3bffffff
	v_cmp_lt_u32_e32 vcc, s12, v3
	s_mov_b64 s[12:13], 0
                                        ; implicit-def: $vgpr3
	s_and_saveexec_b64 s[14:15], vcc
	s_xor_b64 s[14:15], exec, s[14:15]
	s_cbranch_execz .LBB9_1252
; %bb.1094:
	v_bfe_u32 v3, v2, 20, 1
	s_mov_b32 s16, 0x487ffff
	v_add3_u32 v3, v2, v3, s16
	s_mov_b64 s[12:13], exec
	v_lshrrev_b32_e32 v3, 20, v3
	s_andn2_saveexec_b64 s[14:15], s[14:15]
	s_cbranch_execnz .LBB9_1253
.LBB9_1095:
	s_or_b64 exec, exec, s[14:15]
	v_mov_b32_e32 v4, 0
	s_and_saveexec_b64 s[14:15], s[12:13]
.LBB9_1096:
	v_lshrrev_b32_e32 v2, 24, v2
	s_movk_i32 s12, 0x80
	v_and_or_b32 v4, v2, s12, v3
.LBB9_1097:
	s_or_b64 exec, exec, s[14:15]
.LBB9_1098:
	s_or_b64 exec, exec, s[10:11]
	global_store_byte v[5:6], v4, off
.LBB9_1099:
	s_mov_b64 s[12:13], 0
.LBB9_1100:
	s_mov_b64 s[10:11], 0
	s_and_b64 vcc, exec, s[12:13]
	s_cbranch_vccz .LBB9_1140
; %bb.1101:
	s_cmp_gt_i32 s19, 22
	s_mov_b64 s[12:13], -1
	s_cbranch_scc0 .LBB9_1133
; %bb.1102:
	s_cmp_lt_i32 s19, 24
	s_cbranch_scc1 .LBB9_1122
; %bb.1103:
	s_cmp_gt_i32 s19, 24
	s_cbranch_scc0 .LBB9_1111
; %bb.1104:
	v_cvt_f32_f64_e32 v2, v[0:1]
	s_mov_b32 s12, 0x47800000
	v_mov_b32_e32 v4, 0x80
	v_and_b32_e32 v3, 0x7fffffff, v2
	v_cmp_gt_u32_e32 vcc, s12, v3
	s_and_saveexec_b64 s[12:13], vcc
	s_cbranch_execz .LBB9_1110
; %bb.1105:
	s_mov_b32 s14, 0x37ffffff
	v_cmp_lt_u32_e32 vcc, s14, v3
	s_mov_b64 s[14:15], 0
                                        ; implicit-def: $vgpr3
	s_and_saveexec_b64 s[16:17], vcc
	s_xor_b64 s[16:17], exec, s[16:17]
	s_cbranch_execz .LBB9_1401
; %bb.1106:
	v_bfe_u32 v3, v2, 21, 1
	s_mov_b32 s20, 0x88fffff
	v_add3_u32 v3, v2, v3, s20
	s_mov_b64 s[14:15], exec
	v_lshrrev_b32_e32 v3, 21, v3
	s_andn2_saveexec_b64 s[16:17], s[16:17]
	s_cbranch_execnz .LBB9_1402
.LBB9_1107:
	s_or_b64 exec, exec, s[16:17]
	v_mov_b32_e32 v4, 0
	s_and_saveexec_b64 s[16:17], s[14:15]
.LBB9_1108:
	v_lshrrev_b32_e32 v2, 24, v2
	s_movk_i32 s14, 0x80
	v_and_or_b32 v4, v2, s14, v3
.LBB9_1109:
	s_or_b64 exec, exec, s[16:17]
.LBB9_1110:
	s_or_b64 exec, exec, s[12:13]
	s_mov_b64 s[12:13], 0
	global_store_byte v[5:6], v4, off
.LBB9_1111:
	s_and_b64 vcc, exec, s[12:13]
	s_cbranch_vccz .LBB9_1121
; %bb.1112:
	v_cvt_f32_f64_e32 v2, v[0:1]
	s_mov_b32 s12, 0x43f00000
                                        ; implicit-def: $vgpr3
	v_and_b32_e32 v4, 0x7fffffff, v2
	v_cmp_gt_u32_e32 vcc, s12, v4
	s_and_saveexec_b64 s[12:13], vcc
	s_xor_b64 s[12:13], exec, s[12:13]
	s_cbranch_execz .LBB9_1118
; %bb.1113:
	s_mov_b32 s14, 0x3c7fffff
	v_cmp_lt_u32_e32 vcc, s14, v4
                                        ; implicit-def: $vgpr3
	s_and_saveexec_b64 s[14:15], vcc
	s_xor_b64 s[14:15], exec, s[14:15]
; %bb.1114:
	v_bfe_u32 v3, v2, 20, 1
	s_mov_b32 s16, 0x407ffff
	v_add3_u32 v3, v2, v3, s16
	v_lshrrev_b32_e32 v4, 20, v3
	v_and_b32_e32 v3, 0xff00000, v3
	s_mov_b32 s16, 0x7f00000
	v_mov_b32_e32 v7, 0x7e
	v_cmp_ne_u32_e32 vcc, s16, v3
	v_cndmask_b32_e32 v3, v7, v4, vcc
; %bb.1115:
	s_andn2_saveexec_b64 s[14:15], s[14:15]
; %bb.1116:
	s_mov_b32 s16, 0x46800000
	v_add_f32_e64 v3, |v2|, s16
; %bb.1117:
	s_or_b64 exec, exec, s[14:15]
                                        ; implicit-def: $vgpr4
.LBB9_1118:
	s_andn2_saveexec_b64 s[12:13], s[12:13]
; %bb.1119:
	s_mov_b32 s14, 0x7f800000
	v_mov_b32_e32 v3, 0x7e
	v_mov_b32_e32 v7, 0x7f
	v_cmp_lt_u32_e32 vcc, s14, v4
	v_cndmask_b32_e32 v3, v3, v7, vcc
; %bb.1120:
	s_or_b64 exec, exec, s[12:13]
	v_lshrrev_b32_e32 v2, 24, v2
	s_movk_i32 s12, 0x80
	v_and_or_b32 v2, v2, s12, v3
	global_store_byte v[5:6], v2, off
.LBB9_1121:
	s_mov_b64 s[12:13], 0
.LBB9_1122:
	s_andn2_b64 vcc, exec, s[12:13]
	s_cbranch_vccnz .LBB9_1132
; %bb.1123:
	v_cvt_f32_f64_e32 v2, v[0:1]
	s_mov_b32 s12, 0x47800000
                                        ; implicit-def: $vgpr3
	v_and_b32_e32 v4, 0x7fffffff, v2
	v_cmp_gt_u32_e32 vcc, s12, v4
	s_and_saveexec_b64 s[12:13], vcc
	s_xor_b64 s[12:13], exec, s[12:13]
	s_cbranch_execz .LBB9_1129
; %bb.1124:
	s_mov_b32 s14, 0x387fffff
	v_cmp_lt_u32_e32 vcc, s14, v4
                                        ; implicit-def: $vgpr3
	s_and_saveexec_b64 s[14:15], vcc
	s_xor_b64 s[14:15], exec, s[14:15]
; %bb.1125:
	v_bfe_u32 v3, v2, 21, 1
	s_mov_b32 s16, 0x80fffff
	v_add3_u32 v3, v2, v3, s16
	v_lshrrev_b32_e32 v3, 21, v3
; %bb.1126:
	s_andn2_saveexec_b64 s[14:15], s[14:15]
; %bb.1127:
	s_mov_b32 s16, 0x43000000
	v_add_f32_e64 v3, |v2|, s16
; %bb.1128:
	s_or_b64 exec, exec, s[14:15]
                                        ; implicit-def: $vgpr4
.LBB9_1129:
	s_andn2_saveexec_b64 s[12:13], s[12:13]
; %bb.1130:
	s_mov_b32 s14, 0x7f800000
	v_mov_b32_e32 v3, 0x7c
	v_mov_b32_e32 v7, 0x7f
	v_cmp_lt_u32_e32 vcc, s14, v4
	v_cndmask_b32_e32 v3, v3, v7, vcc
; %bb.1131:
	s_or_b64 exec, exec, s[12:13]
	v_lshrrev_b32_e32 v2, 24, v2
	s_movk_i32 s12, 0x80
	v_and_or_b32 v2, v2, s12, v3
	global_store_byte v[5:6], v2, off
.LBB9_1132:
	s_mov_b64 s[12:13], 0
.LBB9_1133:
	s_andn2_b64 vcc, exec, s[12:13]
	s_mov_b64 s[12:13], 0
	s_cbranch_vccnz .LBB9_1141
; %bb.1134:
	s_cmp_gt_i32 s19, 14
	s_mov_b64 s[14:15], -1
	s_cbranch_scc0 .LBB9_1138
; %bb.1135:
	s_cmp_eq_u32 s19, 15
	s_mov_b64 s[0:1], -1
	s_cbranch_scc0 .LBB9_1137
; %bb.1136:
	v_cvt_f32_f64_e32 v2, v[0:1]
	s_movk_i32 s0, 0x7fff
	v_mov_b32_e32 v3, 0x7fc0
	v_bfe_u32 v4, v2, 16, 1
	v_cmp_o_f32_e32 vcc, v2, v2
	v_add3_u32 v2, v2, v4, s0
	v_cndmask_b32_sdwa v2, v3, v2, vcc dst_sel:DWORD dst_unused:UNUSED_PAD src0_sel:DWORD src1_sel:WORD_1
	global_store_short v[5:6], v2, off
	s_mov_b64 s[0:1], 0
.LBB9_1137:
	s_mov_b64 s[14:15], 0
.LBB9_1138:
	s_and_b64 vcc, exec, s[14:15]
	s_cbranch_vccz .LBB9_1141
; %bb.1139:
	s_cmp_lg_u32 s19, 11
	s_cselect_b64 s[14:15], -1, 0
	s_andn2_b64 s[0:1], s[0:1], exec
	s_and_b64 s[14:15], s[14:15], exec
	s_mov_b64 s[12:13], -1
	s_or_b64 s[0:1], s[0:1], s[14:15]
	s_branch .LBB9_1141
.LBB9_1140:
	s_mov_b64 s[12:13], 0
.LBB9_1141:
	s_andn2_b64 s[14:15], s[52:53], exec
	s_and_b64 s[0:1], s[0:1], exec
	s_and_b64 s[10:11], s[10:11], exec
	;; [unrolled: 1-line block ×3, first 2 shown]
	s_or_b64 s[52:53], s[14:15], s[0:1]
	s_or_b64 exec, exec, s[8:9]
	s_and_saveexec_b64 s[0:1], s[52:53]
	s_cbranch_execz .LBB9_1070
.LBB9_1142:
	s_or_b64 s[2:3], s[2:3], exec
	s_andn2_b64 s[12:13], s[12:13], exec
	s_trap 2
	s_or_b64 exec, exec, s[0:1]
	s_and_saveexec_b64 s[0:1], s[12:13]
	s_xor_b64 s[0:1], exec, s[0:1]
	s_cbranch_execnz .LBB9_1071
.LBB9_1143:
	s_or_b64 exec, exec, s[0:1]
	s_and_saveexec_b64 s[0:1], s[10:11]
	s_xor_b64 s[0:1], exec, s[0:1]
	s_cbranch_execz .LBB9_1181
.LBB9_1144:
	s_sext_i32_i16 s10, s18
	s_cmp_lt_i32 s10, 5
	s_mov_b64 s[8:9], -1
	s_cbranch_scc1 .LBB9_1165
; %bb.1145:
	s_cmp_lt_i32 s10, 8
	s_cbranch_scc1 .LBB9_1155
; %bb.1146:
	s_cmp_lt_i32 s10, 9
	s_cbranch_scc1 .LBB9_1152
; %bb.1147:
	s_cmp_gt_i32 s10, 9
	s_cbranch_scc0 .LBB9_1149
; %bb.1148:
	v_mov_b32_e32 v2, 0
	s_waitcnt vmcnt(0)
	v_mov_b32_e32 v3, v2
	s_mov_b64 s[8:9], 0
	global_store_dwordx4 v[5:6], v[0:3], off
.LBB9_1149:
	s_andn2_b64 vcc, exec, s[8:9]
	s_cbranch_vccnz .LBB9_1151
; %bb.1150:
	v_cvt_f32_f64_e32 v2, v[0:1]
	s_waitcnt vmcnt(0)
	v_mov_b32_e32 v3, 0
	global_store_dwordx2 v[5:6], v[2:3], off
.LBB9_1151:
	s_mov_b64 s[8:9], 0
.LBB9_1152:
	s_andn2_b64 vcc, exec, s[8:9]
	s_cbranch_vccnz .LBB9_1154
; %bb.1153:
	s_movk_i32 s8, 0x1ff
	v_and_or_b32 v2, v1, s8, v0
	v_cmp_ne_u32_e32 vcc, 0, v2
	v_cndmask_b32_e64 v2, 0, 1, vcc
	s_waitcnt vmcnt(0)
	v_lshrrev_b32_e32 v3, 8, v1
	s_movk_i32 s8, 0xffe
	v_bfe_u32 v4, v1, 20, 11
	v_and_or_b32 v2, v3, s8, v2
	v_sub_u32_e32 v7, 0x3f1, v4
	v_or_b32_e32 v3, 0x1000, v2
	v_med3_i32 v7, v7, 0, 13
	v_lshrrev_b32_e32 v8, v7, v3
	v_lshlrev_b32_e32 v7, v7, v8
	v_cmp_ne_u32_e32 vcc, v7, v3
	v_cndmask_b32_e64 v3, 0, 1, vcc
	v_add_u32_e32 v4, 0xfffffc10, v4
	v_or_b32_e32 v3, v8, v3
	v_lshl_or_b32 v7, v4, 12, v2
	v_cmp_gt_i32_e32 vcc, 1, v4
	v_cndmask_b32_e32 v3, v7, v3, vcc
	v_and_b32_e32 v7, 7, v3
	v_cmp_lt_i32_e32 vcc, 5, v7
	v_cndmask_b32_e64 v8, 0, 1, vcc
	v_cmp_eq_u32_e32 vcc, 3, v7
	v_cndmask_b32_e64 v7, 0, 1, vcc
	v_or_b32_e32 v7, v7, v8
	v_lshrrev_b32_e32 v3, 2, v3
	v_add_u32_e32 v3, v3, v7
	v_mov_b32_e32 v7, 0x7c00
	v_cmp_gt_i32_e32 vcc, 31, v4
	v_cndmask_b32_e32 v3, v7, v3, vcc
	v_mov_b32_e32 v8, 0x7e00
	v_cmp_ne_u32_e32 vcc, 0, v2
	s_movk_i32 s8, 0x40f
	v_cndmask_b32_e32 v2, v7, v8, vcc
	v_cmp_eq_u32_e32 vcc, s8, v4
	v_cndmask_b32_e32 v2, v3, v2, vcc
	v_lshrrev_b32_e32 v3, 16, v1
	s_mov_b32 s8, 0x8000
	v_and_or_b32 v2, v3, s8, v2
	v_and_b32_e32 v2, 0xffff, v2
	global_store_dword v[5:6], v2, off
.LBB9_1154:
	s_mov_b64 s[8:9], 0
.LBB9_1155:
	s_andn2_b64 vcc, exec, s[8:9]
	s_cbranch_vccnz .LBB9_1164
; %bb.1156:
	s_sext_i32_i16 s10, s18
	s_cmp_lt_i32 s10, 6
	s_mov_b64 s[8:9], -1
	s_cbranch_scc1 .LBB9_1162
; %bb.1157:
	s_cmp_gt_i32 s10, 6
	s_cbranch_scc0 .LBB9_1159
; %bb.1158:
	s_mov_b64 s[8:9], 0
	global_store_dwordx2 v[5:6], v[0:1], off
.LBB9_1159:
	s_andn2_b64 vcc, exec, s[8:9]
	s_cbranch_vccnz .LBB9_1161
; %bb.1160:
	v_cvt_f32_f64_e32 v2, v[0:1]
	global_store_dword v[5:6], v2, off
.LBB9_1161:
	s_mov_b64 s[8:9], 0
.LBB9_1162:
	s_andn2_b64 vcc, exec, s[8:9]
	s_cbranch_vccnz .LBB9_1164
; %bb.1163:
	s_movk_i32 s8, 0x1ff
	v_and_or_b32 v2, v1, s8, v0
	v_cmp_ne_u32_e32 vcc, 0, v2
	v_cndmask_b32_e64 v2, 0, 1, vcc
	s_waitcnt vmcnt(0)
	v_lshrrev_b32_e32 v3, 8, v1
	s_movk_i32 s8, 0xffe
	v_bfe_u32 v4, v1, 20, 11
	v_and_or_b32 v2, v3, s8, v2
	v_sub_u32_e32 v7, 0x3f1, v4
	v_or_b32_e32 v3, 0x1000, v2
	v_med3_i32 v7, v7, 0, 13
	v_lshrrev_b32_e32 v8, v7, v3
	v_lshlrev_b32_e32 v7, v7, v8
	v_cmp_ne_u32_e32 vcc, v7, v3
	v_cndmask_b32_e64 v3, 0, 1, vcc
	v_add_u32_e32 v4, 0xfffffc10, v4
	v_or_b32_e32 v3, v8, v3
	v_lshl_or_b32 v7, v4, 12, v2
	v_cmp_gt_i32_e32 vcc, 1, v4
	v_cndmask_b32_e32 v3, v7, v3, vcc
	v_and_b32_e32 v7, 7, v3
	v_cmp_lt_i32_e32 vcc, 5, v7
	v_cndmask_b32_e64 v8, 0, 1, vcc
	v_cmp_eq_u32_e32 vcc, 3, v7
	v_cndmask_b32_e64 v7, 0, 1, vcc
	v_or_b32_e32 v7, v7, v8
	v_lshrrev_b32_e32 v3, 2, v3
	v_add_u32_e32 v3, v3, v7
	v_mov_b32_e32 v7, 0x7c00
	v_cmp_gt_i32_e32 vcc, 31, v4
	v_cndmask_b32_e32 v3, v7, v3, vcc
	v_mov_b32_e32 v8, 0x7e00
	v_cmp_ne_u32_e32 vcc, 0, v2
	s_movk_i32 s8, 0x40f
	v_cndmask_b32_e32 v2, v7, v8, vcc
	v_cmp_eq_u32_e32 vcc, s8, v4
	v_cndmask_b32_e32 v2, v3, v2, vcc
	v_lshrrev_b32_e32 v3, 16, v1
	s_mov_b32 s8, 0x8000
	v_and_or_b32 v2, v3, s8, v2
	global_store_short v[5:6], v2, off
.LBB9_1164:
	s_mov_b64 s[8:9], 0
.LBB9_1165:
	s_andn2_b64 vcc, exec, s[8:9]
	s_cbranch_vccnz .LBB9_1181
; %bb.1166:
	s_sext_i32_i16 s10, s18
	s_cmp_lt_i32 s10, 2
	s_mov_b64 s[8:9], -1
	s_cbranch_scc1 .LBB9_1176
; %bb.1167:
	s_cmp_lt_i32 s10, 3
	s_cbranch_scc1 .LBB9_1173
; %bb.1168:
	s_cmp_gt_i32 s10, 3
	s_cbranch_scc0 .LBB9_1170
; %bb.1169:
	s_waitcnt vmcnt(0)
	v_trunc_f64_e32 v[2:3], v[0:1]
	s_movk_i32 s8, 0xffe0
	v_ldexp_f64 v[7:8], v[2:3], s8
	s_mov_b32 s8, 0
	s_mov_b32 s9, 0xc1f00000
	v_floor_f64_e32 v[7:8], v[7:8]
	v_fma_f64 v[2:3], v[7:8], s[8:9], v[2:3]
	v_cvt_i32_f64_e32 v4, v[7:8]
	s_mov_b64 s[8:9], 0
	v_cvt_u32_f64_e32 v3, v[2:3]
	global_store_dwordx2 v[5:6], v[3:4], off
.LBB9_1170:
	s_andn2_b64 vcc, exec, s[8:9]
	s_cbranch_vccnz .LBB9_1172
; %bb.1171:
	v_cvt_i32_f64_e32 v2, v[0:1]
	global_store_dword v[5:6], v2, off
.LBB9_1172:
	s_mov_b64 s[8:9], 0
.LBB9_1173:
	s_andn2_b64 vcc, exec, s[8:9]
	s_cbranch_vccnz .LBB9_1175
; %bb.1174:
	v_cvt_i32_f64_e32 v2, v[0:1]
	global_store_short v[5:6], v2, off
.LBB9_1175:
	s_mov_b64 s[8:9], 0
.LBB9_1176:
	s_andn2_b64 vcc, exec, s[8:9]
	s_cbranch_vccnz .LBB9_1181
; %bb.1177:
	s_sext_i32_i16 s8, s18
	s_cmp_gt_i32 s8, 0
	s_mov_b64 s[8:9], -1
	s_cbranch_scc0 .LBB9_1179
; %bb.1178:
	v_cvt_i32_f64_e32 v2, v[0:1]
	s_mov_b64 s[8:9], 0
	global_store_byte v[5:6], v2, off
.LBB9_1179:
	s_andn2_b64 vcc, exec, s[8:9]
	s_cbranch_vccnz .LBB9_1181
; %bb.1180:
	v_trunc_f64_e32 v[0:1], v[0:1]
	s_movk_i32 s8, 0xffe0
	s_waitcnt vmcnt(0)
	v_ldexp_f64 v[2:3], v[0:1], s8
	s_mov_b32 s8, 0
	s_mov_b32 s9, 0xc1f00000
	v_floor_f64_e32 v[2:3], v[2:3]
	v_fma_f64 v[0:1], v[2:3], s[8:9], v[0:1]
	v_cvt_u32_f64_e32 v0, v[0:1]
	global_store_byte v[5:6], v0, off
.LBB9_1181:
	s_or_b64 exec, exec, s[0:1]
	s_waitcnt lgkmcnt(0)
	s_and_b64 s[28:29], s[2:3], exec
                                        ; implicit-def: $vgpr5
                                        ; implicit-def: $vgpr11
.LBB9_1182:
	s_or_saveexec_b64 s[30:31], s[42:43]
	s_mov_b64 s[0:1], 0
                                        ; implicit-def: $vgpr0_vgpr1
                                        ; implicit-def: $sgpr14
                                        ; implicit-def: $vgpr12_vgpr13
	s_xor_b64 exec, exec, s[30:31]
	s_cbranch_execz .LBB9_1928
; %bb.1183:
	v_cndmask_b32_e64 v0, 0, 1, s[40:41]
	v_cmp_ne_u32_e64 s[0:1], 1, v0
	s_andn2_b64 vcc, exec, s[40:41]
	s_cbranch_vccnz .LBB9_1189
; %bb.1184:
	s_cmp_lg_u32 s33, 0
	s_mov_b32 s36, 0
	s_cbranch_scc0 .LBB9_1190
; %bb.1185:
	s_min_u32 s37, s72, 15
	s_add_i32 s37, s37, 1
	s_cmp_eq_u32 s72, 2
	s_cbranch_scc1 .LBB9_1191
; %bb.1186:
	s_and_b32 s36, s37, 28
	s_add_u32 s2, s34, 0xc4
	s_addc_u32 s3, s35, 0
	v_mov_b32_e32 v0, 0
	s_mov_b32 s38, 0
	s_mov_b64 s[6:7], s[34:35]
	v_mov_b32_e32 v2, 0
	v_mov_b32_e32 v1, v11
.LBB9_1187:                             ; =>This Inner Loop Header: Depth=1
	s_load_dwordx8 s[16:23], s[6:7], 0x4
	s_load_dwordx4 s[24:27], s[6:7], 0x24
	s_load_dwordx8 s[8:15], s[2:3], 0x0
	s_add_u32 s6, s6, 48
	s_addc_u32 s7, s7, 0
	s_waitcnt vmcnt(0) lgkmcnt(0)
	v_mul_hi_u32 v3, s17, v1
	s_add_i32 s38, s38, 4
	s_add_u32 s2, s2, 32
	s_addc_u32 s3, s3, 0
	v_add_u32_e32 v3, v1, v3
	v_lshrrev_b32_e32 v3, s18, v3
	v_mul_lo_u32 v4, v3, s16
	v_mul_hi_u32 v6, s20, v3
	s_cmp_lg_u32 s36, s38
	v_sub_u32_e32 v1, v1, v4
	v_add_u32_e32 v4, v3, v6
	v_mul_lo_u32 v6, v1, s8
	v_mul_lo_u32 v7, v1, s9
	v_lshrrev_b32_e32 v1, s21, v4
	v_mul_lo_u32 v4, v1, s19
	v_mul_hi_u32 v8, s23, v1
	v_sub_u32_e32 v3, v3, v4
	v_add_u32_e32 v4, v1, v8
	v_lshrrev_b32_e32 v4, s24, v4
	v_mul_hi_u32 v9, s26, v4
	v_mul_lo_u32 v10, v4, s22
	v_mul_lo_u32 v8, v3, s10
	;; [unrolled: 1-line block ×3, first 2 shown]
	v_sub_u32_e32 v10, v1, v10
	v_add_u32_e32 v1, v4, v9
	v_lshrrev_b32_e32 v1, s27, v1
	v_mul_lo_u32 v9, v1, s25
	v_mul_lo_u32 v12, v10, s12
	;; [unrolled: 1-line block ×3, first 2 shown]
	v_add3_u32 v2, v6, v2, v8
	v_sub_u32_e32 v4, v4, v9
	v_mul_lo_u32 v9, v4, s14
	v_mul_lo_u32 v4, v4, s15
	v_add3_u32 v0, v7, v0, v3
	v_add3_u32 v2, v12, v2, v9
	;; [unrolled: 1-line block ×3, first 2 shown]
	s_cbranch_scc1 .LBB9_1187
; %bb.1188:
	s_and_b32 s8, s37, 3
	s_cmp_eq_u32 s8, 0
	s_cbranch_scc0 .LBB9_1192
	s_branch .LBB9_1194
.LBB9_1189:
                                        ; implicit-def: $vgpr2
                                        ; implicit-def: $vgpr0
	s_branch .LBB9_1195
.LBB9_1190:
	v_mov_b32_e32 v2, 0
	v_mov_b32_e32 v0, 0
	s_branch .LBB9_1194
.LBB9_1191:
	v_mov_b32_e32 v2, 0
	v_mov_b32_e32 v0, 0
	v_mov_b32_e32 v1, v11
	s_and_b32 s8, s37, 3
	s_cmp_eq_u32 s8, 0
	s_cbranch_scc1 .LBB9_1194
.LBB9_1192:
	s_lshl_b32 s2, s36, 3
	s_add_u32 s2, s34, s2
	s_addc_u32 s3, s35, 0
	s_add_u32 s2, s2, 0xc4
	s_addc_u32 s3, s3, 0
	s_mul_i32 s6, s36, 12
	s_add_u32 s6, s34, s6
	s_addc_u32 s7, s35, 0
.LBB9_1193:                             ; =>This Inner Loop Header: Depth=1
	s_load_dwordx2 s[10:11], s[6:7], 0x4
	s_load_dword s9, s[6:7], 0xc
	s_load_dwordx2 s[12:13], s[2:3], 0x0
	s_add_u32 s6, s6, 12
	s_addc_u32 s7, s7, 0
	s_waitcnt vmcnt(0) lgkmcnt(0)
	v_mul_hi_u32 v3, s11, v1
	s_add_u32 s2, s2, 8
	s_addc_u32 s3, s3, 0
	s_add_i32 s8, s8, -1
	v_add_u32_e32 v3, v1, v3
	v_lshrrev_b32_e32 v4, s9, v3
	v_mul_lo_u32 v3, v4, s10
	s_cmp_lg_u32 s8, 0
	v_sub_u32_e32 v1, v1, v3
	v_mad_u64_u32 v[2:3], s[10:11], v1, s12, v[2:3]
	v_mad_u64_u32 v[0:1], s[10:11], v1, s13, v[0:1]
	v_mov_b32_e32 v1, v4
	s_cbranch_scc1 .LBB9_1193
.LBB9_1194:
	s_cbranch_execnz .LBB9_1197
.LBB9_1195:
	s_load_dwordx4 s[8:11], s[34:35], 0x4
	s_load_dwordx2 s[2:3], s[34:35], 0xc4
	s_cmp_lt_u32 s33, 2
	s_waitcnt lgkmcnt(0)
	v_mul_hi_u32 v0, s9, v11
	v_add_u32_e32 v0, v11, v0
	v_lshrrev_b32_e32 v1, s10, v0
	v_mul_lo_u32 v0, v1, s8
	v_sub_u32_e32 v0, v11, v0
	v_mul_lo_u32 v2, v0, s2
	v_mul_lo_u32 v0, v0, s3
	s_cbranch_scc1 .LBB9_1197
; %bb.1196:
	s_load_dwordx4 s[8:11], s[34:35], 0x10
	s_load_dwordx2 s[2:3], s[34:35], 0xcc
	s_waitcnt vmcnt(0) lgkmcnt(0)
	v_mul_hi_u32 v3, s9, v1
	v_add_u32_e32 v3, v1, v3
	v_lshrrev_b32_e32 v3, s10, v3
	v_mul_lo_u32 v3, v3, s8
	v_sub_u32_e32 v1, v1, v3
	v_mad_u64_u32 v[2:3], s[6:7], v1, s2, v[2:3]
	v_mad_u64_u32 v[0:1], s[2:3], v1, s3, v[0:1]
.LBB9_1197:
	s_and_b64 vcc, exec, s[0:1]
	v_add_u32_e32 v1, 0x80, v11
	s_cbranch_vccnz .LBB9_1203
; %bb.1198:
	s_cmp_lg_u32 s33, 0
	s_mov_b32 s36, 0
	s_cbranch_scc0 .LBB9_1204
; %bb.1199:
	s_min_u32 s37, s72, 15
	s_add_i32 s37, s37, 1
	s_cmp_eq_u32 s72, 2
	s_cbranch_scc1 .LBB9_1205
; %bb.1200:
	s_and_b32 s36, s37, 28
	s_add_u32 s2, s34, 0xc4
	s_addc_u32 s3, s35, 0
	v_mov_b32_e32 v9, 0
	s_mov_b32 s38, 0
	s_mov_b64 s[6:7], s[34:35]
	v_mov_b32_e32 v6, 0
	s_waitcnt vmcnt(0)
	v_mov_b32_e32 v3, v1
.LBB9_1201:                             ; =>This Inner Loop Header: Depth=1
	s_load_dwordx8 s[16:23], s[6:7], 0x4
	s_load_dwordx4 s[24:27], s[6:7], 0x24
	s_load_dwordx8 s[8:15], s[2:3], 0x0
	s_add_u32 s6, s6, 48
	s_addc_u32 s7, s7, 0
	s_waitcnt lgkmcnt(0)
	v_mul_hi_u32 v4, s17, v3
	s_add_i32 s38, s38, 4
	s_add_u32 s2, s2, 32
	s_addc_u32 s3, s3, 0
	v_add_u32_e32 v4, v3, v4
	v_lshrrev_b32_e32 v4, s18, v4
	v_mul_lo_u32 v7, v4, s16
	v_mul_hi_u32 v8, s20, v4
	s_cmp_lg_u32 s36, s38
	v_sub_u32_e32 v3, v3, v7
	v_add_u32_e32 v7, v4, v8
	v_mul_lo_u32 v8, v3, s8
	v_mul_lo_u32 v10, v3, s9
	v_lshrrev_b32_e32 v3, s21, v7
	v_mul_lo_u32 v7, v3, s19
	v_mul_hi_u32 v12, s23, v3
	v_sub_u32_e32 v4, v4, v7
	v_add_u32_e32 v7, v3, v12
	v_lshrrev_b32_e32 v7, s24, v7
	v_mul_hi_u32 v13, s26, v7
	v_mul_lo_u32 v14, v7, s22
	v_mul_lo_u32 v12, v4, s10
	;; [unrolled: 1-line block ×3, first 2 shown]
	v_sub_u32_e32 v14, v3, v14
	v_add_u32_e32 v3, v7, v13
	v_lshrrev_b32_e32 v3, s27, v3
	v_mul_lo_u32 v13, v3, s25
	v_mul_lo_u32 v15, v14, s12
	;; [unrolled: 1-line block ×3, first 2 shown]
	v_add3_u32 v6, v8, v6, v12
	v_sub_u32_e32 v7, v7, v13
	v_mul_lo_u32 v13, v7, s14
	v_mul_lo_u32 v7, v7, s15
	v_add3_u32 v4, v10, v9, v4
	v_add3_u32 v6, v15, v6, v13
	;; [unrolled: 1-line block ×3, first 2 shown]
	s_cbranch_scc1 .LBB9_1201
; %bb.1202:
	s_and_b32 s8, s37, 3
	s_cmp_eq_u32 s8, 0
	s_cbranch_scc0 .LBB9_1206
	s_branch .LBB9_1208
.LBB9_1203:
                                        ; implicit-def: $vgpr6
                                        ; implicit-def: $vgpr9
	s_branch .LBB9_1209
.LBB9_1204:
	v_mov_b32_e32 v6, 0
	v_mov_b32_e32 v9, 0
	s_branch .LBB9_1208
.LBB9_1205:
	v_mov_b32_e32 v6, 0
	v_mov_b32_e32 v9, 0
	s_waitcnt vmcnt(0)
	v_mov_b32_e32 v3, v1
	s_and_b32 s8, s37, 3
	s_cmp_eq_u32 s8, 0
	s_cbranch_scc1 .LBB9_1208
.LBB9_1206:
	s_lshl_b32 s2, s36, 3
	s_add_u32 s2, s34, s2
	s_addc_u32 s3, s35, 0
	s_add_u32 s2, s2, 0xc4
	s_addc_u32 s3, s3, 0
	s_mul_i32 s6, s36, 12
	s_add_u32 s6, s34, s6
	s_addc_u32 s7, s35, 0
.LBB9_1207:                             ; =>This Inner Loop Header: Depth=1
	s_load_dwordx2 s[10:11], s[6:7], 0x4
	s_load_dword s9, s[6:7], 0xc
	s_load_dwordx2 s[12:13], s[2:3], 0x0
	s_add_u32 s6, s6, 12
	s_addc_u32 s7, s7, 0
	s_waitcnt lgkmcnt(0)
	v_mul_hi_u32 v4, s11, v3
	s_add_u32 s2, s2, 8
	s_addc_u32 s3, s3, 0
	s_add_i32 s8, s8, -1
	v_add_u32_e32 v4, v3, v4
	v_lshrrev_b32_e32 v4, s9, v4
	v_mul_lo_u32 v7, v4, s10
	s_cmp_lg_u32 s8, 0
	v_sub_u32_e32 v3, v3, v7
	v_mad_u64_u32 v[6:7], s[10:11], v3, s12, v[6:7]
	v_mad_u64_u32 v[9:10], s[10:11], v3, s13, v[9:10]
	v_mov_b32_e32 v3, v4
	s_cbranch_scc1 .LBB9_1207
.LBB9_1208:
	s_cbranch_execnz .LBB9_1211
.LBB9_1209:
	s_load_dwordx4 s[8:11], s[34:35], 0x4
	s_load_dwordx2 s[2:3], s[34:35], 0xc4
	s_cmp_lt_u32 s33, 2
	s_waitcnt vmcnt(0) lgkmcnt(0)
	v_mul_hi_u32 v3, s9, v1
	v_add_u32_e32 v3, v1, v3
	v_lshrrev_b32_e32 v3, s10, v3
	v_mul_lo_u32 v4, v3, s8
	v_sub_u32_e32 v1, v1, v4
	v_mul_lo_u32 v6, v1, s2
	v_mul_lo_u32 v9, v1, s3
	s_cbranch_scc1 .LBB9_1211
; %bb.1210:
	s_load_dwordx4 s[8:11], s[34:35], 0x10
	s_load_dwordx2 s[2:3], s[34:35], 0xcc
	s_waitcnt lgkmcnt(0)
	v_mul_hi_u32 v1, s9, v3
	v_add_u32_e32 v1, v3, v1
	v_lshrrev_b32_e32 v1, s10, v1
	v_mul_lo_u32 v1, v1, s8
	v_sub_u32_e32 v1, v3, v1
	v_mad_u64_u32 v[6:7], s[6:7], v1, s2, v[6:7]
	v_mad_u64_u32 v[9:10], s[2:3], v1, s3, v[9:10]
.LBB9_1211:
	s_and_b64 vcc, exec, s[0:1]
	v_add_u32_e32 v1, 0x100, v11
	s_cbranch_vccnz .LBB9_1217
; %bb.1212:
	s_cmp_lg_u32 s33, 0
	s_mov_b32 s36, 0
	s_cbranch_scc0 .LBB9_1218
; %bb.1213:
	s_min_u32 s37, s72, 15
	s_add_i32 s37, s37, 1
	s_cmp_eq_u32 s72, 2
	s_cbranch_scc1 .LBB9_1219
; %bb.1214:
	s_and_b32 s36, s37, 28
	s_add_u32 s2, s34, 0xc4
	s_addc_u32 s3, s35, 0
	v_mov_b32_e32 v7, 0
	s_mov_b32 s38, 0
	s_mov_b64 s[6:7], s[34:35]
	v_mov_b32_e32 v10, 0
	s_waitcnt vmcnt(0)
	v_mov_b32_e32 v3, v1
.LBB9_1215:                             ; =>This Inner Loop Header: Depth=1
	s_load_dwordx8 s[16:23], s[6:7], 0x4
	s_load_dwordx4 s[24:27], s[6:7], 0x24
	s_load_dwordx8 s[8:15], s[2:3], 0x0
	s_add_u32 s6, s6, 48
	s_addc_u32 s7, s7, 0
	s_waitcnt lgkmcnt(0)
	v_mul_hi_u32 v4, s17, v3
	s_add_i32 s38, s38, 4
	s_add_u32 s2, s2, 32
	s_addc_u32 s3, s3, 0
	v_add_u32_e32 v4, v3, v4
	v_lshrrev_b32_e32 v4, s18, v4
	v_mul_lo_u32 v8, v4, s16
	v_mul_hi_u32 v11, s20, v4
	s_cmp_lg_u32 s36, s38
	v_sub_u32_e32 v3, v3, v8
	v_add_u32_e32 v8, v4, v11
	v_mul_lo_u32 v11, v3, s8
	v_mul_lo_u32 v12, v3, s9
	v_lshrrev_b32_e32 v3, s21, v8
	v_mul_lo_u32 v8, v3, s19
	v_mul_hi_u32 v13, s23, v3
	v_sub_u32_e32 v4, v4, v8
	v_add_u32_e32 v8, v3, v13
	v_lshrrev_b32_e32 v8, s24, v8
	v_mul_hi_u32 v14, s26, v8
	v_mul_lo_u32 v15, v8, s22
	v_mul_lo_u32 v13, v4, s10
	;; [unrolled: 1-line block ×3, first 2 shown]
	v_sub_u32_e32 v15, v3, v15
	v_add_u32_e32 v3, v8, v14
	v_lshrrev_b32_e32 v3, s27, v3
	v_mul_lo_u32 v14, v3, s25
	v_mul_lo_u32 v16, v15, s12
	;; [unrolled: 1-line block ×3, first 2 shown]
	v_add3_u32 v10, v11, v10, v13
	v_sub_u32_e32 v8, v8, v14
	v_mul_lo_u32 v14, v8, s14
	v_mul_lo_u32 v8, v8, s15
	v_add3_u32 v4, v12, v7, v4
	v_add3_u32 v10, v16, v10, v14
	;; [unrolled: 1-line block ×3, first 2 shown]
	s_cbranch_scc1 .LBB9_1215
; %bb.1216:
	s_and_b32 s8, s37, 3
	s_cmp_eq_u32 s8, 0
	s_cbranch_scc0 .LBB9_1220
	s_branch .LBB9_1222
.LBB9_1217:
                                        ; implicit-def: $vgpr10
                                        ; implicit-def: $vgpr7
	s_branch .LBB9_1223
.LBB9_1218:
	v_mov_b32_e32 v10, 0
	v_mov_b32_e32 v7, 0
	s_branch .LBB9_1222
.LBB9_1219:
	v_mov_b32_e32 v10, 0
	v_mov_b32_e32 v7, 0
	s_waitcnt vmcnt(0)
	v_mov_b32_e32 v3, v1
	s_and_b32 s8, s37, 3
	s_cmp_eq_u32 s8, 0
	s_cbranch_scc1 .LBB9_1222
.LBB9_1220:
	s_lshl_b32 s2, s36, 3
	s_add_u32 s2, s34, s2
	s_addc_u32 s3, s35, 0
	s_add_u32 s2, s2, 0xc4
	s_addc_u32 s3, s3, 0
	s_mul_i32 s6, s36, 12
	s_add_u32 s6, s34, s6
	s_addc_u32 s7, s35, 0
.LBB9_1221:                             ; =>This Inner Loop Header: Depth=1
	s_load_dwordx2 s[10:11], s[6:7], 0x4
	s_load_dword s9, s[6:7], 0xc
	s_load_dwordx2 s[12:13], s[2:3], 0x0
	s_add_u32 s6, s6, 12
	s_addc_u32 s7, s7, 0
	s_waitcnt lgkmcnt(0)
	v_mul_hi_u32 v4, s11, v3
	s_add_u32 s2, s2, 8
	s_addc_u32 s3, s3, 0
	s_add_i32 s8, s8, -1
	v_add_u32_e32 v4, v3, v4
	v_lshrrev_b32_e32 v4, s9, v4
	v_mul_lo_u32 v8, v4, s10
	s_cmp_lg_u32 s8, 0
	v_sub_u32_e32 v3, v3, v8
	v_mad_u64_u32 v[10:11], s[10:11], v3, s12, v[10:11]
	v_mad_u64_u32 v[7:8], s[10:11], v3, s13, v[7:8]
	v_mov_b32_e32 v3, v4
	s_cbranch_scc1 .LBB9_1221
.LBB9_1222:
	s_cbranch_execnz .LBB9_1225
.LBB9_1223:
	s_load_dwordx4 s[8:11], s[34:35], 0x4
	s_load_dwordx2 s[2:3], s[34:35], 0xc4
	s_cmp_lt_u32 s33, 2
	s_waitcnt vmcnt(0) lgkmcnt(0)
	v_mul_hi_u32 v3, s9, v1
	v_add_u32_e32 v3, v1, v3
	v_lshrrev_b32_e32 v3, s10, v3
	v_mul_lo_u32 v4, v3, s8
	v_sub_u32_e32 v1, v1, v4
	v_mul_lo_u32 v10, v1, s2
	v_mul_lo_u32 v7, v1, s3
	s_cbranch_scc1 .LBB9_1225
; %bb.1224:
	s_load_dwordx4 s[8:11], s[34:35], 0x10
	s_load_dwordx2 s[2:3], s[34:35], 0xcc
	s_waitcnt lgkmcnt(0)
	v_mul_hi_u32 v1, s9, v3
	v_add_u32_e32 v1, v3, v1
	v_lshrrev_b32_e32 v1, s10, v1
	v_mul_lo_u32 v1, v1, s8
	v_sub_u32_e32 v1, v3, v1
	v_mad_u64_u32 v[10:11], s[6:7], v1, s2, v[10:11]
	v_mad_u64_u32 v[7:8], s[2:3], v1, s3, v[7:8]
.LBB9_1225:
	s_and_b64 vcc, exec, s[0:1]
	s_cbranch_vccnz .LBB9_1231
; %bb.1226:
	s_cmp_lg_u32 s33, 0
	s_mov_b32 s26, 0
	s_cbranch_scc0 .LBB9_1232
; %bb.1227:
	s_min_u32 s27, s72, 15
	s_add_i32 s27, s27, 1
	s_cmp_eq_u32 s72, 2
	s_cbranch_scc1 .LBB9_1233
; %bb.1228:
	s_and_b32 s26, s27, 28
	s_add_u32 s6, s34, 0xc4
	s_addc_u32 s7, s35, 0
	s_waitcnt vmcnt(0)
	v_mov_b32_e32 v3, 0
	s_mov_b32 s36, 0
	s_mov_b64 s[24:25], s[34:35]
	v_mov_b32_e32 v14, 0
	v_mov_b32_e32 v1, v5
.LBB9_1229:                             ; =>This Inner Loop Header: Depth=1
	s_load_dwordx8 s[16:23], s[24:25], 0x4
	s_load_dwordx4 s[0:3], s[24:25], 0x24
	s_load_dwordx8 s[8:15], s[6:7], 0x0
	s_add_u32 s24, s24, 48
	s_addc_u32 s25, s25, 0
	s_waitcnt lgkmcnt(0)
	v_mul_hi_u32 v4, s17, v1
	s_add_i32 s36, s36, 4
	s_add_u32 s6, s6, 32
	s_addc_u32 s7, s7, 0
	v_add_u32_e32 v4, v1, v4
	v_lshrrev_b32_e32 v4, s18, v4
	v_mul_lo_u32 v8, v4, s16
	v_mul_hi_u32 v11, s20, v4
	s_cmp_lg_u32 s26, s36
	v_sub_u32_e32 v1, v1, v8
	v_add_u32_e32 v8, v4, v11
	v_mul_lo_u32 v11, v1, s8
	v_mul_lo_u32 v12, v1, s9
	v_lshrrev_b32_e32 v1, s21, v8
	v_mul_lo_u32 v8, v1, s19
	v_mul_hi_u32 v13, s23, v1
	v_sub_u32_e32 v4, v4, v8
	v_add_u32_e32 v8, v1, v13
	v_lshrrev_b32_e32 v8, s0, v8
	v_mul_hi_u32 v15, s2, v8
	v_mul_lo_u32 v16, v8, s22
	v_mul_lo_u32 v13, v4, s10
	v_mul_lo_u32 v4, v4, s11
	v_sub_u32_e32 v16, v1, v16
	v_add_u32_e32 v1, v8, v15
	v_lshrrev_b32_e32 v1, s3, v1
	v_mul_lo_u32 v15, v1, s1
	v_mul_lo_u32 v17, v16, s12
	;; [unrolled: 1-line block ×3, first 2 shown]
	v_add3_u32 v11, v11, v14, v13
	v_sub_u32_e32 v8, v8, v15
	v_mul_lo_u32 v15, v8, s14
	v_mul_lo_u32 v8, v8, s15
	v_add3_u32 v3, v12, v3, v4
	v_add3_u32 v14, v17, v11, v15
	;; [unrolled: 1-line block ×3, first 2 shown]
	s_cbranch_scc1 .LBB9_1229
; %bb.1230:
	s_and_b32 s6, s27, 3
	s_cmp_eq_u32 s6, 0
	s_cbranch_scc0 .LBB9_1234
	s_branch .LBB9_1236
.LBB9_1231:
                                        ; implicit-def: $vgpr14
                                        ; implicit-def: $vgpr3
	s_branch .LBB9_1237
.LBB9_1232:
	v_mov_b32_e32 v14, 0
	s_waitcnt vmcnt(0)
	v_mov_b32_e32 v3, 0
	s_branch .LBB9_1236
.LBB9_1233:
	v_mov_b32_e32 v14, 0
	s_waitcnt vmcnt(0)
	v_mov_b32_e32 v3, 0
	v_mov_b32_e32 v1, v5
	s_and_b32 s6, s27, 3
	s_cmp_eq_u32 s6, 0
	s_cbranch_scc1 .LBB9_1236
.LBB9_1234:
	s_lshl_b32 s0, s26, 3
	s_add_u32 s0, s34, s0
	s_addc_u32 s1, s35, 0
	s_add_u32 s0, s0, 0xc4
	s_addc_u32 s1, s1, 0
	s_mul_i32 s2, s26, 12
	s_add_u32 s2, s34, s2
	s_addc_u32 s3, s35, 0
.LBB9_1235:                             ; =>This Inner Loop Header: Depth=1
	s_load_dwordx2 s[8:9], s[2:3], 0x4
	s_load_dword s7, s[2:3], 0xc
	s_load_dwordx2 s[10:11], s[0:1], 0x0
	s_add_u32 s2, s2, 12
	s_addc_u32 s3, s3, 0
	s_waitcnt lgkmcnt(0)
	v_mul_hi_u32 v4, s9, v1
	s_add_u32 s0, s0, 8
	s_addc_u32 s1, s1, 0
	s_add_i32 s6, s6, -1
	v_add_u32_e32 v4, v1, v4
	v_lshrrev_b32_e32 v8, s7, v4
	v_mul_lo_u32 v4, v8, s8
	s_cmp_lg_u32 s6, 0
	v_sub_u32_e32 v1, v1, v4
	v_mad_u64_u32 v[14:15], s[8:9], v1, s10, v[14:15]
	v_mad_u64_u32 v[3:4], s[8:9], v1, s11, v[3:4]
	v_mov_b32_e32 v1, v8
	s_cbranch_scc1 .LBB9_1235
.LBB9_1236:
	s_cbranch_execnz .LBB9_1239
.LBB9_1237:
	s_load_dwordx4 s[0:3], s[34:35], 0x4
	s_load_dwordx2 s[6:7], s[34:35], 0xc4
	s_cmp_lt_u32 s33, 2
	s_waitcnt lgkmcnt(0)
	v_mul_hi_u32 v1, s1, v5
	v_add_u32_e32 v1, v5, v1
	v_lshrrev_b32_e32 v1, s2, v1
	s_waitcnt vmcnt(0)
	v_mul_lo_u32 v3, v1, s0
	v_sub_u32_e32 v3, v5, v3
	v_mul_lo_u32 v14, v3, s6
	v_mul_lo_u32 v3, v3, s7
	s_cbranch_scc1 .LBB9_1239
; %bb.1238:
	s_load_dwordx4 s[0:3], s[34:35], 0x10
	s_load_dwordx2 s[6:7], s[34:35], 0xcc
	s_waitcnt lgkmcnt(0)
	v_mul_hi_u32 v4, s1, v1
	v_add_u32_e32 v4, v1, v4
	v_lshrrev_b32_e32 v4, s2, v4
	v_mul_lo_u32 v4, v4, s0
	v_sub_u32_e32 v1, v1, v4
	v_mad_u64_u32 v[14:15], s[0:1], v1, s6, v[14:15]
	v_mad_u64_u32 v[3:4], s[0:1], v1, s7, v[3:4]
.LBB9_1239:
	s_load_dwordx4 s[8:11], s[34:35], 0x148
	s_load_dword s18, s[4:5], 0x160
	s_waitcnt lgkmcnt(0)
	v_mov_b32_e32 v1, s11
	s_bfe_u32 s14, s18, 0x80010
	v_add_co_u32_e32 v0, vcc, s10, v0
	s_cmp_lt_i32 s14, 11
	v_addc_co_u32_e32 v1, vcc, 0, v1, vcc
	s_cbranch_scc1 .LBB9_1246
; %bb.1240:
	s_and_b32 s15, 0xffff, s14
	s_cmp_gt_i32 s15, 25
	s_mov_b64 s[4:5], 0
	s_cbranch_scc0 .LBB9_1248
; %bb.1241:
	s_cmp_gt_i32 s15, 28
	s_cbranch_scc0 .LBB9_1249
; %bb.1242:
	s_cmp_gt_i32 s15, 43
	s_cbranch_scc0 .LBB9_1250
; %bb.1243:
	s_cmp_gt_i32 s15, 45
	s_cbranch_scc0 .LBB9_1251
; %bb.1244:
	s_cmp_eq_u32 s15, 46
	s_mov_b64 s[2:3], 0
	s_cbranch_scc0 .LBB9_1254
; %bb.1245:
	global_load_dword v4, v[0:1], off
	s_mov_b64 s[0:1], 0
	s_mov_b64 s[6:7], -1
	s_waitcnt vmcnt(0)
	v_lshlrev_b32_e32 v4, 16, v4
	v_cvt_f64_f32_e32 v[4:5], v4
	s_branch .LBB9_1255
.LBB9_1246:
	s_mov_b64 s[6:7], 0
                                        ; implicit-def: $vgpr4_vgpr5
	s_mov_b64 s[2:3], s[28:29]
	s_cbranch_execnz .LBB9_1318
.LBB9_1247:
	s_andn2_b64 vcc, exec, s[6:7]
	s_cbranch_vccz .LBB9_1363
	s_branch .LBB9_1925
.LBB9_1248:
	s_mov_b64 s[6:7], 0
	s_mov_b64 s[0:1], 0
                                        ; implicit-def: $vgpr4_vgpr5
	s_cbranch_execnz .LBB9_1285
	s_branch .LBB9_1314
.LBB9_1249:
	s_mov_b64 s[2:3], -1
	s_mov_b64 s[6:7], 0
	s_mov_b64 s[0:1], 0
                                        ; implicit-def: $vgpr4_vgpr5
	s_branch .LBB9_1264
.LBB9_1250:
	s_mov_b64 s[6:7], 0
	s_mov_b64 s[0:1], 0
                                        ; implicit-def: $vgpr4_vgpr5
	s_cbranch_execnz .LBB9_1260
	s_branch .LBB9_1263
.LBB9_1251:
	s_mov_b64 s[2:3], -1
	s_mov_b64 s[6:7], 0
	s_mov_b64 s[0:1], 0
                                        ; implicit-def: $vgpr4_vgpr5
	s_branch .LBB9_1255
.LBB9_1252:
	s_andn2_saveexec_b64 s[14:15], s[14:15]
	s_cbranch_execz .LBB9_1095
.LBB9_1253:
	s_mov_b32 s16, 0x46000000
	v_add_f32_e64 v3, |v2|, s16
	v_and_b32_e32 v3, 0xff, v3
	v_cmp_ne_u32_e32 vcc, 0, v3
	s_andn2_b64 s[12:13], s[12:13], exec
	s_and_b64 s[16:17], vcc, exec
	s_or_b64 s[12:13], s[12:13], s[16:17]
	s_or_b64 exec, exec, s[14:15]
	v_mov_b32_e32 v4, 0
	s_and_saveexec_b64 s[14:15], s[12:13]
	s_cbranch_execnz .LBB9_1096
	s_branch .LBB9_1097
.LBB9_1254:
	s_mov_b64 s[0:1], -1
                                        ; implicit-def: $vgpr4_vgpr5
	s_mov_b64 s[6:7], 0
.LBB9_1255:
	s_and_b64 vcc, exec, s[2:3]
	s_cbranch_vccz .LBB9_1258
; %bb.1256:
	s_cmp_eq_u32 s15, 44
	s_cbranch_scc0 .LBB9_1259
; %bb.1257:
	global_load_ubyte v8, v[0:1], off
	s_movk_i32 s2, 0xff
	v_bfrev_b32_e32 v11, 4
	v_mov_b32_e32 v12, 0x7ff80000
	v_bfrev_b32_e32 v13, 28
	s_mov_b64 s[0:1], 0
	s_mov_b64 s[6:7], -1
	s_waitcnt vmcnt(0)
	v_lshlrev_b32_e32 v4, 23, v8
	v_cvt_f64_f32_e32 v[4:5], v4
	v_cmp_ne_u32_e32 vcc, s2, v8
	v_cndmask_b32_e32 v4, v11, v4, vcc
	v_cndmask_b32_e32 v5, v12, v5, vcc
	v_cmp_ne_u32_e32 vcc, 0, v8
	v_cndmask_b32_e32 v5, v13, v5, vcc
	v_cndmask_b32_e32 v4, 0, v4, vcc
.LBB9_1258:
	s_branch .LBB9_1263
.LBB9_1259:
	s_mov_b64 s[0:1], -1
                                        ; implicit-def: $vgpr4_vgpr5
	s_branch .LBB9_1263
.LBB9_1260:
	s_cmp_eq_u32 s15, 29
	s_cbranch_scc0 .LBB9_1262
; %bb.1261:
	global_load_dwordx2 v[4:5], v[0:1], off
	s_mov_b64 s[0:1], 0
	s_mov_b64 s[6:7], -1
	s_mov_b64 s[2:3], 0
	s_waitcnt vmcnt(0)
	v_cvt_f64_u32_e32 v[11:12], v5
	v_cvt_f64_u32_e32 v[4:5], v4
	v_ldexp_f64 v[11:12], v[11:12], 32
	v_add_f64 v[4:5], v[11:12], v[4:5]
	s_branch .LBB9_1264
.LBB9_1262:
	s_mov_b64 s[0:1], -1
                                        ; implicit-def: $vgpr4_vgpr5
.LBB9_1263:
	s_mov_b64 s[2:3], 0
.LBB9_1264:
	s_and_b64 vcc, exec, s[2:3]
	s_cbranch_vccz .LBB9_1284
; %bb.1265:
	s_cmp_lt_i32 s15, 27
	s_cbranch_scc1 .LBB9_1268
; %bb.1266:
	s_cmp_gt_i32 s15, 27
	s_cbranch_scc0 .LBB9_1269
; %bb.1267:
	global_load_dword v4, v[0:1], off
	s_mov_b64 s[2:3], 0
	s_waitcnt vmcnt(0)
	v_cvt_f64_u32_e32 v[4:5], v4
	s_branch .LBB9_1270
.LBB9_1268:
	s_mov_b64 s[2:3], -1
                                        ; implicit-def: $vgpr4_vgpr5
	s_branch .LBB9_1273
.LBB9_1269:
	s_mov_b64 s[2:3], -1
                                        ; implicit-def: $vgpr4_vgpr5
.LBB9_1270:
	s_andn2_b64 vcc, exec, s[2:3]
	s_cbranch_vccnz .LBB9_1272
; %bb.1271:
	global_load_ushort v4, v[0:1], off
	s_waitcnt vmcnt(0)
	v_cvt_f64_u32_e32 v[4:5], v4
.LBB9_1272:
	s_mov_b64 s[2:3], 0
.LBB9_1273:
	s_andn2_b64 vcc, exec, s[2:3]
	s_cbranch_vccnz .LBB9_1283
; %bb.1274:
	global_load_ubyte v8, v[0:1], off
	s_movk_i32 s2, 0x7f
	s_waitcnt vmcnt(0)
	v_cmp_lt_i16_e32 vcc, s2, v8
	s_mov_b64 s[2:3], 0
	s_and_saveexec_b64 s[6:7], vcc
	s_xor_b64 s[6:7], exec, s[6:7]
	s_cbranch_execz .LBB9_1278
; %bb.1275:
	s_movk_i32 s2, 0x80
	v_cmp_eq_u16_e32 vcc, s2, v8
	s_mov_b64 s[2:3], -1
	s_and_saveexec_b64 s[12:13], vcc
; %bb.1276:
	s_xor_b64 s[2:3], exec, -1
; %bb.1277:
	s_or_b64 exec, exec, s[12:13]
	s_and_b64 s[2:3], s[2:3], exec
.LBB9_1278:
	s_or_saveexec_b64 s[6:7], s[6:7]
	v_bfrev_b32_e32 v4, 4
	v_mov_b32_e32 v5, 0x7ff80000
	s_xor_b64 exec, exec, s[6:7]
; %bb.1279:
	v_cmp_ne_u16_e32 vcc, 0, v8
	v_mov_b32_e32 v4, 0
	s_andn2_b64 s[2:3], s[2:3], exec
	s_and_b64 s[12:13], vcc, exec
	v_mov_b32_e32 v5, 0
	s_or_b64 s[2:3], s[2:3], s[12:13]
; %bb.1280:
	s_or_b64 exec, exec, s[6:7]
	s_and_saveexec_b64 s[6:7], s[2:3]
	s_cbranch_execz .LBB9_1282
; %bb.1281:
	v_and_b32_e32 v5, 0xffff, v8
	v_lshlrev_b32_e32 v4, 24, v8
	v_and_b32_e32 v8, 7, v5
	v_ffbh_u32_e32 v12, v8
	v_min_u32_e32 v12, 32, v12
	v_subrev_u32_e32 v13, 28, v12
	v_bfe_u32 v11, v5, 3, 4
	v_lshlrev_b32_e32 v5, v13, v5
	v_sub_u32_e32 v12, 29, v12
	v_and_b32_e32 v5, 7, v5
	v_cmp_eq_u32_e32 vcc, 0, v11
	v_cndmask_b32_e32 v11, v11, v12, vcc
	v_cndmask_b32_e32 v5, v8, v5, vcc
	v_mov_b32_e32 v8, 0x3b800000
	v_lshlrev_b32_e32 v5, 20, v5
	v_and_b32_e32 v4, 0x80000000, v4
	v_lshl_add_u32 v8, v11, 23, v8
	v_or3_b32 v4, v4, v8, v5
	v_cvt_f64_f32_e32 v[4:5], v4
.LBB9_1282:
	s_or_b64 exec, exec, s[6:7]
.LBB9_1283:
	s_mov_b64 s[6:7], -1
.LBB9_1284:
	s_branch .LBB9_1314
.LBB9_1285:
	s_cmp_gt_i32 s15, 22
	s_cbranch_scc0 .LBB9_1297
; %bb.1286:
	s_cmp_lt_i32 s15, 24
	s_cbranch_scc1 .LBB9_1298
; %bb.1287:
	s_cmp_gt_i32 s15, 24
	s_cbranch_scc0 .LBB9_1299
; %bb.1288:
	global_load_ubyte v8, v[0:1], off
	s_movk_i32 s2, 0x7f
	s_waitcnt vmcnt(0)
	v_cmp_lt_i16_e32 vcc, s2, v8
	s_mov_b64 s[2:3], 0
	s_and_saveexec_b64 s[4:5], vcc
	s_xor_b64 s[4:5], exec, s[4:5]
	s_cbranch_execz .LBB9_1292
; %bb.1289:
	s_movk_i32 s2, 0x80
	v_cmp_eq_u16_e32 vcc, s2, v8
	s_mov_b64 s[2:3], -1
	s_and_saveexec_b64 s[6:7], vcc
; %bb.1290:
	s_xor_b64 s[2:3], exec, -1
; %bb.1291:
	s_or_b64 exec, exec, s[6:7]
	s_and_b64 s[2:3], s[2:3], exec
.LBB9_1292:
	s_or_saveexec_b64 s[4:5], s[4:5]
	v_bfrev_b32_e32 v4, 4
	v_mov_b32_e32 v5, 0x7ff80000
	s_xor_b64 exec, exec, s[4:5]
; %bb.1293:
	v_cmp_ne_u16_e32 vcc, 0, v8
	v_mov_b32_e32 v4, 0
	s_andn2_b64 s[2:3], s[2:3], exec
	s_and_b64 s[6:7], vcc, exec
	v_mov_b32_e32 v5, 0
	s_or_b64 s[2:3], s[2:3], s[6:7]
; %bb.1294:
	s_or_b64 exec, exec, s[4:5]
	s_and_saveexec_b64 s[4:5], s[2:3]
	s_cbranch_execz .LBB9_1296
; %bb.1295:
	v_and_b32_e32 v5, 0xffff, v8
	v_lshlrev_b32_e32 v4, 24, v8
	v_and_b32_e32 v8, 3, v5
	v_ffbh_u32_e32 v12, v8
	v_min_u32_e32 v12, 32, v12
	v_subrev_u32_e32 v13, 29, v12
	v_bfe_u32 v11, v5, 2, 5
	v_lshlrev_b32_e32 v5, v13, v5
	v_sub_u32_e32 v12, 30, v12
	v_and_b32_e32 v5, 3, v5
	v_cmp_eq_u32_e32 vcc, 0, v11
	v_cndmask_b32_e32 v11, v11, v12, vcc
	v_cndmask_b32_e32 v5, v8, v5, vcc
	v_mov_b32_e32 v8, 0x37800000
	v_lshlrev_b32_e32 v5, 21, v5
	v_and_b32_e32 v4, 0x80000000, v4
	v_lshl_add_u32 v8, v11, 23, v8
	v_or3_b32 v4, v4, v8, v5
	v_cvt_f64_f32_e32 v[4:5], v4
.LBB9_1296:
	s_or_b64 exec, exec, s[4:5]
	s_mov_b64 s[2:3], 0
	s_branch .LBB9_1300
.LBB9_1297:
                                        ; implicit-def: $vgpr4_vgpr5
	s_mov_b64 s[4:5], 0
	s_branch .LBB9_1306
.LBB9_1298:
	s_mov_b64 s[2:3], -1
                                        ; implicit-def: $vgpr4_vgpr5
	s_branch .LBB9_1303
.LBB9_1299:
	s_mov_b64 s[2:3], -1
                                        ; implicit-def: $vgpr4_vgpr5
.LBB9_1300:
	s_and_b64 vcc, exec, s[2:3]
	s_cbranch_vccz .LBB9_1302
; %bb.1301:
	global_load_ubyte v4, v[0:1], off
	s_mov_b32 s2, 0x7f800000
	s_waitcnt vmcnt(0)
	v_lshlrev_b32_e32 v4, 24, v4
	v_and_b32_e32 v5, 0x7f000000, v4
	v_ffbh_u32_e32 v8, v5
	v_min_u32_e32 v8, 32, v8
	v_sub_u32_e64 v8, v8, 4 clamp
	v_lshlrev_b32_e32 v12, v8, v5
	v_lshlrev_b32_e32 v8, 23, v8
	v_lshrrev_b32_e32 v12, 4, v12
	v_add_u32_e32 v11, 0x1000000, v5
	v_sub_u32_e32 v8, v12, v8
	v_ashrrev_i32_e32 v11, 8, v11
	v_add_u32_e32 v8, 0x3c000000, v8
	v_and_or_b32 v8, v11, s2, v8
	v_cmp_ne_u32_e32 vcc, 0, v5
	v_cndmask_b32_e32 v5, 0, v8, vcc
	s_brev_b32 s2, 1
	v_and_or_b32 v4, v4, s2, v5
	v_cvt_f64_f32_e32 v[4:5], v4
.LBB9_1302:
	s_mov_b64 s[2:3], 0
.LBB9_1303:
	s_andn2_b64 vcc, exec, s[2:3]
	s_cbranch_vccnz .LBB9_1305
; %bb.1304:
	global_load_ubyte v4, v[0:1], off
	s_movk_i32 s2, 0x7f00
	s_brev_b32 s3, 16
	s_waitcnt vmcnt(0)
	v_lshlrev_b16_e32 v5, 8, v4
	v_lshlrev_b32_e32 v4, 25, v4
	v_lshrrev_b32_e32 v8, 4, v4
	v_and_or_b32 v11, v5, s2, 0.5
	v_or_b32_e32 v8, 0x70000000, v8
	v_add_f32_e32 v11, -0.5, v11
	v_mul_f32_e32 v8, 0x7800000, v8
	v_cmp_gt_u32_e32 vcc, s3, v4
	v_bfe_i32 v5, v5, 0, 16
	v_cndmask_b32_e32 v4, v8, v11, vcc
	s_brev_b32 s2, 1
	v_and_or_b32 v4, v5, s2, v4
	v_cvt_f64_f32_e32 v[4:5], v4
.LBB9_1305:
	s_mov_b64 s[6:7], -1
	s_mov_b64 s[4:5], 0
	s_cbranch_execnz .LBB9_1314
.LBB9_1306:
	s_cmp_gt_i32 s15, 14
	s_cbranch_scc0 .LBB9_1309
; %bb.1307:
	s_cmp_eq_u32 s15, 15
	s_cbranch_scc0 .LBB9_1310
; %bb.1308:
	global_load_ushort v4, v[0:1], off
	s_mov_b64 s[0:1], 0
	s_mov_b64 s[6:7], -1
	s_waitcnt vmcnt(0)
	v_lshlrev_b32_e32 v4, 16, v4
	v_cvt_f64_f32_e32 v[4:5], v4
	s_branch .LBB9_1311
.LBB9_1309:
	s_mov_b64 s[2:3], -1
                                        ; implicit-def: $vgpr4_vgpr5
	s_branch .LBB9_1312
.LBB9_1310:
	s_mov_b64 s[0:1], -1
                                        ; implicit-def: $vgpr4_vgpr5
.LBB9_1311:
	s_mov_b64 s[2:3], 0
.LBB9_1312:
	s_and_b64 vcc, exec, s[2:3]
	s_cbranch_vccz .LBB9_1314
; %bb.1313:
	s_cmp_lg_u32 s15, 11
	s_mov_b64 s[4:5], -1
	s_cselect_b64 s[0:1], -1, 0
.LBB9_1314:
	s_and_b64 vcc, exec, s[0:1]
	s_mov_b64 s[2:3], s[28:29]
	s_cbranch_vccnz .LBB9_1399
; %bb.1315:
	s_andn2_b64 vcc, exec, s[4:5]
	s_cbranch_vccnz .LBB9_1317
.LBB9_1316:
	global_load_ubyte v5, v[0:1], off
	v_mov_b32_e32 v8, 0x3ff00000
	s_waitcnt vmcnt(1)
	v_mov_b32_e32 v4, 0
	s_mov_b64 s[6:7], -1
	s_waitcnt vmcnt(0)
	v_cmp_ne_u16_e32 vcc, 0, v5
	v_cndmask_b32_e32 v5, 0, v8, vcc
.LBB9_1317:
	s_branch .LBB9_1247
.LBB9_1318:
	s_and_b32 s4, 0xffff, s14
	s_cmp_lt_i32 s4, 5
	s_cbranch_scc1 .LBB9_1323
; %bb.1319:
	s_cmp_lt_i32 s4, 8
	s_cbranch_scc1 .LBB9_1324
; %bb.1320:
	;; [unrolled: 3-line block ×3, first 2 shown]
	s_cmp_gt_i32 s4, 9
	s_cbranch_scc0 .LBB9_1326
; %bb.1322:
	global_load_dwordx2 v[4:5], v[0:1], off
	s_mov_b64 s[0:1], 0
	s_branch .LBB9_1327
.LBB9_1323:
                                        ; implicit-def: $vgpr4_vgpr5
	s_branch .LBB9_1344
.LBB9_1324:
                                        ; implicit-def: $vgpr4_vgpr5
	s_branch .LBB9_1333
.LBB9_1325:
	s_mov_b64 s[0:1], -1
                                        ; implicit-def: $vgpr4_vgpr5
	s_branch .LBB9_1330
.LBB9_1326:
	s_mov_b64 s[0:1], -1
                                        ; implicit-def: $vgpr4_vgpr5
.LBB9_1327:
	s_andn2_b64 vcc, exec, s[0:1]
	s_cbranch_vccnz .LBB9_1329
; %bb.1328:
	global_load_dword v4, v[0:1], off
	s_waitcnt vmcnt(0)
	v_cvt_f64_f32_e32 v[4:5], v4
.LBB9_1329:
	s_mov_b64 s[0:1], 0
.LBB9_1330:
	s_andn2_b64 vcc, exec, s[0:1]
	s_cbranch_vccnz .LBB9_1332
; %bb.1331:
	global_load_dword v4, v[0:1], off
	s_waitcnt vmcnt(0)
	v_cvt_f32_f16_e32 v4, v4
	v_cvt_f64_f32_e32 v[4:5], v4
.LBB9_1332:
	s_cbranch_execnz .LBB9_1343
.LBB9_1333:
	s_cmp_lt_i32 s4, 6
	s_cbranch_scc1 .LBB9_1336
; %bb.1334:
	s_cmp_gt_i32 s4, 6
	s_cbranch_scc0 .LBB9_1337
; %bb.1335:
	global_load_dwordx2 v[4:5], v[0:1], off
	s_mov_b64 s[0:1], 0
	s_branch .LBB9_1338
.LBB9_1336:
	s_mov_b64 s[0:1], -1
                                        ; implicit-def: $vgpr4_vgpr5
	s_branch .LBB9_1341
.LBB9_1337:
	s_mov_b64 s[0:1], -1
                                        ; implicit-def: $vgpr4_vgpr5
.LBB9_1338:
	s_andn2_b64 vcc, exec, s[0:1]
	s_cbranch_vccnz .LBB9_1340
; %bb.1339:
	global_load_dword v4, v[0:1], off
	s_waitcnt vmcnt(0)
	v_cvt_f64_f32_e32 v[4:5], v4
.LBB9_1340:
	s_mov_b64 s[0:1], 0
.LBB9_1341:
	s_andn2_b64 vcc, exec, s[0:1]
	s_cbranch_vccnz .LBB9_1343
; %bb.1342:
	global_load_ushort v4, v[0:1], off
	s_waitcnt vmcnt(0)
	v_cvt_f32_f16_e32 v4, v4
	v_cvt_f64_f32_e32 v[4:5], v4
.LBB9_1343:
	s_cbranch_execnz .LBB9_1362
.LBB9_1344:
	s_cmp_lt_i32 s4, 2
	s_cbranch_scc1 .LBB9_1348
; %bb.1345:
	s_cmp_lt_i32 s4, 3
	s_cbranch_scc1 .LBB9_1349
; %bb.1346:
	s_cmp_gt_i32 s4, 3
	s_cbranch_scc0 .LBB9_1350
; %bb.1347:
	global_load_dwordx2 v[4:5], v[0:1], off
	s_mov_b64 s[0:1], 0
	s_waitcnt vmcnt(0)
	v_cvt_f64_i32_e32 v[11:12], v5
	v_cvt_f64_u32_e32 v[4:5], v4
	v_ldexp_f64 v[11:12], v[11:12], 32
	v_add_f64 v[4:5], v[11:12], v[4:5]
	s_branch .LBB9_1351
.LBB9_1348:
                                        ; implicit-def: $vgpr4_vgpr5
	s_branch .LBB9_1357
.LBB9_1349:
	s_mov_b64 s[0:1], -1
                                        ; implicit-def: $vgpr4_vgpr5
	s_branch .LBB9_1354
.LBB9_1350:
	s_mov_b64 s[0:1], -1
                                        ; implicit-def: $vgpr4_vgpr5
.LBB9_1351:
	s_andn2_b64 vcc, exec, s[0:1]
	s_cbranch_vccnz .LBB9_1353
; %bb.1352:
	global_load_dword v4, v[0:1], off
	s_waitcnt vmcnt(0)
	v_cvt_f64_i32_e32 v[4:5], v4
.LBB9_1353:
	s_mov_b64 s[0:1], 0
.LBB9_1354:
	s_andn2_b64 vcc, exec, s[0:1]
	s_cbranch_vccnz .LBB9_1356
; %bb.1355:
	global_load_sshort v4, v[0:1], off
	s_waitcnt vmcnt(0)
	v_cvt_f64_i32_e32 v[4:5], v4
.LBB9_1356:
	s_cbranch_execnz .LBB9_1362
.LBB9_1357:
	s_cmp_gt_i32 s4, 0
	s_cbranch_scc0 .LBB9_1359
; %bb.1358:
	global_load_sbyte v4, v[0:1], off
	s_mov_b64 s[0:1], 0
	s_waitcnt vmcnt(0)
	v_cvt_f64_i32_e32 v[4:5], v4
	s_branch .LBB9_1360
.LBB9_1359:
	s_mov_b64 s[0:1], -1
                                        ; implicit-def: $vgpr4_vgpr5
.LBB9_1360:
	s_andn2_b64 vcc, exec, s[0:1]
	s_cbranch_vccnz .LBB9_1362
; %bb.1361:
	global_load_ubyte v0, v[0:1], off
	s_waitcnt vmcnt(0)
	v_cvt_f64_u32_e32 v[4:5], v0
.LBB9_1362:
.LBB9_1363:
	s_waitcnt vmcnt(0)
	v_cmp_neq_f64_e32 vcc, 0, v[4:5]
                                        ; implicit-def: $vgpr0_vgpr1
	s_and_saveexec_b64 s[0:1], vcc
	s_xor_b64 s[4:5], exec, s[0:1]
	s_cbranch_execz .LBB9_1385
; %bb.1364:
	v_cmp_gt_f64_e32 vcc, 0, v[4:5]
	v_mov_b32_e32 v11, 0
	v_mov_b32_e32 v12, 0
	s_mov_b64 s[12:13], -1
	s_and_saveexec_b64 s[6:7], vcc
	s_cbranch_execz .LBB9_1372
; %bb.1365:
	v_trunc_f64_e32 v[0:1], v[4:5]
	v_mov_b32_e32 v11, 0
	v_mov_b32_e32 v12, 0
	s_mov_b64 s[14:15], 0
	v_cmp_neq_f64_e32 vcc, v[4:5], v[0:1]
	s_and_saveexec_b64 s[12:13], vcc
	s_cbranch_execz .LBB9_1371
; %bb.1366:
	v_add_f64 v[0:1], v[4:5], -v[0:1]
	s_mov_b32 s0, 0
	s_mov_b32 s15, 0xc00921fb
	s_mov_b32 s14, 0x54442d18
	s_mov_b32 s1, 0x7ff00000
	v_cmp_neq_f64_e64 vcc, |v[4:5]|, s[0:1]
	v_bfrev_b32_e32 v8, 1
	s_mov_b32 s16, 0
	v_mul_f64 v[0:1], |v[0:1]|, s[14:15]
	s_mov_b32 s17, 0x41d00000
                                        ; implicit-def: $vgpr11_vgpr12
                                        ; implicit-def: $vgpr15_vgpr16
	v_cndmask_b32_e32 v1, v8, v1, vcc
	v_cndmask_b32_e32 v0, 0, v0, vcc
	v_cmp_nlt_f64_e64 s[16:17], |v[0:1]|, s[16:17]
                                        ; implicit-def: $vgpr8
	s_and_saveexec_b64 s[20:21], s[16:17]
	s_xor_b64 s[16:17], exec, s[20:21]
	s_cbranch_execz .LBB9_1368
; %bb.1367:
	v_trig_preop_f64 v[11:12], |v[0:1]|, 0
	s_mov_b32 s20, 0
	s_mov_b32 s21, 0x7b000000
	s_movk_i32 s15, 0xff80
	v_ldexp_f64 v[17:18], |v[0:1]|, s15
	v_cmp_ge_f64_e64 vcc, |v[0:1]|, s[20:21]
	v_trig_preop_f64 v[15:16], |v[0:1]|, 1
	v_and_b32_e32 v8, 0x7fffffff, v1
	v_trig_preop_f64 v[25:26], |v[0:1]|, 2
	v_mov_b32_e32 v35, 0
	v_mov_b32_e32 v13, 0x3ff00000
	s_mov_b32 s15, 0x3ff921fb
	v_cndmask_b32_e32 v18, v8, v18, vcc
	v_cndmask_b32_e32 v17, v0, v17, vcc
	v_mov_b32_e32 v8, 0x40100000
	v_mul_f64 v[19:20], v[11:12], v[17:18]
	v_mul_f64 v[21:22], v[15:16], v[17:18]
	;; [unrolled: 1-line block ×3, first 2 shown]
	v_fma_f64 v[11:12], v[11:12], v[17:18], -v[19:20]
	v_fma_f64 v[15:16], v[15:16], v[17:18], -v[21:22]
	;; [unrolled: 1-line block ×3, first 2 shown]
	v_add_f64 v[23:24], v[21:22], v[11:12]
	v_add_f64 v[27:28], v[23:24], -v[21:22]
	v_add_f64 v[33:34], v[19:20], v[23:24]
	v_add_f64 v[29:30], v[23:24], -v[27:28]
	v_add_f64 v[11:12], v[11:12], -v[27:28]
	v_add_f64 v[27:28], v[31:32], v[15:16]
	v_add_f64 v[19:20], v[33:34], -v[19:20]
	v_add_f64 v[21:22], v[21:22], -v[29:30]
	v_ldexp_f64 v[29:30], v[33:34], -2
	v_add_f64 v[37:38], v[27:28], -v[31:32]
	v_add_f64 v[19:20], v[23:24], -v[19:20]
	v_add_f64 v[11:12], v[11:12], v[21:22]
	v_fract_f64_e32 v[21:22], v[29:30]
	v_cmp_neq_f64_e64 vcc, |v[29:30]|, s[0:1]
	v_add_f64 v[15:16], v[15:16], -v[37:38]
	v_add_f64 v[23:24], v[27:28], v[11:12]
	v_ldexp_f64 v[21:22], v[21:22], 2
	v_add_f64 v[29:30], v[19:20], v[23:24]
	v_cndmask_b32_e32 v22, 0, v22, vcc
	v_cndmask_b32_e32 v21, 0, v21, vcc
	v_add_f64 v[39:40], v[23:24], -v[27:28]
	v_add_f64 v[33:34], v[29:30], v[21:22]
	v_add_f64 v[19:20], v[29:30], -v[19:20]
	v_add_f64 v[41:42], v[23:24], -v[39:40]
	;; [unrolled: 1-line block ×3, first 2 shown]
	v_cmp_gt_f64_e32 vcc, 0, v[33:34]
	v_add_f64 v[33:34], v[27:28], -v[37:38]
	v_add_f64 v[19:20], v[23:24], -v[19:20]
	;; [unrolled: 1-line block ×3, first 2 shown]
	v_cndmask_b32_e32 v36, 0, v8, vcc
	v_add_f64 v[21:22], v[21:22], v[35:36]
	v_add_f64 v[33:34], v[31:32], -v[33:34]
	v_add_f64 v[11:12], v[11:12], v[27:28]
	v_add_f64 v[43:44], v[29:30], v[21:22]
	;; [unrolled: 1-line block ×3, first 2 shown]
	v_cvt_i32_f64_e32 v8, v[43:44]
	v_add_f64 v[11:12], v[15:16], v[11:12]
	v_cvt_f64_i32_e32 v[36:37], v8
	v_add_f64 v[21:22], v[21:22], -v[36:37]
	v_add_f64 v[11:12], v[17:18], v[11:12]
	v_add_f64 v[15:16], v[29:30], v[21:22]
	;; [unrolled: 1-line block ×3, first 2 shown]
	v_add_f64 v[17:18], v[15:16], -v[21:22]
	v_cmp_le_f64_e32 vcc, 0.5, v[15:16]
	v_add_f64 v[17:18], v[29:30], -v[17:18]
	v_cndmask_b32_e32 v36, 0, v13, vcc
	v_add_f64 v[15:16], v[15:16], -v[35:36]
	v_addc_co_u32_e64 v8, s[0:1], 0, v8, vcc
	s_mov_b32 s0, 0x33145c07
	s_mov_b32 s1, 0x3c91a626
	v_add_f64 v[11:12], v[11:12], v[17:18]
	v_add_f64 v[17:18], v[15:16], v[11:12]
	v_mul_f64 v[19:20], v[17:18], s[14:15]
	v_add_f64 v[15:16], v[17:18], -v[15:16]
	v_fma_f64 v[21:22], v[17:18], s[14:15], -v[19:20]
	v_add_f64 v[11:12], v[11:12], -v[15:16]
	v_fma_f64 v[15:16], v[17:18], s[0:1], v[21:22]
	v_fma_f64 v[15:16], v[11:12], s[14:15], v[15:16]
	v_add_f64 v[11:12], v[19:20], v[15:16]
	v_add_f64 v[17:18], v[11:12], -v[19:20]
	v_add_f64 v[15:16], v[15:16], -v[17:18]
.LBB9_1368:
	s_andn2_saveexec_b64 s[0:1], s[16:17]
	s_cbranch_execz .LBB9_1370
; %bb.1369:
	s_mov_b32 s14, 0x6dc9c883
	s_mov_b32 s15, 0x3fe45f30
	v_mul_f64 v[11:12], |v[0:1]|, s[14:15]
	s_mov_b32 s14, 0x54442d18
	s_mov_b32 s15, 0xbff921fb
	;; [unrolled: 1-line block ×4, first 2 shown]
	v_rndne_f64_e32 v[17:18], v[11:12]
	v_fma_f64 v[11:12], v[17:18], s[14:15], |v[0:1]|
	v_mul_f64 v[15:16], v[17:18], s[16:17]
	s_mov_b32 s14, 0x252049c0
	s_mov_b32 s15, 0xb97b839a
	v_cvt_i32_f64_e32 v8, v[17:18]
	v_fma_f64 v[23:24], v[17:18], s[16:17], v[11:12]
	v_add_f64 v[19:20], v[11:12], v[15:16]
	s_mov_b32 s17, 0x3c91a626
	v_add_f64 v[21:22], v[11:12], -v[19:20]
	v_add_f64 v[19:20], v[19:20], -v[23:24]
	v_add_f64 v[11:12], v[21:22], v[15:16]
	v_fma_f64 v[15:16], v[17:18], s[16:17], v[15:16]
	v_add_f64 v[11:12], v[19:20], v[11:12]
	v_add_f64 v[11:12], v[11:12], -v[15:16]
	v_fma_f64 v[15:16], v[17:18], s[14:15], v[11:12]
	v_add_f64 v[11:12], v[23:24], v[15:16]
	v_add_f64 v[19:20], v[11:12], -v[23:24]
	v_add_f64 v[15:16], v[15:16], -v[19:20]
.LBB9_1370:
	s_or_b64 exec, exec, s[0:1]
	v_mul_f64 v[17:18], v[11:12], v[11:12]
	v_add_f64 v[19:20], v[15:16], v[15:16]
	s_mov_b32 s0, 0xc751c08c
	s_mov_b32 s1, 0x3ef5e089
	v_and_b32_e32 v8, 1, v8
	v_cmp_eq_u32_e32 vcc, 0, v8
	v_and_b32_e32 v13, 0x80000000, v1
	s_mov_b32 s16, 0x54442d18
	v_fma_f64 v[21:22], v[11:12], v[11:12], -v[17:18]
	s_mov_b32 s17, 0xc00921fb
	v_add_f64 v[4:5], -v[4:5], 1.0
	s_mov_b64 s[14:15], exec
	v_fma_f64 v[19:20], v[11:12], v[19:20], v[21:22]
	v_add_f64 v[17:18], v[17:18], v[19:20]
	v_mov_b32_e32 v19, 0xa9a29f71
	v_mov_b32_e32 v20, 0xbf078809
	v_fma_f64 v[19:20], v[17:18], s[0:1], v[19:20]
	s_mov_b32 s0, 0x90a8aae0
	s_mov_b32 s1, 0x3f17746f
	v_fma_f64 v[19:20], v[17:18], v[19:20], s[0:1]
	s_mov_b32 s0, 0xa6fbf144
	s_mov_b32 s1, 0xbefbb44d
	;; [unrolled: 3-line block ×12, first 2 shown]
	v_fma_f64 v[19:20], v[17:18], v[19:20], s[0:1]
	s_movk_i32 s0, 0x1f8
	v_cmp_class_f64_e64 s[0:1], v[0:1], s0
	v_mov_b32_e32 v1, 0x7ff80000
	v_mul_f64 v[17:18], v[17:18], v[19:20]
	v_mul_f64 v[19:20], v[11:12], v[17:18]
	v_add_f64 v[21:22], v[11:12], v[19:20]
	v_fma_f64 v[17:18], v[11:12], v[17:18], -v[19:20]
	v_add_f64 v[11:12], v[21:22], -v[11:12]
	v_add_f64 v[15:16], v[15:16], v[17:18]
	v_add_f64 v[11:12], v[19:20], -v[11:12]
	v_add_f64 v[11:12], v[15:16], v[11:12]
	v_add_f64 v[15:16], v[21:22], v[11:12]
	v_rcp_f64_e32 v[17:18], v[15:16]
	v_fma_f64 v[19:20], -v[15:16], v[17:18], 1.0
	v_fma_f64 v[17:18], v[19:20], v[17:18], v[17:18]
	v_fma_f64 v[19:20], -v[15:16], v[17:18], 1.0
	v_fma_f64 v[17:18], v[19:20], v[17:18], v[17:18]
	v_add_f64 v[19:20], v[15:16], -v[21:22]
	v_mul_f64 v[21:22], v[15:16], v[17:18]
	v_add_f64 v[11:12], v[11:12], -v[19:20]
	v_fma_f64 v[19:20], v[17:18], v[15:16], -v[21:22]
	v_fma_f64 v[11:12], v[17:18], v[11:12], v[19:20]
	v_add_f64 v[19:20], v[21:22], v[11:12]
	v_add_f64 v[23:24], -v[19:20], 1.0
	v_add_f64 v[21:22], v[19:20], -v[21:22]
	v_add_f64 v[25:26], -v[23:24], 1.0
	v_add_f64 v[11:12], v[21:22], -v[11:12]
	v_add_f64 v[19:20], v[25:26], -v[19:20]
	v_add_f64 v[11:12], v[11:12], v[19:20]
	v_add_f64 v[11:12], v[23:24], v[11:12]
	v_mul_f64 v[11:12], v[17:18], v[11:12]
	v_add_f64 v[11:12], v[17:18], v[11:12]
	v_xor_b32_e32 v0, 0x80000000, v12
	v_cndmask_b32_e32 v8, v11, v15, vcc
	v_cndmask_b32_e32 v11, v0, v16, vcc
	v_cndmask_b32_e64 v0, 0, v8, s[0:1]
	v_xor_b32_e32 v8, v11, v13
	v_cndmask_b32_e64 v1, v1, v8, s[0:1]
	v_div_scale_f64 v[11:12], s[0:1], v[0:1], v[0:1], s[16:17]
	v_rcp_f64_e32 v[15:16], v[11:12]
	v_fma_f64 v[17:18], -v[11:12], v[15:16], 1.0
	v_fma_f64 v[15:16], v[15:16], v[17:18], v[15:16]
	v_div_scale_f64 v[17:18], vcc, s[16:17], v[0:1], s[16:17]
	v_fma_f64 v[19:20], -v[11:12], v[15:16], 1.0
	v_fma_f64 v[15:16], v[15:16], v[19:20], v[15:16]
	v_mul_f64 v[19:20], v[17:18], v[15:16]
	v_fma_f64 v[11:12], -v[11:12], v[19:20], v[17:18]
	v_div_fmas_f64 v[11:12], v[11:12], v[15:16], v[19:20]
	v_div_fixup_f64 v[11:12], v[11:12], v[0:1], s[16:17]
.LBB9_1371:
	s_or_b64 exec, exec, s[12:13]
	s_orn2_b64 s[12:13], s[14:15], exec
.LBB9_1372:
	s_or_b64 exec, exec, s[6:7]
	v_mov_b32_e32 v0, 0
	v_mov_b32_e32 v1, 0x7ff80000
	s_and_saveexec_b64 s[0:1], s[12:13]
	s_cbranch_execz .LBB9_1384
; %bb.1373:
	s_mov_b32 s12, 0
	s_mov_b32 s13, 0x40240000
	v_cmp_gt_f64_e32 vcc, s[12:13], v[4:5]
	s_and_saveexec_b64 s[6:7], vcc
	s_cbranch_execz .LBB9_1377
; %bb.1374:
	s_mov_b64 s[14:15], 0
.LBB9_1375:                             ; =>This Inner Loop Header: Depth=1
	v_div_scale_f64 v[0:1], s[16:17], v[4:5], v[4:5], 1.0
	v_rcp_f64_e32 v[15:16], v[0:1]
	v_fma_f64 v[17:18], -v[0:1], v[15:16], 1.0
	v_fma_f64 v[15:16], v[15:16], v[17:18], v[15:16]
	v_div_scale_f64 v[17:18], vcc, 1.0, v[4:5], 1.0
	v_fma_f64 v[19:20], -v[0:1], v[15:16], 1.0
	v_fma_f64 v[15:16], v[15:16], v[19:20], v[15:16]
	v_mul_f64 v[19:20], v[17:18], v[15:16]
	v_fma_f64 v[0:1], -v[0:1], v[19:20], v[17:18]
	v_div_fmas_f64 v[0:1], v[0:1], v[15:16], v[19:20]
	v_div_fixup_f64 v[0:1], v[0:1], v[4:5], 1.0
	v_add_f64 v[4:5], v[4:5], 1.0
	v_add_f64 v[11:12], v[11:12], -v[0:1]
	v_cmp_ngt_f64_e32 vcc, s[12:13], v[4:5]
	s_or_b64 s[14:15], vcc, s[14:15]
	s_andn2_b64 exec, exec, s[14:15]
	s_cbranch_execnz .LBB9_1375
; %bb.1376:
	s_or_b64 exec, exec, s[14:15]
.LBB9_1377:
	s_or_b64 exec, exec, s[6:7]
	s_mov_b32 s6, 0
	s_mov_b32 s7, 0x40240000
	v_cmp_neq_f64_e32 vcc, s[6:7], v[4:5]
                                        ; implicit-def: $vgpr0_vgpr1
	s_and_saveexec_b64 s[6:7], vcc
	s_xor_b64 s[6:7], exec, s[6:7]
	s_cbranch_execz .LBB9_1381
; %bb.1378:
	s_mov_b32 s12, 0x85d8a000
	s_mov_b32 s13, 0x43763457
	v_cmp_gt_f64_e32 vcc, s[12:13], v[4:5]
	v_mov_b32_e32 v0, 0
	v_mov_b32_e32 v1, 0
	s_and_saveexec_b64 s[12:13], vcc
	s_cbranch_execz .LBB9_1380
; %bb.1379:
	v_mul_f64 v[0:1], v[4:5], v[4:5]
	s_mov_b32 s16, 0x95995996
	s_mov_b32 s17, 0xbf959959
	;; [unrolled: 1-line block ×4, first 2 shown]
	v_div_scale_f64 v[15:16], s[14:15], v[0:1], v[0:1], 1.0
	v_div_scale_f64 v[21:22], vcc, 1.0, v[0:1], 1.0
	s_mov_b32 s14, 0x55555555
	s_mov_b32 s15, 0x3fb55555
	v_rcp_f64_e32 v[17:18], v[15:16]
	v_fma_f64 v[19:20], -v[15:16], v[17:18], 1.0
	v_fma_f64 v[17:18], v[17:18], v[19:20], v[17:18]
	v_fma_f64 v[19:20], -v[15:16], v[17:18], 1.0
	v_fma_f64 v[17:18], v[17:18], v[19:20], v[17:18]
	v_mul_f64 v[19:20], v[21:22], v[17:18]
	v_fma_f64 v[15:16], -v[15:16], v[19:20], v[21:22]
	v_div_fmas_f64 v[15:16], v[15:16], v[17:18], v[19:20]
	v_div_fixup_f64 v[0:1], v[15:16], v[0:1], 1.0
	v_fma_f64 v[15:16], v[0:1], 0, s[14:15]
	v_fma_f64 v[15:16], v[0:1], v[15:16], s[16:17]
	s_mov_b32 s16, 0xf07c1f08
	s_mov_b32 s17, 0x3f7f07c1
	v_fma_f64 v[15:16], v[0:1], v[15:16], s[16:17]
	s_mov_b32 s17, 0xbf711111
	s_mov_b32 s16, 0x11111111
	v_fma_f64 v[15:16], v[0:1], v[15:16], s[16:17]
	s_mov_b32 s17, 0xbf811111
	v_fma_f64 v[15:16], v[0:1], v[15:16], s[20:21]
	v_fma_f64 v[15:16], v[0:1], v[15:16], s[16:17]
	;; [unrolled: 1-line block ×3, first 2 shown]
	v_mul_f64 v[0:1], v[0:1], v[15:16]
.LBB9_1380:
	s_or_b64 exec, exec, s[12:13]
	v_frexp_mant_f64_e32 v[15:16], v[4:5]
	s_mov_b32 s13, 0x3fe55555
	s_mov_b32 s12, 0x55555555
	;; [unrolled: 1-line block ×4, first 2 shown]
	v_cmp_gt_f64_e32 vcc, s[12:13], v[15:16]
	s_mov_b32 s12, 0x55555780
	v_cndmask_b32_e64 v8, 0, 1, vcc
	v_ldexp_f64 v[15:16], v[15:16], v8
	v_frexp_exp_i32_f64_e32 v8, v[4:5]
	v_add_f64 v[17:18], v[15:16], 1.0
	v_add_f64 v[23:24], v[15:16], -1.0
	v_subbrev_co_u32_e32 v8, vcc, 0, v8, vcc
	v_rcp_f64_e32 v[19:20], v[17:18]
	v_add_f64 v[25:26], v[17:18], -1.0
	v_add_f64 v[15:16], v[15:16], -v[25:26]
	v_fma_f64 v[21:22], -v[17:18], v[19:20], 1.0
	v_fma_f64 v[19:20], v[21:22], v[19:20], v[19:20]
	v_fma_f64 v[21:22], -v[17:18], v[19:20], 1.0
	v_fma_f64 v[19:20], v[21:22], v[19:20], v[19:20]
	v_mul_f64 v[21:22], v[23:24], v[19:20]
	v_mul_f64 v[27:28], v[17:18], v[21:22]
	v_fma_f64 v[17:18], v[21:22], v[17:18], -v[27:28]
	v_fma_f64 v[15:16], v[21:22], v[15:16], v[17:18]
	v_add_f64 v[17:18], v[27:28], v[15:16]
	v_add_f64 v[25:26], v[23:24], -v[17:18]
	v_add_f64 v[27:28], v[17:18], -v[27:28]
	v_add_f64 v[23:24], v[23:24], -v[25:26]
	v_add_f64 v[15:16], v[27:28], -v[15:16]
	v_add_f64 v[17:18], v[23:24], -v[17:18]
	v_mov_b32_e32 v23, 0x6b47b09a
	v_mov_b32_e32 v24, 0x3fc38538
	v_add_f64 v[15:16], v[15:16], v[17:18]
	v_add_f64 v[15:16], v[25:26], v[15:16]
	v_mul_f64 v[15:16], v[19:20], v[15:16]
	v_add_f64 v[17:18], v[21:22], v[15:16]
	v_mul_f64 v[19:20], v[17:18], v[17:18]
	v_fma_f64 v[23:24], v[19:20], s[14:15], v[23:24]
	s_mov_b32 s14, 0xd7f4df2e
	s_mov_b32 s15, 0x3fc7474d
	v_mul_f64 v[25:26], v[17:18], v[19:20]
	v_fma_f64 v[23:24], v[19:20], v[23:24], s[14:15]
	s_mov_b32 s14, 0x16291751
	s_mov_b32 s15, 0x3fcc71c0
	v_fma_f64 v[23:24], v[19:20], v[23:24], s[14:15]
	s_mov_b32 s14, 0x9b27acf1
	s_mov_b32 s15, 0x3fd24924
	;; [unrolled: 3-line block ×3, first 2 shown]
	v_fma_f64 v[23:24], v[19:20], v[23:24], s[14:15]
	v_fma_f64 v[19:20], v[19:20], v[23:24], s[12:13]
	v_ldexp_f64 v[23:24], v[17:18], 1
	v_add_f64 v[17:18], v[17:18], -v[21:22]
	s_mov_b32 s12, 0xfefa39ef
	s_mov_b32 s13, 0x3fe62e42
	v_mul_f64 v[19:20], v[25:26], v[19:20]
	v_cvt_f64_i32_e32 v[25:26], v8
	v_add_f64 v[15:16], v[15:16], -v[17:18]
	v_mul_f64 v[27:28], v[25:26], s[12:13]
	v_add_f64 v[21:22], v[23:24], v[19:20]
	v_ldexp_f64 v[15:16], v[15:16], 1
	v_add_f64 v[17:18], v[21:22], -v[23:24]
	v_fma_f64 v[23:24], v[25:26], s[12:13], -v[27:28]
	s_mov_b32 s12, 0x3b39803f
	s_mov_b32 s13, 0x3c7abc9e
	v_add_f64 v[17:18], v[19:20], -v[17:18]
	v_fma_f64 v[19:20], v[25:26], s[12:13], v[23:24]
	v_add_f64 v[15:16], v[15:16], v[17:18]
	v_div_scale_f64 v[17:18], s[12:13], v[4:5], v[4:5], -0.5
	v_add_f64 v[23:24], v[27:28], v[19:20]
	s_movk_i32 s12, 0x204
	v_add_f64 v[25:26], v[21:22], v[15:16]
	v_add_f64 v[27:28], v[23:24], -v[27:28]
	v_add_f64 v[29:30], v[23:24], v[25:26]
	v_rcp_f64_e32 v[31:32], v[17:18]
	v_add_f64 v[21:22], v[25:26], -v[21:22]
	v_add_f64 v[19:20], v[19:20], -v[27:28]
	;; [unrolled: 1-line block ×5, first 2 shown]
	v_fma_f64 v[37:38], -v[17:18], v[31:32], 1.0
	v_add_f64 v[21:22], v[25:26], -v[33:34]
	v_add_f64 v[27:28], v[19:20], v[15:16]
	v_add_f64 v[23:24], v[23:24], -v[35:36]
	v_fma_f64 v[25:26], v[31:32], v[37:38], v[31:32]
	v_add_f64 v[33:34], v[27:28], -v[19:20]
	v_add_f64 v[21:22], v[21:22], v[23:24]
	v_div_scale_f64 v[23:24], vcc, -0.5, v[4:5], -0.5
	v_fma_f64 v[31:32], -v[17:18], v[25:26], 1.0
	v_add_f64 v[15:16], v[15:16], -v[33:34]
	v_add_f64 v[21:22], v[27:28], v[21:22]
	v_add_f64 v[27:28], v[27:28], -v[33:34]
	v_fma_f64 v[25:26], v[25:26], v[31:32], v[25:26]
	v_add_f64 v[31:32], v[29:30], v[21:22]
	v_add_f64 v[19:20], v[19:20], -v[27:28]
	v_mul_f64 v[35:36], v[23:24], v[25:26]
	v_add_f64 v[27:28], v[31:32], -v[29:30]
	v_add_f64 v[15:16], v[15:16], v[19:20]
	v_fma_f64 v[17:18], -v[17:18], v[35:36], v[23:24]
	v_add_f64 v[19:20], v[21:22], -v[27:28]
	v_div_fmas_f64 v[17:18], v[17:18], v[25:26], v[35:36]
	v_cmp_class_f64_e64 vcc, v[4:5], s12
	v_add_f64 v[15:16], v[15:16], v[19:20]
	v_add_f64 v[15:16], v[31:32], v[15:16]
	v_div_fixup_f64 v[17:18], v[17:18], v[4:5], -0.5
	v_cndmask_b32_e32 v5, v16, v5, vcc
	v_cndmask_b32_e32 v4, v15, v4, vcc
	v_add_f64 v[4:5], v[4:5], v[17:18]
	v_add_f64 v[0:1], v[4:5], -v[0:1]
	v_add_f64 v[0:1], v[11:12], v[0:1]
                                        ; implicit-def: $vgpr11_vgpr12
.LBB9_1381:
	s_andn2_saveexec_b64 s[6:7], s[6:7]
	s_cbranch_execz .LBB9_1383
; %bb.1382:
	s_mov_b32 s12, 0xdc85cc95
	s_mov_b32 s13, 0x40020396
	v_add_f64 v[0:1], v[11:12], s[12:13]
.LBB9_1383:
	s_or_b64 exec, exec, s[6:7]
.LBB9_1384:
	s_or_b64 exec, exec, s[0:1]
                                        ; implicit-def: $vgpr4_vgpr5
.LBB9_1385:
	s_andn2_saveexec_b64 s[0:1], s[4:5]
; %bb.1386:
	v_xor_b32_e32 v0, 0x80000000, v5
	s_brev_b32 s4, -2
	v_mov_b32_e32 v1, 0x7ff00000
	v_bfi_b32 v1, s4, v1, v0
	v_mov_b32_e32 v0, 0
; %bb.1387:
	s_or_b64 exec, exec, s[0:1]
	s_lshr_b32 s0, s18, 16
	v_mov_b32_e32 v5, s11
	s_and_b32 s19, s0, 0xff
	v_add_co_u32_e32 v4, vcc, s10, v9
	s_cmp_lt_i32 s19, 11
	v_addc_co_u32_e32 v5, vcc, 0, v5, vcc
	s_cbranch_scc1 .LBB9_1394
; %bb.1388:
	s_and_b32 s16, 0xffff, s19
	s_cmp_gt_i32 s16, 25
	s_mov_b64 s[4:5], 0
	s_cbranch_scc0 .LBB9_1396
; %bb.1389:
	s_cmp_gt_i32 s16, 28
	s_cbranch_scc0 .LBB9_1397
; %bb.1390:
	s_cmp_gt_i32 s16, 43
	;; [unrolled: 3-line block ×3, first 2 shown]
	s_cbranch_scc0 .LBB9_1400
; %bb.1392:
	s_cmp_eq_u32 s16, 46
	s_mov_b64 s[12:13], 0
	s_cbranch_scc0 .LBB9_1403
; %bb.1393:
	global_load_dword v8, v[4:5], off
	s_mov_b64 s[0:1], 0
	s_mov_b64 s[6:7], -1
	s_waitcnt vmcnt(0)
	v_lshlrev_b32_e32 v8, 16, v8
	v_cvt_f64_f32_e32 v[8:9], v8
	s_branch .LBB9_1404
.LBB9_1394:
	s_mov_b64 s[6:7], 0
                                        ; implicit-def: $vgpr8_vgpr9
	s_cbranch_execnz .LBB9_1469
.LBB9_1395:
	s_andn2_b64 vcc, exec, s[6:7]
	s_cbranch_vccnz .LBB9_1925
	s_branch .LBB9_1516
.LBB9_1396:
	s_mov_b64 s[6:7], 0
	s_mov_b64 s[0:1], 0
                                        ; implicit-def: $vgpr8_vgpr9
	s_cbranch_execnz .LBB9_1435
	s_branch .LBB9_1465
.LBB9_1397:
	s_mov_b64 s[12:13], -1
	s_mov_b64 s[6:7], 0
	s_mov_b64 s[0:1], 0
                                        ; implicit-def: $vgpr8_vgpr9
	s_branch .LBB9_1414
.LBB9_1398:
	s_mov_b64 s[12:13], -1
	s_mov_b64 s[6:7], 0
	s_mov_b64 s[0:1], 0
                                        ; implicit-def: $vgpr8_vgpr9
	s_branch .LBB9_1409
.LBB9_1399:
	s_or_b64 s[2:3], s[28:29], exec
	s_trap 2
	s_cbranch_execz .LBB9_1316
	s_branch .LBB9_1317
.LBB9_1400:
	s_mov_b64 s[12:13], -1
	s_mov_b64 s[6:7], 0
	s_mov_b64 s[0:1], 0
                                        ; implicit-def: $vgpr8_vgpr9
	s_branch .LBB9_1404
.LBB9_1401:
	s_andn2_saveexec_b64 s[16:17], s[16:17]
	s_cbranch_execz .LBB9_1107
.LBB9_1402:
	s_mov_b32 s20, 0x42800000
	v_add_f32_e64 v3, |v2|, s20
	v_and_b32_e32 v3, 0xff, v3
	v_cmp_ne_u32_e32 vcc, 0, v3
	s_andn2_b64 s[14:15], s[14:15], exec
	s_and_b64 s[20:21], vcc, exec
	s_or_b64 s[14:15], s[14:15], s[20:21]
	s_or_b64 exec, exec, s[16:17]
	v_mov_b32_e32 v4, 0
	s_and_saveexec_b64 s[16:17], s[14:15]
	s_cbranch_execnz .LBB9_1108
	s_branch .LBB9_1109
.LBB9_1403:
	s_mov_b64 s[0:1], -1
                                        ; implicit-def: $vgpr8_vgpr9
	s_mov_b64 s[6:7], 0
.LBB9_1404:
	s_and_b64 vcc, exec, s[12:13]
	s_cbranch_vccz .LBB9_1408
; %bb.1405:
	s_cmp_eq_u32 s16, 44
	s_cbranch_scc0 .LBB9_1407
; %bb.1406:
	global_load_ubyte v11, v[4:5], off
	s_movk_i32 s6, 0xff
	v_bfrev_b32_e32 v12, 4
	v_mov_b32_e32 v13, 0x7ff80000
	v_bfrev_b32_e32 v15, 28
	s_mov_b64 s[0:1], 0
	s_waitcnt vmcnt(0)
	v_lshlrev_b32_e32 v8, 23, v11
	v_cvt_f64_f32_e32 v[8:9], v8
	v_cmp_ne_u32_e32 vcc, s6, v11
	s_mov_b64 s[6:7], -1
	v_cndmask_b32_e32 v8, v12, v8, vcc
	v_cndmask_b32_e32 v9, v13, v9, vcc
	v_cmp_ne_u32_e32 vcc, 0, v11
	v_cndmask_b32_e32 v9, v15, v9, vcc
	v_cndmask_b32_e32 v8, 0, v8, vcc
	s_branch .LBB9_1408
.LBB9_1407:
	s_mov_b64 s[0:1], -1
                                        ; implicit-def: $vgpr8_vgpr9
.LBB9_1408:
	s_mov_b64 s[12:13], 0
.LBB9_1409:
	s_and_b64 vcc, exec, s[12:13]
	s_cbranch_vccz .LBB9_1413
; %bb.1410:
	s_cmp_eq_u32 s16, 29
	s_cbranch_scc0 .LBB9_1412
; %bb.1411:
	global_load_dwordx2 v[8:9], v[4:5], off
	s_mov_b64 s[0:1], 0
	s_mov_b64 s[6:7], -1
	s_mov_b64 s[12:13], 0
	s_waitcnt vmcnt(0)
	v_cvt_f64_u32_e32 v[11:12], v9
	v_cvt_f64_u32_e32 v[8:9], v8
	v_ldexp_f64 v[11:12], v[11:12], 32
	v_add_f64 v[8:9], v[11:12], v[8:9]
	s_branch .LBB9_1414
.LBB9_1412:
	s_mov_b64 s[0:1], -1
                                        ; implicit-def: $vgpr8_vgpr9
.LBB9_1413:
	s_mov_b64 s[12:13], 0
.LBB9_1414:
	s_and_b64 vcc, exec, s[12:13]
	s_cbranch_vccz .LBB9_1434
; %bb.1415:
	s_cmp_lt_i32 s16, 27
	s_cbranch_scc1 .LBB9_1418
; %bb.1416:
	s_cmp_gt_i32 s16, 27
	s_cbranch_scc0 .LBB9_1419
; %bb.1417:
	global_load_dword v8, v[4:5], off
	s_mov_b64 s[6:7], 0
	s_waitcnt vmcnt(0)
	v_cvt_f64_u32_e32 v[8:9], v8
	s_branch .LBB9_1420
.LBB9_1418:
	s_mov_b64 s[6:7], -1
                                        ; implicit-def: $vgpr8_vgpr9
	s_branch .LBB9_1423
.LBB9_1419:
	s_mov_b64 s[6:7], -1
                                        ; implicit-def: $vgpr8_vgpr9
.LBB9_1420:
	s_andn2_b64 vcc, exec, s[6:7]
	s_cbranch_vccnz .LBB9_1422
; %bb.1421:
	global_load_ushort v8, v[4:5], off
	s_waitcnt vmcnt(0)
	v_cvt_f64_u32_e32 v[8:9], v8
.LBB9_1422:
	s_mov_b64 s[6:7], 0
.LBB9_1423:
	s_andn2_b64 vcc, exec, s[6:7]
	s_cbranch_vccnz .LBB9_1433
; %bb.1424:
	global_load_ubyte v11, v[4:5], off
	s_movk_i32 s6, 0x7f
	s_waitcnt vmcnt(0)
	v_cmp_lt_i16_e32 vcc, s6, v11
	s_mov_b64 s[6:7], 0
	s_and_saveexec_b64 s[12:13], vcc
	s_xor_b64 s[12:13], exec, s[12:13]
	s_cbranch_execz .LBB9_1428
; %bb.1425:
	s_movk_i32 s6, 0x80
	v_cmp_eq_u16_e32 vcc, s6, v11
	s_mov_b64 s[6:7], -1
	s_and_saveexec_b64 s[14:15], vcc
; %bb.1426:
	s_xor_b64 s[6:7], exec, -1
; %bb.1427:
	s_or_b64 exec, exec, s[14:15]
	s_and_b64 s[6:7], s[6:7], exec
.LBB9_1428:
	s_or_saveexec_b64 s[12:13], s[12:13]
	v_bfrev_b32_e32 v8, 4
	v_mov_b32_e32 v9, 0x7ff80000
	s_xor_b64 exec, exec, s[12:13]
; %bb.1429:
	v_cmp_ne_u16_e32 vcc, 0, v11
	v_mov_b32_e32 v8, 0
	s_andn2_b64 s[6:7], s[6:7], exec
	s_and_b64 s[14:15], vcc, exec
	v_mov_b32_e32 v9, 0
	s_or_b64 s[6:7], s[6:7], s[14:15]
; %bb.1430:
	s_or_b64 exec, exec, s[12:13]
	s_and_saveexec_b64 s[12:13], s[6:7]
	s_cbranch_execz .LBB9_1432
; %bb.1431:
	v_and_b32_e32 v9, 0xffff, v11
	v_lshlrev_b32_e32 v8, 24, v11
	v_and_b32_e32 v11, 7, v9
	v_ffbh_u32_e32 v13, v11
	v_min_u32_e32 v13, 32, v13
	v_subrev_u32_e32 v15, 28, v13
	v_bfe_u32 v12, v9, 3, 4
	v_lshlrev_b32_e32 v9, v15, v9
	v_sub_u32_e32 v13, 29, v13
	v_and_b32_e32 v9, 7, v9
	v_cmp_eq_u32_e32 vcc, 0, v12
	v_cndmask_b32_e32 v12, v12, v13, vcc
	v_cndmask_b32_e32 v9, v11, v9, vcc
	v_mov_b32_e32 v11, 0x3b800000
	v_lshlrev_b32_e32 v9, 20, v9
	v_and_b32_e32 v8, 0x80000000, v8
	v_lshl_add_u32 v11, v12, 23, v11
	v_or3_b32 v8, v8, v11, v9
	v_cvt_f64_f32_e32 v[8:9], v8
.LBB9_1432:
	s_or_b64 exec, exec, s[12:13]
.LBB9_1433:
	s_mov_b64 s[6:7], -1
.LBB9_1434:
	s_branch .LBB9_1465
.LBB9_1435:
	s_cmp_gt_i32 s16, 22
	s_cbranch_scc0 .LBB9_1447
; %bb.1436:
	s_cmp_lt_i32 s16, 24
	s_cbranch_scc1 .LBB9_1448
; %bb.1437:
	s_cmp_gt_i32 s16, 24
	s_cbranch_scc0 .LBB9_1449
; %bb.1438:
	global_load_ubyte v11, v[4:5], off
	s_movk_i32 s4, 0x7f
	s_waitcnt vmcnt(0)
	v_cmp_lt_i16_e32 vcc, s4, v11
	s_mov_b64 s[4:5], 0
	s_and_saveexec_b64 s[6:7], vcc
	s_xor_b64 s[6:7], exec, s[6:7]
	s_cbranch_execz .LBB9_1442
; %bb.1439:
	s_movk_i32 s4, 0x80
	v_cmp_eq_u16_e32 vcc, s4, v11
	s_mov_b64 s[4:5], -1
	s_and_saveexec_b64 s[12:13], vcc
; %bb.1440:
	s_xor_b64 s[4:5], exec, -1
; %bb.1441:
	s_or_b64 exec, exec, s[12:13]
	s_and_b64 s[4:5], s[4:5], exec
.LBB9_1442:
	s_or_saveexec_b64 s[6:7], s[6:7]
	v_bfrev_b32_e32 v8, 4
	v_mov_b32_e32 v9, 0x7ff80000
	s_xor_b64 exec, exec, s[6:7]
; %bb.1443:
	v_cmp_ne_u16_e32 vcc, 0, v11
	v_mov_b32_e32 v8, 0
	s_andn2_b64 s[4:5], s[4:5], exec
	s_and_b64 s[12:13], vcc, exec
	v_mov_b32_e32 v9, 0
	s_or_b64 s[4:5], s[4:5], s[12:13]
; %bb.1444:
	s_or_b64 exec, exec, s[6:7]
	s_and_saveexec_b64 s[6:7], s[4:5]
	s_cbranch_execz .LBB9_1446
; %bb.1445:
	v_and_b32_e32 v9, 0xffff, v11
	v_lshlrev_b32_e32 v8, 24, v11
	v_and_b32_e32 v11, 3, v9
	v_ffbh_u32_e32 v13, v11
	v_min_u32_e32 v13, 32, v13
	v_subrev_u32_e32 v15, 29, v13
	v_bfe_u32 v12, v9, 2, 5
	v_lshlrev_b32_e32 v9, v15, v9
	v_sub_u32_e32 v13, 30, v13
	v_and_b32_e32 v9, 3, v9
	v_cmp_eq_u32_e32 vcc, 0, v12
	v_cndmask_b32_e32 v12, v12, v13, vcc
	v_cndmask_b32_e32 v9, v11, v9, vcc
	v_mov_b32_e32 v11, 0x37800000
	v_lshlrev_b32_e32 v9, 21, v9
	v_and_b32_e32 v8, 0x80000000, v8
	v_lshl_add_u32 v11, v12, 23, v11
	v_or3_b32 v8, v8, v11, v9
	v_cvt_f64_f32_e32 v[8:9], v8
.LBB9_1446:
	s_or_b64 exec, exec, s[6:7]
	s_mov_b64 s[4:5], 0
	s_branch .LBB9_1450
.LBB9_1447:
	s_mov_b64 s[4:5], -1
                                        ; implicit-def: $vgpr8_vgpr9
	s_branch .LBB9_1456
.LBB9_1448:
	s_mov_b64 s[4:5], -1
                                        ; implicit-def: $vgpr8_vgpr9
	s_branch .LBB9_1453
.LBB9_1449:
	s_mov_b64 s[4:5], -1
                                        ; implicit-def: $vgpr8_vgpr9
.LBB9_1450:
	s_and_b64 vcc, exec, s[4:5]
	s_cbranch_vccz .LBB9_1452
; %bb.1451:
	global_load_ubyte v8, v[4:5], off
	s_mov_b32 s4, 0x7f800000
	s_waitcnt vmcnt(0)
	v_lshlrev_b32_e32 v8, 24, v8
	v_and_b32_e32 v9, 0x7f000000, v8
	v_ffbh_u32_e32 v11, v9
	v_min_u32_e32 v11, 32, v11
	v_sub_u32_e64 v11, v11, 4 clamp
	v_lshlrev_b32_e32 v13, v11, v9
	v_lshlrev_b32_e32 v11, 23, v11
	v_lshrrev_b32_e32 v13, 4, v13
	v_add_u32_e32 v12, 0x1000000, v9
	v_sub_u32_e32 v11, v13, v11
	v_ashrrev_i32_e32 v12, 8, v12
	v_add_u32_e32 v11, 0x3c000000, v11
	v_and_or_b32 v11, v12, s4, v11
	v_cmp_ne_u32_e32 vcc, 0, v9
	v_cndmask_b32_e32 v9, 0, v11, vcc
	s_brev_b32 s4, 1
	v_and_or_b32 v8, v8, s4, v9
	v_cvt_f64_f32_e32 v[8:9], v8
.LBB9_1452:
	s_mov_b64 s[4:5], 0
.LBB9_1453:
	s_andn2_b64 vcc, exec, s[4:5]
	s_cbranch_vccnz .LBB9_1455
; %bb.1454:
	global_load_ubyte v8, v[4:5], off
	s_movk_i32 s4, 0x7f00
	s_brev_b32 s5, 16
	s_waitcnt vmcnt(0)
	v_lshlrev_b16_e32 v9, 8, v8
	v_lshlrev_b32_e32 v8, 25, v8
	v_lshrrev_b32_e32 v11, 4, v8
	v_and_or_b32 v12, v9, s4, 0.5
	v_or_b32_e32 v11, 0x70000000, v11
	v_add_f32_e32 v12, -0.5, v12
	v_mul_f32_e32 v11, 0x7800000, v11
	v_cmp_gt_u32_e32 vcc, s5, v8
	v_bfe_i32 v9, v9, 0, 16
	v_cndmask_b32_e32 v8, v11, v12, vcc
	s_brev_b32 s4, 1
	v_and_or_b32 v8, v9, s4, v8
	v_cvt_f64_f32_e32 v[8:9], v8
.LBB9_1455:
	s_mov_b64 s[4:5], 0
	s_mov_b64 s[6:7], -1
.LBB9_1456:
	s_andn2_b64 vcc, exec, s[4:5]
	s_mov_b64 s[4:5], 0
	s_cbranch_vccnz .LBB9_1465
; %bb.1457:
	s_cmp_gt_i32 s16, 14
	s_cbranch_scc0 .LBB9_1460
; %bb.1458:
	s_cmp_eq_u32 s16, 15
	s_cbranch_scc0 .LBB9_1461
; %bb.1459:
	global_load_ushort v8, v[4:5], off
	s_mov_b64 s[0:1], 0
	s_mov_b64 s[6:7], -1
	s_waitcnt vmcnt(0)
	v_lshlrev_b32_e32 v8, 16, v8
	v_cvt_f64_f32_e32 v[8:9], v8
	s_branch .LBB9_1462
.LBB9_1460:
	s_mov_b64 s[12:13], -1
                                        ; implicit-def: $vgpr8_vgpr9
	s_branch .LBB9_1463
.LBB9_1461:
	s_mov_b64 s[0:1], -1
                                        ; implicit-def: $vgpr8_vgpr9
.LBB9_1462:
	s_mov_b64 s[12:13], 0
.LBB9_1463:
	s_and_b64 vcc, exec, s[12:13]
	s_cbranch_vccz .LBB9_1465
; %bb.1464:
	s_cmp_lg_u32 s16, 11
	s_mov_b64 s[4:5], -1
	s_cselect_b64 s[0:1], -1, 0
.LBB9_1465:
	s_and_b64 vcc, exec, s[0:1]
	s_cbranch_vccnz .LBB9_1552
; %bb.1466:
	s_andn2_b64 vcc, exec, s[4:5]
	s_cbranch_vccnz .LBB9_1468
.LBB9_1467:
	global_load_ubyte v9, v[4:5], off
	v_mov_b32_e32 v11, 0x3ff00000
	v_mov_b32_e32 v8, 0
	s_mov_b64 s[6:7], -1
	s_waitcnt vmcnt(0)
	v_cmp_ne_u16_e32 vcc, 0, v9
	v_cndmask_b32_e32 v9, 0, v11, vcc
.LBB9_1468:
	s_branch .LBB9_1395
.LBB9_1469:
	s_and_b32 s4, 0xffff, s19
	s_cmp_lt_i32 s4, 5
	s_cbranch_scc1 .LBB9_1474
; %bb.1470:
	s_cmp_lt_i32 s4, 8
	s_cbranch_scc1 .LBB9_1475
; %bb.1471:
	;; [unrolled: 3-line block ×3, first 2 shown]
	s_cmp_gt_i32 s4, 9
	s_cbranch_scc0 .LBB9_1477
; %bb.1473:
	global_load_dwordx2 v[8:9], v[4:5], off
	s_mov_b64 s[0:1], 0
	s_branch .LBB9_1478
.LBB9_1474:
                                        ; implicit-def: $vgpr8_vgpr9
	s_branch .LBB9_1496
.LBB9_1475:
	s_mov_b64 s[0:1], -1
                                        ; implicit-def: $vgpr8_vgpr9
	s_branch .LBB9_1484
.LBB9_1476:
	s_mov_b64 s[0:1], -1
                                        ; implicit-def: $vgpr8_vgpr9
	s_branch .LBB9_1481
.LBB9_1477:
	s_mov_b64 s[0:1], -1
                                        ; implicit-def: $vgpr8_vgpr9
.LBB9_1478:
	s_andn2_b64 vcc, exec, s[0:1]
	s_cbranch_vccnz .LBB9_1480
; %bb.1479:
	global_load_dword v8, v[4:5], off
	s_waitcnt vmcnt(0)
	v_cvt_f64_f32_e32 v[8:9], v8
.LBB9_1480:
	s_mov_b64 s[0:1], 0
.LBB9_1481:
	s_andn2_b64 vcc, exec, s[0:1]
	s_cbranch_vccnz .LBB9_1483
; %bb.1482:
	global_load_dword v8, v[4:5], off
	s_waitcnt vmcnt(0)
	v_cvt_f32_f16_e32 v8, v8
	v_cvt_f64_f32_e32 v[8:9], v8
.LBB9_1483:
	s_mov_b64 s[0:1], 0
.LBB9_1484:
	s_andn2_b64 vcc, exec, s[0:1]
	s_cbranch_vccnz .LBB9_1495
; %bb.1485:
	s_cmp_lt_i32 s4, 6
	s_cbranch_scc1 .LBB9_1488
; %bb.1486:
	s_cmp_gt_i32 s4, 6
	s_cbranch_scc0 .LBB9_1489
; %bb.1487:
	global_load_dwordx2 v[8:9], v[4:5], off
	s_mov_b64 s[0:1], 0
	s_branch .LBB9_1490
.LBB9_1488:
	s_mov_b64 s[0:1], -1
                                        ; implicit-def: $vgpr8_vgpr9
	s_branch .LBB9_1493
.LBB9_1489:
	s_mov_b64 s[0:1], -1
                                        ; implicit-def: $vgpr8_vgpr9
.LBB9_1490:
	s_andn2_b64 vcc, exec, s[0:1]
	s_cbranch_vccnz .LBB9_1492
; %bb.1491:
	global_load_dword v8, v[4:5], off
	s_waitcnt vmcnt(0)
	v_cvt_f64_f32_e32 v[8:9], v8
.LBB9_1492:
	s_mov_b64 s[0:1], 0
.LBB9_1493:
	s_andn2_b64 vcc, exec, s[0:1]
	s_cbranch_vccnz .LBB9_1495
; %bb.1494:
	global_load_ushort v8, v[4:5], off
	s_waitcnt vmcnt(0)
	v_cvt_f32_f16_e32 v8, v8
	v_cvt_f64_f32_e32 v[8:9], v8
.LBB9_1495:
	s_cbranch_execnz .LBB9_1515
.LBB9_1496:
	s_cmp_lt_i32 s4, 2
	s_cbranch_scc1 .LBB9_1500
; %bb.1497:
	s_cmp_lt_i32 s4, 3
	s_cbranch_scc1 .LBB9_1501
; %bb.1498:
	s_cmp_gt_i32 s4, 3
	s_cbranch_scc0 .LBB9_1502
; %bb.1499:
	global_load_dwordx2 v[8:9], v[4:5], off
	s_mov_b64 s[0:1], 0
	s_waitcnt vmcnt(0)
	v_cvt_f64_i32_e32 v[11:12], v9
	v_cvt_f64_u32_e32 v[8:9], v8
	v_ldexp_f64 v[11:12], v[11:12], 32
	v_add_f64 v[8:9], v[11:12], v[8:9]
	s_branch .LBB9_1503
.LBB9_1500:
	s_mov_b64 s[0:1], -1
                                        ; implicit-def: $vgpr8_vgpr9
	s_branch .LBB9_1509
.LBB9_1501:
	s_mov_b64 s[0:1], -1
                                        ; implicit-def: $vgpr8_vgpr9
	s_branch .LBB9_1506
.LBB9_1502:
	s_mov_b64 s[0:1], -1
                                        ; implicit-def: $vgpr8_vgpr9
.LBB9_1503:
	s_andn2_b64 vcc, exec, s[0:1]
	s_cbranch_vccnz .LBB9_1505
; %bb.1504:
	global_load_dword v8, v[4:5], off
	s_waitcnt vmcnt(0)
	v_cvt_f64_i32_e32 v[8:9], v8
.LBB9_1505:
	s_mov_b64 s[0:1], 0
.LBB9_1506:
	s_andn2_b64 vcc, exec, s[0:1]
	s_cbranch_vccnz .LBB9_1508
; %bb.1507:
	global_load_sshort v8, v[4:5], off
	s_waitcnt vmcnt(0)
	v_cvt_f64_i32_e32 v[8:9], v8
.LBB9_1508:
	s_mov_b64 s[0:1], 0
.LBB9_1509:
	s_andn2_b64 vcc, exec, s[0:1]
	s_cbranch_vccnz .LBB9_1515
; %bb.1510:
	s_cmp_gt_i32 s4, 0
	s_cbranch_scc0 .LBB9_1512
; %bb.1511:
	global_load_sbyte v8, v[4:5], off
	s_mov_b64 s[0:1], 0
	s_waitcnt vmcnt(0)
	v_cvt_f64_i32_e32 v[8:9], v8
	s_branch .LBB9_1513
.LBB9_1512:
	s_mov_b64 s[0:1], -1
                                        ; implicit-def: $vgpr8_vgpr9
.LBB9_1513:
	s_andn2_b64 vcc, exec, s[0:1]
	s_cbranch_vccnz .LBB9_1515
; %bb.1514:
	global_load_ubyte v4, v[4:5], off
	s_waitcnt vmcnt(0)
	v_cvt_f64_u32_e32 v[8:9], v4
.LBB9_1515:
.LBB9_1516:
	s_waitcnt vmcnt(0)
	v_cmp_neq_f64_e32 vcc, 0, v[8:9]
                                        ; implicit-def: $vgpr4_vgpr5
	s_and_saveexec_b64 s[0:1], vcc
	s_xor_b64 s[4:5], exec, s[0:1]
	s_cbranch_execz .LBB9_1538
; %bb.1517:
	v_cmp_gt_f64_e32 vcc, 0, v[8:9]
	v_mov_b32_e32 v11, 0
	v_mov_b32_e32 v12, 0
	s_mov_b64 s[12:13], -1
	s_and_saveexec_b64 s[6:7], vcc
	s_cbranch_execz .LBB9_1525
; %bb.1518:
	v_trunc_f64_e32 v[4:5], v[8:9]
	v_mov_b32_e32 v11, 0
	v_mov_b32_e32 v12, 0
	s_mov_b64 s[14:15], 0
	v_cmp_neq_f64_e32 vcc, v[8:9], v[4:5]
	s_and_saveexec_b64 s[12:13], vcc
	s_cbranch_execz .LBB9_1524
; %bb.1519:
	v_add_f64 v[4:5], v[8:9], -v[4:5]
	s_mov_b32 s16, 0
	s_mov_b32 s1, 0xc00921fb
	;; [unrolled: 1-line block ×4, first 2 shown]
	v_cmp_neq_f64_e64 vcc, |v[8:9]|, s[16:17]
	v_bfrev_b32_e32 v11, 1
	s_mov_b32 s14, 0
	v_mul_f64 v[4:5], |v[4:5]|, s[0:1]
	s_mov_b32 s15, 0x41d00000
                                        ; implicit-def: $vgpr13
                                        ; implicit-def: $vgpr15_vgpr16
	v_cndmask_b32_e32 v5, v11, v5, vcc
	v_cndmask_b32_e32 v4, 0, v4, vcc
	v_cmp_nlt_f64_e64 s[14:15], |v[4:5]|, s[14:15]
                                        ; implicit-def: $vgpr11_vgpr12
	s_and_saveexec_b64 s[20:21], s[14:15]
	s_xor_b64 s[14:15], exec, s[20:21]
	s_cbranch_execz .LBB9_1521
; %bb.1520:
	v_trig_preop_f64 v[11:12], |v[4:5]|, 0
	s_mov_b32 s20, 0
	s_mov_b32 s21, 0x7b000000
	s_movk_i32 s1, 0xff80
	v_ldexp_f64 v[17:18], |v[4:5]|, s1
	v_cmp_ge_f64_e64 vcc, |v[4:5]|, s[20:21]
	v_trig_preop_f64 v[15:16], |v[4:5]|, 1
	v_and_b32_e32 v13, 0x7fffffff, v5
	v_trig_preop_f64 v[25:26], |v[4:5]|, 2
	v_mov_b32_e32 v35, 0
	s_mov_b32 s1, 0x3ff921fb
	v_cndmask_b32_e32 v18, v13, v18, vcc
	v_cndmask_b32_e32 v17, v4, v17, vcc
	v_mov_b32_e32 v13, 0x40100000
	v_mul_f64 v[19:20], v[11:12], v[17:18]
	v_mul_f64 v[21:22], v[15:16], v[17:18]
	;; [unrolled: 1-line block ×3, first 2 shown]
	v_fma_f64 v[11:12], v[11:12], v[17:18], -v[19:20]
	v_fma_f64 v[15:16], v[15:16], v[17:18], -v[21:22]
	;; [unrolled: 1-line block ×3, first 2 shown]
	v_add_f64 v[23:24], v[21:22], v[11:12]
	v_add_f64 v[27:28], v[23:24], -v[21:22]
	v_add_f64 v[33:34], v[19:20], v[23:24]
	v_add_f64 v[29:30], v[23:24], -v[27:28]
	v_add_f64 v[11:12], v[11:12], -v[27:28]
	v_add_f64 v[27:28], v[31:32], v[15:16]
	v_add_f64 v[19:20], v[33:34], -v[19:20]
	v_add_f64 v[21:22], v[21:22], -v[29:30]
	v_ldexp_f64 v[29:30], v[33:34], -2
	v_add_f64 v[37:38], v[27:28], -v[31:32]
	v_add_f64 v[19:20], v[23:24], -v[19:20]
	v_add_f64 v[11:12], v[11:12], v[21:22]
	v_fract_f64_e32 v[21:22], v[29:30]
	v_cmp_neq_f64_e64 vcc, |v[29:30]|, s[16:17]
	v_add_f64 v[15:16], v[15:16], -v[37:38]
	s_mov_b32 s16, 0x33145c07
	s_mov_b32 s17, 0x3c91a626
	v_add_f64 v[23:24], v[27:28], v[11:12]
	v_ldexp_f64 v[21:22], v[21:22], 2
	v_add_f64 v[29:30], v[19:20], v[23:24]
	v_cndmask_b32_e32 v22, 0, v22, vcc
	v_cndmask_b32_e32 v21, 0, v21, vcc
	v_add_f64 v[39:40], v[23:24], -v[27:28]
	v_add_f64 v[33:34], v[29:30], v[21:22]
	v_add_f64 v[19:20], v[29:30], -v[19:20]
	v_add_f64 v[41:42], v[23:24], -v[39:40]
	;; [unrolled: 1-line block ×3, first 2 shown]
	v_cmp_gt_f64_e32 vcc, 0, v[33:34]
	v_add_f64 v[33:34], v[27:28], -v[37:38]
	v_add_f64 v[19:20], v[23:24], -v[19:20]
	v_add_f64 v[27:28], v[27:28], -v[41:42]
	v_cndmask_b32_e32 v36, 0, v13, vcc
	v_add_f64 v[21:22], v[21:22], v[35:36]
	v_add_f64 v[33:34], v[31:32], -v[33:34]
	v_add_f64 v[11:12], v[11:12], v[27:28]
	v_add_f64 v[43:44], v[29:30], v[21:22]
	;; [unrolled: 1-line block ×3, first 2 shown]
	v_cvt_i32_f64_e32 v13, v[43:44]
	v_add_f64 v[11:12], v[15:16], v[11:12]
	v_cvt_f64_i32_e32 v[36:37], v13
	v_add_f64 v[21:22], v[21:22], -v[36:37]
	v_add_f64 v[11:12], v[17:18], v[11:12]
	v_add_f64 v[15:16], v[29:30], v[21:22]
	;; [unrolled: 1-line block ×3, first 2 shown]
	v_mov_b32_e32 v19, 0x3ff00000
	v_add_f64 v[17:18], v[15:16], -v[21:22]
	v_cmp_le_f64_e32 vcc, 0.5, v[15:16]
	v_add_f64 v[17:18], v[29:30], -v[17:18]
	v_cndmask_b32_e32 v36, 0, v19, vcc
	v_add_f64 v[15:16], v[15:16], -v[35:36]
	v_addc_co_u32_e32 v13, vcc, 0, v13, vcc
	v_add_f64 v[11:12], v[11:12], v[17:18]
	v_add_f64 v[17:18], v[15:16], v[11:12]
	v_mul_f64 v[19:20], v[17:18], s[0:1]
	v_add_f64 v[15:16], v[17:18], -v[15:16]
	v_fma_f64 v[21:22], v[17:18], s[0:1], -v[19:20]
	v_add_f64 v[11:12], v[11:12], -v[15:16]
	v_fma_f64 v[15:16], v[17:18], s[16:17], v[21:22]
	v_fma_f64 v[15:16], v[11:12], s[0:1], v[15:16]
	v_add_f64 v[11:12], v[19:20], v[15:16]
	v_add_f64 v[17:18], v[11:12], -v[19:20]
	v_add_f64 v[15:16], v[15:16], -v[17:18]
.LBB9_1521:
	s_andn2_saveexec_b64 s[0:1], s[14:15]
	s_cbranch_execz .LBB9_1523
; %bb.1522:
	s_mov_b32 s14, 0x6dc9c883
	s_mov_b32 s15, 0x3fe45f30
	v_mul_f64 v[11:12], |v[4:5]|, s[14:15]
	s_mov_b32 s14, 0x54442d18
	s_mov_b32 s15, 0xbff921fb
	;; [unrolled: 1-line block ×4, first 2 shown]
	v_rndne_f64_e32 v[17:18], v[11:12]
	v_fma_f64 v[11:12], v[17:18], s[14:15], |v[4:5]|
	v_mul_f64 v[15:16], v[17:18], s[16:17]
	s_mov_b32 s14, 0x252049c0
	s_mov_b32 s15, 0xb97b839a
	v_cvt_i32_f64_e32 v13, v[17:18]
	v_fma_f64 v[23:24], v[17:18], s[16:17], v[11:12]
	v_add_f64 v[19:20], v[11:12], v[15:16]
	s_mov_b32 s17, 0x3c91a626
	v_add_f64 v[21:22], v[11:12], -v[19:20]
	v_add_f64 v[19:20], v[19:20], -v[23:24]
	v_add_f64 v[11:12], v[21:22], v[15:16]
	v_fma_f64 v[15:16], v[17:18], s[16:17], v[15:16]
	v_add_f64 v[11:12], v[19:20], v[11:12]
	v_add_f64 v[11:12], v[11:12], -v[15:16]
	v_fma_f64 v[15:16], v[17:18], s[14:15], v[11:12]
	v_add_f64 v[11:12], v[23:24], v[15:16]
	v_add_f64 v[19:20], v[11:12], -v[23:24]
	v_add_f64 v[15:16], v[15:16], -v[19:20]
.LBB9_1523:
	s_or_b64 exec, exec, s[0:1]
	v_mul_f64 v[17:18], v[11:12], v[11:12]
	v_add_f64 v[19:20], v[15:16], v[15:16]
	s_mov_b32 s0, 0xc751c08c
	s_mov_b32 s1, 0x3ef5e089
	v_and_b32_e32 v13, 1, v13
	v_cmp_eq_u32_e32 vcc, 0, v13
	s_mov_b32 s16, 0x54442d18
	s_mov_b32 s17, 0xc00921fb
	v_fma_f64 v[21:22], v[11:12], v[11:12], -v[17:18]
	v_add_f64 v[8:9], -v[8:9], 1.0
	s_mov_b64 s[14:15], exec
	v_fma_f64 v[19:20], v[11:12], v[19:20], v[21:22]
	v_add_f64 v[17:18], v[17:18], v[19:20]
	v_mov_b32_e32 v19, 0xa9a29f71
	v_mov_b32_e32 v20, 0xbf078809
	v_fma_f64 v[19:20], v[17:18], s[0:1], v[19:20]
	s_mov_b32 s0, 0x90a8aae0
	s_mov_b32 s1, 0x3f17746f
	v_fma_f64 v[19:20], v[17:18], v[19:20], s[0:1]
	s_mov_b32 s0, 0xa6fbf144
	s_mov_b32 s1, 0xbefbb44d
	;; [unrolled: 3-line block ×12, first 2 shown]
	v_fma_f64 v[19:20], v[17:18], v[19:20], s[0:1]
	s_movk_i32 s0, 0x1f8
	v_cmp_class_f64_e64 s[0:1], v[4:5], s0
	v_mul_f64 v[17:18], v[17:18], v[19:20]
	v_mul_f64 v[19:20], v[11:12], v[17:18]
	v_add_f64 v[21:22], v[11:12], v[19:20]
	v_fma_f64 v[17:18], v[11:12], v[17:18], -v[19:20]
	v_add_f64 v[11:12], v[21:22], -v[11:12]
	v_add_f64 v[15:16], v[15:16], v[17:18]
	v_add_f64 v[11:12], v[19:20], -v[11:12]
	v_add_f64 v[11:12], v[15:16], v[11:12]
	v_add_f64 v[15:16], v[21:22], v[11:12]
	v_rcp_f64_e32 v[17:18], v[15:16]
	v_fma_f64 v[19:20], -v[15:16], v[17:18], 1.0
	v_fma_f64 v[17:18], v[19:20], v[17:18], v[17:18]
	v_fma_f64 v[19:20], -v[15:16], v[17:18], 1.0
	v_fma_f64 v[17:18], v[19:20], v[17:18], v[17:18]
	v_add_f64 v[19:20], v[15:16], -v[21:22]
	v_mul_f64 v[21:22], v[15:16], v[17:18]
	v_add_f64 v[11:12], v[11:12], -v[19:20]
	v_fma_f64 v[19:20], v[17:18], v[15:16], -v[21:22]
	v_fma_f64 v[11:12], v[17:18], v[11:12], v[19:20]
	v_add_f64 v[19:20], v[21:22], v[11:12]
	v_add_f64 v[23:24], -v[19:20], 1.0
	v_add_f64 v[21:22], v[19:20], -v[21:22]
	v_add_f64 v[25:26], -v[23:24], 1.0
	v_add_f64 v[11:12], v[21:22], -v[11:12]
	v_add_f64 v[19:20], v[25:26], -v[19:20]
	v_add_f64 v[11:12], v[11:12], v[19:20]
	v_add_f64 v[11:12], v[23:24], v[11:12]
	v_mul_f64 v[11:12], v[17:18], v[11:12]
	v_add_f64 v[11:12], v[17:18], v[11:12]
	v_and_b32_e32 v17, 0x80000000, v5
	v_mov_b32_e32 v5, 0x7ff80000
	v_xor_b32_e32 v4, 0x80000000, v12
	v_cndmask_b32_e32 v11, v11, v15, vcc
	v_cndmask_b32_e32 v12, v4, v16, vcc
	v_cndmask_b32_e64 v4, 0, v11, s[0:1]
	v_xor_b32_e32 v11, v12, v17
	v_cndmask_b32_e64 v5, v5, v11, s[0:1]
	v_div_scale_f64 v[11:12], s[0:1], v[4:5], v[4:5], s[16:17]
	v_rcp_f64_e32 v[15:16], v[11:12]
	v_fma_f64 v[17:18], -v[11:12], v[15:16], 1.0
	v_fma_f64 v[15:16], v[15:16], v[17:18], v[15:16]
	v_div_scale_f64 v[17:18], vcc, s[16:17], v[4:5], s[16:17]
	v_fma_f64 v[19:20], -v[11:12], v[15:16], 1.0
	v_fma_f64 v[15:16], v[15:16], v[19:20], v[15:16]
	v_mul_f64 v[19:20], v[17:18], v[15:16]
	v_fma_f64 v[11:12], -v[11:12], v[19:20], v[17:18]
	v_div_fmas_f64 v[11:12], v[11:12], v[15:16], v[19:20]
	v_div_fixup_f64 v[11:12], v[11:12], v[4:5], s[16:17]
.LBB9_1524:
	s_or_b64 exec, exec, s[12:13]
	s_orn2_b64 s[12:13], s[14:15], exec
.LBB9_1525:
	s_or_b64 exec, exec, s[6:7]
	v_mov_b32_e32 v4, 0
	v_mov_b32_e32 v5, 0x7ff80000
	s_and_saveexec_b64 s[0:1], s[12:13]
	s_cbranch_execz .LBB9_1537
; %bb.1526:
	s_mov_b32 s12, 0
	s_mov_b32 s13, 0x40240000
	v_cmp_gt_f64_e32 vcc, s[12:13], v[8:9]
	s_and_saveexec_b64 s[6:7], vcc
	s_cbranch_execz .LBB9_1530
; %bb.1527:
	s_mov_b64 s[14:15], 0
.LBB9_1528:                             ; =>This Inner Loop Header: Depth=1
	v_div_scale_f64 v[4:5], s[16:17], v[8:9], v[8:9], 1.0
	v_rcp_f64_e32 v[15:16], v[4:5]
	v_fma_f64 v[17:18], -v[4:5], v[15:16], 1.0
	v_fma_f64 v[15:16], v[15:16], v[17:18], v[15:16]
	v_div_scale_f64 v[17:18], vcc, 1.0, v[8:9], 1.0
	v_fma_f64 v[19:20], -v[4:5], v[15:16], 1.0
	v_fma_f64 v[15:16], v[15:16], v[19:20], v[15:16]
	v_mul_f64 v[19:20], v[17:18], v[15:16]
	v_fma_f64 v[4:5], -v[4:5], v[19:20], v[17:18]
	v_div_fmas_f64 v[4:5], v[4:5], v[15:16], v[19:20]
	v_div_fixup_f64 v[4:5], v[4:5], v[8:9], 1.0
	v_add_f64 v[8:9], v[8:9], 1.0
	v_add_f64 v[11:12], v[11:12], -v[4:5]
	v_cmp_ngt_f64_e32 vcc, s[12:13], v[8:9]
	s_or_b64 s[14:15], vcc, s[14:15]
	s_andn2_b64 exec, exec, s[14:15]
	s_cbranch_execnz .LBB9_1528
; %bb.1529:
	s_or_b64 exec, exec, s[14:15]
.LBB9_1530:
	s_or_b64 exec, exec, s[6:7]
	s_mov_b32 s6, 0
	s_mov_b32 s7, 0x40240000
	v_cmp_neq_f64_e32 vcc, s[6:7], v[8:9]
                                        ; implicit-def: $vgpr4_vgpr5
	s_and_saveexec_b64 s[6:7], vcc
	s_xor_b64 s[6:7], exec, s[6:7]
	s_cbranch_execz .LBB9_1534
; %bb.1531:
	s_mov_b32 s12, 0x85d8a000
	s_mov_b32 s13, 0x43763457
	v_cmp_gt_f64_e32 vcc, s[12:13], v[8:9]
	v_mov_b32_e32 v4, 0
	v_mov_b32_e32 v5, 0
	s_and_saveexec_b64 s[12:13], vcc
	s_cbranch_execz .LBB9_1533
; %bb.1532:
	v_mul_f64 v[4:5], v[8:9], v[8:9]
	s_mov_b32 s16, 0x95995996
	s_mov_b32 s17, 0xbf959959
	;; [unrolled: 1-line block ×4, first 2 shown]
	v_div_scale_f64 v[15:16], s[14:15], v[4:5], v[4:5], 1.0
	v_div_scale_f64 v[21:22], vcc, 1.0, v[4:5], 1.0
	s_mov_b32 s14, 0x55555555
	s_mov_b32 s15, 0x3fb55555
	v_rcp_f64_e32 v[17:18], v[15:16]
	v_fma_f64 v[19:20], -v[15:16], v[17:18], 1.0
	v_fma_f64 v[17:18], v[17:18], v[19:20], v[17:18]
	v_fma_f64 v[19:20], -v[15:16], v[17:18], 1.0
	v_fma_f64 v[17:18], v[17:18], v[19:20], v[17:18]
	v_mul_f64 v[19:20], v[21:22], v[17:18]
	v_fma_f64 v[15:16], -v[15:16], v[19:20], v[21:22]
	v_div_fmas_f64 v[15:16], v[15:16], v[17:18], v[19:20]
	v_div_fixup_f64 v[4:5], v[15:16], v[4:5], 1.0
	v_fma_f64 v[15:16], v[4:5], 0, s[14:15]
	v_fma_f64 v[15:16], v[4:5], v[15:16], s[16:17]
	s_mov_b32 s16, 0xf07c1f08
	s_mov_b32 s17, 0x3f7f07c1
	v_fma_f64 v[15:16], v[4:5], v[15:16], s[16:17]
	s_mov_b32 s17, 0xbf711111
	s_mov_b32 s16, 0x11111111
	v_fma_f64 v[15:16], v[4:5], v[15:16], s[16:17]
	s_mov_b32 s17, 0xbf811111
	v_fma_f64 v[15:16], v[4:5], v[15:16], s[20:21]
	v_fma_f64 v[15:16], v[4:5], v[15:16], s[16:17]
	;; [unrolled: 1-line block ×3, first 2 shown]
	v_mul_f64 v[4:5], v[4:5], v[15:16]
.LBB9_1533:
	s_or_b64 exec, exec, s[12:13]
	v_frexp_mant_f64_e32 v[15:16], v[8:9]
	s_mov_b32 s13, 0x3fe55555
	s_mov_b32 s12, 0x55555555
	;; [unrolled: 1-line block ×4, first 2 shown]
	v_cmp_gt_f64_e32 vcc, s[12:13], v[15:16]
	s_mov_b32 s12, 0x55555780
	v_cndmask_b32_e64 v13, 0, 1, vcc
	v_ldexp_f64 v[15:16], v[15:16], v13
	v_frexp_exp_i32_f64_e32 v13, v[8:9]
	v_add_f64 v[17:18], v[15:16], 1.0
	v_add_f64 v[23:24], v[15:16], -1.0
	v_subbrev_co_u32_e32 v13, vcc, 0, v13, vcc
	v_rcp_f64_e32 v[19:20], v[17:18]
	v_add_f64 v[25:26], v[17:18], -1.0
	v_add_f64 v[15:16], v[15:16], -v[25:26]
	v_fma_f64 v[21:22], -v[17:18], v[19:20], 1.0
	v_fma_f64 v[19:20], v[21:22], v[19:20], v[19:20]
	v_fma_f64 v[21:22], -v[17:18], v[19:20], 1.0
	v_fma_f64 v[19:20], v[21:22], v[19:20], v[19:20]
	v_mul_f64 v[21:22], v[23:24], v[19:20]
	v_mul_f64 v[27:28], v[17:18], v[21:22]
	v_fma_f64 v[17:18], v[21:22], v[17:18], -v[27:28]
	v_fma_f64 v[15:16], v[21:22], v[15:16], v[17:18]
	v_add_f64 v[17:18], v[27:28], v[15:16]
	v_add_f64 v[25:26], v[23:24], -v[17:18]
	v_add_f64 v[27:28], v[17:18], -v[27:28]
	;; [unrolled: 1-line block ×5, first 2 shown]
	v_mov_b32_e32 v23, 0x6b47b09a
	v_mov_b32_e32 v24, 0x3fc38538
	v_add_f64 v[15:16], v[15:16], v[17:18]
	v_add_f64 v[15:16], v[25:26], v[15:16]
	v_mul_f64 v[15:16], v[19:20], v[15:16]
	v_add_f64 v[17:18], v[21:22], v[15:16]
	v_mul_f64 v[19:20], v[17:18], v[17:18]
	v_fma_f64 v[23:24], v[19:20], s[14:15], v[23:24]
	s_mov_b32 s14, 0xd7f4df2e
	s_mov_b32 s15, 0x3fc7474d
	v_mul_f64 v[25:26], v[17:18], v[19:20]
	v_fma_f64 v[23:24], v[19:20], v[23:24], s[14:15]
	s_mov_b32 s14, 0x16291751
	s_mov_b32 s15, 0x3fcc71c0
	v_fma_f64 v[23:24], v[19:20], v[23:24], s[14:15]
	s_mov_b32 s14, 0x9b27acf1
	s_mov_b32 s15, 0x3fd24924
	v_fma_f64 v[23:24], v[19:20], v[23:24], s[14:15]
	s_mov_b32 s14, 0x998ef7b6
	s_mov_b32 s15, 0x3fd99999
	v_fma_f64 v[23:24], v[19:20], v[23:24], s[14:15]
	v_fma_f64 v[19:20], v[19:20], v[23:24], s[12:13]
	v_ldexp_f64 v[23:24], v[17:18], 1
	v_add_f64 v[17:18], v[17:18], -v[21:22]
	s_mov_b32 s12, 0xfefa39ef
	s_mov_b32 s13, 0x3fe62e42
	v_mul_f64 v[19:20], v[25:26], v[19:20]
	v_cvt_f64_i32_e32 v[25:26], v13
	v_add_f64 v[15:16], v[15:16], -v[17:18]
	v_mul_f64 v[27:28], v[25:26], s[12:13]
	v_add_f64 v[21:22], v[23:24], v[19:20]
	v_ldexp_f64 v[15:16], v[15:16], 1
	v_add_f64 v[17:18], v[21:22], -v[23:24]
	v_fma_f64 v[23:24], v[25:26], s[12:13], -v[27:28]
	s_mov_b32 s12, 0x3b39803f
	s_mov_b32 s13, 0x3c7abc9e
	v_add_f64 v[17:18], v[19:20], -v[17:18]
	v_fma_f64 v[19:20], v[25:26], s[12:13], v[23:24]
	v_add_f64 v[15:16], v[15:16], v[17:18]
	v_div_scale_f64 v[17:18], s[12:13], v[8:9], v[8:9], -0.5
	v_add_f64 v[23:24], v[27:28], v[19:20]
	s_movk_i32 s12, 0x204
	v_add_f64 v[25:26], v[21:22], v[15:16]
	v_add_f64 v[27:28], v[23:24], -v[27:28]
	v_add_f64 v[29:30], v[23:24], v[25:26]
	v_rcp_f64_e32 v[31:32], v[17:18]
	v_add_f64 v[21:22], v[25:26], -v[21:22]
	v_add_f64 v[19:20], v[19:20], -v[27:28]
	v_add_f64 v[33:34], v[29:30], -v[23:24]
	v_add_f64 v[15:16], v[15:16], -v[21:22]
	v_add_f64 v[35:36], v[29:30], -v[33:34]
	v_fma_f64 v[37:38], -v[17:18], v[31:32], 1.0
	v_add_f64 v[21:22], v[25:26], -v[33:34]
	v_add_f64 v[27:28], v[19:20], v[15:16]
	v_add_f64 v[23:24], v[23:24], -v[35:36]
	v_fma_f64 v[25:26], v[31:32], v[37:38], v[31:32]
	v_add_f64 v[33:34], v[27:28], -v[19:20]
	v_add_f64 v[21:22], v[21:22], v[23:24]
	v_div_scale_f64 v[23:24], vcc, -0.5, v[8:9], -0.5
	v_fma_f64 v[31:32], -v[17:18], v[25:26], 1.0
	v_add_f64 v[15:16], v[15:16], -v[33:34]
	v_add_f64 v[21:22], v[27:28], v[21:22]
	v_add_f64 v[27:28], v[27:28], -v[33:34]
	v_fma_f64 v[25:26], v[25:26], v[31:32], v[25:26]
	v_add_f64 v[31:32], v[29:30], v[21:22]
	v_add_f64 v[19:20], v[19:20], -v[27:28]
	v_mul_f64 v[35:36], v[23:24], v[25:26]
	v_add_f64 v[27:28], v[31:32], -v[29:30]
	v_add_f64 v[15:16], v[15:16], v[19:20]
	v_fma_f64 v[17:18], -v[17:18], v[35:36], v[23:24]
	v_add_f64 v[19:20], v[21:22], -v[27:28]
	v_div_fmas_f64 v[17:18], v[17:18], v[25:26], v[35:36]
	v_cmp_class_f64_e64 vcc, v[8:9], s12
	v_add_f64 v[15:16], v[15:16], v[19:20]
	v_add_f64 v[15:16], v[31:32], v[15:16]
	v_div_fixup_f64 v[17:18], v[17:18], v[8:9], -0.5
	v_cndmask_b32_e32 v9, v16, v9, vcc
	v_cndmask_b32_e32 v8, v15, v8, vcc
	v_add_f64 v[8:9], v[8:9], v[17:18]
	v_add_f64 v[4:5], v[8:9], -v[4:5]
	v_add_f64 v[4:5], v[11:12], v[4:5]
                                        ; implicit-def: $vgpr11_vgpr12
.LBB9_1534:
	s_andn2_saveexec_b64 s[6:7], s[6:7]
	s_cbranch_execz .LBB9_1536
; %bb.1535:
	s_mov_b32 s12, 0xdc85cc95
	s_mov_b32 s13, 0x40020396
	v_add_f64 v[4:5], v[11:12], s[12:13]
.LBB9_1536:
	s_or_b64 exec, exec, s[6:7]
.LBB9_1537:
	s_or_b64 exec, exec, s[0:1]
                                        ; implicit-def: $vgpr8_vgpr9
.LBB9_1538:
	s_andn2_saveexec_b64 s[0:1], s[4:5]
; %bb.1539:
	v_xor_b32_e32 v4, 0x80000000, v9
	s_brev_b32 s4, -2
	v_mov_b32_e32 v5, 0x7ff00000
	v_bfi_b32 v5, s4, v5, v4
	v_mov_b32_e32 v4, 0
; %bb.1540:
	s_or_b64 exec, exec, s[0:1]
	v_mov_b32_e32 v8, s11
	v_add_co_u32_e32 v7, vcc, s10, v7
	s_cmp_lt_i32 s19, 11
	v_addc_co_u32_e32 v8, vcc, 0, v8, vcc
	s_cbranch_scc1 .LBB9_1547
; %bb.1541:
	s_and_b32 s16, 0xffff, s19
	s_cmp_gt_i32 s16, 25
	s_mov_b64 s[4:5], 0
	s_cbranch_scc0 .LBB9_1549
; %bb.1542:
	s_cmp_gt_i32 s16, 28
	s_cbranch_scc0 .LBB9_1550
; %bb.1543:
	s_cmp_gt_i32 s16, 43
	;; [unrolled: 3-line block ×3, first 2 shown]
	s_cbranch_scc0 .LBB9_1553
; %bb.1545:
	s_cmp_eq_u32 s16, 46
	s_mov_b64 s[12:13], 0
	s_cbranch_scc0 .LBB9_1554
; %bb.1546:
	global_load_dword v9, v[7:8], off
	s_mov_b64 s[0:1], 0
	s_mov_b64 s[6:7], -1
	s_waitcnt vmcnt(0)
	v_lshlrev_b32_e32 v9, 16, v9
	v_cvt_f64_f32_e32 v[11:12], v9
	s_branch .LBB9_1555
.LBB9_1547:
	s_mov_b64 s[6:7], 0
                                        ; implicit-def: $vgpr11_vgpr12
	s_cbranch_execnz .LBB9_1621
.LBB9_1548:
	s_andn2_b64 vcc, exec, s[6:7]
	s_cbranch_vccnz .LBB9_1925
	s_branch .LBB9_1669
.LBB9_1549:
	s_mov_b64 s[12:13], -1
	s_mov_b64 s[6:7], 0
	s_mov_b64 s[0:1], 0
                                        ; implicit-def: $vgpr11_vgpr12
	s_branch .LBB9_1586
.LBB9_1550:
	s_mov_b64 s[12:13], -1
	s_mov_b64 s[6:7], 0
	s_mov_b64 s[0:1], 0
                                        ; implicit-def: $vgpr11_vgpr12
	s_branch .LBB9_1565
.LBB9_1551:
	s_mov_b64 s[12:13], -1
	s_mov_b64 s[6:7], 0
	s_mov_b64 s[0:1], 0
                                        ; implicit-def: $vgpr11_vgpr12
	s_branch .LBB9_1560
.LBB9_1552:
	s_trap 2
	s_or_b64 s[2:3], s[2:3], exec
	s_cbranch_execz .LBB9_1467
	s_branch .LBB9_1468
.LBB9_1553:
	s_mov_b64 s[12:13], -1
	s_mov_b64 s[6:7], 0
	s_mov_b64 s[0:1], 0
                                        ; implicit-def: $vgpr11_vgpr12
	s_branch .LBB9_1555
.LBB9_1554:
	s_mov_b64 s[0:1], -1
                                        ; implicit-def: $vgpr11_vgpr12
	s_mov_b64 s[6:7], 0
.LBB9_1555:
	s_and_b64 vcc, exec, s[12:13]
	s_cbranch_vccz .LBB9_1559
; %bb.1556:
	s_cmp_eq_u32 s16, 44
	s_cbranch_scc0 .LBB9_1558
; %bb.1557:
	global_load_ubyte v9, v[7:8], off
	s_movk_i32 s6, 0xff
	v_bfrev_b32_e32 v13, 4
	v_mov_b32_e32 v15, 0x7ff80000
	v_bfrev_b32_e32 v16, 28
	s_mov_b64 s[0:1], 0
	s_waitcnt vmcnt(0)
	v_lshlrev_b32_e32 v11, 23, v9
	v_cvt_f64_f32_e32 v[11:12], v11
	v_cmp_ne_u32_e32 vcc, s6, v9
	s_mov_b64 s[6:7], -1
	v_cndmask_b32_e32 v11, v13, v11, vcc
	v_cndmask_b32_e32 v12, v15, v12, vcc
	v_cmp_ne_u32_e32 vcc, 0, v9
	v_cndmask_b32_e32 v12, v16, v12, vcc
	v_cndmask_b32_e32 v11, 0, v11, vcc
	s_branch .LBB9_1559
.LBB9_1558:
	s_mov_b64 s[0:1], -1
                                        ; implicit-def: $vgpr11_vgpr12
.LBB9_1559:
	s_mov_b64 s[12:13], 0
.LBB9_1560:
	s_and_b64 vcc, exec, s[12:13]
	s_cbranch_vccz .LBB9_1564
; %bb.1561:
	s_cmp_eq_u32 s16, 29
	s_cbranch_scc0 .LBB9_1563
; %bb.1562:
	global_load_dwordx2 v[11:12], v[7:8], off
	s_mov_b64 s[0:1], 0
	s_mov_b64 s[6:7], -1
	s_mov_b64 s[12:13], 0
	s_waitcnt vmcnt(0)
	v_cvt_f64_u32_e32 v[12:13], v12
	v_cvt_f64_u32_e32 v[15:16], v11
	v_ldexp_f64 v[12:13], v[12:13], 32
	v_add_f64 v[11:12], v[12:13], v[15:16]
	s_branch .LBB9_1565
.LBB9_1563:
	s_mov_b64 s[0:1], -1
                                        ; implicit-def: $vgpr11_vgpr12
.LBB9_1564:
	s_mov_b64 s[12:13], 0
.LBB9_1565:
	s_and_b64 vcc, exec, s[12:13]
	s_cbranch_vccz .LBB9_1585
; %bb.1566:
	s_cmp_lt_i32 s16, 27
	s_cbranch_scc1 .LBB9_1569
; %bb.1567:
	s_cmp_gt_i32 s16, 27
	s_cbranch_scc0 .LBB9_1570
; %bb.1568:
	global_load_dword v9, v[7:8], off
	s_mov_b64 s[6:7], 0
	s_waitcnt vmcnt(0)
	v_cvt_f64_u32_e32 v[11:12], v9
	s_branch .LBB9_1571
.LBB9_1569:
	s_mov_b64 s[6:7], -1
                                        ; implicit-def: $vgpr11_vgpr12
	s_branch .LBB9_1574
.LBB9_1570:
	s_mov_b64 s[6:7], -1
                                        ; implicit-def: $vgpr11_vgpr12
.LBB9_1571:
	s_andn2_b64 vcc, exec, s[6:7]
	s_cbranch_vccnz .LBB9_1573
; %bb.1572:
	global_load_ushort v9, v[7:8], off
	s_waitcnt vmcnt(0)
	v_cvt_f64_u32_e32 v[11:12], v9
.LBB9_1573:
	s_mov_b64 s[6:7], 0
.LBB9_1574:
	s_andn2_b64 vcc, exec, s[6:7]
	s_cbranch_vccnz .LBB9_1584
; %bb.1575:
	global_load_ubyte v9, v[7:8], off
	s_movk_i32 s6, 0x7f
	s_waitcnt vmcnt(0)
	v_cmp_lt_i16_e32 vcc, s6, v9
	s_mov_b64 s[6:7], 0
	s_and_saveexec_b64 s[12:13], vcc
	s_xor_b64 s[12:13], exec, s[12:13]
	s_cbranch_execz .LBB9_1579
; %bb.1576:
	s_movk_i32 s6, 0x80
	v_cmp_eq_u16_e32 vcc, s6, v9
	s_mov_b64 s[6:7], -1
	s_and_saveexec_b64 s[14:15], vcc
; %bb.1577:
	s_xor_b64 s[6:7], exec, -1
; %bb.1578:
	s_or_b64 exec, exec, s[14:15]
	s_and_b64 s[6:7], s[6:7], exec
.LBB9_1579:
	s_or_saveexec_b64 s[12:13], s[12:13]
	v_bfrev_b32_e32 v11, 4
	v_mov_b32_e32 v12, 0x7ff80000
	s_xor_b64 exec, exec, s[12:13]
; %bb.1580:
	v_cmp_ne_u16_e32 vcc, 0, v9
	v_mov_b32_e32 v11, 0
	s_andn2_b64 s[6:7], s[6:7], exec
	s_and_b64 s[14:15], vcc, exec
	v_mov_b32_e32 v12, 0
	s_or_b64 s[6:7], s[6:7], s[14:15]
; %bb.1581:
	s_or_b64 exec, exec, s[12:13]
	s_and_saveexec_b64 s[12:13], s[6:7]
	s_cbranch_execz .LBB9_1583
; %bb.1582:
	v_lshlrev_b32_e32 v11, 24, v9
	v_and_b32_e32 v9, 0xffff, v9
	v_and_b32_e32 v12, 7, v9
	v_ffbh_u32_e32 v15, v12
	v_min_u32_e32 v15, 32, v15
	v_subrev_u32_e32 v16, 28, v15
	v_bfe_u32 v13, v9, 3, 4
	v_lshlrev_b32_e32 v9, v16, v9
	v_sub_u32_e32 v15, 29, v15
	v_and_b32_e32 v9, 7, v9
	v_cmp_eq_u32_e32 vcc, 0, v13
	v_cndmask_b32_e32 v13, v13, v15, vcc
	v_cndmask_b32_e32 v9, v12, v9, vcc
	v_mov_b32_e32 v12, 0x3b800000
	v_lshlrev_b32_e32 v9, 20, v9
	v_and_b32_e32 v11, 0x80000000, v11
	v_lshl_add_u32 v12, v13, 23, v12
	v_or3_b32 v9, v11, v12, v9
	v_cvt_f64_f32_e32 v[11:12], v9
.LBB9_1583:
	s_or_b64 exec, exec, s[12:13]
.LBB9_1584:
	s_mov_b64 s[6:7], -1
.LBB9_1585:
	s_mov_b64 s[12:13], 0
.LBB9_1586:
	s_and_b64 vcc, exec, s[12:13]
	s_cbranch_vccz .LBB9_1617
; %bb.1587:
	s_cmp_gt_i32 s16, 22
	s_cbranch_scc0 .LBB9_1599
; %bb.1588:
	s_cmp_lt_i32 s16, 24
	s_cbranch_scc1 .LBB9_1600
; %bb.1589:
	s_cmp_gt_i32 s16, 24
	s_cbranch_scc0 .LBB9_1601
; %bb.1590:
	global_load_ubyte v9, v[7:8], off
	s_movk_i32 s4, 0x7f
	s_waitcnt vmcnt(0)
	v_cmp_lt_i16_e32 vcc, s4, v9
	s_mov_b64 s[4:5], 0
	s_and_saveexec_b64 s[6:7], vcc
	s_xor_b64 s[6:7], exec, s[6:7]
	s_cbranch_execz .LBB9_1594
; %bb.1591:
	s_movk_i32 s4, 0x80
	v_cmp_eq_u16_e32 vcc, s4, v9
	s_mov_b64 s[4:5], -1
	s_and_saveexec_b64 s[12:13], vcc
; %bb.1592:
	s_xor_b64 s[4:5], exec, -1
; %bb.1593:
	s_or_b64 exec, exec, s[12:13]
	s_and_b64 s[4:5], s[4:5], exec
.LBB9_1594:
	s_or_saveexec_b64 s[6:7], s[6:7]
	v_bfrev_b32_e32 v11, 4
	v_mov_b32_e32 v12, 0x7ff80000
	s_xor_b64 exec, exec, s[6:7]
; %bb.1595:
	v_cmp_ne_u16_e32 vcc, 0, v9
	v_mov_b32_e32 v11, 0
	s_andn2_b64 s[4:5], s[4:5], exec
	s_and_b64 s[12:13], vcc, exec
	v_mov_b32_e32 v12, 0
	s_or_b64 s[4:5], s[4:5], s[12:13]
; %bb.1596:
	s_or_b64 exec, exec, s[6:7]
	s_and_saveexec_b64 s[6:7], s[4:5]
	s_cbranch_execz .LBB9_1598
; %bb.1597:
	v_lshlrev_b32_e32 v11, 24, v9
	v_and_b32_e32 v9, 0xffff, v9
	v_and_b32_e32 v12, 3, v9
	v_ffbh_u32_e32 v15, v12
	v_min_u32_e32 v15, 32, v15
	v_subrev_u32_e32 v16, 29, v15
	v_bfe_u32 v13, v9, 2, 5
	v_lshlrev_b32_e32 v9, v16, v9
	v_sub_u32_e32 v15, 30, v15
	v_and_b32_e32 v9, 3, v9
	v_cmp_eq_u32_e32 vcc, 0, v13
	v_cndmask_b32_e32 v13, v13, v15, vcc
	v_cndmask_b32_e32 v9, v12, v9, vcc
	v_mov_b32_e32 v12, 0x37800000
	v_lshlrev_b32_e32 v9, 21, v9
	v_and_b32_e32 v11, 0x80000000, v11
	v_lshl_add_u32 v12, v13, 23, v12
	v_or3_b32 v9, v11, v12, v9
	v_cvt_f64_f32_e32 v[11:12], v9
.LBB9_1598:
	s_or_b64 exec, exec, s[6:7]
	s_mov_b64 s[4:5], 0
	s_branch .LBB9_1602
.LBB9_1599:
	s_mov_b64 s[4:5], -1
                                        ; implicit-def: $vgpr11_vgpr12
	s_branch .LBB9_1608
.LBB9_1600:
	s_mov_b64 s[4:5], -1
                                        ; implicit-def: $vgpr11_vgpr12
	s_branch .LBB9_1605
.LBB9_1601:
	s_mov_b64 s[4:5], -1
                                        ; implicit-def: $vgpr11_vgpr12
.LBB9_1602:
	s_and_b64 vcc, exec, s[4:5]
	s_cbranch_vccz .LBB9_1604
; %bb.1603:
	global_load_ubyte v9, v[7:8], off
	s_mov_b32 s4, 0x7f800000
	s_waitcnt vmcnt(0)
	v_lshlrev_b32_e32 v9, 24, v9
	v_and_b32_e32 v11, 0x7f000000, v9
	v_ffbh_u32_e32 v12, v11
	v_min_u32_e32 v12, 32, v12
	v_sub_u32_e64 v12, v12, 4 clamp
	v_lshlrev_b32_e32 v15, v12, v11
	v_lshlrev_b32_e32 v12, 23, v12
	v_lshrrev_b32_e32 v15, 4, v15
	v_add_u32_e32 v13, 0x1000000, v11
	v_sub_u32_e32 v12, v15, v12
	v_ashrrev_i32_e32 v13, 8, v13
	v_add_u32_e32 v12, 0x3c000000, v12
	v_and_or_b32 v12, v13, s4, v12
	v_cmp_ne_u32_e32 vcc, 0, v11
	v_cndmask_b32_e32 v11, 0, v12, vcc
	s_brev_b32 s4, 1
	v_and_or_b32 v9, v9, s4, v11
	v_cvt_f64_f32_e32 v[11:12], v9
.LBB9_1604:
	s_mov_b64 s[4:5], 0
.LBB9_1605:
	s_andn2_b64 vcc, exec, s[4:5]
	s_cbranch_vccnz .LBB9_1607
; %bb.1606:
	global_load_ubyte v9, v[7:8], off
	s_movk_i32 s4, 0x7f00
	s_brev_b32 s5, 16
	s_waitcnt vmcnt(0)
	v_lshlrev_b16_e32 v11, 8, v9
	v_lshlrev_b32_e32 v9, 25, v9
	v_lshrrev_b32_e32 v12, 4, v9
	v_and_or_b32 v13, v11, s4, 0.5
	v_or_b32_e32 v12, 0x70000000, v12
	v_add_f32_e32 v13, -0.5, v13
	v_mul_f32_e32 v12, 0x7800000, v12
	v_cmp_gt_u32_e32 vcc, s5, v9
	v_bfe_i32 v11, v11, 0, 16
	v_cndmask_b32_e32 v9, v12, v13, vcc
	s_brev_b32 s4, 1
	v_and_or_b32 v9, v11, s4, v9
	v_cvt_f64_f32_e32 v[11:12], v9
.LBB9_1607:
	s_mov_b64 s[4:5], 0
	s_mov_b64 s[6:7], -1
.LBB9_1608:
	s_andn2_b64 vcc, exec, s[4:5]
	s_mov_b64 s[4:5], 0
	s_cbranch_vccnz .LBB9_1617
; %bb.1609:
	s_cmp_gt_i32 s16, 14
	s_cbranch_scc0 .LBB9_1612
; %bb.1610:
	s_cmp_eq_u32 s16, 15
	s_cbranch_scc0 .LBB9_1613
; %bb.1611:
	global_load_ushort v9, v[7:8], off
	s_mov_b64 s[0:1], 0
	s_mov_b64 s[6:7], -1
	s_waitcnt vmcnt(0)
	v_lshlrev_b32_e32 v9, 16, v9
	v_cvt_f64_f32_e32 v[11:12], v9
	s_branch .LBB9_1614
.LBB9_1612:
	s_mov_b64 s[12:13], -1
                                        ; implicit-def: $vgpr11_vgpr12
	s_branch .LBB9_1615
.LBB9_1613:
	s_mov_b64 s[0:1], -1
                                        ; implicit-def: $vgpr11_vgpr12
.LBB9_1614:
	s_mov_b64 s[12:13], 0
.LBB9_1615:
	s_and_b64 vcc, exec, s[12:13]
	s_cbranch_vccz .LBB9_1617
; %bb.1616:
	s_cmp_lg_u32 s16, 11
	s_mov_b64 s[4:5], -1
	s_cselect_b64 s[0:1], -1, 0
.LBB9_1617:
	s_and_b64 vcc, exec, s[0:1]
	s_cbranch_vccnz .LBB9_1704
; %bb.1618:
	s_andn2_b64 vcc, exec, s[4:5]
	s_cbranch_vccnz .LBB9_1620
.LBB9_1619:
	global_load_ubyte v9, v[7:8], off
	v_mov_b32_e32 v12, 0x3ff00000
	v_mov_b32_e32 v11, 0
	s_mov_b64 s[6:7], -1
	s_waitcnt vmcnt(0)
	v_cmp_ne_u16_e32 vcc, 0, v9
	v_cndmask_b32_e32 v12, 0, v12, vcc
.LBB9_1620:
	s_branch .LBB9_1548
.LBB9_1621:
	s_and_b32 s4, 0xffff, s19
	s_cmp_lt_i32 s4, 5
	s_cbranch_scc1 .LBB9_1626
; %bb.1622:
	s_cmp_lt_i32 s4, 8
	s_cbranch_scc1 .LBB9_1627
; %bb.1623:
	;; [unrolled: 3-line block ×3, first 2 shown]
	s_cmp_gt_i32 s4, 9
	s_cbranch_scc0 .LBB9_1629
; %bb.1625:
	global_load_dwordx2 v[11:12], v[7:8], off
	s_mov_b64 s[0:1], 0
	s_branch .LBB9_1630
.LBB9_1626:
	s_mov_b64 s[0:1], -1
                                        ; implicit-def: $vgpr11_vgpr12
	s_branch .LBB9_1648
.LBB9_1627:
	s_mov_b64 s[0:1], -1
                                        ; implicit-def: $vgpr11_vgpr12
	s_branch .LBB9_1636
.LBB9_1628:
	s_mov_b64 s[0:1], -1
                                        ; implicit-def: $vgpr11_vgpr12
	s_branch .LBB9_1633
.LBB9_1629:
	s_mov_b64 s[0:1], -1
                                        ; implicit-def: $vgpr11_vgpr12
.LBB9_1630:
	s_andn2_b64 vcc, exec, s[0:1]
	s_cbranch_vccnz .LBB9_1632
; %bb.1631:
	global_load_dword v9, v[7:8], off
	s_waitcnt vmcnt(0)
	v_cvt_f64_f32_e32 v[11:12], v9
.LBB9_1632:
	s_mov_b64 s[0:1], 0
.LBB9_1633:
	s_andn2_b64 vcc, exec, s[0:1]
	s_cbranch_vccnz .LBB9_1635
; %bb.1634:
	global_load_dword v9, v[7:8], off
	s_waitcnt vmcnt(0)
	v_cvt_f32_f16_e32 v9, v9
	v_cvt_f64_f32_e32 v[11:12], v9
.LBB9_1635:
	s_mov_b64 s[0:1], 0
.LBB9_1636:
	s_andn2_b64 vcc, exec, s[0:1]
	s_cbranch_vccnz .LBB9_1647
; %bb.1637:
	s_cmp_lt_i32 s4, 6
	s_cbranch_scc1 .LBB9_1640
; %bb.1638:
	s_cmp_gt_i32 s4, 6
	s_cbranch_scc0 .LBB9_1641
; %bb.1639:
	global_load_dwordx2 v[11:12], v[7:8], off
	s_mov_b64 s[0:1], 0
	s_branch .LBB9_1642
.LBB9_1640:
	s_mov_b64 s[0:1], -1
                                        ; implicit-def: $vgpr11_vgpr12
	s_branch .LBB9_1645
.LBB9_1641:
	s_mov_b64 s[0:1], -1
                                        ; implicit-def: $vgpr11_vgpr12
.LBB9_1642:
	s_andn2_b64 vcc, exec, s[0:1]
	s_cbranch_vccnz .LBB9_1644
; %bb.1643:
	global_load_dword v9, v[7:8], off
	s_waitcnt vmcnt(0)
	v_cvt_f64_f32_e32 v[11:12], v9
.LBB9_1644:
	s_mov_b64 s[0:1], 0
.LBB9_1645:
	s_andn2_b64 vcc, exec, s[0:1]
	s_cbranch_vccnz .LBB9_1647
; %bb.1646:
	global_load_ushort v9, v[7:8], off
	s_waitcnt vmcnt(0)
	v_cvt_f32_f16_e32 v9, v9
	v_cvt_f64_f32_e32 v[11:12], v9
.LBB9_1647:
	s_mov_b64 s[0:1], 0
.LBB9_1648:
	s_andn2_b64 vcc, exec, s[0:1]
	s_cbranch_vccnz .LBB9_1668
; %bb.1649:
	s_cmp_lt_i32 s4, 2
	s_cbranch_scc1 .LBB9_1653
; %bb.1650:
	s_cmp_lt_i32 s4, 3
	s_cbranch_scc1 .LBB9_1654
; %bb.1651:
	s_cmp_gt_i32 s4, 3
	s_cbranch_scc0 .LBB9_1655
; %bb.1652:
	global_load_dwordx2 v[11:12], v[7:8], off
	s_mov_b64 s[0:1], 0
	s_waitcnt vmcnt(0)
	v_cvt_f64_i32_e32 v[12:13], v12
	v_cvt_f64_u32_e32 v[15:16], v11
	v_ldexp_f64 v[12:13], v[12:13], 32
	v_add_f64 v[11:12], v[12:13], v[15:16]
	s_branch .LBB9_1656
.LBB9_1653:
	s_mov_b64 s[0:1], -1
                                        ; implicit-def: $vgpr11_vgpr12
	s_branch .LBB9_1662
.LBB9_1654:
	s_mov_b64 s[0:1], -1
                                        ; implicit-def: $vgpr11_vgpr12
	s_branch .LBB9_1659
.LBB9_1655:
	s_mov_b64 s[0:1], -1
                                        ; implicit-def: $vgpr11_vgpr12
.LBB9_1656:
	s_andn2_b64 vcc, exec, s[0:1]
	s_cbranch_vccnz .LBB9_1658
; %bb.1657:
	global_load_dword v9, v[7:8], off
	s_waitcnt vmcnt(0)
	v_cvt_f64_i32_e32 v[11:12], v9
.LBB9_1658:
	s_mov_b64 s[0:1], 0
.LBB9_1659:
	s_andn2_b64 vcc, exec, s[0:1]
	s_cbranch_vccnz .LBB9_1661
; %bb.1660:
	global_load_sshort v9, v[7:8], off
	s_waitcnt vmcnt(0)
	v_cvt_f64_i32_e32 v[11:12], v9
.LBB9_1661:
	s_mov_b64 s[0:1], 0
.LBB9_1662:
	s_andn2_b64 vcc, exec, s[0:1]
	s_cbranch_vccnz .LBB9_1668
; %bb.1663:
	s_cmp_gt_i32 s4, 0
	s_cbranch_scc0 .LBB9_1665
; %bb.1664:
	global_load_sbyte v9, v[7:8], off
	s_mov_b64 s[0:1], 0
	s_waitcnt vmcnt(0)
	v_cvt_f64_i32_e32 v[11:12], v9
	s_branch .LBB9_1666
.LBB9_1665:
	s_mov_b64 s[0:1], -1
                                        ; implicit-def: $vgpr11_vgpr12
.LBB9_1666:
	s_andn2_b64 vcc, exec, s[0:1]
	s_cbranch_vccnz .LBB9_1668
; %bb.1667:
	global_load_ubyte v7, v[7:8], off
	s_waitcnt vmcnt(0)
	v_cvt_f64_u32_e32 v[11:12], v7
.LBB9_1668:
.LBB9_1669:
	s_waitcnt vmcnt(0)
	v_cmp_neq_f64_e32 vcc, 0, v[11:12]
                                        ; implicit-def: $vgpr8_vgpr9
	s_and_saveexec_b64 s[0:1], vcc
	s_xor_b64 s[4:5], exec, s[0:1]
	s_cbranch_execz .LBB9_1691
; %bb.1670:
	v_cmp_gt_f64_e32 vcc, 0, v[11:12]
	v_mov_b32_e32 v15, 0
	v_mov_b32_e32 v16, 0
	s_mov_b64 s[12:13], -1
	s_and_saveexec_b64 s[6:7], vcc
	s_cbranch_execz .LBB9_1678
; %bb.1671:
	v_trunc_f64_e32 v[7:8], v[11:12]
	v_mov_b32_e32 v15, 0
	v_mov_b32_e32 v16, 0
	s_mov_b64 s[14:15], 0
	v_cmp_neq_f64_e32 vcc, v[11:12], v[7:8]
	s_and_saveexec_b64 s[12:13], vcc
	s_cbranch_execz .LBB9_1677
; %bb.1672:
	v_add_f64 v[7:8], v[11:12], -v[7:8]
	s_mov_b32 s16, 0
	s_mov_b32 s1, 0xc00921fb
	s_mov_b32 s0, 0x54442d18
	s_mov_b32 s17, 0x7ff00000
	v_cmp_neq_f64_e64 vcc, |v[11:12]|, s[16:17]
	v_bfrev_b32_e32 v9, 1
	s_mov_b32 s14, 0
	v_mul_f64 v[7:8], |v[7:8]|, s[0:1]
	s_mov_b32 s15, 0x41d00000
                                        ; implicit-def: $vgpr15_vgpr16
                                        ; implicit-def: $vgpr17_vgpr18
	v_cndmask_b32_e32 v8, v9, v8, vcc
	v_cndmask_b32_e32 v7, 0, v7, vcc
	v_cmp_nlt_f64_e64 s[14:15], |v[7:8]|, s[14:15]
                                        ; implicit-def: $vgpr9
	s_and_saveexec_b64 s[20:21], s[14:15]
	s_xor_b64 s[14:15], exec, s[20:21]
	s_cbranch_execz .LBB9_1674
; %bb.1673:
	v_trig_preop_f64 v[15:16], |v[7:8]|, 0
	s_mov_b32 s20, 0
	s_mov_b32 s21, 0x7b000000
	s_movk_i32 s1, 0xff80
	v_ldexp_f64 v[19:20], |v[7:8]|, s1
	v_cmp_ge_f64_e64 vcc, |v[7:8]|, s[20:21]
	v_trig_preop_f64 v[17:18], |v[7:8]|, 1
	v_and_b32_e32 v9, 0x7fffffff, v8
	v_trig_preop_f64 v[27:28], |v[7:8]|, 2
	v_mov_b32_e32 v37, 0
	v_mov_b32_e32 v13, 0x3ff00000
	s_mov_b32 s1, 0x3ff921fb
	v_cndmask_b32_e32 v20, v9, v20, vcc
	v_cndmask_b32_e32 v19, v7, v19, vcc
	v_mov_b32_e32 v9, 0x40100000
	v_mul_f64 v[21:22], v[15:16], v[19:20]
	v_mul_f64 v[23:24], v[17:18], v[19:20]
	;; [unrolled: 1-line block ×3, first 2 shown]
	v_fma_f64 v[15:16], v[15:16], v[19:20], -v[21:22]
	v_fma_f64 v[17:18], v[17:18], v[19:20], -v[23:24]
	;; [unrolled: 1-line block ×3, first 2 shown]
	v_add_f64 v[25:26], v[23:24], v[15:16]
	v_add_f64 v[29:30], v[25:26], -v[23:24]
	v_add_f64 v[35:36], v[21:22], v[25:26]
	v_add_f64 v[31:32], v[25:26], -v[29:30]
	v_add_f64 v[15:16], v[15:16], -v[29:30]
	v_add_f64 v[29:30], v[33:34], v[17:18]
	v_add_f64 v[21:22], v[35:36], -v[21:22]
	v_add_f64 v[23:24], v[23:24], -v[31:32]
	v_ldexp_f64 v[31:32], v[35:36], -2
	v_add_f64 v[39:40], v[29:30], -v[33:34]
	v_add_f64 v[21:22], v[25:26], -v[21:22]
	v_add_f64 v[15:16], v[15:16], v[23:24]
	v_fract_f64_e32 v[23:24], v[31:32]
	v_cmp_neq_f64_e64 vcc, |v[31:32]|, s[16:17]
	v_add_f64 v[17:18], v[17:18], -v[39:40]
	s_mov_b32 s16, 0x33145c07
	s_mov_b32 s17, 0x3c91a626
	v_add_f64 v[25:26], v[29:30], v[15:16]
	v_ldexp_f64 v[23:24], v[23:24], 2
	v_add_f64 v[31:32], v[21:22], v[25:26]
	v_cndmask_b32_e32 v24, 0, v24, vcc
	v_cndmask_b32_e32 v23, 0, v23, vcc
	v_add_f64 v[41:42], v[25:26], -v[29:30]
	v_add_f64 v[35:36], v[31:32], v[23:24]
	v_add_f64 v[21:22], v[31:32], -v[21:22]
	v_add_f64 v[43:44], v[25:26], -v[41:42]
	;; [unrolled: 1-line block ×3, first 2 shown]
	v_cmp_gt_f64_e32 vcc, 0, v[35:36]
	v_add_f64 v[35:36], v[29:30], -v[39:40]
	v_add_f64 v[21:22], v[25:26], -v[21:22]
	;; [unrolled: 1-line block ×3, first 2 shown]
	v_cndmask_b32_e32 v38, 0, v9, vcc
	v_add_f64 v[23:24], v[23:24], v[37:38]
	v_add_f64 v[35:36], v[33:34], -v[35:36]
	v_add_f64 v[15:16], v[15:16], v[29:30]
	v_add_f64 v[45:46], v[31:32], v[23:24]
	v_add_f64 v[17:18], v[17:18], v[35:36]
	v_cvt_i32_f64_e32 v9, v[45:46]
	v_add_f64 v[15:16], v[17:18], v[15:16]
	v_cvt_f64_i32_e32 v[38:39], v9
	v_add_f64 v[23:24], v[23:24], -v[38:39]
	v_add_f64 v[15:16], v[19:20], v[15:16]
	v_add_f64 v[17:18], v[31:32], v[23:24]
	;; [unrolled: 1-line block ×3, first 2 shown]
	v_add_f64 v[19:20], v[17:18], -v[23:24]
	v_cmp_le_f64_e32 vcc, 0.5, v[17:18]
	v_add_f64 v[19:20], v[31:32], -v[19:20]
	v_cndmask_b32_e32 v38, 0, v13, vcc
	v_add_f64 v[17:18], v[17:18], -v[37:38]
	v_addc_co_u32_e32 v9, vcc, 0, v9, vcc
	v_add_f64 v[15:16], v[15:16], v[19:20]
	v_add_f64 v[19:20], v[17:18], v[15:16]
	v_mul_f64 v[21:22], v[19:20], s[0:1]
	v_add_f64 v[17:18], v[19:20], -v[17:18]
	v_fma_f64 v[23:24], v[19:20], s[0:1], -v[21:22]
	v_add_f64 v[15:16], v[15:16], -v[17:18]
	v_fma_f64 v[17:18], v[19:20], s[16:17], v[23:24]
	v_fma_f64 v[17:18], v[15:16], s[0:1], v[17:18]
	v_add_f64 v[15:16], v[21:22], v[17:18]
	v_add_f64 v[19:20], v[15:16], -v[21:22]
	v_add_f64 v[17:18], v[17:18], -v[19:20]
.LBB9_1674:
	s_andn2_saveexec_b64 s[0:1], s[14:15]
	s_cbranch_execz .LBB9_1676
; %bb.1675:
	s_mov_b32 s14, 0x6dc9c883
	s_mov_b32 s15, 0x3fe45f30
	v_mul_f64 v[15:16], |v[7:8]|, s[14:15]
	s_mov_b32 s14, 0x54442d18
	s_mov_b32 s15, 0xbff921fb
	;; [unrolled: 1-line block ×4, first 2 shown]
	v_rndne_f64_e32 v[19:20], v[15:16]
	v_fma_f64 v[15:16], v[19:20], s[14:15], |v[7:8]|
	v_mul_f64 v[17:18], v[19:20], s[16:17]
	s_mov_b32 s14, 0x252049c0
	s_mov_b32 s15, 0xb97b839a
	v_cvt_i32_f64_e32 v9, v[19:20]
	v_fma_f64 v[25:26], v[19:20], s[16:17], v[15:16]
	v_add_f64 v[21:22], v[15:16], v[17:18]
	s_mov_b32 s17, 0x3c91a626
	v_add_f64 v[23:24], v[15:16], -v[21:22]
	v_add_f64 v[21:22], v[21:22], -v[25:26]
	v_add_f64 v[15:16], v[23:24], v[17:18]
	v_fma_f64 v[17:18], v[19:20], s[16:17], v[17:18]
	v_add_f64 v[15:16], v[21:22], v[15:16]
	v_add_f64 v[15:16], v[15:16], -v[17:18]
	v_fma_f64 v[17:18], v[19:20], s[14:15], v[15:16]
	v_add_f64 v[15:16], v[25:26], v[17:18]
	v_add_f64 v[21:22], v[15:16], -v[25:26]
	v_add_f64 v[17:18], v[17:18], -v[21:22]
.LBB9_1676:
	s_or_b64 exec, exec, s[0:1]
	v_mul_f64 v[19:20], v[15:16], v[15:16]
	v_add_f64 v[21:22], v[17:18], v[17:18]
	s_mov_b32 s0, 0xc751c08c
	s_mov_b32 s1, 0x3ef5e089
	v_and_b32_e32 v9, 1, v9
	v_cmp_eq_u32_e32 vcc, 0, v9
	v_and_b32_e32 v13, 0x80000000, v8
	s_mov_b32 s16, 0x54442d18
	v_fma_f64 v[23:24], v[15:16], v[15:16], -v[19:20]
	s_mov_b32 s17, 0xc00921fb
	v_add_f64 v[11:12], -v[11:12], 1.0
	s_mov_b64 s[14:15], exec
	v_fma_f64 v[21:22], v[15:16], v[21:22], v[23:24]
	v_add_f64 v[19:20], v[19:20], v[21:22]
	v_mov_b32_e32 v21, 0xa9a29f71
	v_mov_b32_e32 v22, 0xbf078809
	v_fma_f64 v[21:22], v[19:20], s[0:1], v[21:22]
	s_mov_b32 s0, 0x90a8aae0
	s_mov_b32 s1, 0x3f17746f
	v_fma_f64 v[21:22], v[19:20], v[21:22], s[0:1]
	s_mov_b32 s0, 0xa6fbf144
	s_mov_b32 s1, 0xbefbb44d
	;; [unrolled: 3-line block ×12, first 2 shown]
	v_fma_f64 v[21:22], v[19:20], v[21:22], s[0:1]
	s_movk_i32 s0, 0x1f8
	v_cmp_class_f64_e64 s[0:1], v[7:8], s0
	v_mov_b32_e32 v8, 0x7ff80000
	v_mul_f64 v[19:20], v[19:20], v[21:22]
	v_mul_f64 v[21:22], v[15:16], v[19:20]
	v_add_f64 v[23:24], v[15:16], v[21:22]
	v_fma_f64 v[19:20], v[15:16], v[19:20], -v[21:22]
	v_add_f64 v[15:16], v[23:24], -v[15:16]
	v_add_f64 v[17:18], v[17:18], v[19:20]
	v_add_f64 v[15:16], v[21:22], -v[15:16]
	v_add_f64 v[15:16], v[17:18], v[15:16]
	v_add_f64 v[17:18], v[23:24], v[15:16]
	v_rcp_f64_e32 v[19:20], v[17:18]
	v_fma_f64 v[21:22], -v[17:18], v[19:20], 1.0
	v_fma_f64 v[19:20], v[21:22], v[19:20], v[19:20]
	v_fma_f64 v[21:22], -v[17:18], v[19:20], 1.0
	v_fma_f64 v[19:20], v[21:22], v[19:20], v[19:20]
	v_add_f64 v[21:22], v[17:18], -v[23:24]
	v_mul_f64 v[23:24], v[17:18], v[19:20]
	v_add_f64 v[15:16], v[15:16], -v[21:22]
	v_fma_f64 v[21:22], v[19:20], v[17:18], -v[23:24]
	v_fma_f64 v[15:16], v[19:20], v[15:16], v[21:22]
	v_add_f64 v[21:22], v[23:24], v[15:16]
	v_add_f64 v[25:26], -v[21:22], 1.0
	v_add_f64 v[23:24], v[21:22], -v[23:24]
	v_add_f64 v[27:28], -v[25:26], 1.0
	v_add_f64 v[15:16], v[23:24], -v[15:16]
	v_add_f64 v[21:22], v[27:28], -v[21:22]
	v_add_f64 v[15:16], v[15:16], v[21:22]
	v_add_f64 v[15:16], v[25:26], v[15:16]
	v_mul_f64 v[15:16], v[19:20], v[15:16]
	v_add_f64 v[15:16], v[19:20], v[15:16]
	v_xor_b32_e32 v7, 0x80000000, v16
	v_cndmask_b32_e32 v9, v15, v17, vcc
	v_cndmask_b32_e32 v15, v7, v18, vcc
	v_cndmask_b32_e64 v7, 0, v9, s[0:1]
	v_xor_b32_e32 v9, v15, v13
	v_cndmask_b32_e64 v8, v8, v9, s[0:1]
	v_div_scale_f64 v[15:16], s[0:1], v[7:8], v[7:8], s[16:17]
	v_rcp_f64_e32 v[17:18], v[15:16]
	v_fma_f64 v[19:20], -v[15:16], v[17:18], 1.0
	v_fma_f64 v[17:18], v[17:18], v[19:20], v[17:18]
	v_div_scale_f64 v[19:20], vcc, s[16:17], v[7:8], s[16:17]
	v_fma_f64 v[21:22], -v[15:16], v[17:18], 1.0
	v_fma_f64 v[17:18], v[17:18], v[21:22], v[17:18]
	v_mul_f64 v[21:22], v[19:20], v[17:18]
	v_fma_f64 v[15:16], -v[15:16], v[21:22], v[19:20]
	v_div_fmas_f64 v[15:16], v[15:16], v[17:18], v[21:22]
	v_div_fixup_f64 v[15:16], v[15:16], v[7:8], s[16:17]
.LBB9_1677:
	s_or_b64 exec, exec, s[12:13]
	s_orn2_b64 s[12:13], s[14:15], exec
.LBB9_1678:
	s_or_b64 exec, exec, s[6:7]
	v_mov_b32_e32 v8, 0
	v_mov_b32_e32 v9, 0x7ff80000
	s_and_saveexec_b64 s[0:1], s[12:13]
	s_cbranch_execz .LBB9_1690
; %bb.1679:
	s_mov_b32 s12, 0
	s_mov_b32 s13, 0x40240000
	v_cmp_gt_f64_e32 vcc, s[12:13], v[11:12]
	s_and_saveexec_b64 s[6:7], vcc
	s_cbranch_execz .LBB9_1683
; %bb.1680:
	s_mov_b64 s[14:15], 0
.LBB9_1681:                             ; =>This Inner Loop Header: Depth=1
	v_div_scale_f64 v[7:8], s[16:17], v[11:12], v[11:12], 1.0
	v_rcp_f64_e32 v[17:18], v[7:8]
	v_fma_f64 v[19:20], -v[7:8], v[17:18], 1.0
	v_fma_f64 v[17:18], v[17:18], v[19:20], v[17:18]
	v_div_scale_f64 v[19:20], vcc, 1.0, v[11:12], 1.0
	v_fma_f64 v[21:22], -v[7:8], v[17:18], 1.0
	v_fma_f64 v[17:18], v[17:18], v[21:22], v[17:18]
	v_mul_f64 v[21:22], v[19:20], v[17:18]
	v_fma_f64 v[7:8], -v[7:8], v[21:22], v[19:20]
	v_div_fmas_f64 v[7:8], v[7:8], v[17:18], v[21:22]
	v_div_fixup_f64 v[7:8], v[7:8], v[11:12], 1.0
	v_add_f64 v[11:12], v[11:12], 1.0
	v_add_f64 v[15:16], v[15:16], -v[7:8]
	v_cmp_ngt_f64_e32 vcc, s[12:13], v[11:12]
	s_or_b64 s[14:15], vcc, s[14:15]
	s_andn2_b64 exec, exec, s[14:15]
	s_cbranch_execnz .LBB9_1681
; %bb.1682:
	s_or_b64 exec, exec, s[14:15]
.LBB9_1683:
	s_or_b64 exec, exec, s[6:7]
	s_mov_b32 s6, 0
	s_mov_b32 s7, 0x40240000
	v_cmp_neq_f64_e32 vcc, s[6:7], v[11:12]
                                        ; implicit-def: $vgpr8_vgpr9
	s_and_saveexec_b64 s[6:7], vcc
	s_xor_b64 s[6:7], exec, s[6:7]
	s_cbranch_execz .LBB9_1687
; %bb.1684:
	s_mov_b32 s12, 0x85d8a000
	s_mov_b32 s13, 0x43763457
	v_cmp_gt_f64_e32 vcc, s[12:13], v[11:12]
	v_mov_b32_e32 v7, 0
	v_mov_b32_e32 v8, 0
	s_and_saveexec_b64 s[12:13], vcc
	s_cbranch_execz .LBB9_1686
; %bb.1685:
	v_mul_f64 v[7:8], v[11:12], v[11:12]
	s_mov_b32 s16, 0x95995996
	s_mov_b32 s17, 0xbf959959
	;; [unrolled: 1-line block ×4, first 2 shown]
	v_div_scale_f64 v[17:18], s[14:15], v[7:8], v[7:8], 1.0
	v_div_scale_f64 v[23:24], vcc, 1.0, v[7:8], 1.0
	s_mov_b32 s14, 0x55555555
	s_mov_b32 s15, 0x3fb55555
	v_rcp_f64_e32 v[19:20], v[17:18]
	v_fma_f64 v[21:22], -v[17:18], v[19:20], 1.0
	v_fma_f64 v[19:20], v[19:20], v[21:22], v[19:20]
	v_fma_f64 v[21:22], -v[17:18], v[19:20], 1.0
	v_fma_f64 v[19:20], v[19:20], v[21:22], v[19:20]
	v_mul_f64 v[21:22], v[23:24], v[19:20]
	v_fma_f64 v[17:18], -v[17:18], v[21:22], v[23:24]
	v_div_fmas_f64 v[17:18], v[17:18], v[19:20], v[21:22]
	v_div_fixup_f64 v[7:8], v[17:18], v[7:8], 1.0
	v_fma_f64 v[17:18], v[7:8], 0, s[14:15]
	v_fma_f64 v[17:18], v[7:8], v[17:18], s[16:17]
	s_mov_b32 s16, 0xf07c1f08
	s_mov_b32 s17, 0x3f7f07c1
	v_fma_f64 v[17:18], v[7:8], v[17:18], s[16:17]
	s_mov_b32 s17, 0xbf711111
	s_mov_b32 s16, 0x11111111
	v_fma_f64 v[17:18], v[7:8], v[17:18], s[16:17]
	s_mov_b32 s17, 0xbf811111
	v_fma_f64 v[17:18], v[7:8], v[17:18], s[20:21]
	v_fma_f64 v[17:18], v[7:8], v[17:18], s[16:17]
	;; [unrolled: 1-line block ×3, first 2 shown]
	v_mul_f64 v[7:8], v[7:8], v[17:18]
.LBB9_1686:
	s_or_b64 exec, exec, s[12:13]
	v_frexp_mant_f64_e32 v[17:18], v[11:12]
	s_mov_b32 s13, 0x3fe55555
	s_mov_b32 s12, 0x55555555
	;; [unrolled: 1-line block ×4, first 2 shown]
	v_cmp_gt_f64_e32 vcc, s[12:13], v[17:18]
	s_mov_b32 s12, 0x55555780
	v_cndmask_b32_e64 v9, 0, 1, vcc
	v_ldexp_f64 v[17:18], v[17:18], v9
	v_frexp_exp_i32_f64_e32 v9, v[11:12]
	v_add_f64 v[19:20], v[17:18], 1.0
	v_add_f64 v[25:26], v[17:18], -1.0
	v_subbrev_co_u32_e32 v9, vcc, 0, v9, vcc
	v_rcp_f64_e32 v[21:22], v[19:20]
	v_add_f64 v[27:28], v[19:20], -1.0
	v_add_f64 v[17:18], v[17:18], -v[27:28]
	v_fma_f64 v[23:24], -v[19:20], v[21:22], 1.0
	v_fma_f64 v[21:22], v[23:24], v[21:22], v[21:22]
	v_fma_f64 v[23:24], -v[19:20], v[21:22], 1.0
	v_fma_f64 v[21:22], v[23:24], v[21:22], v[21:22]
	v_mul_f64 v[23:24], v[25:26], v[21:22]
	v_mul_f64 v[29:30], v[19:20], v[23:24]
	v_fma_f64 v[19:20], v[23:24], v[19:20], -v[29:30]
	v_fma_f64 v[17:18], v[23:24], v[17:18], v[19:20]
	v_add_f64 v[19:20], v[29:30], v[17:18]
	v_add_f64 v[27:28], v[25:26], -v[19:20]
	v_add_f64 v[29:30], v[19:20], -v[29:30]
	;; [unrolled: 1-line block ×5, first 2 shown]
	v_mov_b32_e32 v25, 0x6b47b09a
	v_mov_b32_e32 v26, 0x3fc38538
	v_add_f64 v[17:18], v[17:18], v[19:20]
	v_add_f64 v[17:18], v[27:28], v[17:18]
	v_mul_f64 v[17:18], v[21:22], v[17:18]
	v_add_f64 v[19:20], v[23:24], v[17:18]
	v_mul_f64 v[21:22], v[19:20], v[19:20]
	v_fma_f64 v[25:26], v[21:22], s[14:15], v[25:26]
	s_mov_b32 s14, 0xd7f4df2e
	s_mov_b32 s15, 0x3fc7474d
	v_mul_f64 v[27:28], v[19:20], v[21:22]
	v_fma_f64 v[25:26], v[21:22], v[25:26], s[14:15]
	s_mov_b32 s14, 0x16291751
	s_mov_b32 s15, 0x3fcc71c0
	v_fma_f64 v[25:26], v[21:22], v[25:26], s[14:15]
	s_mov_b32 s14, 0x9b27acf1
	s_mov_b32 s15, 0x3fd24924
	;; [unrolled: 3-line block ×3, first 2 shown]
	v_fma_f64 v[25:26], v[21:22], v[25:26], s[14:15]
	v_fma_f64 v[21:22], v[21:22], v[25:26], s[12:13]
	v_ldexp_f64 v[25:26], v[19:20], 1
	v_add_f64 v[19:20], v[19:20], -v[23:24]
	s_mov_b32 s12, 0xfefa39ef
	s_mov_b32 s13, 0x3fe62e42
	v_mul_f64 v[21:22], v[27:28], v[21:22]
	v_cvt_f64_i32_e32 v[27:28], v9
	v_add_f64 v[17:18], v[17:18], -v[19:20]
	v_mul_f64 v[29:30], v[27:28], s[12:13]
	v_add_f64 v[23:24], v[25:26], v[21:22]
	v_ldexp_f64 v[17:18], v[17:18], 1
	v_add_f64 v[19:20], v[23:24], -v[25:26]
	v_fma_f64 v[25:26], v[27:28], s[12:13], -v[29:30]
	s_mov_b32 s12, 0x3b39803f
	s_mov_b32 s13, 0x3c7abc9e
	v_add_f64 v[19:20], v[21:22], -v[19:20]
	v_fma_f64 v[21:22], v[27:28], s[12:13], v[25:26]
	v_add_f64 v[17:18], v[17:18], v[19:20]
	v_div_scale_f64 v[19:20], s[12:13], v[11:12], v[11:12], -0.5
	v_add_f64 v[25:26], v[29:30], v[21:22]
	s_movk_i32 s12, 0x204
	v_add_f64 v[27:28], v[23:24], v[17:18]
	v_add_f64 v[29:30], v[25:26], -v[29:30]
	v_add_f64 v[31:32], v[25:26], v[27:28]
	v_rcp_f64_e32 v[33:34], v[19:20]
	v_add_f64 v[23:24], v[27:28], -v[23:24]
	v_add_f64 v[21:22], v[21:22], -v[29:30]
	;; [unrolled: 1-line block ×5, first 2 shown]
	v_fma_f64 v[39:40], -v[19:20], v[33:34], 1.0
	v_add_f64 v[23:24], v[27:28], -v[35:36]
	v_add_f64 v[29:30], v[21:22], v[17:18]
	v_add_f64 v[25:26], v[25:26], -v[37:38]
	v_fma_f64 v[27:28], v[33:34], v[39:40], v[33:34]
	v_add_f64 v[35:36], v[29:30], -v[21:22]
	v_add_f64 v[23:24], v[23:24], v[25:26]
	v_div_scale_f64 v[25:26], vcc, -0.5, v[11:12], -0.5
	v_fma_f64 v[33:34], -v[19:20], v[27:28], 1.0
	v_add_f64 v[17:18], v[17:18], -v[35:36]
	v_add_f64 v[23:24], v[29:30], v[23:24]
	v_add_f64 v[29:30], v[29:30], -v[35:36]
	v_fma_f64 v[27:28], v[27:28], v[33:34], v[27:28]
	v_add_f64 v[33:34], v[31:32], v[23:24]
	v_add_f64 v[21:22], v[21:22], -v[29:30]
	v_mul_f64 v[37:38], v[25:26], v[27:28]
	v_add_f64 v[29:30], v[33:34], -v[31:32]
	v_add_f64 v[17:18], v[17:18], v[21:22]
	v_fma_f64 v[19:20], -v[19:20], v[37:38], v[25:26]
	v_add_f64 v[21:22], v[23:24], -v[29:30]
	v_div_fmas_f64 v[19:20], v[19:20], v[27:28], v[37:38]
	v_cmp_class_f64_e64 vcc, v[11:12], s12
	v_add_f64 v[17:18], v[17:18], v[21:22]
	v_add_f64 v[17:18], v[33:34], v[17:18]
	v_div_fixup_f64 v[19:20], v[19:20], v[11:12], -0.5
	v_cndmask_b32_e32 v12, v18, v12, vcc
	v_cndmask_b32_e32 v11, v17, v11, vcc
	v_add_f64 v[11:12], v[11:12], v[19:20]
	v_add_f64 v[7:8], v[11:12], -v[7:8]
	v_add_f64 v[8:9], v[15:16], v[7:8]
                                        ; implicit-def: $vgpr15_vgpr16
.LBB9_1687:
	s_andn2_saveexec_b64 s[6:7], s[6:7]
	s_cbranch_execz .LBB9_1689
; %bb.1688:
	s_mov_b32 s12, 0xdc85cc95
	s_mov_b32 s13, 0x40020396
	v_add_f64 v[8:9], v[15:16], s[12:13]
.LBB9_1689:
	s_or_b64 exec, exec, s[6:7]
.LBB9_1690:
	s_or_b64 exec, exec, s[0:1]
                                        ; implicit-def: $vgpr11_vgpr12
.LBB9_1691:
	s_andn2_saveexec_b64 s[0:1], s[4:5]
; %bb.1692:
	v_xor_b32_e32 v7, 0x80000000, v12
	s_brev_b32 s4, -2
	v_mov_b32_e32 v8, 0x7ff00000
	v_bfi_b32 v9, s4, v8, v7
	v_mov_b32_e32 v8, 0
; %bb.1693:
	s_or_b64 exec, exec, s[0:1]
	v_mov_b32_e32 v7, s11
	v_add_co_u32_e32 v11, vcc, s10, v3
	s_cmp_lt_i32 s19, 11
	v_addc_co_u32_e32 v12, vcc, 0, v7, vcc
	s_cbranch_scc1 .LBB9_1700
; %bb.1694:
	s_and_b32 s14, 0xffff, s19
	s_cmp_gt_i32 s14, 25
	s_mov_b64 s[4:5], 0
	s_cbranch_scc0 .LBB9_1701
; %bb.1695:
	s_cmp_gt_i32 s14, 28
	s_cbranch_scc0 .LBB9_1702
; %bb.1696:
	s_cmp_gt_i32 s14, 43
	;; [unrolled: 3-line block ×3, first 2 shown]
	s_cbranch_scc0 .LBB9_1705
; %bb.1698:
	s_cmp_eq_u32 s14, 46
	s_mov_b64 s[10:11], 0
	s_cbranch_scc0 .LBB9_1706
; %bb.1699:
	global_load_dword v3, v[11:12], off
	s_mov_b64 s[0:1], 0
	s_mov_b64 s[6:7], -1
	s_waitcnt vmcnt(0)
	v_lshlrev_b32_e32 v3, 16, v3
	v_cvt_f64_f32_e32 v[15:16], v3
	s_branch .LBB9_1707
.LBB9_1700:
	s_mov_b64 s[0:1], -1
	s_mov_b64 s[6:7], 0
                                        ; implicit-def: $vgpr15_vgpr16
	s_branch .LBB9_1773
.LBB9_1701:
	s_mov_b64 s[10:11], -1
	s_mov_b64 s[6:7], 0
	s_mov_b64 s[0:1], 0
                                        ; implicit-def: $vgpr15_vgpr16
	s_branch .LBB9_1738
.LBB9_1702:
	s_mov_b64 s[10:11], -1
	s_mov_b64 s[6:7], 0
	s_mov_b64 s[0:1], 0
                                        ; implicit-def: $vgpr15_vgpr16
	s_branch .LBB9_1717
.LBB9_1703:
	s_mov_b64 s[10:11], -1
	s_mov_b64 s[6:7], 0
	s_mov_b64 s[0:1], 0
                                        ; implicit-def: $vgpr15_vgpr16
	s_branch .LBB9_1712
.LBB9_1704:
	s_trap 2
	s_or_b64 s[2:3], s[2:3], exec
	s_cbranch_execz .LBB9_1619
	s_branch .LBB9_1620
.LBB9_1705:
	s_mov_b64 s[10:11], -1
	s_mov_b64 s[6:7], 0
	s_mov_b64 s[0:1], 0
                                        ; implicit-def: $vgpr15_vgpr16
	s_branch .LBB9_1707
.LBB9_1706:
	s_mov_b64 s[0:1], -1
                                        ; implicit-def: $vgpr15_vgpr16
	s_mov_b64 s[6:7], 0
.LBB9_1707:
	s_and_b64 vcc, exec, s[10:11]
	s_cbranch_vccz .LBB9_1711
; %bb.1708:
	s_cmp_eq_u32 s14, 44
	s_cbranch_scc0 .LBB9_1710
; %bb.1709:
	global_load_ubyte v3, v[11:12], off
	s_movk_i32 s6, 0xff
	v_bfrev_b32_e32 v7, 4
	v_mov_b32_e32 v13, 0x7ff80000
	v_bfrev_b32_e32 v17, 28
	s_mov_b64 s[0:1], 0
	s_waitcnt vmcnt(0)
	v_lshlrev_b32_e32 v15, 23, v3
	v_cvt_f64_f32_e32 v[15:16], v15
	v_cmp_ne_u32_e32 vcc, s6, v3
	s_mov_b64 s[6:7], -1
	v_cndmask_b32_e32 v7, v7, v15, vcc
	v_cndmask_b32_e32 v13, v13, v16, vcc
	v_cmp_ne_u32_e32 vcc, 0, v3
	v_cndmask_b32_e32 v16, v17, v13, vcc
	v_cndmask_b32_e32 v15, 0, v7, vcc
	s_branch .LBB9_1711
.LBB9_1710:
	s_mov_b64 s[0:1], -1
                                        ; implicit-def: $vgpr15_vgpr16
.LBB9_1711:
	s_mov_b64 s[10:11], 0
.LBB9_1712:
	s_and_b64 vcc, exec, s[10:11]
	s_cbranch_vccz .LBB9_1716
; %bb.1713:
	s_cmp_eq_u32 s14, 29
	s_cbranch_scc0 .LBB9_1715
; %bb.1714:
	global_load_dwordx2 v[15:16], v[11:12], off
	s_mov_b64 s[0:1], 0
	s_mov_b64 s[6:7], -1
	s_mov_b64 s[10:11], 0
	s_waitcnt vmcnt(0)
	v_cvt_f64_u32_e32 v[16:17], v16
	v_cvt_f64_u32_e32 v[18:19], v15
	v_ldexp_f64 v[16:17], v[16:17], 32
	v_add_f64 v[15:16], v[16:17], v[18:19]
	s_branch .LBB9_1717
.LBB9_1715:
	s_mov_b64 s[0:1], -1
                                        ; implicit-def: $vgpr15_vgpr16
.LBB9_1716:
	s_mov_b64 s[10:11], 0
.LBB9_1717:
	s_and_b64 vcc, exec, s[10:11]
	s_cbranch_vccz .LBB9_1737
; %bb.1718:
	s_cmp_lt_i32 s14, 27
	s_cbranch_scc1 .LBB9_1721
; %bb.1719:
	s_cmp_gt_i32 s14, 27
	s_cbranch_scc0 .LBB9_1722
; %bb.1720:
	global_load_dword v3, v[11:12], off
	s_mov_b64 s[6:7], 0
	s_waitcnt vmcnt(0)
	v_cvt_f64_u32_e32 v[15:16], v3
	s_branch .LBB9_1723
.LBB9_1721:
	s_mov_b64 s[6:7], -1
                                        ; implicit-def: $vgpr15_vgpr16
	s_branch .LBB9_1726
.LBB9_1722:
	s_mov_b64 s[6:7], -1
                                        ; implicit-def: $vgpr15_vgpr16
.LBB9_1723:
	s_andn2_b64 vcc, exec, s[6:7]
	s_cbranch_vccnz .LBB9_1725
; %bb.1724:
	global_load_ushort v3, v[11:12], off
	s_waitcnt vmcnt(0)
	v_cvt_f64_u32_e32 v[15:16], v3
.LBB9_1725:
	s_mov_b64 s[6:7], 0
.LBB9_1726:
	s_andn2_b64 vcc, exec, s[6:7]
	s_cbranch_vccnz .LBB9_1736
; %bb.1727:
	global_load_ubyte v3, v[11:12], off
	s_movk_i32 s6, 0x7f
	s_waitcnt vmcnt(0)
	v_cmp_lt_i16_e32 vcc, s6, v3
	s_mov_b64 s[6:7], 0
	s_and_saveexec_b64 s[10:11], vcc
	s_xor_b64 s[10:11], exec, s[10:11]
	s_cbranch_execz .LBB9_1731
; %bb.1728:
	s_movk_i32 s6, 0x80
	v_cmp_eq_u16_e32 vcc, s6, v3
	s_mov_b64 s[6:7], -1
	s_and_saveexec_b64 s[12:13], vcc
; %bb.1729:
	s_xor_b64 s[6:7], exec, -1
; %bb.1730:
	s_or_b64 exec, exec, s[12:13]
	s_and_b64 s[6:7], s[6:7], exec
.LBB9_1731:
	s_or_saveexec_b64 s[10:11], s[10:11]
	v_bfrev_b32_e32 v15, 4
	v_mov_b32_e32 v16, 0x7ff80000
	s_xor_b64 exec, exec, s[10:11]
; %bb.1732:
	v_cmp_ne_u16_e32 vcc, 0, v3
	v_mov_b32_e32 v15, 0
	s_andn2_b64 s[6:7], s[6:7], exec
	s_and_b64 s[12:13], vcc, exec
	v_mov_b32_e32 v16, 0
	s_or_b64 s[6:7], s[6:7], s[12:13]
; %bb.1733:
	s_or_b64 exec, exec, s[10:11]
	s_and_saveexec_b64 s[10:11], s[6:7]
	s_cbranch_execz .LBB9_1735
; %bb.1734:
	v_lshlrev_b32_e32 v7, 24, v3
	v_and_b32_e32 v3, 0xffff, v3
	v_and_b32_e32 v13, 7, v3
	v_ffbh_u32_e32 v16, v13
	v_min_u32_e32 v16, 32, v16
	v_subrev_u32_e32 v17, 28, v16
	v_bfe_u32 v15, v3, 3, 4
	v_lshlrev_b32_e32 v3, v17, v3
	v_sub_u32_e32 v16, 29, v16
	v_and_b32_e32 v3, 7, v3
	v_cmp_eq_u32_e32 vcc, 0, v15
	v_cndmask_b32_e32 v15, v15, v16, vcc
	v_cndmask_b32_e32 v3, v13, v3, vcc
	v_mov_b32_e32 v13, 0x3b800000
	v_lshlrev_b32_e32 v3, 20, v3
	v_and_b32_e32 v7, 0x80000000, v7
	v_lshl_add_u32 v13, v15, 23, v13
	v_or3_b32 v3, v7, v13, v3
	v_cvt_f64_f32_e32 v[15:16], v3
.LBB9_1735:
	s_or_b64 exec, exec, s[10:11]
.LBB9_1736:
	s_mov_b64 s[6:7], -1
.LBB9_1737:
	s_mov_b64 s[10:11], 0
.LBB9_1738:
	s_and_b64 vcc, exec, s[10:11]
	s_cbranch_vccz .LBB9_1769
; %bb.1739:
	s_cmp_gt_i32 s14, 22
	s_cbranch_scc0 .LBB9_1751
; %bb.1740:
	s_cmp_lt_i32 s14, 24
	s_cbranch_scc1 .LBB9_1752
; %bb.1741:
	s_cmp_gt_i32 s14, 24
	s_cbranch_scc0 .LBB9_1753
; %bb.1742:
	global_load_ubyte v3, v[11:12], off
	s_movk_i32 s4, 0x7f
	s_waitcnt vmcnt(0)
	v_cmp_lt_i16_e32 vcc, s4, v3
	s_mov_b64 s[4:5], 0
	s_and_saveexec_b64 s[6:7], vcc
	s_xor_b64 s[6:7], exec, s[6:7]
	s_cbranch_execz .LBB9_1746
; %bb.1743:
	s_movk_i32 s4, 0x80
	v_cmp_eq_u16_e32 vcc, s4, v3
	s_mov_b64 s[4:5], -1
	s_and_saveexec_b64 s[10:11], vcc
; %bb.1744:
	s_xor_b64 s[4:5], exec, -1
; %bb.1745:
	s_or_b64 exec, exec, s[10:11]
	s_and_b64 s[4:5], s[4:5], exec
.LBB9_1746:
	s_or_saveexec_b64 s[6:7], s[6:7]
	v_bfrev_b32_e32 v15, 4
	v_mov_b32_e32 v16, 0x7ff80000
	s_xor_b64 exec, exec, s[6:7]
; %bb.1747:
	v_cmp_ne_u16_e32 vcc, 0, v3
	v_mov_b32_e32 v15, 0
	s_andn2_b64 s[4:5], s[4:5], exec
	s_and_b64 s[10:11], vcc, exec
	v_mov_b32_e32 v16, 0
	s_or_b64 s[4:5], s[4:5], s[10:11]
; %bb.1748:
	s_or_b64 exec, exec, s[6:7]
	s_and_saveexec_b64 s[6:7], s[4:5]
	s_cbranch_execz .LBB9_1750
; %bb.1749:
	v_lshlrev_b32_e32 v7, 24, v3
	v_and_b32_e32 v3, 0xffff, v3
	v_and_b32_e32 v13, 3, v3
	v_ffbh_u32_e32 v16, v13
	v_min_u32_e32 v16, 32, v16
	v_subrev_u32_e32 v17, 29, v16
	v_bfe_u32 v15, v3, 2, 5
	v_lshlrev_b32_e32 v3, v17, v3
	v_sub_u32_e32 v16, 30, v16
	v_and_b32_e32 v3, 3, v3
	v_cmp_eq_u32_e32 vcc, 0, v15
	v_cndmask_b32_e32 v15, v15, v16, vcc
	v_cndmask_b32_e32 v3, v13, v3, vcc
	v_mov_b32_e32 v13, 0x37800000
	v_lshlrev_b32_e32 v3, 21, v3
	v_and_b32_e32 v7, 0x80000000, v7
	v_lshl_add_u32 v13, v15, 23, v13
	v_or3_b32 v3, v7, v13, v3
	v_cvt_f64_f32_e32 v[15:16], v3
.LBB9_1750:
	s_or_b64 exec, exec, s[6:7]
	s_mov_b64 s[4:5], 0
	s_branch .LBB9_1754
.LBB9_1751:
	s_mov_b64 s[4:5], -1
                                        ; implicit-def: $vgpr15_vgpr16
	s_branch .LBB9_1760
.LBB9_1752:
	s_mov_b64 s[4:5], -1
                                        ; implicit-def: $vgpr15_vgpr16
	s_branch .LBB9_1757
.LBB9_1753:
	s_mov_b64 s[4:5], -1
                                        ; implicit-def: $vgpr15_vgpr16
.LBB9_1754:
	s_and_b64 vcc, exec, s[4:5]
	s_cbranch_vccz .LBB9_1756
; %bb.1755:
	global_load_ubyte v3, v[11:12], off
	s_mov_b32 s4, 0x7f800000
	s_waitcnt vmcnt(0)
	v_lshlrev_b32_e32 v3, 24, v3
	v_and_b32_e32 v7, 0x7f000000, v3
	v_ffbh_u32_e32 v13, v7
	v_min_u32_e32 v13, 32, v13
	v_sub_u32_e64 v13, v13, 4 clamp
	v_lshlrev_b32_e32 v16, v13, v7
	v_lshlrev_b32_e32 v13, 23, v13
	v_lshrrev_b32_e32 v16, 4, v16
	v_add_u32_e32 v15, 0x1000000, v7
	v_sub_u32_e32 v13, v16, v13
	v_ashrrev_i32_e32 v15, 8, v15
	v_add_u32_e32 v13, 0x3c000000, v13
	v_and_or_b32 v13, v15, s4, v13
	v_cmp_ne_u32_e32 vcc, 0, v7
	v_cndmask_b32_e32 v7, 0, v13, vcc
	s_brev_b32 s4, 1
	v_and_or_b32 v3, v3, s4, v7
	v_cvt_f64_f32_e32 v[15:16], v3
.LBB9_1756:
	s_mov_b64 s[4:5], 0
.LBB9_1757:
	s_andn2_b64 vcc, exec, s[4:5]
	s_cbranch_vccnz .LBB9_1759
; %bb.1758:
	global_load_ubyte v3, v[11:12], off
	s_movk_i32 s4, 0x7f00
	s_brev_b32 s5, 16
	s_waitcnt vmcnt(0)
	v_lshlrev_b16_e32 v7, 8, v3
	v_lshlrev_b32_e32 v3, 25, v3
	v_lshrrev_b32_e32 v13, 4, v3
	v_and_or_b32 v15, v7, s4, 0.5
	v_or_b32_e32 v13, 0x70000000, v13
	v_add_f32_e32 v15, -0.5, v15
	v_mul_f32_e32 v13, 0x7800000, v13
	v_cmp_gt_u32_e32 vcc, s5, v3
	v_bfe_i32 v7, v7, 0, 16
	v_cndmask_b32_e32 v3, v13, v15, vcc
	s_brev_b32 s4, 1
	v_and_or_b32 v3, v7, s4, v3
	v_cvt_f64_f32_e32 v[15:16], v3
.LBB9_1759:
	s_mov_b64 s[4:5], 0
	s_mov_b64 s[6:7], -1
.LBB9_1760:
	s_andn2_b64 vcc, exec, s[4:5]
	s_mov_b64 s[4:5], 0
	s_cbranch_vccnz .LBB9_1769
; %bb.1761:
	s_cmp_gt_i32 s14, 14
	s_cbranch_scc0 .LBB9_1764
; %bb.1762:
	s_cmp_eq_u32 s14, 15
	s_cbranch_scc0 .LBB9_1765
; %bb.1763:
	global_load_ushort v3, v[11:12], off
	s_mov_b64 s[0:1], 0
	s_mov_b64 s[6:7], -1
	s_waitcnt vmcnt(0)
	v_lshlrev_b32_e32 v3, 16, v3
	v_cvt_f64_f32_e32 v[15:16], v3
	s_branch .LBB9_1766
.LBB9_1764:
	s_mov_b64 s[10:11], -1
                                        ; implicit-def: $vgpr15_vgpr16
	s_branch .LBB9_1767
.LBB9_1765:
	s_mov_b64 s[0:1], -1
                                        ; implicit-def: $vgpr15_vgpr16
.LBB9_1766:
	s_mov_b64 s[10:11], 0
.LBB9_1767:
	s_and_b64 vcc, exec, s[10:11]
	s_cbranch_vccz .LBB9_1769
; %bb.1768:
	s_cmp_lg_u32 s14, 11
	s_mov_b64 s[4:5], -1
	s_cselect_b64 s[0:1], -1, 0
.LBB9_1769:
	s_and_b64 vcc, exec, s[0:1]
	s_cbranch_vccnz .LBB9_2328
; %bb.1770:
	s_andn2_b64 vcc, exec, s[4:5]
	s_cbranch_vccnz .LBB9_1772
.LBB9_1771:
	global_load_ubyte v3, v[11:12], off
	v_mov_b32_e32 v7, 0x3ff00000
	v_mov_b32_e32 v15, 0
	s_mov_b64 s[6:7], -1
	s_waitcnt vmcnt(0)
	v_cmp_ne_u16_e32 vcc, 0, v3
	v_cndmask_b32_e32 v16, 0, v7, vcc
.LBB9_1772:
	s_mov_b64 s[0:1], 0
.LBB9_1773:
	s_and_b64 vcc, exec, s[0:1]
	s_cbranch_vccz .LBB9_1822
; %bb.1774:
	s_and_b32 s4, 0xffff, s19
	s_cmp_lt_i32 s4, 5
	s_cbranch_scc1 .LBB9_1779
; %bb.1775:
	s_cmp_lt_i32 s4, 8
	s_cbranch_scc1 .LBB9_1780
; %bb.1776:
	;; [unrolled: 3-line block ×3, first 2 shown]
	s_cmp_gt_i32 s4, 9
	s_cbranch_scc0 .LBB9_1782
; %bb.1778:
	global_load_dwordx2 v[15:16], v[11:12], off
	s_mov_b64 s[0:1], 0
	s_branch .LBB9_1783
.LBB9_1779:
	s_mov_b64 s[0:1], -1
                                        ; implicit-def: $vgpr15_vgpr16
	s_branch .LBB9_1801
.LBB9_1780:
	s_mov_b64 s[0:1], -1
                                        ; implicit-def: $vgpr15_vgpr16
	s_branch .LBB9_1789
.LBB9_1781:
	s_mov_b64 s[0:1], -1
                                        ; implicit-def: $vgpr15_vgpr16
	s_branch .LBB9_1786
.LBB9_1782:
	s_mov_b64 s[0:1], -1
                                        ; implicit-def: $vgpr15_vgpr16
.LBB9_1783:
	s_andn2_b64 vcc, exec, s[0:1]
	s_cbranch_vccnz .LBB9_1785
; %bb.1784:
	global_load_dword v3, v[11:12], off
	s_waitcnt vmcnt(0)
	v_cvt_f64_f32_e32 v[15:16], v3
.LBB9_1785:
	s_mov_b64 s[0:1], 0
.LBB9_1786:
	s_andn2_b64 vcc, exec, s[0:1]
	s_cbranch_vccnz .LBB9_1788
; %bb.1787:
	global_load_dword v3, v[11:12], off
	s_waitcnt vmcnt(0)
	v_cvt_f32_f16_e32 v3, v3
	v_cvt_f64_f32_e32 v[15:16], v3
.LBB9_1788:
	s_mov_b64 s[0:1], 0
.LBB9_1789:
	s_andn2_b64 vcc, exec, s[0:1]
	s_cbranch_vccnz .LBB9_1800
; %bb.1790:
	s_cmp_lt_i32 s4, 6
	s_cbranch_scc1 .LBB9_1793
; %bb.1791:
	s_cmp_gt_i32 s4, 6
	s_cbranch_scc0 .LBB9_1794
; %bb.1792:
	global_load_dwordx2 v[15:16], v[11:12], off
	s_mov_b64 s[0:1], 0
	s_branch .LBB9_1795
.LBB9_1793:
	s_mov_b64 s[0:1], -1
                                        ; implicit-def: $vgpr15_vgpr16
	s_branch .LBB9_1798
.LBB9_1794:
	s_mov_b64 s[0:1], -1
                                        ; implicit-def: $vgpr15_vgpr16
.LBB9_1795:
	s_andn2_b64 vcc, exec, s[0:1]
	s_cbranch_vccnz .LBB9_1797
; %bb.1796:
	global_load_dword v3, v[11:12], off
	s_waitcnt vmcnt(0)
	v_cvt_f64_f32_e32 v[15:16], v3
.LBB9_1797:
	s_mov_b64 s[0:1], 0
.LBB9_1798:
	s_andn2_b64 vcc, exec, s[0:1]
	s_cbranch_vccnz .LBB9_1800
; %bb.1799:
	global_load_ushort v3, v[11:12], off
	s_waitcnt vmcnt(0)
	v_cvt_f32_f16_e32 v3, v3
	v_cvt_f64_f32_e32 v[15:16], v3
.LBB9_1800:
	s_mov_b64 s[0:1], 0
.LBB9_1801:
	s_andn2_b64 vcc, exec, s[0:1]
	s_cbranch_vccnz .LBB9_1821
; %bb.1802:
	s_cmp_lt_i32 s4, 2
	s_cbranch_scc1 .LBB9_1806
; %bb.1803:
	s_cmp_lt_i32 s4, 3
	s_cbranch_scc1 .LBB9_1807
; %bb.1804:
	s_cmp_gt_i32 s4, 3
	s_cbranch_scc0 .LBB9_1808
; %bb.1805:
	global_load_dwordx2 v[15:16], v[11:12], off
	s_mov_b64 s[0:1], 0
	s_waitcnt vmcnt(0)
	v_cvt_f64_i32_e32 v[16:17], v16
	v_cvt_f64_u32_e32 v[18:19], v15
	v_ldexp_f64 v[16:17], v[16:17], 32
	v_add_f64 v[15:16], v[16:17], v[18:19]
	s_branch .LBB9_1809
.LBB9_1806:
	s_mov_b64 s[0:1], -1
                                        ; implicit-def: $vgpr15_vgpr16
	s_branch .LBB9_1815
.LBB9_1807:
	s_mov_b64 s[0:1], -1
                                        ; implicit-def: $vgpr15_vgpr16
	s_branch .LBB9_1812
.LBB9_1808:
	s_mov_b64 s[0:1], -1
                                        ; implicit-def: $vgpr15_vgpr16
.LBB9_1809:
	s_andn2_b64 vcc, exec, s[0:1]
	s_cbranch_vccnz .LBB9_1811
; %bb.1810:
	global_load_dword v3, v[11:12], off
	s_waitcnt vmcnt(0)
	v_cvt_f64_i32_e32 v[15:16], v3
.LBB9_1811:
	s_mov_b64 s[0:1], 0
.LBB9_1812:
	s_andn2_b64 vcc, exec, s[0:1]
	s_cbranch_vccnz .LBB9_1814
; %bb.1813:
	global_load_sshort v3, v[11:12], off
	s_waitcnt vmcnt(0)
	v_cvt_f64_i32_e32 v[15:16], v3
.LBB9_1814:
	s_mov_b64 s[0:1], 0
.LBB9_1815:
	s_andn2_b64 vcc, exec, s[0:1]
	s_cbranch_vccnz .LBB9_1821
; %bb.1816:
	s_cmp_gt_i32 s4, 0
	s_cbranch_scc0 .LBB9_1818
; %bb.1817:
	global_load_sbyte v3, v[11:12], off
	s_mov_b64 s[0:1], 0
	s_waitcnt vmcnt(0)
	v_cvt_f64_i32_e32 v[15:16], v3
	s_branch .LBB9_1819
.LBB9_1818:
	s_mov_b64 s[0:1], -1
                                        ; implicit-def: $vgpr15_vgpr16
.LBB9_1819:
	s_andn2_b64 vcc, exec, s[0:1]
	s_cbranch_vccnz .LBB9_1821
; %bb.1820:
	global_load_ubyte v3, v[11:12], off
	s_waitcnt vmcnt(0)
	v_cvt_f64_u32_e32 v[15:16], v3
.LBB9_1821:
	s_mov_b64 s[6:7], -1
.LBB9_1822:
	s_andn2_b64 vcc, exec, s[6:7]
	s_cbranch_vccnz .LBB9_1925
; %bb.1823:
	s_waitcnt vmcnt(0)
	v_cmp_neq_f64_e32 vcc, 0, v[15:16]
                                        ; implicit-def: $vgpr12_vgpr13
	s_and_saveexec_b64 s[0:1], vcc
	s_xor_b64 s[4:5], exec, s[0:1]
	s_cbranch_execz .LBB9_1845
; %bb.1824:
	v_cmp_gt_f64_e32 vcc, 0, v[15:16]
	v_mov_b32_e32 v17, 0
	v_mov_b32_e32 v18, 0
	s_mov_b64 s[10:11], -1
	s_and_saveexec_b64 s[6:7], vcc
	s_cbranch_execz .LBB9_1832
; %bb.1825:
	v_trunc_f64_e32 v[11:12], v[15:16]
	v_mov_b32_e32 v17, 0
	v_mov_b32_e32 v18, 0
	s_mov_b64 s[12:13], 0
	v_cmp_neq_f64_e32 vcc, v[15:16], v[11:12]
	s_and_saveexec_b64 s[10:11], vcc
	s_cbranch_execz .LBB9_1831
; %bb.1826:
	v_add_f64 v[11:12], v[15:16], -v[11:12]
	s_mov_b32 s0, 0
	s_mov_b32 s13, 0xc00921fb
	;; [unrolled: 1-line block ×4, first 2 shown]
	v_cmp_neq_f64_e64 vcc, |v[15:16]|, s[0:1]
	v_bfrev_b32_e32 v3, 1
	s_mov_b32 s14, 0
	v_mul_f64 v[11:12], |v[11:12]|, s[12:13]
	s_mov_b32 s15, 0x41d00000
                                        ; implicit-def: $vgpr17_vgpr18
                                        ; implicit-def: $vgpr19_vgpr20
	v_cndmask_b32_e32 v12, v3, v12, vcc
	v_cndmask_b32_e32 v11, 0, v11, vcc
	v_cmp_nlt_f64_e64 s[14:15], |v[11:12]|, s[14:15]
                                        ; implicit-def: $vgpr3
	s_and_saveexec_b64 s[16:17], s[14:15]
	s_xor_b64 s[14:15], exec, s[16:17]
	s_cbranch_execz .LBB9_1828
; %bb.1827:
	v_trig_preop_f64 v[17:18], |v[11:12]|, 0
	s_mov_b32 s16, 0
	s_mov_b32 s17, 0x7b000000
	s_movk_i32 s13, 0xff80
	v_ldexp_f64 v[21:22], |v[11:12]|, s13
	v_cmp_ge_f64_e64 vcc, |v[11:12]|, s[16:17]
	v_trig_preop_f64 v[19:20], |v[11:12]|, 1
	v_and_b32_e32 v3, 0x7fffffff, v12
	v_trig_preop_f64 v[29:30], |v[11:12]|, 2
	v_mov_b32_e32 v39, 0
	v_mov_b32_e32 v7, 0x3ff00000
	s_mov_b32 s13, 0x3ff921fb
	v_cndmask_b32_e32 v22, v3, v22, vcc
	v_cndmask_b32_e32 v21, v11, v21, vcc
	v_mov_b32_e32 v3, 0x40100000
	v_mul_f64 v[23:24], v[17:18], v[21:22]
	v_mul_f64 v[25:26], v[19:20], v[21:22]
	;; [unrolled: 1-line block ×3, first 2 shown]
	v_fma_f64 v[17:18], v[17:18], v[21:22], -v[23:24]
	v_fma_f64 v[19:20], v[19:20], v[21:22], -v[25:26]
	;; [unrolled: 1-line block ×3, first 2 shown]
	v_add_f64 v[27:28], v[25:26], v[17:18]
	v_add_f64 v[31:32], v[27:28], -v[25:26]
	v_add_f64 v[37:38], v[23:24], v[27:28]
	v_add_f64 v[33:34], v[27:28], -v[31:32]
	v_add_f64 v[17:18], v[17:18], -v[31:32]
	v_add_f64 v[31:32], v[35:36], v[19:20]
	v_add_f64 v[23:24], v[37:38], -v[23:24]
	v_add_f64 v[25:26], v[25:26], -v[33:34]
	v_ldexp_f64 v[33:34], v[37:38], -2
	v_add_f64 v[41:42], v[31:32], -v[35:36]
	v_add_f64 v[23:24], v[27:28], -v[23:24]
	v_add_f64 v[17:18], v[17:18], v[25:26]
	v_fract_f64_e32 v[25:26], v[33:34]
	v_cmp_neq_f64_e64 vcc, |v[33:34]|, s[0:1]
	v_add_f64 v[19:20], v[19:20], -v[41:42]
	v_add_f64 v[27:28], v[31:32], v[17:18]
	v_ldexp_f64 v[25:26], v[25:26], 2
	v_add_f64 v[33:34], v[23:24], v[27:28]
	v_cndmask_b32_e32 v26, 0, v26, vcc
	v_cndmask_b32_e32 v25, 0, v25, vcc
	v_add_f64 v[43:44], v[27:28], -v[31:32]
	v_add_f64 v[37:38], v[33:34], v[25:26]
	v_add_f64 v[23:24], v[33:34], -v[23:24]
	v_add_f64 v[45:46], v[27:28], -v[43:44]
	;; [unrolled: 1-line block ×3, first 2 shown]
	v_cmp_gt_f64_e32 vcc, 0, v[37:38]
	v_add_f64 v[37:38], v[31:32], -v[41:42]
	v_add_f64 v[23:24], v[27:28], -v[23:24]
	;; [unrolled: 1-line block ×3, first 2 shown]
	v_cndmask_b32_e32 v40, 0, v3, vcc
	v_add_f64 v[25:26], v[25:26], v[39:40]
	v_add_f64 v[37:38], v[35:36], -v[37:38]
	v_add_f64 v[17:18], v[17:18], v[31:32]
	v_add_f64 v[47:48], v[33:34], v[25:26]
	v_add_f64 v[19:20], v[19:20], v[37:38]
	v_cvt_i32_f64_e32 v3, v[47:48]
	v_add_f64 v[17:18], v[19:20], v[17:18]
	v_cvt_f64_i32_e32 v[40:41], v3
	v_add_f64 v[25:26], v[25:26], -v[40:41]
	v_add_f64 v[17:18], v[21:22], v[17:18]
	v_add_f64 v[19:20], v[33:34], v[25:26]
	;; [unrolled: 1-line block ×3, first 2 shown]
	v_add_f64 v[21:22], v[19:20], -v[25:26]
	v_cmp_le_f64_e32 vcc, 0.5, v[19:20]
	v_add_f64 v[21:22], v[33:34], -v[21:22]
	v_cndmask_b32_e32 v40, 0, v7, vcc
	v_add_f64 v[19:20], v[19:20], -v[39:40]
	v_addc_co_u32_e64 v3, s[0:1], 0, v3, vcc
	s_mov_b32 s0, 0x33145c07
	s_mov_b32 s1, 0x3c91a626
	v_add_f64 v[17:18], v[17:18], v[21:22]
	v_add_f64 v[21:22], v[19:20], v[17:18]
	v_mul_f64 v[23:24], v[21:22], s[12:13]
	v_add_f64 v[19:20], v[21:22], -v[19:20]
	v_fma_f64 v[25:26], v[21:22], s[12:13], -v[23:24]
	v_add_f64 v[17:18], v[17:18], -v[19:20]
	v_fma_f64 v[19:20], v[21:22], s[0:1], v[25:26]
	v_fma_f64 v[19:20], v[17:18], s[12:13], v[19:20]
	v_add_f64 v[17:18], v[23:24], v[19:20]
	v_add_f64 v[21:22], v[17:18], -v[23:24]
	v_add_f64 v[19:20], v[19:20], -v[21:22]
.LBB9_1828:
	s_andn2_saveexec_b64 s[0:1], s[14:15]
	s_cbranch_execz .LBB9_1830
; %bb.1829:
	s_mov_b32 s12, 0x6dc9c883
	s_mov_b32 s13, 0x3fe45f30
	v_mul_f64 v[17:18], |v[11:12]|, s[12:13]
	s_mov_b32 s12, 0x54442d18
	s_mov_b32 s13, 0xbff921fb
	;; [unrolled: 1-line block ×4, first 2 shown]
	v_rndne_f64_e32 v[21:22], v[17:18]
	v_fma_f64 v[17:18], v[21:22], s[12:13], |v[11:12]|
	v_mul_f64 v[19:20], v[21:22], s[14:15]
	s_mov_b32 s12, 0x252049c0
	s_mov_b32 s13, 0xb97b839a
	v_cvt_i32_f64_e32 v3, v[21:22]
	v_fma_f64 v[27:28], v[21:22], s[14:15], v[17:18]
	v_add_f64 v[23:24], v[17:18], v[19:20]
	s_mov_b32 s15, 0x3c91a626
	v_add_f64 v[25:26], v[17:18], -v[23:24]
	v_add_f64 v[23:24], v[23:24], -v[27:28]
	v_add_f64 v[17:18], v[25:26], v[19:20]
	v_fma_f64 v[19:20], v[21:22], s[14:15], v[19:20]
	v_add_f64 v[17:18], v[23:24], v[17:18]
	v_add_f64 v[17:18], v[17:18], -v[19:20]
	v_fma_f64 v[19:20], v[21:22], s[12:13], v[17:18]
	v_add_f64 v[17:18], v[27:28], v[19:20]
	v_add_f64 v[23:24], v[17:18], -v[27:28]
	v_add_f64 v[19:20], v[19:20], -v[23:24]
.LBB9_1830:
	s_or_b64 exec, exec, s[0:1]
	v_mul_f64 v[21:22], v[17:18], v[17:18]
	v_add_f64 v[23:24], v[19:20], v[19:20]
	s_mov_b32 s0, 0xc751c08c
	s_mov_b32 s1, 0x3ef5e089
	v_and_b32_e32 v3, 1, v3
	v_cmp_eq_u32_e32 vcc, 0, v3
	v_and_b32_e32 v7, 0x80000000, v12
	s_mov_b32 s14, 0x54442d18
	v_fma_f64 v[25:26], v[17:18], v[17:18], -v[21:22]
	s_mov_b32 s15, 0xc00921fb
	v_add_f64 v[15:16], -v[15:16], 1.0
	s_mov_b64 s[12:13], exec
	v_fma_f64 v[23:24], v[17:18], v[23:24], v[25:26]
	v_add_f64 v[21:22], v[21:22], v[23:24]
	v_mov_b32_e32 v23, 0xa9a29f71
	v_mov_b32_e32 v24, 0xbf078809
	v_fma_f64 v[23:24], v[21:22], s[0:1], v[23:24]
	s_mov_b32 s0, 0x90a8aae0
	s_mov_b32 s1, 0x3f17746f
	v_fma_f64 v[23:24], v[21:22], v[23:24], s[0:1]
	s_mov_b32 s0, 0xa6fbf144
	s_mov_b32 s1, 0xbefbb44d
	;; [unrolled: 3-line block ×12, first 2 shown]
	v_fma_f64 v[23:24], v[21:22], v[23:24], s[0:1]
	s_movk_i32 s0, 0x1f8
	v_cmp_class_f64_e64 s[0:1], v[11:12], s0
	v_mov_b32_e32 v12, 0x7ff80000
	v_mul_f64 v[21:22], v[21:22], v[23:24]
	v_mul_f64 v[23:24], v[17:18], v[21:22]
	v_add_f64 v[25:26], v[17:18], v[23:24]
	v_fma_f64 v[21:22], v[17:18], v[21:22], -v[23:24]
	v_add_f64 v[17:18], v[25:26], -v[17:18]
	v_add_f64 v[19:20], v[19:20], v[21:22]
	v_add_f64 v[17:18], v[23:24], -v[17:18]
	v_add_f64 v[17:18], v[19:20], v[17:18]
	v_add_f64 v[19:20], v[25:26], v[17:18]
	v_rcp_f64_e32 v[21:22], v[19:20]
	v_fma_f64 v[23:24], -v[19:20], v[21:22], 1.0
	v_fma_f64 v[21:22], v[23:24], v[21:22], v[21:22]
	v_fma_f64 v[23:24], -v[19:20], v[21:22], 1.0
	v_fma_f64 v[21:22], v[23:24], v[21:22], v[21:22]
	v_add_f64 v[23:24], v[19:20], -v[25:26]
	v_mul_f64 v[25:26], v[19:20], v[21:22]
	v_add_f64 v[17:18], v[17:18], -v[23:24]
	v_fma_f64 v[23:24], v[21:22], v[19:20], -v[25:26]
	v_fma_f64 v[17:18], v[21:22], v[17:18], v[23:24]
	v_add_f64 v[23:24], v[25:26], v[17:18]
	v_add_f64 v[27:28], -v[23:24], 1.0
	v_add_f64 v[25:26], v[23:24], -v[25:26]
	v_add_f64 v[29:30], -v[27:28], 1.0
	v_add_f64 v[17:18], v[25:26], -v[17:18]
	v_add_f64 v[23:24], v[29:30], -v[23:24]
	v_add_f64 v[17:18], v[17:18], v[23:24]
	v_add_f64 v[17:18], v[27:28], v[17:18]
	v_mul_f64 v[17:18], v[21:22], v[17:18]
	v_add_f64 v[17:18], v[21:22], v[17:18]
	v_xor_b32_e32 v11, 0x80000000, v18
	v_cndmask_b32_e32 v3, v17, v19, vcc
	v_cndmask_b32_e32 v13, v11, v20, vcc
	v_cndmask_b32_e64 v11, 0, v3, s[0:1]
	v_xor_b32_e32 v3, v13, v7
	v_cndmask_b32_e64 v12, v12, v3, s[0:1]
	v_div_scale_f64 v[17:18], s[0:1], v[11:12], v[11:12], s[14:15]
	v_rcp_f64_e32 v[19:20], v[17:18]
	v_fma_f64 v[21:22], -v[17:18], v[19:20], 1.0
	v_fma_f64 v[19:20], v[19:20], v[21:22], v[19:20]
	v_div_scale_f64 v[21:22], vcc, s[14:15], v[11:12], s[14:15]
	v_fma_f64 v[23:24], -v[17:18], v[19:20], 1.0
	v_fma_f64 v[19:20], v[19:20], v[23:24], v[19:20]
	v_mul_f64 v[23:24], v[21:22], v[19:20]
	v_fma_f64 v[17:18], -v[17:18], v[23:24], v[21:22]
	v_div_fmas_f64 v[17:18], v[17:18], v[19:20], v[23:24]
	v_div_fixup_f64 v[17:18], v[17:18], v[11:12], s[14:15]
.LBB9_1831:
	s_or_b64 exec, exec, s[10:11]
	s_orn2_b64 s[10:11], s[12:13], exec
.LBB9_1832:
	s_or_b64 exec, exec, s[6:7]
	v_mov_b32_e32 v12, 0
	v_mov_b32_e32 v13, 0x7ff80000
	s_and_saveexec_b64 s[0:1], s[10:11]
	s_cbranch_execz .LBB9_1844
; %bb.1833:
	s_mov_b32 s10, 0
	s_mov_b32 s11, 0x40240000
	v_cmp_gt_f64_e32 vcc, s[10:11], v[15:16]
	s_and_saveexec_b64 s[6:7], vcc
	s_cbranch_execz .LBB9_1837
; %bb.1834:
	s_mov_b64 s[12:13], 0
.LBB9_1835:                             ; =>This Inner Loop Header: Depth=1
	v_div_scale_f64 v[11:12], s[14:15], v[15:16], v[15:16], 1.0
	v_rcp_f64_e32 v[19:20], v[11:12]
	v_fma_f64 v[21:22], -v[11:12], v[19:20], 1.0
	v_fma_f64 v[19:20], v[19:20], v[21:22], v[19:20]
	v_div_scale_f64 v[21:22], vcc, 1.0, v[15:16], 1.0
	v_fma_f64 v[23:24], -v[11:12], v[19:20], 1.0
	v_fma_f64 v[19:20], v[19:20], v[23:24], v[19:20]
	v_mul_f64 v[23:24], v[21:22], v[19:20]
	v_fma_f64 v[11:12], -v[11:12], v[23:24], v[21:22]
	v_div_fmas_f64 v[11:12], v[11:12], v[19:20], v[23:24]
	v_div_fixup_f64 v[11:12], v[11:12], v[15:16], 1.0
	v_add_f64 v[15:16], v[15:16], 1.0
	v_add_f64 v[17:18], v[17:18], -v[11:12]
	v_cmp_ngt_f64_e32 vcc, s[10:11], v[15:16]
	s_or_b64 s[12:13], vcc, s[12:13]
	s_andn2_b64 exec, exec, s[12:13]
	s_cbranch_execnz .LBB9_1835
; %bb.1836:
	s_or_b64 exec, exec, s[12:13]
.LBB9_1837:
	s_or_b64 exec, exec, s[6:7]
	s_mov_b32 s6, 0
	s_mov_b32 s7, 0x40240000
	v_cmp_neq_f64_e32 vcc, s[6:7], v[15:16]
                                        ; implicit-def: $vgpr12_vgpr13
	s_and_saveexec_b64 s[6:7], vcc
	s_xor_b64 s[6:7], exec, s[6:7]
	s_cbranch_execz .LBB9_1841
; %bb.1838:
	s_mov_b32 s10, 0x85d8a000
	s_mov_b32 s11, 0x43763457
	v_cmp_gt_f64_e32 vcc, s[10:11], v[15:16]
	v_mov_b32_e32 v11, 0
	v_mov_b32_e32 v12, 0
	s_and_saveexec_b64 s[10:11], vcc
	s_cbranch_execz .LBB9_1840
; %bb.1839:
	v_mul_f64 v[11:12], v[15:16], v[15:16]
	s_mov_b32 s14, 0x95995996
	s_mov_b32 s15, 0xbf959959
	;; [unrolled: 1-line block ×4, first 2 shown]
	v_div_scale_f64 v[19:20], s[12:13], v[11:12], v[11:12], 1.0
	v_div_scale_f64 v[25:26], vcc, 1.0, v[11:12], 1.0
	s_mov_b32 s12, 0x55555555
	s_mov_b32 s13, 0x3fb55555
	v_rcp_f64_e32 v[21:22], v[19:20]
	v_fma_f64 v[23:24], -v[19:20], v[21:22], 1.0
	v_fma_f64 v[21:22], v[21:22], v[23:24], v[21:22]
	v_fma_f64 v[23:24], -v[19:20], v[21:22], 1.0
	v_fma_f64 v[21:22], v[21:22], v[23:24], v[21:22]
	v_mul_f64 v[23:24], v[25:26], v[21:22]
	v_fma_f64 v[19:20], -v[19:20], v[23:24], v[25:26]
	v_div_fmas_f64 v[19:20], v[19:20], v[21:22], v[23:24]
	v_div_fixup_f64 v[11:12], v[19:20], v[11:12], 1.0
	v_fma_f64 v[19:20], v[11:12], 0, s[12:13]
	v_fma_f64 v[19:20], v[11:12], v[19:20], s[14:15]
	s_mov_b32 s14, 0xf07c1f08
	s_mov_b32 s15, 0x3f7f07c1
	v_fma_f64 v[19:20], v[11:12], v[19:20], s[14:15]
	s_mov_b32 s15, 0xbf711111
	s_mov_b32 s14, 0x11111111
	v_fma_f64 v[19:20], v[11:12], v[19:20], s[14:15]
	s_mov_b32 s15, 0xbf811111
	v_fma_f64 v[19:20], v[11:12], v[19:20], s[16:17]
	v_fma_f64 v[19:20], v[11:12], v[19:20], s[14:15]
	;; [unrolled: 1-line block ×3, first 2 shown]
	v_mul_f64 v[11:12], v[11:12], v[19:20]
.LBB9_1840:
	s_or_b64 exec, exec, s[10:11]
	v_frexp_mant_f64_e32 v[19:20], v[15:16]
	s_mov_b32 s11, 0x3fe55555
	s_mov_b32 s10, 0x55555555
	s_mov_b32 s12, 0xbf559e2b
	s_mov_b32 s13, 0x3fc3ab76
	v_cmp_gt_f64_e32 vcc, s[10:11], v[19:20]
	s_mov_b32 s10, 0x55555780
	v_cndmask_b32_e64 v3, 0, 1, vcc
	v_ldexp_f64 v[19:20], v[19:20], v3
	v_frexp_exp_i32_f64_e32 v3, v[15:16]
	v_add_f64 v[21:22], v[19:20], 1.0
	v_add_f64 v[27:28], v[19:20], -1.0
	v_subbrev_co_u32_e32 v3, vcc, 0, v3, vcc
	v_rcp_f64_e32 v[23:24], v[21:22]
	v_add_f64 v[29:30], v[21:22], -1.0
	v_add_f64 v[19:20], v[19:20], -v[29:30]
	v_fma_f64 v[25:26], -v[21:22], v[23:24], 1.0
	v_fma_f64 v[23:24], v[25:26], v[23:24], v[23:24]
	v_fma_f64 v[25:26], -v[21:22], v[23:24], 1.0
	v_fma_f64 v[23:24], v[25:26], v[23:24], v[23:24]
	v_mul_f64 v[25:26], v[27:28], v[23:24]
	v_mul_f64 v[31:32], v[21:22], v[25:26]
	v_fma_f64 v[21:22], v[25:26], v[21:22], -v[31:32]
	v_fma_f64 v[19:20], v[25:26], v[19:20], v[21:22]
	v_add_f64 v[21:22], v[31:32], v[19:20]
	v_add_f64 v[29:30], v[27:28], -v[21:22]
	v_add_f64 v[31:32], v[21:22], -v[31:32]
	;; [unrolled: 1-line block ×5, first 2 shown]
	v_mov_b32_e32 v27, 0x6b47b09a
	v_mov_b32_e32 v28, 0x3fc38538
	v_add_f64 v[19:20], v[19:20], v[21:22]
	v_add_f64 v[19:20], v[29:30], v[19:20]
	v_mul_f64 v[19:20], v[23:24], v[19:20]
	v_add_f64 v[21:22], v[25:26], v[19:20]
	v_mul_f64 v[23:24], v[21:22], v[21:22]
	v_fma_f64 v[27:28], v[23:24], s[12:13], v[27:28]
	s_mov_b32 s12, 0xd7f4df2e
	s_mov_b32 s13, 0x3fc7474d
	v_mul_f64 v[29:30], v[21:22], v[23:24]
	v_fma_f64 v[27:28], v[23:24], v[27:28], s[12:13]
	s_mov_b32 s12, 0x16291751
	s_mov_b32 s13, 0x3fcc71c0
	v_fma_f64 v[27:28], v[23:24], v[27:28], s[12:13]
	s_mov_b32 s12, 0x9b27acf1
	s_mov_b32 s13, 0x3fd24924
	;; [unrolled: 3-line block ×3, first 2 shown]
	v_fma_f64 v[27:28], v[23:24], v[27:28], s[12:13]
	v_fma_f64 v[23:24], v[23:24], v[27:28], s[10:11]
	v_ldexp_f64 v[27:28], v[21:22], 1
	v_add_f64 v[21:22], v[21:22], -v[25:26]
	s_mov_b32 s10, 0xfefa39ef
	s_mov_b32 s11, 0x3fe62e42
	v_mul_f64 v[23:24], v[29:30], v[23:24]
	v_cvt_f64_i32_e32 v[29:30], v3
	v_add_f64 v[19:20], v[19:20], -v[21:22]
	v_mul_f64 v[31:32], v[29:30], s[10:11]
	v_add_f64 v[25:26], v[27:28], v[23:24]
	v_ldexp_f64 v[19:20], v[19:20], 1
	v_add_f64 v[21:22], v[25:26], -v[27:28]
	v_fma_f64 v[27:28], v[29:30], s[10:11], -v[31:32]
	s_mov_b32 s10, 0x3b39803f
	s_mov_b32 s11, 0x3c7abc9e
	v_add_f64 v[21:22], v[23:24], -v[21:22]
	v_fma_f64 v[23:24], v[29:30], s[10:11], v[27:28]
	v_add_f64 v[19:20], v[19:20], v[21:22]
	v_div_scale_f64 v[21:22], s[10:11], v[15:16], v[15:16], -0.5
	v_add_f64 v[27:28], v[31:32], v[23:24]
	s_movk_i32 s10, 0x204
	v_add_f64 v[29:30], v[25:26], v[19:20]
	v_add_f64 v[31:32], v[27:28], -v[31:32]
	v_add_f64 v[33:34], v[27:28], v[29:30]
	v_rcp_f64_e32 v[35:36], v[21:22]
	v_add_f64 v[25:26], v[29:30], -v[25:26]
	v_add_f64 v[23:24], v[23:24], -v[31:32]
	;; [unrolled: 1-line block ×5, first 2 shown]
	v_fma_f64 v[41:42], -v[21:22], v[35:36], 1.0
	v_add_f64 v[25:26], v[29:30], -v[37:38]
	v_add_f64 v[31:32], v[23:24], v[19:20]
	v_add_f64 v[27:28], v[27:28], -v[39:40]
	v_fma_f64 v[29:30], v[35:36], v[41:42], v[35:36]
	v_add_f64 v[37:38], v[31:32], -v[23:24]
	v_add_f64 v[25:26], v[25:26], v[27:28]
	v_div_scale_f64 v[27:28], vcc, -0.5, v[15:16], -0.5
	v_fma_f64 v[35:36], -v[21:22], v[29:30], 1.0
	v_add_f64 v[19:20], v[19:20], -v[37:38]
	v_add_f64 v[25:26], v[31:32], v[25:26]
	v_add_f64 v[31:32], v[31:32], -v[37:38]
	v_fma_f64 v[29:30], v[29:30], v[35:36], v[29:30]
	v_add_f64 v[35:36], v[33:34], v[25:26]
	v_add_f64 v[23:24], v[23:24], -v[31:32]
	v_mul_f64 v[39:40], v[27:28], v[29:30]
	v_add_f64 v[31:32], v[35:36], -v[33:34]
	v_add_f64 v[19:20], v[19:20], v[23:24]
	v_fma_f64 v[21:22], -v[21:22], v[39:40], v[27:28]
	v_add_f64 v[23:24], v[25:26], -v[31:32]
	v_div_fmas_f64 v[21:22], v[21:22], v[29:30], v[39:40]
	v_cmp_class_f64_e64 vcc, v[15:16], s10
	v_add_f64 v[19:20], v[19:20], v[23:24]
	v_add_f64 v[19:20], v[35:36], v[19:20]
	v_div_fixup_f64 v[21:22], v[21:22], v[15:16], -0.5
	v_cndmask_b32_e32 v16, v20, v16, vcc
	v_cndmask_b32_e32 v15, v19, v15, vcc
	v_add_f64 v[15:16], v[15:16], v[21:22]
	v_add_f64 v[11:12], v[15:16], -v[11:12]
	v_add_f64 v[12:13], v[17:18], v[11:12]
                                        ; implicit-def: $vgpr17_vgpr18
.LBB9_1841:
	s_andn2_saveexec_b64 s[6:7], s[6:7]
	s_cbranch_execz .LBB9_1843
; %bb.1842:
	s_mov_b32 s10, 0xdc85cc95
	s_mov_b32 s11, 0x40020396
	v_add_f64 v[12:13], v[17:18], s[10:11]
.LBB9_1843:
	s_or_b64 exec, exec, s[6:7]
.LBB9_1844:
	s_or_b64 exec, exec, s[0:1]
                                        ; implicit-def: $vgpr15_vgpr16
.LBB9_1845:
	s_andn2_saveexec_b64 s[0:1], s[4:5]
; %bb.1846:
	v_xor_b32_e32 v3, 0x80000000, v16
	s_brev_b32 s4, -2
	v_mov_b32_e32 v7, 0x7ff00000
	v_bfi_b32 v13, s4, v7, v3
	v_mov_b32_e32 v12, 0
; %bb.1847:
	s_or_b64 exec, exec, s[0:1]
	s_bfe_u32 s14, s18, 0x80008
	v_mov_b32_e32 v3, s9
	v_add_co_u32_e32 v15, vcc, s8, v2
	s_cmp_lt_i32 s14, 11
	v_addc_co_u32_e32 v16, vcc, 0, v3, vcc
	s_cbranch_scc1 .LBB9_1971
; %bb.1848:
	s_and_b32 s15, 0xffff, s14
	s_mov_b64 s[10:11], -1
	s_mov_b64 s[4:5], 0
	s_cmp_gt_i32 s15, 25
	s_mov_b64 s[6:7], 0
	s_mov_b64 s[0:1], 0
	s_cbranch_scc0 .LBB9_1881
; %bb.1849:
	s_cmp_gt_i32 s15, 28
	s_cbranch_scc0 .LBB9_1864
; %bb.1850:
	s_cmp_gt_i32 s15, 43
	;; [unrolled: 3-line block ×3, first 2 shown]
	s_cbranch_scc0 .LBB9_1854
; %bb.1852:
	s_mov_b64 s[0:1], -1
	s_mov_b64 s[10:11], 0
	s_cmp_eq_u32 s15, 46
	s_cbranch_scc0 .LBB9_1854
; %bb.1853:
	v_cvt_f32_f64_e32 v2, v[0:1]
	s_movk_i32 s0, 0x7fff
	v_mov_b32_e32 v3, 0x7fc0
	s_mov_b64 s[6:7], -1
	v_bfe_u32 v7, v2, 16, 1
	v_cmp_o_f32_e32 vcc, v2, v2
	v_add3_u32 v2, v2, v7, s0
	v_cndmask_b32_sdwa v2, v3, v2, vcc dst_sel:DWORD dst_unused:UNUSED_PAD src0_sel:DWORD src1_sel:WORD_1
	global_store_dword v[15:16], v2, off
	s_mov_b64 s[0:1], 0
.LBB9_1854:
	s_and_b64 vcc, exec, s[10:11]
	s_cbranch_vccz .LBB9_1859
; %bb.1855:
	s_cmp_eq_u32 s15, 44
	s_mov_b64 s[0:1], -1
	s_cbranch_scc0 .LBB9_1859
; %bb.1856:
	v_cvt_f32_f64_e32 v2, v[0:1]
	s_movk_i32 s0, 0xff
	v_mov_b32_e32 v7, 0xff
	v_bfe_u32 v3, v2, 23, 8
	v_cmp_ne_u32_e32 vcc, s0, v3
	s_and_saveexec_b64 s[6:7], vcc
; %bb.1857:
	s_mov_b32 s0, 0x3fffff
	v_lshrrev_b32_e32 v7, 23, v2
	v_and_b32_e32 v11, 0x400000, v2
	v_and_or_b32 v2, v2, s0, v3
	v_cmp_ne_u32_e32 vcc, 0, v11
	v_cmp_ne_u32_e64 s[0:1], 0, v2
	s_and_b64 s[0:1], vcc, s[0:1]
	v_cndmask_b32_e64 v2, 0, 1, s[0:1]
	v_add_u32_e32 v7, v7, v2
; %bb.1858:
	s_or_b64 exec, exec, s[6:7]
	s_mov_b64 s[0:1], 0
	s_mov_b64 s[6:7], -1
	global_store_byte v[15:16], v7, off
.LBB9_1859:
	s_mov_b64 s[10:11], 0
.LBB9_1860:
	s_and_b64 vcc, exec, s[10:11]
	s_cbranch_vccz .LBB9_1863
; %bb.1861:
	s_cmp_eq_u32 s15, 29
	s_mov_b64 s[0:1], -1
	s_cbranch_scc0 .LBB9_1863
; %bb.1862:
	v_trunc_f64_e32 v[2:3], v[0:1]
	s_movk_i32 s0, 0xffe0
	s_mov_b64 s[6:7], -1
	v_ldexp_f64 v[17:18], v[2:3], s0
	s_mov_b32 s0, 0
	s_mov_b32 s1, 0xc1f00000
	v_floor_f64_e32 v[17:18], v[17:18]
	v_fma_f64 v[2:3], v[17:18], s[0:1], v[2:3]
	v_cvt_u32_f64_e32 v18, v[17:18]
	s_mov_b64 s[0:1], 0
	v_cvt_u32_f64_e32 v17, v[2:3]
	global_store_dwordx2 v[15:16], v[17:18], off
.LBB9_1863:
	s_mov_b64 s[10:11], 0
.LBB9_1864:
	s_and_b64 vcc, exec, s[10:11]
	s_cbranch_vccz .LBB9_1880
; %bb.1865:
	s_cmp_lt_i32 s15, 27
	s_mov_b64 s[6:7], -1
	s_cbranch_scc1 .LBB9_1871
; %bb.1866:
	v_cvt_u32_f64_e32 v2, v[0:1]
	s_cmp_gt_i32 s15, 27
	s_cbranch_scc0 .LBB9_1868
; %bb.1867:
	s_mov_b64 s[6:7], 0
	global_store_dword v[15:16], v2, off
.LBB9_1868:
	s_andn2_b64 vcc, exec, s[6:7]
	s_cbranch_vccnz .LBB9_1870
; %bb.1869:
	global_store_short v[15:16], v2, off
.LBB9_1870:
	s_mov_b64 s[6:7], 0
.LBB9_1871:
	s_andn2_b64 vcc, exec, s[6:7]
	s_cbranch_vccnz .LBB9_1879
; %bb.1872:
	v_cvt_f32_f64_e32 v2, v[0:1]
	s_mov_b32 s6, 0x43800000
	v_mov_b32_e32 v7, 0x80
	v_and_b32_e32 v3, 0x7fffffff, v2
	v_cmp_gt_u32_e32 vcc, s6, v3
	s_and_saveexec_b64 s[6:7], vcc
	s_cbranch_execz .LBB9_1878
; %bb.1873:
	s_mov_b32 s10, 0x3bffffff
	v_cmp_lt_u32_e32 vcc, s10, v3
	s_mov_b64 s[10:11], 0
                                        ; implicit-def: $vgpr3
	s_and_saveexec_b64 s[12:13], vcc
	s_xor_b64 s[12:13], exec, s[12:13]
	s_cbranch_execz .LBB9_2329
; %bb.1874:
	v_bfe_u32 v3, v2, 20, 1
	s_mov_b32 s16, 0x487ffff
	v_add3_u32 v3, v2, v3, s16
	s_mov_b64 s[10:11], exec
	v_lshrrev_b32_e32 v3, 20, v3
	s_andn2_saveexec_b64 s[12:13], s[12:13]
	s_cbranch_execnz .LBB9_2330
.LBB9_1875:
	s_or_b64 exec, exec, s[12:13]
	v_mov_b32_e32 v7, 0
	s_and_saveexec_b64 s[12:13], s[10:11]
.LBB9_1876:
	v_lshrrev_b32_e32 v2, 24, v2
	s_movk_i32 s10, 0x80
	v_and_or_b32 v7, v2, s10, v3
.LBB9_1877:
	s_or_b64 exec, exec, s[12:13]
.LBB9_1878:
	s_or_b64 exec, exec, s[6:7]
	global_store_byte v[15:16], v7, off
.LBB9_1879:
	s_mov_b64 s[6:7], -1
.LBB9_1880:
	s_mov_b64 s[10:11], 0
.LBB9_1881:
	s_and_b64 vcc, exec, s[10:11]
	s_cbranch_vccz .LBB9_1921
; %bb.1882:
	s_cmp_gt_i32 s15, 22
	s_mov_b64 s[4:5], -1
	s_cbranch_scc0 .LBB9_1914
; %bb.1883:
	s_cmp_lt_i32 s15, 24
	s_cbranch_scc1 .LBB9_1903
; %bb.1884:
	s_cmp_gt_i32 s15, 24
	s_cbranch_scc0 .LBB9_1892
; %bb.1885:
	v_cvt_f32_f64_e32 v2, v[0:1]
	s_mov_b32 s4, 0x47800000
	v_mov_b32_e32 v7, 0x80
	v_and_b32_e32 v3, 0x7fffffff, v2
	v_cmp_gt_u32_e32 vcc, s4, v3
	s_and_saveexec_b64 s[4:5], vcc
	s_cbranch_execz .LBB9_1891
; %bb.1886:
	s_mov_b32 s6, 0x37ffffff
	v_cmp_lt_u32_e32 vcc, s6, v3
	s_mov_b64 s[6:7], 0
                                        ; implicit-def: $vgpr3
	s_and_saveexec_b64 s[10:11], vcc
	s_xor_b64 s[10:11], exec, s[10:11]
	s_cbranch_execz .LBB9_2332
; %bb.1887:
	v_bfe_u32 v3, v2, 21, 1
	s_mov_b32 s12, 0x88fffff
	v_add3_u32 v3, v2, v3, s12
	s_mov_b64 s[6:7], exec
	v_lshrrev_b32_e32 v3, 21, v3
	s_andn2_saveexec_b64 s[10:11], s[10:11]
	s_cbranch_execnz .LBB9_2333
.LBB9_1888:
	s_or_b64 exec, exec, s[10:11]
	v_mov_b32_e32 v7, 0
	s_and_saveexec_b64 s[10:11], s[6:7]
.LBB9_1889:
	v_lshrrev_b32_e32 v2, 24, v2
	s_movk_i32 s6, 0x80
	v_and_or_b32 v7, v2, s6, v3
.LBB9_1890:
	s_or_b64 exec, exec, s[10:11]
.LBB9_1891:
	s_or_b64 exec, exec, s[4:5]
	s_mov_b64 s[4:5], 0
	global_store_byte v[15:16], v7, off
.LBB9_1892:
	s_and_b64 vcc, exec, s[4:5]
	s_cbranch_vccz .LBB9_1902
; %bb.1893:
	v_cvt_f32_f64_e32 v2, v[0:1]
	s_mov_b32 s4, 0x43f00000
                                        ; implicit-def: $vgpr3
	v_and_b32_e32 v7, 0x7fffffff, v2
	v_cmp_gt_u32_e32 vcc, s4, v7
	s_and_saveexec_b64 s[4:5], vcc
	s_xor_b64 s[4:5], exec, s[4:5]
	s_cbranch_execz .LBB9_1899
; %bb.1894:
	s_mov_b32 s6, 0x3c7fffff
	v_cmp_lt_u32_e32 vcc, s6, v7
                                        ; implicit-def: $vgpr3
	s_and_saveexec_b64 s[6:7], vcc
	s_xor_b64 s[6:7], exec, s[6:7]
; %bb.1895:
	v_bfe_u32 v3, v2, 20, 1
	s_mov_b32 s10, 0x407ffff
	v_add3_u32 v3, v2, v3, s10
	v_lshrrev_b32_e32 v7, 20, v3
	v_and_b32_e32 v3, 0xff00000, v3
	s_mov_b32 s10, 0x7f00000
	v_mov_b32_e32 v11, 0x7e
	v_cmp_ne_u32_e32 vcc, s10, v3
	v_cndmask_b32_e32 v3, v11, v7, vcc
; %bb.1896:
	s_andn2_saveexec_b64 s[6:7], s[6:7]
; %bb.1897:
	s_mov_b32 s10, 0x46800000
	v_add_f32_e64 v3, |v2|, s10
; %bb.1898:
	s_or_b64 exec, exec, s[6:7]
                                        ; implicit-def: $vgpr7
.LBB9_1899:
	s_andn2_saveexec_b64 s[4:5], s[4:5]
; %bb.1900:
	s_mov_b32 s6, 0x7f800000
	v_mov_b32_e32 v3, 0x7e
	v_mov_b32_e32 v11, 0x7f
	v_cmp_lt_u32_e32 vcc, s6, v7
	v_cndmask_b32_e32 v3, v3, v11, vcc
; %bb.1901:
	s_or_b64 exec, exec, s[4:5]
	v_lshrrev_b32_e32 v2, 24, v2
	s_movk_i32 s4, 0x80
	v_and_or_b32 v2, v2, s4, v3
	global_store_byte v[15:16], v2, off
.LBB9_1902:
	s_mov_b64 s[4:5], 0
.LBB9_1903:
	s_andn2_b64 vcc, exec, s[4:5]
	s_cbranch_vccnz .LBB9_1913
; %bb.1904:
	v_cvt_f32_f64_e32 v2, v[0:1]
	s_mov_b32 s4, 0x47800000
                                        ; implicit-def: $vgpr3
	v_and_b32_e32 v7, 0x7fffffff, v2
	v_cmp_gt_u32_e32 vcc, s4, v7
	s_and_saveexec_b64 s[4:5], vcc
	s_xor_b64 s[4:5], exec, s[4:5]
	s_cbranch_execz .LBB9_1910
; %bb.1905:
	s_mov_b32 s6, 0x387fffff
	v_cmp_lt_u32_e32 vcc, s6, v7
                                        ; implicit-def: $vgpr3
	s_and_saveexec_b64 s[6:7], vcc
	s_xor_b64 s[6:7], exec, s[6:7]
; %bb.1906:
	v_bfe_u32 v3, v2, 21, 1
	s_mov_b32 s10, 0x80fffff
	v_add3_u32 v3, v2, v3, s10
	v_lshrrev_b32_e32 v3, 21, v3
; %bb.1907:
	s_andn2_saveexec_b64 s[6:7], s[6:7]
; %bb.1908:
	s_mov_b32 s10, 0x43000000
	v_add_f32_e64 v3, |v2|, s10
; %bb.1909:
	s_or_b64 exec, exec, s[6:7]
                                        ; implicit-def: $vgpr7
.LBB9_1910:
	s_andn2_saveexec_b64 s[4:5], s[4:5]
; %bb.1911:
	s_mov_b32 s6, 0x7f800000
	v_mov_b32_e32 v3, 0x7c
	v_mov_b32_e32 v11, 0x7f
	v_cmp_lt_u32_e32 vcc, s6, v7
	v_cndmask_b32_e32 v3, v3, v11, vcc
; %bb.1912:
	s_or_b64 exec, exec, s[4:5]
	v_lshrrev_b32_e32 v2, 24, v2
	s_movk_i32 s4, 0x80
	v_and_or_b32 v2, v2, s4, v3
	global_store_byte v[15:16], v2, off
.LBB9_1913:
	s_mov_b64 s[4:5], 0
	s_mov_b64 s[6:7], -1
.LBB9_1914:
	s_andn2_b64 vcc, exec, s[4:5]
	s_mov_b64 s[4:5], 0
	s_cbranch_vccnz .LBB9_1921
; %bb.1915:
	s_cmp_gt_i32 s15, 14
	s_mov_b64 s[10:11], -1
	s_cbranch_scc0 .LBB9_1919
; %bb.1916:
	s_cmp_eq_u32 s15, 15
	s_mov_b64 s[0:1], -1
	s_cbranch_scc0 .LBB9_1918
; %bb.1917:
	v_cvt_f32_f64_e32 v2, v[0:1]
	s_movk_i32 s0, 0x7fff
	v_mov_b32_e32 v3, 0x7fc0
	s_mov_b64 s[6:7], -1
	v_bfe_u32 v7, v2, 16, 1
	v_cmp_o_f32_e32 vcc, v2, v2
	v_add3_u32 v2, v2, v7, s0
	v_cndmask_b32_sdwa v2, v3, v2, vcc dst_sel:DWORD dst_unused:UNUSED_PAD src0_sel:DWORD src1_sel:WORD_1
	global_store_short v[15:16], v2, off
	s_mov_b64 s[0:1], 0
.LBB9_1918:
	s_mov_b64 s[10:11], 0
.LBB9_1919:
	s_and_b64 vcc, exec, s[10:11]
	s_cbranch_vccz .LBB9_1921
; %bb.1920:
	s_cmp_lg_u32 s15, 11
	s_mov_b64 s[4:5], -1
	s_cselect_b64 s[0:1], -1, 0
.LBB9_1921:
	s_and_b64 vcc, exec, s[0:1]
	s_cbranch_vccnz .LBB9_2331
; %bb.1922:
	s_andn2_b64 vcc, exec, s[4:5]
	s_cbranch_vccnz .LBB9_1924
.LBB9_1923:
	v_cmp_neq_f64_e32 vcc, 0, v[0:1]
	s_mov_b64 s[6:7], -1
	v_cndmask_b32_e64 v2, 0, 1, vcc
	global_store_byte v[15:16], v2, off
.LBB9_1924:
	s_mov_b64 s[0:1], 0
	s_branch .LBB9_1972
.LBB9_1925:
	s_mov_b64 s[0:1], 0
                                        ; implicit-def: $vgpr0_vgpr1
                                        ; implicit-def: $sgpr14
                                        ; implicit-def: $vgpr12_vgpr13
.LBB9_1926:
	s_mov_b64 s[4:5], 0
.LBB9_1927:
	s_and_b64 s[6:7], s[4:5], exec
	s_andn2_b64 s[4:5], s[28:29], exec
	s_and_b64 s[2:3], s[2:3], exec
	s_and_b64 s[0:1], s[0:1], exec
	s_or_b64 s[28:29], s[4:5], s[2:3]
.LBB9_1928:
	s_or_b64 exec, exec, s[30:31]
	s_and_saveexec_b64 s[2:3], s[28:29]
	s_cbranch_execz .LBB9_1931
; %bb.1929:
	; divergent unreachable
	s_or_b64 exec, exec, s[2:3]
	s_and_saveexec_b64 s[2:3], s[6:7]
	s_xor_b64 s[2:3], exec, s[2:3]
	s_cbranch_execnz .LBB9_1932
.LBB9_1930:
	s_or_b64 exec, exec, s[2:3]
	s_and_saveexec_b64 s[2:3], s[0:1]
	s_cbranch_execnz .LBB9_1933
	s_branch .LBB9_1970
.LBB9_1931:
	s_or_b64 exec, exec, s[2:3]
	s_and_saveexec_b64 s[2:3], s[6:7]
	s_xor_b64 s[2:3], exec, s[2:3]
	s_cbranch_execz .LBB9_1930
.LBB9_1932:
	s_waitcnt vmcnt(0)
	v_cmp_neq_f64_e32 vcc, 0, v[12:13]
	v_cndmask_b32_e64 v2, 0, 1, vcc
	global_store_byte v[0:1], v2, off
	s_or_b64 exec, exec, s[2:3]
	s_and_saveexec_b64 s[2:3], s[0:1]
	s_cbranch_execz .LBB9_1970
.LBB9_1933:
	s_sext_i32_i16 s2, s14
	s_cmp_lt_i32 s2, 5
	s_mov_b64 s[0:1], -1
	s_cbranch_scc1 .LBB9_1954
; %bb.1934:
	s_cmp_lt_i32 s2, 8
	s_cbranch_scc1 .LBB9_1944
; %bb.1935:
	s_cmp_lt_i32 s2, 9
	s_cbranch_scc1 .LBB9_1941
; %bb.1936:
	s_cmp_gt_i32 s2, 9
	s_cbranch_scc0 .LBB9_1938
; %bb.1937:
	v_mov_b32_e32 v14, 0
	s_waitcnt vmcnt(0)
	v_mov_b32_e32 v15, v14
	global_store_dwordx4 v[0:1], v[12:15], off
	s_mov_b64 s[0:1], 0
.LBB9_1938:
	s_andn2_b64 vcc, exec, s[0:1]
	s_cbranch_vccnz .LBB9_1940
; %bb.1939:
	s_waitcnt vmcnt(0)
	v_cvt_f32_f64_e32 v2, v[12:13]
	v_mov_b32_e32 v3, 0
	global_store_dwordx2 v[0:1], v[2:3], off
.LBB9_1940:
	s_mov_b64 s[0:1], 0
.LBB9_1941:
	s_andn2_b64 vcc, exec, s[0:1]
	s_cbranch_vccnz .LBB9_1943
; %bb.1942:
	s_movk_i32 s0, 0x1ff
	s_waitcnt vmcnt(0)
	v_and_or_b32 v2, v13, s0, v12
	v_cmp_ne_u32_e32 vcc, 0, v2
	v_cndmask_b32_e64 v2, 0, 1, vcc
	v_lshrrev_b32_e32 v3, 8, v13
	s_movk_i32 s0, 0xffe
	v_bfe_u32 v4, v13, 20, 11
	v_and_or_b32 v2, v3, s0, v2
	v_sub_u32_e32 v5, 0x3f1, v4
	v_or_b32_e32 v3, 0x1000, v2
	v_med3_i32 v5, v5, 0, 13
	v_lshrrev_b32_e32 v6, v5, v3
	v_lshlrev_b32_e32 v5, v5, v6
	v_cmp_ne_u32_e32 vcc, v5, v3
	v_cndmask_b32_e64 v3, 0, 1, vcc
	v_add_u32_e32 v4, 0xfffffc10, v4
	v_or_b32_e32 v3, v6, v3
	v_lshl_or_b32 v5, v4, 12, v2
	v_cmp_gt_i32_e32 vcc, 1, v4
	v_cndmask_b32_e32 v3, v5, v3, vcc
	v_and_b32_e32 v5, 7, v3
	v_cmp_lt_i32_e32 vcc, 5, v5
	v_cndmask_b32_e64 v6, 0, 1, vcc
	v_cmp_eq_u32_e32 vcc, 3, v5
	v_cndmask_b32_e64 v5, 0, 1, vcc
	v_or_b32_e32 v5, v5, v6
	v_lshrrev_b32_e32 v3, 2, v3
	v_add_u32_e32 v3, v3, v5
	v_mov_b32_e32 v5, 0x7c00
	v_cmp_gt_i32_e32 vcc, 31, v4
	v_cndmask_b32_e32 v3, v5, v3, vcc
	v_mov_b32_e32 v6, 0x7e00
	v_cmp_ne_u32_e32 vcc, 0, v2
	s_movk_i32 s0, 0x40f
	v_cndmask_b32_e32 v2, v5, v6, vcc
	v_cmp_eq_u32_e32 vcc, s0, v4
	v_cndmask_b32_e32 v2, v3, v2, vcc
	v_lshrrev_b32_e32 v3, 16, v13
	s_mov_b32 s0, 0x8000
	v_and_or_b32 v2, v3, s0, v2
	v_and_b32_e32 v2, 0xffff, v2
	global_store_dword v[0:1], v2, off
.LBB9_1943:
	s_mov_b64 s[0:1], 0
.LBB9_1944:
	s_andn2_b64 vcc, exec, s[0:1]
	s_cbranch_vccnz .LBB9_1953
; %bb.1945:
	s_sext_i32_i16 s2, s14
	s_cmp_lt_i32 s2, 6
	s_mov_b64 s[0:1], -1
	s_cbranch_scc1 .LBB9_1951
; %bb.1946:
	s_cmp_gt_i32 s2, 6
	s_cbranch_scc0 .LBB9_1948
; %bb.1947:
	s_waitcnt vmcnt(0)
	global_store_dwordx2 v[0:1], v[12:13], off
	s_mov_b64 s[0:1], 0
.LBB9_1948:
	s_andn2_b64 vcc, exec, s[0:1]
	s_cbranch_vccnz .LBB9_1950
; %bb.1949:
	s_waitcnt vmcnt(0)
	v_cvt_f32_f64_e32 v2, v[12:13]
	global_store_dword v[0:1], v2, off
.LBB9_1950:
	s_mov_b64 s[0:1], 0
.LBB9_1951:
	s_andn2_b64 vcc, exec, s[0:1]
	s_cbranch_vccnz .LBB9_1953
; %bb.1952:
	s_movk_i32 s0, 0x1ff
	s_waitcnt vmcnt(0)
	v_and_or_b32 v2, v13, s0, v12
	v_cmp_ne_u32_e32 vcc, 0, v2
	v_cndmask_b32_e64 v2, 0, 1, vcc
	v_lshrrev_b32_e32 v3, 8, v13
	s_movk_i32 s0, 0xffe
	v_bfe_u32 v4, v13, 20, 11
	v_and_or_b32 v2, v3, s0, v2
	v_sub_u32_e32 v5, 0x3f1, v4
	v_or_b32_e32 v3, 0x1000, v2
	v_med3_i32 v5, v5, 0, 13
	v_lshrrev_b32_e32 v6, v5, v3
	v_lshlrev_b32_e32 v5, v5, v6
	v_cmp_ne_u32_e32 vcc, v5, v3
	v_cndmask_b32_e64 v3, 0, 1, vcc
	v_add_u32_e32 v4, 0xfffffc10, v4
	v_or_b32_e32 v3, v6, v3
	v_lshl_or_b32 v5, v4, 12, v2
	v_cmp_gt_i32_e32 vcc, 1, v4
	v_cndmask_b32_e32 v3, v5, v3, vcc
	v_and_b32_e32 v5, 7, v3
	v_cmp_lt_i32_e32 vcc, 5, v5
	v_cndmask_b32_e64 v6, 0, 1, vcc
	v_cmp_eq_u32_e32 vcc, 3, v5
	v_cndmask_b32_e64 v5, 0, 1, vcc
	v_or_b32_e32 v5, v5, v6
	v_lshrrev_b32_e32 v3, 2, v3
	v_add_u32_e32 v3, v3, v5
	v_mov_b32_e32 v5, 0x7c00
	v_cmp_gt_i32_e32 vcc, 31, v4
	v_cndmask_b32_e32 v3, v5, v3, vcc
	v_mov_b32_e32 v6, 0x7e00
	v_cmp_ne_u32_e32 vcc, 0, v2
	s_movk_i32 s0, 0x40f
	v_cndmask_b32_e32 v2, v5, v6, vcc
	v_cmp_eq_u32_e32 vcc, s0, v4
	v_cndmask_b32_e32 v2, v3, v2, vcc
	v_lshrrev_b32_e32 v3, 16, v13
	s_mov_b32 s0, 0x8000
	v_and_or_b32 v2, v3, s0, v2
	global_store_short v[0:1], v2, off
.LBB9_1953:
	s_mov_b64 s[0:1], 0
.LBB9_1954:
	s_andn2_b64 vcc, exec, s[0:1]
	s_cbranch_vccnz .LBB9_1970
; %bb.1955:
	s_sext_i32_i16 s2, s14
	s_cmp_lt_i32 s2, 2
	s_mov_b64 s[0:1], -1
	s_cbranch_scc1 .LBB9_1965
; %bb.1956:
	s_cmp_lt_i32 s2, 3
	s_cbranch_scc1 .LBB9_1962
; %bb.1957:
	s_cmp_gt_i32 s2, 3
	s_cbranch_scc0 .LBB9_1959
; %bb.1958:
	s_waitcnt vmcnt(0)
	v_trunc_f64_e32 v[2:3], v[12:13]
	s_movk_i32 s0, 0xffe0
	v_ldexp_f64 v[4:5], v[2:3], s0
	s_mov_b32 s0, 0
	s_mov_b32 s1, 0xc1f00000
	v_floor_f64_e32 v[4:5], v[4:5]
	v_fma_f64 v[2:3], v[4:5], s[0:1], v[2:3]
	v_cvt_i32_f64_e32 v4, v[4:5]
	s_mov_b64 s[0:1], 0
	v_cvt_u32_f64_e32 v3, v[2:3]
	global_store_dwordx2 v[0:1], v[3:4], off
.LBB9_1959:
	s_andn2_b64 vcc, exec, s[0:1]
	s_cbranch_vccnz .LBB9_1961
; %bb.1960:
	s_waitcnt vmcnt(0)
	v_cvt_i32_f64_e32 v2, v[12:13]
	global_store_dword v[0:1], v2, off
.LBB9_1961:
	s_mov_b64 s[0:1], 0
.LBB9_1962:
	s_andn2_b64 vcc, exec, s[0:1]
	s_cbranch_vccnz .LBB9_1964
; %bb.1963:
	s_waitcnt vmcnt(0)
	v_cvt_i32_f64_e32 v2, v[12:13]
	global_store_short v[0:1], v2, off
.LBB9_1964:
	s_mov_b64 s[0:1], 0
.LBB9_1965:
	s_andn2_b64 vcc, exec, s[0:1]
	s_cbranch_vccnz .LBB9_1970
; %bb.1966:
	s_sext_i32_i16 s0, s14
	s_cmp_gt_i32 s0, 0
	s_mov_b64 s[0:1], -1
	s_cbranch_scc0 .LBB9_1968
; %bb.1967:
	s_waitcnt vmcnt(0)
	v_cvt_i32_f64_e32 v2, v[12:13]
	s_mov_b64 s[0:1], 0
	global_store_byte v[0:1], v2, off
.LBB9_1968:
	s_andn2_b64 vcc, exec, s[0:1]
	s_cbranch_vccnz .LBB9_1970
; %bb.1969:
	s_waitcnt vmcnt(0)
	v_trunc_f64_e32 v[2:3], v[12:13]
	s_movk_i32 s0, 0xffe0
	v_ldexp_f64 v[4:5], v[2:3], s0
	s_mov_b32 s0, 0
	s_mov_b32 s1, 0xc1f00000
	v_floor_f64_e32 v[4:5], v[4:5]
	v_fma_f64 v[2:3], v[4:5], s[0:1], v[2:3]
	v_cvt_u32_f64_e32 v2, v[2:3]
	global_store_byte v[0:1], v2, off
	s_endpgm
.LBB9_1970:
	s_endpgm
.LBB9_1971:
	s_mov_b64 s[0:1], -1
	s_mov_b64 s[6:7], 0
.LBB9_1972:
	s_and_b64 vcc, exec, s[0:1]
	s_cbranch_vccz .LBB9_2011
; %bb.1973:
	s_and_b32 s4, 0xffff, s14
	s_cmp_lt_i32 s4, 5
	s_mov_b64 s[0:1], -1
	s_cbranch_scc1 .LBB9_1994
; %bb.1974:
	s_cmp_lt_i32 s4, 8
	s_cbranch_scc1 .LBB9_1984
; %bb.1975:
	s_cmp_lt_i32 s4, 9
	s_cbranch_scc1 .LBB9_1981
; %bb.1976:
	s_cmp_gt_i32 s4, 9
	s_cbranch_scc0 .LBB9_1978
; %bb.1977:
	v_mov_b32_e32 v2, 0
	v_mov_b32_e32 v3, v2
	global_store_dwordx4 v[15:16], v[0:3], off
	s_mov_b64 s[0:1], 0
.LBB9_1978:
	s_andn2_b64 vcc, exec, s[0:1]
	s_cbranch_vccnz .LBB9_1980
; %bb.1979:
	v_cvt_f32_f64_e32 v2, v[0:1]
	v_mov_b32_e32 v3, 0
	global_store_dwordx2 v[15:16], v[2:3], off
.LBB9_1980:
	s_mov_b64 s[0:1], 0
.LBB9_1981:
	s_andn2_b64 vcc, exec, s[0:1]
	s_cbranch_vccnz .LBB9_1983
; %bb.1982:
	s_movk_i32 s0, 0x1ff
	v_and_or_b32 v2, v1, s0, v0
	v_cmp_ne_u32_e32 vcc, 0, v2
	v_cndmask_b32_e64 v2, 0, 1, vcc
	v_lshrrev_b32_e32 v3, 8, v1
	s_movk_i32 s0, 0xffe
	v_bfe_u32 v7, v1, 20, 11
	v_and_or_b32 v2, v3, s0, v2
	v_sub_u32_e32 v11, 0x3f1, v7
	v_or_b32_e32 v3, 0x1000, v2
	v_med3_i32 v11, v11, 0, 13
	v_lshrrev_b32_e32 v17, v11, v3
	v_lshlrev_b32_e32 v11, v11, v17
	v_cmp_ne_u32_e32 vcc, v11, v3
	v_cndmask_b32_e64 v3, 0, 1, vcc
	v_add_u32_e32 v7, 0xfffffc10, v7
	v_or_b32_e32 v3, v17, v3
	v_lshl_or_b32 v11, v7, 12, v2
	v_cmp_gt_i32_e32 vcc, 1, v7
	v_cndmask_b32_e32 v3, v11, v3, vcc
	v_and_b32_e32 v11, 7, v3
	v_cmp_lt_i32_e32 vcc, 5, v11
	v_cndmask_b32_e64 v17, 0, 1, vcc
	v_cmp_eq_u32_e32 vcc, 3, v11
	v_cndmask_b32_e64 v11, 0, 1, vcc
	v_or_b32_e32 v11, v11, v17
	v_lshrrev_b32_e32 v3, 2, v3
	v_add_u32_e32 v3, v3, v11
	v_mov_b32_e32 v11, 0x7c00
	v_cmp_gt_i32_e32 vcc, 31, v7
	v_cndmask_b32_e32 v3, v11, v3, vcc
	v_mov_b32_e32 v17, 0x7e00
	v_cmp_ne_u32_e32 vcc, 0, v2
	s_movk_i32 s0, 0x40f
	v_cndmask_b32_e32 v2, v11, v17, vcc
	v_cmp_eq_u32_e32 vcc, s0, v7
	v_cndmask_b32_e32 v2, v3, v2, vcc
	v_lshrrev_b32_e32 v3, 16, v1
	s_mov_b32 s0, 0x8000
	v_and_or_b32 v2, v3, s0, v2
	v_and_b32_e32 v2, 0xffff, v2
	global_store_dword v[15:16], v2, off
.LBB9_1983:
	s_mov_b64 s[0:1], 0
.LBB9_1984:
	s_andn2_b64 vcc, exec, s[0:1]
	s_cbranch_vccnz .LBB9_1993
; %bb.1985:
	s_cmp_lt_i32 s4, 6
	s_mov_b64 s[0:1], -1
	s_cbranch_scc1 .LBB9_1991
; %bb.1986:
	s_cmp_gt_i32 s4, 6
	s_cbranch_scc0 .LBB9_1988
; %bb.1987:
	global_store_dwordx2 v[15:16], v[0:1], off
	s_mov_b64 s[0:1], 0
.LBB9_1988:
	s_andn2_b64 vcc, exec, s[0:1]
	s_cbranch_vccnz .LBB9_1990
; %bb.1989:
	v_cvt_f32_f64_e32 v2, v[0:1]
	global_store_dword v[15:16], v2, off
.LBB9_1990:
	s_mov_b64 s[0:1], 0
.LBB9_1991:
	s_andn2_b64 vcc, exec, s[0:1]
	s_cbranch_vccnz .LBB9_1993
; %bb.1992:
	s_movk_i32 s0, 0x1ff
	v_and_or_b32 v2, v1, s0, v0
	v_cmp_ne_u32_e32 vcc, 0, v2
	v_cndmask_b32_e64 v2, 0, 1, vcc
	v_lshrrev_b32_e32 v3, 8, v1
	s_movk_i32 s0, 0xffe
	v_bfe_u32 v7, v1, 20, 11
	v_and_or_b32 v2, v3, s0, v2
	v_sub_u32_e32 v11, 0x3f1, v7
	v_or_b32_e32 v3, 0x1000, v2
	v_med3_i32 v11, v11, 0, 13
	v_lshrrev_b32_e32 v17, v11, v3
	v_lshlrev_b32_e32 v11, v11, v17
	v_cmp_ne_u32_e32 vcc, v11, v3
	v_cndmask_b32_e64 v3, 0, 1, vcc
	v_add_u32_e32 v7, 0xfffffc10, v7
	v_or_b32_e32 v3, v17, v3
	v_lshl_or_b32 v11, v7, 12, v2
	v_cmp_gt_i32_e32 vcc, 1, v7
	v_cndmask_b32_e32 v3, v11, v3, vcc
	v_and_b32_e32 v11, 7, v3
	v_cmp_lt_i32_e32 vcc, 5, v11
	v_cndmask_b32_e64 v17, 0, 1, vcc
	v_cmp_eq_u32_e32 vcc, 3, v11
	v_cndmask_b32_e64 v11, 0, 1, vcc
	v_or_b32_e32 v11, v11, v17
	v_lshrrev_b32_e32 v3, 2, v3
	v_add_u32_e32 v3, v3, v11
	v_mov_b32_e32 v11, 0x7c00
	v_cmp_gt_i32_e32 vcc, 31, v7
	v_cndmask_b32_e32 v3, v11, v3, vcc
	v_mov_b32_e32 v17, 0x7e00
	v_cmp_ne_u32_e32 vcc, 0, v2
	s_movk_i32 s0, 0x40f
	v_cndmask_b32_e32 v2, v11, v17, vcc
	v_cmp_eq_u32_e32 vcc, s0, v7
	v_cndmask_b32_e32 v2, v3, v2, vcc
	v_lshrrev_b32_e32 v3, 16, v1
	s_mov_b32 s0, 0x8000
	v_and_or_b32 v2, v3, s0, v2
	global_store_short v[15:16], v2, off
.LBB9_1993:
	s_mov_b64 s[0:1], 0
.LBB9_1994:
	s_andn2_b64 vcc, exec, s[0:1]
	s_cbranch_vccnz .LBB9_2010
; %bb.1995:
	s_cmp_lt_i32 s4, 2
	s_mov_b64 s[0:1], -1
	s_cbranch_scc1 .LBB9_2005
; %bb.1996:
	s_cmp_lt_i32 s4, 3
	s_cbranch_scc1 .LBB9_2002
; %bb.1997:
	s_cmp_gt_i32 s4, 3
	s_cbranch_scc0 .LBB9_1999
; %bb.1998:
	v_trunc_f64_e32 v[2:3], v[0:1]
	s_movk_i32 s0, 0xffe0
	v_ldexp_f64 v[17:18], v[2:3], s0
	s_mov_b32 s0, 0
	s_mov_b32 s1, 0xc1f00000
	v_floor_f64_e32 v[17:18], v[17:18]
	v_fma_f64 v[2:3], v[17:18], s[0:1], v[2:3]
	v_cvt_i32_f64_e32 v18, v[17:18]
	s_mov_b64 s[0:1], 0
	v_cvt_u32_f64_e32 v17, v[2:3]
	global_store_dwordx2 v[15:16], v[17:18], off
.LBB9_1999:
	s_andn2_b64 vcc, exec, s[0:1]
	s_cbranch_vccnz .LBB9_2001
; %bb.2000:
	v_cvt_i32_f64_e32 v2, v[0:1]
	global_store_dword v[15:16], v2, off
.LBB9_2001:
	s_mov_b64 s[0:1], 0
.LBB9_2002:
	s_andn2_b64 vcc, exec, s[0:1]
	s_cbranch_vccnz .LBB9_2004
; %bb.2003:
	v_cvt_i32_f64_e32 v2, v[0:1]
	global_store_short v[15:16], v2, off
.LBB9_2004:
	s_mov_b64 s[0:1], 0
.LBB9_2005:
	s_andn2_b64 vcc, exec, s[0:1]
	s_cbranch_vccnz .LBB9_2010
; %bb.2006:
	s_cmp_gt_i32 s4, 0
	s_mov_b64 s[0:1], -1
	s_cbranch_scc0 .LBB9_2008
; %bb.2007:
	v_cvt_i32_f64_e32 v2, v[0:1]
	s_mov_b64 s[0:1], 0
	global_store_byte v[15:16], v2, off
.LBB9_2008:
	s_andn2_b64 vcc, exec, s[0:1]
	s_cbranch_vccnz .LBB9_2010
; %bb.2009:
	v_trunc_f64_e32 v[0:1], v[0:1]
	s_movk_i32 s0, 0xffe0
	v_ldexp_f64 v[2:3], v[0:1], s0
	s_mov_b32 s0, 0
	s_mov_b32 s1, 0xc1f00000
	v_floor_f64_e32 v[2:3], v[2:3]
	v_fma_f64 v[0:1], v[2:3], s[0:1], v[0:1]
	v_cvt_u32_f64_e32 v0, v[0:1]
	global_store_byte v[15:16], v0, off
.LBB9_2010:
	s_mov_b64 s[6:7], -1
.LBB9_2011:
	s_andn2_b64 vcc, exec, s[6:7]
	s_cbranch_vccnz .LBB9_2326
; %bb.2012:
	s_lshr_b32 s0, s18, 8
	s_and_b32 s14, s0, 0xff
	v_mov_b32_e32 v1, s9
	v_add_co_u32_e32 v0, vcc, s8, v6
	s_cmp_lt_i32 s14, 11
	v_addc_co_u32_e32 v1, vcc, 0, v1, vcc
	s_cbranch_scc1 .LBB9_2090
; %bb.2013:
	s_and_b32 s15, 0xffff, s14
	s_mov_b64 s[10:11], -1
	s_mov_b64 s[4:5], 0
	s_cmp_gt_i32 s15, 25
	s_mov_b64 s[6:7], 0
	s_mov_b64 s[0:1], 0
	s_cbranch_scc0 .LBB9_2046
; %bb.2014:
	s_cmp_gt_i32 s15, 28
	s_cbranch_scc0 .LBB9_2029
; %bb.2015:
	s_cmp_gt_i32 s15, 43
	;; [unrolled: 3-line block ×3, first 2 shown]
	s_cbranch_scc0 .LBB9_2019
; %bb.2017:
	s_mov_b64 s[0:1], -1
	s_mov_b64 s[10:11], 0
	s_cmp_eq_u32 s15, 46
	s_cbranch_scc0 .LBB9_2019
; %bb.2018:
	v_cvt_f32_f64_e32 v2, v[4:5]
	s_movk_i32 s0, 0x7fff
	v_mov_b32_e32 v3, 0x7fc0
	s_mov_b64 s[6:7], -1
	v_bfe_u32 v6, v2, 16, 1
	v_cmp_o_f32_e32 vcc, v2, v2
	v_add3_u32 v2, v2, v6, s0
	v_cndmask_b32_sdwa v2, v3, v2, vcc dst_sel:DWORD dst_unused:UNUSED_PAD src0_sel:DWORD src1_sel:WORD_1
	global_store_dword v[0:1], v2, off
	s_mov_b64 s[0:1], 0
.LBB9_2019:
	s_and_b64 vcc, exec, s[10:11]
	s_cbranch_vccz .LBB9_2024
; %bb.2020:
	s_cmp_eq_u32 s15, 44
	s_mov_b64 s[0:1], -1
	s_cbranch_scc0 .LBB9_2024
; %bb.2021:
	v_cvt_f32_f64_e32 v2, v[4:5]
	s_movk_i32 s0, 0xff
	v_mov_b32_e32 v6, 0xff
	v_bfe_u32 v3, v2, 23, 8
	v_cmp_ne_u32_e32 vcc, s0, v3
	s_and_saveexec_b64 s[6:7], vcc
; %bb.2022:
	s_mov_b32 s0, 0x3fffff
	v_lshrrev_b32_e32 v6, 23, v2
	v_and_b32_e32 v7, 0x400000, v2
	v_and_or_b32 v2, v2, s0, v3
	v_cmp_ne_u32_e32 vcc, 0, v7
	v_cmp_ne_u32_e64 s[0:1], 0, v2
	s_and_b64 s[0:1], vcc, s[0:1]
	v_cndmask_b32_e64 v2, 0, 1, s[0:1]
	v_add_u32_e32 v6, v6, v2
; %bb.2023:
	s_or_b64 exec, exec, s[6:7]
	s_mov_b64 s[0:1], 0
	s_mov_b64 s[6:7], -1
	global_store_byte v[0:1], v6, off
.LBB9_2024:
	s_mov_b64 s[10:11], 0
.LBB9_2025:
	s_and_b64 vcc, exec, s[10:11]
	s_cbranch_vccz .LBB9_2028
; %bb.2026:
	s_cmp_eq_u32 s15, 29
	s_mov_b64 s[0:1], -1
	s_cbranch_scc0 .LBB9_2028
; %bb.2027:
	v_trunc_f64_e32 v[2:3], v[4:5]
	s_movk_i32 s0, 0xffe0
	s_mov_b64 s[6:7], -1
	v_ldexp_f64 v[6:7], v[2:3], s0
	s_mov_b32 s0, 0
	s_mov_b32 s1, 0xc1f00000
	v_floor_f64_e32 v[6:7], v[6:7]
	v_fma_f64 v[2:3], v[6:7], s[0:1], v[2:3]
	v_cvt_u32_f64_e32 v7, v[6:7]
	s_mov_b64 s[0:1], 0
	v_cvt_u32_f64_e32 v6, v[2:3]
	global_store_dwordx2 v[0:1], v[6:7], off
.LBB9_2028:
	s_mov_b64 s[10:11], 0
.LBB9_2029:
	s_and_b64 vcc, exec, s[10:11]
	s_cbranch_vccz .LBB9_2045
; %bb.2030:
	s_cmp_lt_i32 s15, 27
	s_mov_b64 s[6:7], -1
	s_cbranch_scc1 .LBB9_2036
; %bb.2031:
	s_cmp_gt_i32 s15, 27
	s_cbranch_scc0 .LBB9_2033
; %bb.2032:
	v_cvt_u32_f64_e32 v2, v[4:5]
	s_mov_b64 s[6:7], 0
	global_store_dword v[0:1], v2, off
.LBB9_2033:
	s_andn2_b64 vcc, exec, s[6:7]
	s_cbranch_vccnz .LBB9_2035
; %bb.2034:
	v_cvt_u32_f64_e32 v2, v[4:5]
	global_store_short v[0:1], v2, off
.LBB9_2035:
	s_mov_b64 s[6:7], 0
.LBB9_2036:
	s_andn2_b64 vcc, exec, s[6:7]
	s_cbranch_vccnz .LBB9_2044
; %bb.2037:
	v_cvt_f32_f64_e32 v2, v[4:5]
	s_mov_b32 s6, 0x43800000
	v_mov_b32_e32 v6, 0x80
	v_and_b32_e32 v3, 0x7fffffff, v2
	v_cmp_gt_u32_e32 vcc, s6, v3
	s_and_saveexec_b64 s[6:7], vcc
	s_cbranch_execz .LBB9_2043
; %bb.2038:
	s_mov_b32 s10, 0x3bffffff
	v_cmp_lt_u32_e32 vcc, s10, v3
	s_mov_b64 s[10:11], 0
                                        ; implicit-def: $vgpr3
	s_and_saveexec_b64 s[12:13], vcc
	s_xor_b64 s[12:13], exec, s[12:13]
	s_cbranch_execz .LBB9_2334
; %bb.2039:
	v_bfe_u32 v3, v2, 20, 1
	s_mov_b32 s16, 0x487ffff
	v_add3_u32 v3, v2, v3, s16
	s_mov_b64 s[10:11], exec
	v_lshrrev_b32_e32 v3, 20, v3
	s_andn2_saveexec_b64 s[12:13], s[12:13]
	s_cbranch_execnz .LBB9_2335
.LBB9_2040:
	s_or_b64 exec, exec, s[12:13]
	v_mov_b32_e32 v6, 0
	s_and_saveexec_b64 s[12:13], s[10:11]
.LBB9_2041:
	v_lshrrev_b32_e32 v2, 24, v2
	s_movk_i32 s10, 0x80
	v_and_or_b32 v6, v2, s10, v3
.LBB9_2042:
	s_or_b64 exec, exec, s[12:13]
.LBB9_2043:
	s_or_b64 exec, exec, s[6:7]
	global_store_byte v[0:1], v6, off
.LBB9_2044:
	s_mov_b64 s[6:7], -1
.LBB9_2045:
	s_mov_b64 s[10:11], 0
.LBB9_2046:
	s_and_b64 vcc, exec, s[10:11]
	s_cbranch_vccz .LBB9_2086
; %bb.2047:
	s_cmp_gt_i32 s15, 22
	s_mov_b64 s[4:5], -1
	s_cbranch_scc0 .LBB9_2079
; %bb.2048:
	s_cmp_lt_i32 s15, 24
	s_cbranch_scc1 .LBB9_2068
; %bb.2049:
	s_cmp_gt_i32 s15, 24
	s_cbranch_scc0 .LBB9_2057
; %bb.2050:
	v_cvt_f32_f64_e32 v2, v[4:5]
	s_mov_b32 s4, 0x47800000
	v_mov_b32_e32 v6, 0x80
	v_and_b32_e32 v3, 0x7fffffff, v2
	v_cmp_gt_u32_e32 vcc, s4, v3
	s_and_saveexec_b64 s[4:5], vcc
	s_cbranch_execz .LBB9_2056
; %bb.2051:
	s_mov_b32 s6, 0x37ffffff
	v_cmp_lt_u32_e32 vcc, s6, v3
	s_mov_b64 s[6:7], 0
                                        ; implicit-def: $vgpr3
	s_and_saveexec_b64 s[10:11], vcc
	s_xor_b64 s[10:11], exec, s[10:11]
	s_cbranch_execz .LBB9_2337
; %bb.2052:
	v_bfe_u32 v3, v2, 21, 1
	s_mov_b32 s12, 0x88fffff
	v_add3_u32 v3, v2, v3, s12
	s_mov_b64 s[6:7], exec
	v_lshrrev_b32_e32 v3, 21, v3
	s_andn2_saveexec_b64 s[10:11], s[10:11]
	s_cbranch_execnz .LBB9_2338
.LBB9_2053:
	s_or_b64 exec, exec, s[10:11]
	v_mov_b32_e32 v6, 0
	s_and_saveexec_b64 s[10:11], s[6:7]
.LBB9_2054:
	v_lshrrev_b32_e32 v2, 24, v2
	s_movk_i32 s6, 0x80
	v_and_or_b32 v6, v2, s6, v3
.LBB9_2055:
	s_or_b64 exec, exec, s[10:11]
.LBB9_2056:
	s_or_b64 exec, exec, s[4:5]
	s_mov_b64 s[4:5], 0
	global_store_byte v[0:1], v6, off
.LBB9_2057:
	s_and_b64 vcc, exec, s[4:5]
	s_cbranch_vccz .LBB9_2067
; %bb.2058:
	v_cvt_f32_f64_e32 v2, v[4:5]
	s_mov_b32 s4, 0x43f00000
                                        ; implicit-def: $vgpr3
	v_and_b32_e32 v6, 0x7fffffff, v2
	v_cmp_gt_u32_e32 vcc, s4, v6
	s_and_saveexec_b64 s[4:5], vcc
	s_xor_b64 s[4:5], exec, s[4:5]
	s_cbranch_execz .LBB9_2064
; %bb.2059:
	s_mov_b32 s6, 0x3c7fffff
	v_cmp_lt_u32_e32 vcc, s6, v6
                                        ; implicit-def: $vgpr3
	s_and_saveexec_b64 s[6:7], vcc
	s_xor_b64 s[6:7], exec, s[6:7]
; %bb.2060:
	v_bfe_u32 v3, v2, 20, 1
	s_mov_b32 s10, 0x407ffff
	v_add3_u32 v3, v2, v3, s10
	v_lshrrev_b32_e32 v6, 20, v3
	v_and_b32_e32 v3, 0xff00000, v3
	s_mov_b32 s10, 0x7f00000
	v_mov_b32_e32 v7, 0x7e
	v_cmp_ne_u32_e32 vcc, s10, v3
	v_cndmask_b32_e32 v3, v7, v6, vcc
; %bb.2061:
	s_andn2_saveexec_b64 s[6:7], s[6:7]
; %bb.2062:
	s_mov_b32 s10, 0x46800000
	v_add_f32_e64 v3, |v2|, s10
; %bb.2063:
	s_or_b64 exec, exec, s[6:7]
                                        ; implicit-def: $vgpr6
.LBB9_2064:
	s_andn2_saveexec_b64 s[4:5], s[4:5]
; %bb.2065:
	s_mov_b32 s6, 0x7f800000
	v_mov_b32_e32 v3, 0x7e
	v_mov_b32_e32 v7, 0x7f
	v_cmp_lt_u32_e32 vcc, s6, v6
	v_cndmask_b32_e32 v3, v3, v7, vcc
; %bb.2066:
	s_or_b64 exec, exec, s[4:5]
	v_lshrrev_b32_e32 v2, 24, v2
	s_movk_i32 s4, 0x80
	v_and_or_b32 v2, v2, s4, v3
	global_store_byte v[0:1], v2, off
.LBB9_2067:
	s_mov_b64 s[4:5], 0
.LBB9_2068:
	s_andn2_b64 vcc, exec, s[4:5]
	s_cbranch_vccnz .LBB9_2078
; %bb.2069:
	v_cvt_f32_f64_e32 v2, v[4:5]
	s_mov_b32 s4, 0x47800000
                                        ; implicit-def: $vgpr3
	v_and_b32_e32 v6, 0x7fffffff, v2
	v_cmp_gt_u32_e32 vcc, s4, v6
	s_and_saveexec_b64 s[4:5], vcc
	s_xor_b64 s[4:5], exec, s[4:5]
	s_cbranch_execz .LBB9_2075
; %bb.2070:
	s_mov_b32 s6, 0x387fffff
	v_cmp_lt_u32_e32 vcc, s6, v6
                                        ; implicit-def: $vgpr3
	s_and_saveexec_b64 s[6:7], vcc
	s_xor_b64 s[6:7], exec, s[6:7]
; %bb.2071:
	v_bfe_u32 v3, v2, 21, 1
	s_mov_b32 s10, 0x80fffff
	v_add3_u32 v3, v2, v3, s10
	v_lshrrev_b32_e32 v3, 21, v3
; %bb.2072:
	s_andn2_saveexec_b64 s[6:7], s[6:7]
; %bb.2073:
	s_mov_b32 s10, 0x43000000
	v_add_f32_e64 v3, |v2|, s10
; %bb.2074:
	s_or_b64 exec, exec, s[6:7]
                                        ; implicit-def: $vgpr6
.LBB9_2075:
	s_andn2_saveexec_b64 s[4:5], s[4:5]
; %bb.2076:
	s_mov_b32 s6, 0x7f800000
	v_mov_b32_e32 v3, 0x7c
	v_mov_b32_e32 v7, 0x7f
	v_cmp_lt_u32_e32 vcc, s6, v6
	v_cndmask_b32_e32 v3, v3, v7, vcc
; %bb.2077:
	s_or_b64 exec, exec, s[4:5]
	v_lshrrev_b32_e32 v2, 24, v2
	s_movk_i32 s4, 0x80
	v_and_or_b32 v2, v2, s4, v3
	global_store_byte v[0:1], v2, off
.LBB9_2078:
	s_mov_b64 s[4:5], 0
	s_mov_b64 s[6:7], -1
.LBB9_2079:
	s_andn2_b64 vcc, exec, s[4:5]
	s_mov_b64 s[4:5], 0
	s_cbranch_vccnz .LBB9_2086
; %bb.2080:
	s_cmp_gt_i32 s15, 14
	s_mov_b64 s[10:11], -1
	s_cbranch_scc0 .LBB9_2084
; %bb.2081:
	s_cmp_eq_u32 s15, 15
	s_mov_b64 s[0:1], -1
	s_cbranch_scc0 .LBB9_2083
; %bb.2082:
	v_cvt_f32_f64_e32 v2, v[4:5]
	s_movk_i32 s0, 0x7fff
	v_mov_b32_e32 v3, 0x7fc0
	s_mov_b64 s[6:7], -1
	v_bfe_u32 v6, v2, 16, 1
	v_cmp_o_f32_e32 vcc, v2, v2
	v_add3_u32 v2, v2, v6, s0
	v_cndmask_b32_sdwa v2, v3, v2, vcc dst_sel:DWORD dst_unused:UNUSED_PAD src0_sel:DWORD src1_sel:WORD_1
	global_store_short v[0:1], v2, off
	s_mov_b64 s[0:1], 0
.LBB9_2083:
	s_mov_b64 s[10:11], 0
.LBB9_2084:
	s_and_b64 vcc, exec, s[10:11]
	s_cbranch_vccz .LBB9_2086
; %bb.2085:
	s_cmp_lg_u32 s15, 11
	s_mov_b64 s[4:5], -1
	s_cselect_b64 s[0:1], -1, 0
.LBB9_2086:
	s_and_b64 vcc, exec, s[0:1]
	s_cbranch_vccnz .LBB9_2336
; %bb.2087:
	s_andn2_b64 vcc, exec, s[4:5]
	s_cbranch_vccnz .LBB9_2089
.LBB9_2088:
	v_cmp_neq_f64_e32 vcc, 0, v[4:5]
	s_mov_b64 s[6:7], -1
	v_cndmask_b32_e64 v2, 0, 1, vcc
	global_store_byte v[0:1], v2, off
.LBB9_2089:
	s_mov_b64 s[0:1], 0
	s_branch .LBB9_2091
.LBB9_2090:
	s_mov_b64 s[0:1], -1
	s_mov_b64 s[6:7], 0
.LBB9_2091:
	s_and_b64 vcc, exec, s[0:1]
	s_cbranch_vccz .LBB9_2130
; %bb.2092:
	s_and_b32 s4, 0xffff, s14
	s_cmp_lt_i32 s4, 5
	s_mov_b64 s[0:1], -1
	s_cbranch_scc1 .LBB9_2113
; %bb.2093:
	s_cmp_lt_i32 s4, 8
	s_cbranch_scc1 .LBB9_2103
; %bb.2094:
	s_cmp_lt_i32 s4, 9
	s_cbranch_scc1 .LBB9_2100
; %bb.2095:
	s_cmp_gt_i32 s4, 9
	s_cbranch_scc0 .LBB9_2097
; %bb.2096:
	v_mov_b32_e32 v6, 0
	v_mov_b32_e32 v7, v6
	global_store_dwordx4 v[0:1], v[4:7], off
	s_mov_b64 s[0:1], 0
.LBB9_2097:
	s_andn2_b64 vcc, exec, s[0:1]
	s_cbranch_vccnz .LBB9_2099
; %bb.2098:
	v_cvt_f32_f64_e32 v2, v[4:5]
	v_mov_b32_e32 v3, 0
	global_store_dwordx2 v[0:1], v[2:3], off
.LBB9_2099:
	s_mov_b64 s[0:1], 0
.LBB9_2100:
	s_andn2_b64 vcc, exec, s[0:1]
	s_cbranch_vccnz .LBB9_2102
; %bb.2101:
	s_movk_i32 s0, 0x1ff
	v_and_or_b32 v2, v5, s0, v4
	v_cmp_ne_u32_e32 vcc, 0, v2
	v_cndmask_b32_e64 v2, 0, 1, vcc
	v_lshrrev_b32_e32 v3, 8, v5
	s_movk_i32 s0, 0xffe
	v_bfe_u32 v6, v5, 20, 11
	v_and_or_b32 v2, v3, s0, v2
	v_sub_u32_e32 v7, 0x3f1, v6
	v_or_b32_e32 v3, 0x1000, v2
	v_med3_i32 v7, v7, 0, 13
	v_lshrrev_b32_e32 v11, v7, v3
	v_lshlrev_b32_e32 v7, v7, v11
	v_cmp_ne_u32_e32 vcc, v7, v3
	v_cndmask_b32_e64 v3, 0, 1, vcc
	v_add_u32_e32 v6, 0xfffffc10, v6
	v_or_b32_e32 v3, v11, v3
	v_lshl_or_b32 v7, v6, 12, v2
	v_cmp_gt_i32_e32 vcc, 1, v6
	v_cndmask_b32_e32 v3, v7, v3, vcc
	v_and_b32_e32 v7, 7, v3
	v_cmp_lt_i32_e32 vcc, 5, v7
	v_cndmask_b32_e64 v11, 0, 1, vcc
	v_cmp_eq_u32_e32 vcc, 3, v7
	v_cndmask_b32_e64 v7, 0, 1, vcc
	v_or_b32_e32 v7, v7, v11
	v_lshrrev_b32_e32 v3, 2, v3
	v_add_u32_e32 v3, v3, v7
	v_mov_b32_e32 v7, 0x7c00
	v_cmp_gt_i32_e32 vcc, 31, v6
	v_cndmask_b32_e32 v3, v7, v3, vcc
	v_mov_b32_e32 v11, 0x7e00
	v_cmp_ne_u32_e32 vcc, 0, v2
	s_movk_i32 s0, 0x40f
	v_cndmask_b32_e32 v2, v7, v11, vcc
	v_cmp_eq_u32_e32 vcc, s0, v6
	v_cndmask_b32_e32 v2, v3, v2, vcc
	v_lshrrev_b32_e32 v3, 16, v5
	s_mov_b32 s0, 0x8000
	v_and_or_b32 v2, v3, s0, v2
	v_and_b32_e32 v2, 0xffff, v2
	global_store_dword v[0:1], v2, off
.LBB9_2102:
	s_mov_b64 s[0:1], 0
.LBB9_2103:
	s_andn2_b64 vcc, exec, s[0:1]
	s_cbranch_vccnz .LBB9_2112
; %bb.2104:
	s_cmp_lt_i32 s4, 6
	s_mov_b64 s[0:1], -1
	s_cbranch_scc1 .LBB9_2110
; %bb.2105:
	s_cmp_gt_i32 s4, 6
	s_cbranch_scc0 .LBB9_2107
; %bb.2106:
	global_store_dwordx2 v[0:1], v[4:5], off
	s_mov_b64 s[0:1], 0
.LBB9_2107:
	s_andn2_b64 vcc, exec, s[0:1]
	s_cbranch_vccnz .LBB9_2109
; %bb.2108:
	v_cvt_f32_f64_e32 v2, v[4:5]
	global_store_dword v[0:1], v2, off
.LBB9_2109:
	s_mov_b64 s[0:1], 0
.LBB9_2110:
	s_andn2_b64 vcc, exec, s[0:1]
	s_cbranch_vccnz .LBB9_2112
; %bb.2111:
	s_movk_i32 s0, 0x1ff
	v_and_or_b32 v2, v5, s0, v4
	v_cmp_ne_u32_e32 vcc, 0, v2
	v_cndmask_b32_e64 v2, 0, 1, vcc
	v_lshrrev_b32_e32 v3, 8, v5
	s_movk_i32 s0, 0xffe
	v_bfe_u32 v6, v5, 20, 11
	v_and_or_b32 v2, v3, s0, v2
	v_sub_u32_e32 v7, 0x3f1, v6
	v_or_b32_e32 v3, 0x1000, v2
	v_med3_i32 v7, v7, 0, 13
	v_lshrrev_b32_e32 v11, v7, v3
	v_lshlrev_b32_e32 v7, v7, v11
	v_cmp_ne_u32_e32 vcc, v7, v3
	v_cndmask_b32_e64 v3, 0, 1, vcc
	v_add_u32_e32 v6, 0xfffffc10, v6
	v_or_b32_e32 v3, v11, v3
	v_lshl_or_b32 v7, v6, 12, v2
	v_cmp_gt_i32_e32 vcc, 1, v6
	v_cndmask_b32_e32 v3, v7, v3, vcc
	v_and_b32_e32 v7, 7, v3
	v_cmp_lt_i32_e32 vcc, 5, v7
	v_cndmask_b32_e64 v11, 0, 1, vcc
	v_cmp_eq_u32_e32 vcc, 3, v7
	v_cndmask_b32_e64 v7, 0, 1, vcc
	v_or_b32_e32 v7, v7, v11
	v_lshrrev_b32_e32 v3, 2, v3
	v_add_u32_e32 v3, v3, v7
	v_mov_b32_e32 v7, 0x7c00
	v_cmp_gt_i32_e32 vcc, 31, v6
	v_cndmask_b32_e32 v3, v7, v3, vcc
	v_mov_b32_e32 v11, 0x7e00
	v_cmp_ne_u32_e32 vcc, 0, v2
	s_movk_i32 s0, 0x40f
	v_cndmask_b32_e32 v2, v7, v11, vcc
	v_cmp_eq_u32_e32 vcc, s0, v6
	v_cndmask_b32_e32 v2, v3, v2, vcc
	v_lshrrev_b32_e32 v3, 16, v5
	s_mov_b32 s0, 0x8000
	v_and_or_b32 v2, v3, s0, v2
	global_store_short v[0:1], v2, off
.LBB9_2112:
	s_mov_b64 s[0:1], 0
.LBB9_2113:
	s_andn2_b64 vcc, exec, s[0:1]
	s_cbranch_vccnz .LBB9_2129
; %bb.2114:
	s_cmp_lt_i32 s4, 2
	s_mov_b64 s[0:1], -1
	s_cbranch_scc1 .LBB9_2124
; %bb.2115:
	s_cmp_lt_i32 s4, 3
	s_cbranch_scc1 .LBB9_2121
; %bb.2116:
	s_cmp_gt_i32 s4, 3
	s_cbranch_scc0 .LBB9_2118
; %bb.2117:
	v_trunc_f64_e32 v[2:3], v[4:5]
	s_movk_i32 s0, 0xffe0
	v_ldexp_f64 v[6:7], v[2:3], s0
	s_mov_b32 s0, 0
	s_mov_b32 s1, 0xc1f00000
	v_floor_f64_e32 v[6:7], v[6:7]
	v_fma_f64 v[2:3], v[6:7], s[0:1], v[2:3]
	v_cvt_i32_f64_e32 v7, v[6:7]
	s_mov_b64 s[0:1], 0
	v_cvt_u32_f64_e32 v6, v[2:3]
	global_store_dwordx2 v[0:1], v[6:7], off
.LBB9_2118:
	s_andn2_b64 vcc, exec, s[0:1]
	s_cbranch_vccnz .LBB9_2120
; %bb.2119:
	v_cvt_i32_f64_e32 v2, v[4:5]
	global_store_dword v[0:1], v2, off
.LBB9_2120:
	s_mov_b64 s[0:1], 0
.LBB9_2121:
	s_andn2_b64 vcc, exec, s[0:1]
	s_cbranch_vccnz .LBB9_2123
; %bb.2122:
	v_cvt_i32_f64_e32 v2, v[4:5]
	global_store_short v[0:1], v2, off
.LBB9_2123:
	s_mov_b64 s[0:1], 0
.LBB9_2124:
	s_andn2_b64 vcc, exec, s[0:1]
	s_cbranch_vccnz .LBB9_2129
; %bb.2125:
	s_cmp_gt_i32 s4, 0
	s_mov_b64 s[0:1], -1
	s_cbranch_scc0 .LBB9_2127
; %bb.2126:
	v_cvt_i32_f64_e32 v2, v[4:5]
	s_mov_b64 s[0:1], 0
	global_store_byte v[0:1], v2, off
.LBB9_2127:
	s_andn2_b64 vcc, exec, s[0:1]
	s_cbranch_vccnz .LBB9_2129
; %bb.2128:
	v_trunc_f64_e32 v[2:3], v[4:5]
	s_movk_i32 s0, 0xffe0
	v_ldexp_f64 v[4:5], v[2:3], s0
	s_mov_b32 s0, 0
	s_mov_b32 s1, 0xc1f00000
	v_floor_f64_e32 v[4:5], v[4:5]
	v_fma_f64 v[2:3], v[4:5], s[0:1], v[2:3]
	v_cvt_u32_f64_e32 v2, v[2:3]
	global_store_byte v[0:1], v2, off
.LBB9_2129:
	s_mov_b64 s[6:7], -1
.LBB9_2130:
	s_andn2_b64 vcc, exec, s[6:7]
	s_cbranch_vccnz .LBB9_2326
; %bb.2131:
	v_mov_b32_e32 v1, s9
	v_add_co_u32_e32 v0, vcc, s8, v10
	s_cmp_lt_i32 s14, 11
	v_addc_co_u32_e32 v1, vcc, 0, v1, vcc
	s_cbranch_scc1 .LBB9_2209
; %bb.2132:
	s_and_b32 s15, 0xffff, s14
	s_mov_b64 s[10:11], -1
	s_mov_b64 s[4:5], 0
	s_cmp_gt_i32 s15, 25
	s_mov_b64 s[6:7], 0
	s_mov_b64 s[0:1], 0
	s_cbranch_scc0 .LBB9_2165
; %bb.2133:
	s_cmp_gt_i32 s15, 28
	s_cbranch_scc0 .LBB9_2148
; %bb.2134:
	s_cmp_gt_i32 s15, 43
	;; [unrolled: 3-line block ×3, first 2 shown]
	s_cbranch_scc0 .LBB9_2138
; %bb.2136:
	s_mov_b64 s[0:1], -1
	s_mov_b64 s[10:11], 0
	s_cmp_eq_u32 s15, 46
	s_cbranch_scc0 .LBB9_2138
; %bb.2137:
	v_cvt_f32_f64_e32 v2, v[8:9]
	s_movk_i32 s0, 0x7fff
	v_mov_b32_e32 v3, 0x7fc0
	s_mov_b64 s[6:7], -1
	v_bfe_u32 v4, v2, 16, 1
	v_cmp_o_f32_e32 vcc, v2, v2
	v_add3_u32 v2, v2, v4, s0
	v_cndmask_b32_sdwa v2, v3, v2, vcc dst_sel:DWORD dst_unused:UNUSED_PAD src0_sel:DWORD src1_sel:WORD_1
	global_store_dword v[0:1], v2, off
	s_mov_b64 s[0:1], 0
.LBB9_2138:
	s_and_b64 vcc, exec, s[10:11]
	s_cbranch_vccz .LBB9_2143
; %bb.2139:
	s_cmp_eq_u32 s15, 44
	s_mov_b64 s[0:1], -1
	s_cbranch_scc0 .LBB9_2143
; %bb.2140:
	v_cvt_f32_f64_e32 v2, v[8:9]
	s_movk_i32 s0, 0xff
	v_mov_b32_e32 v4, 0xff
	v_bfe_u32 v3, v2, 23, 8
	v_cmp_ne_u32_e32 vcc, s0, v3
	s_and_saveexec_b64 s[6:7], vcc
; %bb.2141:
	s_mov_b32 s0, 0x3fffff
	v_lshrrev_b32_e32 v4, 23, v2
	v_and_b32_e32 v5, 0x400000, v2
	v_and_or_b32 v2, v2, s0, v3
	v_cmp_ne_u32_e32 vcc, 0, v5
	v_cmp_ne_u32_e64 s[0:1], 0, v2
	s_and_b64 s[0:1], vcc, s[0:1]
	v_cndmask_b32_e64 v2, 0, 1, s[0:1]
	v_add_u32_e32 v4, v4, v2
; %bb.2142:
	s_or_b64 exec, exec, s[6:7]
	s_mov_b64 s[0:1], 0
	s_mov_b64 s[6:7], -1
	global_store_byte v[0:1], v4, off
.LBB9_2143:
	s_mov_b64 s[10:11], 0
.LBB9_2144:
	s_and_b64 vcc, exec, s[10:11]
	s_cbranch_vccz .LBB9_2147
; %bb.2145:
	s_cmp_eq_u32 s15, 29
	s_mov_b64 s[0:1], -1
	s_cbranch_scc0 .LBB9_2147
; %bb.2146:
	v_trunc_f64_e32 v[2:3], v[8:9]
	s_movk_i32 s0, 0xffe0
	s_mov_b64 s[6:7], -1
	v_ldexp_f64 v[4:5], v[2:3], s0
	s_mov_b32 s0, 0
	s_mov_b32 s1, 0xc1f00000
	v_floor_f64_e32 v[4:5], v[4:5]
	v_fma_f64 v[2:3], v[4:5], s[0:1], v[2:3]
	v_cvt_u32_f64_e32 v4, v[4:5]
	s_mov_b64 s[0:1], 0
	v_cvt_u32_f64_e32 v3, v[2:3]
	global_store_dwordx2 v[0:1], v[3:4], off
.LBB9_2147:
	s_mov_b64 s[10:11], 0
.LBB9_2148:
	s_and_b64 vcc, exec, s[10:11]
	s_cbranch_vccz .LBB9_2164
; %bb.2149:
	s_cmp_lt_i32 s15, 27
	s_mov_b64 s[6:7], -1
	s_cbranch_scc1 .LBB9_2155
; %bb.2150:
	v_cvt_u32_f64_e32 v2, v[8:9]
	s_cmp_gt_i32 s15, 27
	s_cbranch_scc0 .LBB9_2152
; %bb.2151:
	s_mov_b64 s[6:7], 0
	global_store_dword v[0:1], v2, off
.LBB9_2152:
	s_andn2_b64 vcc, exec, s[6:7]
	s_cbranch_vccnz .LBB9_2154
; %bb.2153:
	global_store_short v[0:1], v2, off
.LBB9_2154:
	s_mov_b64 s[6:7], 0
.LBB9_2155:
	s_andn2_b64 vcc, exec, s[6:7]
	s_cbranch_vccnz .LBB9_2163
; %bb.2156:
	v_cvt_f32_f64_e32 v2, v[8:9]
	s_mov_b32 s6, 0x43800000
	v_mov_b32_e32 v4, 0x80
	v_and_b32_e32 v3, 0x7fffffff, v2
	v_cmp_gt_u32_e32 vcc, s6, v3
	s_and_saveexec_b64 s[6:7], vcc
	s_cbranch_execz .LBB9_2162
; %bb.2157:
	s_mov_b32 s10, 0x3bffffff
	v_cmp_lt_u32_e32 vcc, s10, v3
	s_mov_b64 s[10:11], 0
                                        ; implicit-def: $vgpr3
	s_and_saveexec_b64 s[12:13], vcc
	s_xor_b64 s[12:13], exec, s[12:13]
	s_cbranch_execz .LBB9_2339
; %bb.2158:
	v_bfe_u32 v3, v2, 20, 1
	s_mov_b32 s16, 0x487ffff
	v_add3_u32 v3, v2, v3, s16
	s_mov_b64 s[10:11], exec
	v_lshrrev_b32_e32 v3, 20, v3
	s_andn2_saveexec_b64 s[12:13], s[12:13]
	s_cbranch_execnz .LBB9_2340
.LBB9_2159:
	s_or_b64 exec, exec, s[12:13]
	v_mov_b32_e32 v4, 0
	s_and_saveexec_b64 s[12:13], s[10:11]
.LBB9_2160:
	v_lshrrev_b32_e32 v2, 24, v2
	s_movk_i32 s10, 0x80
	v_and_or_b32 v4, v2, s10, v3
.LBB9_2161:
	s_or_b64 exec, exec, s[12:13]
.LBB9_2162:
	s_or_b64 exec, exec, s[6:7]
	global_store_byte v[0:1], v4, off
.LBB9_2163:
	s_mov_b64 s[6:7], -1
.LBB9_2164:
	s_mov_b64 s[10:11], 0
.LBB9_2165:
	s_and_b64 vcc, exec, s[10:11]
	s_cbranch_vccz .LBB9_2205
; %bb.2166:
	s_cmp_gt_i32 s15, 22
	s_mov_b64 s[4:5], -1
	s_cbranch_scc0 .LBB9_2198
; %bb.2167:
	s_cmp_lt_i32 s15, 24
	s_cbranch_scc1 .LBB9_2187
; %bb.2168:
	s_cmp_gt_i32 s15, 24
	s_cbranch_scc0 .LBB9_2176
; %bb.2169:
	v_cvt_f32_f64_e32 v2, v[8:9]
	s_mov_b32 s4, 0x47800000
	v_mov_b32_e32 v4, 0x80
	v_and_b32_e32 v3, 0x7fffffff, v2
	v_cmp_gt_u32_e32 vcc, s4, v3
	s_and_saveexec_b64 s[4:5], vcc
	s_cbranch_execz .LBB9_2175
; %bb.2170:
	s_mov_b32 s6, 0x37ffffff
	v_cmp_lt_u32_e32 vcc, s6, v3
	s_mov_b64 s[6:7], 0
                                        ; implicit-def: $vgpr3
	s_and_saveexec_b64 s[10:11], vcc
	s_xor_b64 s[10:11], exec, s[10:11]
	s_cbranch_execz .LBB9_2342
; %bb.2171:
	v_bfe_u32 v3, v2, 21, 1
	s_mov_b32 s12, 0x88fffff
	v_add3_u32 v3, v2, v3, s12
	s_mov_b64 s[6:7], exec
	v_lshrrev_b32_e32 v3, 21, v3
	s_andn2_saveexec_b64 s[10:11], s[10:11]
	s_cbranch_execnz .LBB9_2343
.LBB9_2172:
	s_or_b64 exec, exec, s[10:11]
	v_mov_b32_e32 v4, 0
	s_and_saveexec_b64 s[10:11], s[6:7]
.LBB9_2173:
	v_lshrrev_b32_e32 v2, 24, v2
	s_movk_i32 s6, 0x80
	v_and_or_b32 v4, v2, s6, v3
.LBB9_2174:
	s_or_b64 exec, exec, s[10:11]
.LBB9_2175:
	s_or_b64 exec, exec, s[4:5]
	s_mov_b64 s[4:5], 0
	global_store_byte v[0:1], v4, off
.LBB9_2176:
	s_and_b64 vcc, exec, s[4:5]
	s_cbranch_vccz .LBB9_2186
; %bb.2177:
	v_cvt_f32_f64_e32 v2, v[8:9]
	s_mov_b32 s4, 0x43f00000
                                        ; implicit-def: $vgpr3
	v_and_b32_e32 v4, 0x7fffffff, v2
	v_cmp_gt_u32_e32 vcc, s4, v4
	s_and_saveexec_b64 s[4:5], vcc
	s_xor_b64 s[4:5], exec, s[4:5]
	s_cbranch_execz .LBB9_2183
; %bb.2178:
	s_mov_b32 s6, 0x3c7fffff
	v_cmp_lt_u32_e32 vcc, s6, v4
                                        ; implicit-def: $vgpr3
	s_and_saveexec_b64 s[6:7], vcc
	s_xor_b64 s[6:7], exec, s[6:7]
; %bb.2179:
	v_bfe_u32 v3, v2, 20, 1
	s_mov_b32 s10, 0x407ffff
	v_add3_u32 v3, v2, v3, s10
	v_lshrrev_b32_e32 v4, 20, v3
	v_and_b32_e32 v3, 0xff00000, v3
	s_mov_b32 s10, 0x7f00000
	v_mov_b32_e32 v5, 0x7e
	v_cmp_ne_u32_e32 vcc, s10, v3
	v_cndmask_b32_e32 v3, v5, v4, vcc
; %bb.2180:
	s_andn2_saveexec_b64 s[6:7], s[6:7]
; %bb.2181:
	s_mov_b32 s10, 0x46800000
	v_add_f32_e64 v3, |v2|, s10
; %bb.2182:
	s_or_b64 exec, exec, s[6:7]
                                        ; implicit-def: $vgpr4
.LBB9_2183:
	s_andn2_saveexec_b64 s[4:5], s[4:5]
; %bb.2184:
	s_mov_b32 s6, 0x7f800000
	v_mov_b32_e32 v3, 0x7e
	v_mov_b32_e32 v5, 0x7f
	v_cmp_lt_u32_e32 vcc, s6, v4
	v_cndmask_b32_e32 v3, v3, v5, vcc
; %bb.2185:
	s_or_b64 exec, exec, s[4:5]
	v_lshrrev_b32_e32 v2, 24, v2
	s_movk_i32 s4, 0x80
	v_and_or_b32 v2, v2, s4, v3
	global_store_byte v[0:1], v2, off
.LBB9_2186:
	s_mov_b64 s[4:5], 0
.LBB9_2187:
	s_andn2_b64 vcc, exec, s[4:5]
	s_cbranch_vccnz .LBB9_2197
; %bb.2188:
	v_cvt_f32_f64_e32 v2, v[8:9]
	s_mov_b32 s4, 0x47800000
                                        ; implicit-def: $vgpr3
	v_and_b32_e32 v4, 0x7fffffff, v2
	v_cmp_gt_u32_e32 vcc, s4, v4
	s_and_saveexec_b64 s[4:5], vcc
	s_xor_b64 s[4:5], exec, s[4:5]
	s_cbranch_execz .LBB9_2194
; %bb.2189:
	s_mov_b32 s6, 0x387fffff
	v_cmp_lt_u32_e32 vcc, s6, v4
                                        ; implicit-def: $vgpr3
	s_and_saveexec_b64 s[6:7], vcc
	s_xor_b64 s[6:7], exec, s[6:7]
; %bb.2190:
	v_bfe_u32 v3, v2, 21, 1
	s_mov_b32 s10, 0x80fffff
	v_add3_u32 v3, v2, v3, s10
	v_lshrrev_b32_e32 v3, 21, v3
; %bb.2191:
	s_andn2_saveexec_b64 s[6:7], s[6:7]
; %bb.2192:
	s_mov_b32 s10, 0x43000000
	v_add_f32_e64 v3, |v2|, s10
; %bb.2193:
	s_or_b64 exec, exec, s[6:7]
                                        ; implicit-def: $vgpr4
.LBB9_2194:
	s_andn2_saveexec_b64 s[4:5], s[4:5]
; %bb.2195:
	s_mov_b32 s6, 0x7f800000
	v_mov_b32_e32 v3, 0x7c
	v_mov_b32_e32 v5, 0x7f
	v_cmp_lt_u32_e32 vcc, s6, v4
	v_cndmask_b32_e32 v3, v3, v5, vcc
; %bb.2196:
	s_or_b64 exec, exec, s[4:5]
	v_lshrrev_b32_e32 v2, 24, v2
	s_movk_i32 s4, 0x80
	v_and_or_b32 v2, v2, s4, v3
	global_store_byte v[0:1], v2, off
.LBB9_2197:
	s_mov_b64 s[4:5], 0
	s_mov_b64 s[6:7], -1
.LBB9_2198:
	s_andn2_b64 vcc, exec, s[4:5]
	s_mov_b64 s[4:5], 0
	s_cbranch_vccnz .LBB9_2205
; %bb.2199:
	s_cmp_gt_i32 s15, 14
	s_mov_b64 s[10:11], -1
	s_cbranch_scc0 .LBB9_2203
; %bb.2200:
	s_cmp_eq_u32 s15, 15
	s_mov_b64 s[0:1], -1
	s_cbranch_scc0 .LBB9_2202
; %bb.2201:
	v_cvt_f32_f64_e32 v2, v[8:9]
	s_movk_i32 s0, 0x7fff
	v_mov_b32_e32 v3, 0x7fc0
	s_mov_b64 s[6:7], -1
	v_bfe_u32 v4, v2, 16, 1
	v_cmp_o_f32_e32 vcc, v2, v2
	v_add3_u32 v2, v2, v4, s0
	v_cndmask_b32_sdwa v2, v3, v2, vcc dst_sel:DWORD dst_unused:UNUSED_PAD src0_sel:DWORD src1_sel:WORD_1
	global_store_short v[0:1], v2, off
	s_mov_b64 s[0:1], 0
.LBB9_2202:
	s_mov_b64 s[10:11], 0
.LBB9_2203:
	s_and_b64 vcc, exec, s[10:11]
	s_cbranch_vccz .LBB9_2205
; %bb.2204:
	s_cmp_lg_u32 s15, 11
	s_mov_b64 s[4:5], -1
	s_cselect_b64 s[0:1], -1, 0
.LBB9_2205:
	s_and_b64 vcc, exec, s[0:1]
	s_cbranch_vccnz .LBB9_2341
; %bb.2206:
	s_andn2_b64 vcc, exec, s[4:5]
	s_cbranch_vccnz .LBB9_2208
.LBB9_2207:
	v_cmp_neq_f64_e32 vcc, 0, v[8:9]
	s_mov_b64 s[6:7], -1
	v_cndmask_b32_e64 v2, 0, 1, vcc
	global_store_byte v[0:1], v2, off
.LBB9_2208:
	s_mov_b64 s[0:1], 0
	s_branch .LBB9_2210
.LBB9_2209:
	s_mov_b64 s[0:1], -1
	s_mov_b64 s[6:7], 0
.LBB9_2210:
	s_and_b64 vcc, exec, s[0:1]
	s_cbranch_vccz .LBB9_2249
; %bb.2211:
	s_and_b32 s4, 0xffff, s14
	s_cmp_lt_i32 s4, 5
	s_mov_b64 s[0:1], -1
	s_cbranch_scc1 .LBB9_2232
; %bb.2212:
	s_cmp_lt_i32 s4, 8
	s_cbranch_scc1 .LBB9_2222
; %bb.2213:
	s_cmp_lt_i32 s4, 9
	s_cbranch_scc1 .LBB9_2219
; %bb.2214:
	s_cmp_gt_i32 s4, 9
	s_cbranch_scc0 .LBB9_2216
; %bb.2215:
	v_mov_b32_e32 v10, 0
	v_mov_b32_e32 v11, v10
	global_store_dwordx4 v[0:1], v[8:11], off
	s_mov_b64 s[0:1], 0
.LBB9_2216:
	s_andn2_b64 vcc, exec, s[0:1]
	s_cbranch_vccnz .LBB9_2218
; %bb.2217:
	v_cvt_f32_f64_e32 v2, v[8:9]
	v_mov_b32_e32 v3, 0
	global_store_dwordx2 v[0:1], v[2:3], off
.LBB9_2218:
	s_mov_b64 s[0:1], 0
.LBB9_2219:
	s_andn2_b64 vcc, exec, s[0:1]
	s_cbranch_vccnz .LBB9_2221
; %bb.2220:
	s_movk_i32 s0, 0x1ff
	v_and_or_b32 v2, v9, s0, v8
	v_cmp_ne_u32_e32 vcc, 0, v2
	v_cndmask_b32_e64 v2, 0, 1, vcc
	v_lshrrev_b32_e32 v3, 8, v9
	s_movk_i32 s0, 0xffe
	v_bfe_u32 v4, v9, 20, 11
	v_and_or_b32 v2, v3, s0, v2
	v_sub_u32_e32 v5, 0x3f1, v4
	v_or_b32_e32 v3, 0x1000, v2
	v_med3_i32 v5, v5, 0, 13
	v_lshrrev_b32_e32 v6, v5, v3
	v_lshlrev_b32_e32 v5, v5, v6
	v_cmp_ne_u32_e32 vcc, v5, v3
	v_cndmask_b32_e64 v3, 0, 1, vcc
	v_add_u32_e32 v4, 0xfffffc10, v4
	v_or_b32_e32 v3, v6, v3
	v_lshl_or_b32 v5, v4, 12, v2
	v_cmp_gt_i32_e32 vcc, 1, v4
	v_cndmask_b32_e32 v3, v5, v3, vcc
	v_and_b32_e32 v5, 7, v3
	v_cmp_lt_i32_e32 vcc, 5, v5
	v_cndmask_b32_e64 v6, 0, 1, vcc
	v_cmp_eq_u32_e32 vcc, 3, v5
	v_cndmask_b32_e64 v5, 0, 1, vcc
	v_or_b32_e32 v5, v5, v6
	v_lshrrev_b32_e32 v3, 2, v3
	v_add_u32_e32 v3, v3, v5
	v_mov_b32_e32 v5, 0x7c00
	v_cmp_gt_i32_e32 vcc, 31, v4
	v_cndmask_b32_e32 v3, v5, v3, vcc
	v_mov_b32_e32 v6, 0x7e00
	v_cmp_ne_u32_e32 vcc, 0, v2
	s_movk_i32 s0, 0x40f
	v_cndmask_b32_e32 v2, v5, v6, vcc
	v_cmp_eq_u32_e32 vcc, s0, v4
	v_cndmask_b32_e32 v2, v3, v2, vcc
	v_lshrrev_b32_e32 v3, 16, v9
	s_mov_b32 s0, 0x8000
	v_and_or_b32 v2, v3, s0, v2
	v_and_b32_e32 v2, 0xffff, v2
	global_store_dword v[0:1], v2, off
.LBB9_2221:
	s_mov_b64 s[0:1], 0
.LBB9_2222:
	s_andn2_b64 vcc, exec, s[0:1]
	s_cbranch_vccnz .LBB9_2231
; %bb.2223:
	s_cmp_lt_i32 s4, 6
	s_mov_b64 s[0:1], -1
	s_cbranch_scc1 .LBB9_2229
; %bb.2224:
	s_cmp_gt_i32 s4, 6
	s_cbranch_scc0 .LBB9_2226
; %bb.2225:
	global_store_dwordx2 v[0:1], v[8:9], off
	s_mov_b64 s[0:1], 0
.LBB9_2226:
	s_andn2_b64 vcc, exec, s[0:1]
	s_cbranch_vccnz .LBB9_2228
; %bb.2227:
	v_cvt_f32_f64_e32 v2, v[8:9]
	global_store_dword v[0:1], v2, off
.LBB9_2228:
	s_mov_b64 s[0:1], 0
.LBB9_2229:
	s_andn2_b64 vcc, exec, s[0:1]
	s_cbranch_vccnz .LBB9_2231
; %bb.2230:
	s_movk_i32 s0, 0x1ff
	v_and_or_b32 v2, v9, s0, v8
	v_cmp_ne_u32_e32 vcc, 0, v2
	v_cndmask_b32_e64 v2, 0, 1, vcc
	v_lshrrev_b32_e32 v3, 8, v9
	s_movk_i32 s0, 0xffe
	v_bfe_u32 v4, v9, 20, 11
	v_and_or_b32 v2, v3, s0, v2
	v_sub_u32_e32 v5, 0x3f1, v4
	v_or_b32_e32 v3, 0x1000, v2
	v_med3_i32 v5, v5, 0, 13
	v_lshrrev_b32_e32 v6, v5, v3
	v_lshlrev_b32_e32 v5, v5, v6
	v_cmp_ne_u32_e32 vcc, v5, v3
	v_cndmask_b32_e64 v3, 0, 1, vcc
	v_add_u32_e32 v4, 0xfffffc10, v4
	v_or_b32_e32 v3, v6, v3
	v_lshl_or_b32 v5, v4, 12, v2
	v_cmp_gt_i32_e32 vcc, 1, v4
	v_cndmask_b32_e32 v3, v5, v3, vcc
	v_and_b32_e32 v5, 7, v3
	v_cmp_lt_i32_e32 vcc, 5, v5
	v_cndmask_b32_e64 v6, 0, 1, vcc
	v_cmp_eq_u32_e32 vcc, 3, v5
	v_cndmask_b32_e64 v5, 0, 1, vcc
	v_or_b32_e32 v5, v5, v6
	v_lshrrev_b32_e32 v3, 2, v3
	v_add_u32_e32 v3, v3, v5
	v_mov_b32_e32 v5, 0x7c00
	v_cmp_gt_i32_e32 vcc, 31, v4
	v_cndmask_b32_e32 v3, v5, v3, vcc
	v_mov_b32_e32 v6, 0x7e00
	v_cmp_ne_u32_e32 vcc, 0, v2
	s_movk_i32 s0, 0x40f
	v_cndmask_b32_e32 v2, v5, v6, vcc
	v_cmp_eq_u32_e32 vcc, s0, v4
	v_cndmask_b32_e32 v2, v3, v2, vcc
	v_lshrrev_b32_e32 v3, 16, v9
	s_mov_b32 s0, 0x8000
	v_and_or_b32 v2, v3, s0, v2
	global_store_short v[0:1], v2, off
.LBB9_2231:
	s_mov_b64 s[0:1], 0
.LBB9_2232:
	s_andn2_b64 vcc, exec, s[0:1]
	s_cbranch_vccnz .LBB9_2248
; %bb.2233:
	s_cmp_lt_i32 s4, 2
	s_mov_b64 s[0:1], -1
	s_cbranch_scc1 .LBB9_2243
; %bb.2234:
	s_cmp_lt_i32 s4, 3
	s_cbranch_scc1 .LBB9_2240
; %bb.2235:
	s_cmp_gt_i32 s4, 3
	s_cbranch_scc0 .LBB9_2237
; %bb.2236:
	v_trunc_f64_e32 v[2:3], v[8:9]
	s_movk_i32 s0, 0xffe0
	v_ldexp_f64 v[4:5], v[2:3], s0
	s_mov_b32 s0, 0
	s_mov_b32 s1, 0xc1f00000
	v_floor_f64_e32 v[4:5], v[4:5]
	v_fma_f64 v[2:3], v[4:5], s[0:1], v[2:3]
	v_cvt_i32_f64_e32 v4, v[4:5]
	s_mov_b64 s[0:1], 0
	v_cvt_u32_f64_e32 v3, v[2:3]
	global_store_dwordx2 v[0:1], v[3:4], off
.LBB9_2237:
	s_andn2_b64 vcc, exec, s[0:1]
	s_cbranch_vccnz .LBB9_2239
; %bb.2238:
	v_cvt_i32_f64_e32 v2, v[8:9]
	global_store_dword v[0:1], v2, off
.LBB9_2239:
	s_mov_b64 s[0:1], 0
.LBB9_2240:
	s_andn2_b64 vcc, exec, s[0:1]
	s_cbranch_vccnz .LBB9_2242
; %bb.2241:
	v_cvt_i32_f64_e32 v2, v[8:9]
	global_store_short v[0:1], v2, off
.LBB9_2242:
	s_mov_b64 s[0:1], 0
.LBB9_2243:
	s_andn2_b64 vcc, exec, s[0:1]
	s_cbranch_vccnz .LBB9_2248
; %bb.2244:
	s_cmp_gt_i32 s4, 0
	s_mov_b64 s[0:1], -1
	s_cbranch_scc0 .LBB9_2246
; %bb.2245:
	v_cvt_i32_f64_e32 v2, v[8:9]
	s_mov_b64 s[0:1], 0
	global_store_byte v[0:1], v2, off
.LBB9_2246:
	s_andn2_b64 vcc, exec, s[0:1]
	s_cbranch_vccnz .LBB9_2248
; %bb.2247:
	v_trunc_f64_e32 v[2:3], v[8:9]
	s_movk_i32 s0, 0xffe0
	v_ldexp_f64 v[4:5], v[2:3], s0
	s_mov_b32 s0, 0
	s_mov_b32 s1, 0xc1f00000
	v_floor_f64_e32 v[4:5], v[4:5]
	v_fma_f64 v[2:3], v[4:5], s[0:1], v[2:3]
	v_cvt_u32_f64_e32 v2, v[2:3]
	global_store_byte v[0:1], v2, off
.LBB9_2248:
	s_mov_b64 s[6:7], -1
.LBB9_2249:
	s_andn2_b64 vcc, exec, s[6:7]
	s_cbranch_vccnz .LBB9_2326
; %bb.2250:
	v_mov_b32_e32 v1, s9
	v_add_co_u32_e32 v0, vcc, s8, v14
	s_cmp_lt_i32 s14, 11
	v_addc_co_u32_e32 v1, vcc, 0, v1, vcc
	s_cbranch_scc1 .LBB9_2327
; %bb.2251:
	s_and_b32 s12, 0xffff, s14
	s_mov_b64 s[6:7], -1
	s_mov_b64 s[4:5], 0
	s_cmp_gt_i32 s12, 25
	s_mov_b64 s[0:1], 0
	s_cbranch_scc0 .LBB9_2284
; %bb.2252:
	s_cmp_gt_i32 s12, 28
	s_cbranch_scc0 .LBB9_2268
; %bb.2253:
	s_cmp_gt_i32 s12, 43
	;; [unrolled: 3-line block ×3, first 2 shown]
	s_cbranch_scc0 .LBB9_2258
; %bb.2255:
	s_cmp_eq_u32 s12, 46
	s_mov_b64 s[0:1], -1
	s_cbranch_scc0 .LBB9_2257
; %bb.2256:
	v_cvt_f32_f64_e32 v2, v[12:13]
	s_movk_i32 s0, 0x7fff
	v_mov_b32_e32 v3, 0x7fc0
	v_bfe_u32 v4, v2, 16, 1
	v_cmp_o_f32_e32 vcc, v2, v2
	v_add3_u32 v2, v2, v4, s0
	v_cndmask_b32_sdwa v2, v3, v2, vcc dst_sel:DWORD dst_unused:UNUSED_PAD src0_sel:DWORD src1_sel:WORD_1
	global_store_dword v[0:1], v2, off
	s_mov_b64 s[0:1], 0
.LBB9_2257:
	s_mov_b64 s[6:7], 0
.LBB9_2258:
	s_and_b64 vcc, exec, s[6:7]
	s_cbranch_vccz .LBB9_2263
; %bb.2259:
	s_cmp_eq_u32 s12, 44
	s_mov_b64 s[0:1], -1
	s_cbranch_scc0 .LBB9_2263
; %bb.2260:
	v_cvt_f32_f64_e32 v2, v[12:13]
	s_movk_i32 s0, 0xff
	v_mov_b32_e32 v4, 0xff
	v_bfe_u32 v3, v2, 23, 8
	v_cmp_ne_u32_e32 vcc, s0, v3
	s_and_saveexec_b64 s[6:7], vcc
; %bb.2261:
	s_mov_b32 s0, 0x3fffff
	v_lshrrev_b32_e32 v4, 23, v2
	v_and_b32_e32 v5, 0x400000, v2
	v_and_or_b32 v2, v2, s0, v3
	v_cmp_ne_u32_e32 vcc, 0, v5
	v_cmp_ne_u32_e64 s[0:1], 0, v2
	s_and_b64 s[0:1], vcc, s[0:1]
	v_cndmask_b32_e64 v2, 0, 1, s[0:1]
	v_add_u32_e32 v4, v4, v2
; %bb.2262:
	s_or_b64 exec, exec, s[6:7]
	s_mov_b64 s[0:1], 0
	global_store_byte v[0:1], v4, off
.LBB9_2263:
	s_mov_b64 s[6:7], 0
.LBB9_2264:
	s_and_b64 vcc, exec, s[6:7]
	s_cbranch_vccz .LBB9_2267
; %bb.2265:
	s_cmp_eq_u32 s12, 29
	s_mov_b64 s[0:1], -1
	s_cbranch_scc0 .LBB9_2267
; %bb.2266:
	v_trunc_f64_e32 v[2:3], v[12:13]
	s_movk_i32 s0, 0xffe0
	v_ldexp_f64 v[4:5], v[2:3], s0
	s_mov_b32 s0, 0
	s_mov_b32 s1, 0xc1f00000
	v_floor_f64_e32 v[4:5], v[4:5]
	v_fma_f64 v[2:3], v[4:5], s[0:1], v[2:3]
	v_cvt_u32_f64_e32 v4, v[4:5]
	s_mov_b64 s[0:1], 0
	v_cvt_u32_f64_e32 v3, v[2:3]
	global_store_dwordx2 v[0:1], v[3:4], off
.LBB9_2267:
	s_mov_b64 s[6:7], 0
.LBB9_2268:
	s_and_b64 vcc, exec, s[6:7]
	s_cbranch_vccz .LBB9_2283
; %bb.2269:
	s_cmp_lt_i32 s12, 27
	s_mov_b64 s[6:7], -1
	s_cbranch_scc1 .LBB9_2275
; %bb.2270:
	s_cmp_gt_i32 s12, 27
	s_cbranch_scc0 .LBB9_2272
; %bb.2271:
	v_cvt_u32_f64_e32 v2, v[12:13]
	s_mov_b64 s[6:7], 0
	global_store_dword v[0:1], v2, off
.LBB9_2272:
	s_andn2_b64 vcc, exec, s[6:7]
	s_cbranch_vccnz .LBB9_2274
; %bb.2273:
	v_cvt_u32_f64_e32 v2, v[12:13]
	global_store_short v[0:1], v2, off
.LBB9_2274:
	s_mov_b64 s[6:7], 0
.LBB9_2275:
	s_andn2_b64 vcc, exec, s[6:7]
	s_cbranch_vccnz .LBB9_2283
; %bb.2276:
	v_cvt_f32_f64_e32 v2, v[12:13]
	s_mov_b32 s6, 0x43800000
	v_mov_b32_e32 v4, 0x80
	v_and_b32_e32 v3, 0x7fffffff, v2
	v_cmp_gt_u32_e32 vcc, s6, v3
	s_and_saveexec_b64 s[6:7], vcc
	s_cbranch_execz .LBB9_2282
; %bb.2277:
	s_mov_b32 s8, 0x3bffffff
	v_cmp_lt_u32_e32 vcc, s8, v3
	s_mov_b64 s[8:9], 0
                                        ; implicit-def: $vgpr3
	s_and_saveexec_b64 s[10:11], vcc
	s_xor_b64 s[10:11], exec, s[10:11]
	s_cbranch_execz .LBB9_2344
; %bb.2278:
	v_bfe_u32 v3, v2, 20, 1
	s_mov_b32 s13, 0x487ffff
	v_add3_u32 v3, v2, v3, s13
	s_mov_b64 s[8:9], exec
	v_lshrrev_b32_e32 v3, 20, v3
	s_andn2_saveexec_b64 s[10:11], s[10:11]
	s_cbranch_execnz .LBB9_2345
.LBB9_2279:
	s_or_b64 exec, exec, s[10:11]
	v_mov_b32_e32 v4, 0
	s_and_saveexec_b64 s[10:11], s[8:9]
.LBB9_2280:
	v_lshrrev_b32_e32 v2, 24, v2
	s_movk_i32 s8, 0x80
	v_and_or_b32 v4, v2, s8, v3
.LBB9_2281:
	s_or_b64 exec, exec, s[10:11]
.LBB9_2282:
	s_or_b64 exec, exec, s[6:7]
	global_store_byte v[0:1], v4, off
.LBB9_2283:
	s_mov_b64 s[6:7], 0
.LBB9_2284:
	s_and_b64 vcc, exec, s[6:7]
	s_cbranch_vccz .LBB9_2324
; %bb.2285:
	s_cmp_gt_i32 s12, 22
	s_mov_b64 s[4:5], -1
	s_cbranch_scc0 .LBB9_2317
; %bb.2286:
	s_cmp_lt_i32 s12, 24
	s_cbranch_scc1 .LBB9_2306
; %bb.2287:
	s_cmp_gt_i32 s12, 24
	s_cbranch_scc0 .LBB9_2295
; %bb.2288:
	v_cvt_f32_f64_e32 v2, v[12:13]
	s_mov_b32 s4, 0x47800000
	v_mov_b32_e32 v4, 0x80
	v_and_b32_e32 v3, 0x7fffffff, v2
	v_cmp_gt_u32_e32 vcc, s4, v3
	s_and_saveexec_b64 s[4:5], vcc
	s_cbranch_execz .LBB9_2294
; %bb.2289:
	s_mov_b32 s6, 0x37ffffff
	v_cmp_lt_u32_e32 vcc, s6, v3
	s_mov_b64 s[6:7], 0
                                        ; implicit-def: $vgpr3
	s_and_saveexec_b64 s[8:9], vcc
	s_xor_b64 s[8:9], exec, s[8:9]
	s_cbranch_execz .LBB9_2347
; %bb.2290:
	v_bfe_u32 v3, v2, 21, 1
	s_mov_b32 s10, 0x88fffff
	v_add3_u32 v3, v2, v3, s10
	s_mov_b64 s[6:7], exec
	v_lshrrev_b32_e32 v3, 21, v3
	s_andn2_saveexec_b64 s[8:9], s[8:9]
	s_cbranch_execnz .LBB9_2348
.LBB9_2291:
	s_or_b64 exec, exec, s[8:9]
	v_mov_b32_e32 v4, 0
	s_and_saveexec_b64 s[8:9], s[6:7]
.LBB9_2292:
	v_lshrrev_b32_e32 v2, 24, v2
	s_movk_i32 s6, 0x80
	v_and_or_b32 v4, v2, s6, v3
.LBB9_2293:
	s_or_b64 exec, exec, s[8:9]
.LBB9_2294:
	s_or_b64 exec, exec, s[4:5]
	s_mov_b64 s[4:5], 0
	global_store_byte v[0:1], v4, off
.LBB9_2295:
	s_and_b64 vcc, exec, s[4:5]
	s_cbranch_vccz .LBB9_2305
; %bb.2296:
	v_cvt_f32_f64_e32 v2, v[12:13]
	s_mov_b32 s4, 0x43f00000
                                        ; implicit-def: $vgpr3
	v_and_b32_e32 v4, 0x7fffffff, v2
	v_cmp_gt_u32_e32 vcc, s4, v4
	s_and_saveexec_b64 s[4:5], vcc
	s_xor_b64 s[4:5], exec, s[4:5]
	s_cbranch_execz .LBB9_2302
; %bb.2297:
	s_mov_b32 s6, 0x3c7fffff
	v_cmp_lt_u32_e32 vcc, s6, v4
                                        ; implicit-def: $vgpr3
	s_and_saveexec_b64 s[6:7], vcc
	s_xor_b64 s[6:7], exec, s[6:7]
; %bb.2298:
	v_bfe_u32 v3, v2, 20, 1
	s_mov_b32 s8, 0x407ffff
	v_add3_u32 v3, v2, v3, s8
	v_lshrrev_b32_e32 v4, 20, v3
	v_and_b32_e32 v3, 0xff00000, v3
	s_mov_b32 s8, 0x7f00000
	v_mov_b32_e32 v5, 0x7e
	v_cmp_ne_u32_e32 vcc, s8, v3
	v_cndmask_b32_e32 v3, v5, v4, vcc
; %bb.2299:
	s_andn2_saveexec_b64 s[6:7], s[6:7]
; %bb.2300:
	s_mov_b32 s8, 0x46800000
	v_add_f32_e64 v3, |v2|, s8
; %bb.2301:
	s_or_b64 exec, exec, s[6:7]
                                        ; implicit-def: $vgpr4
.LBB9_2302:
	s_andn2_saveexec_b64 s[4:5], s[4:5]
; %bb.2303:
	s_mov_b32 s6, 0x7f800000
	v_mov_b32_e32 v3, 0x7e
	v_mov_b32_e32 v5, 0x7f
	v_cmp_lt_u32_e32 vcc, s6, v4
	v_cndmask_b32_e32 v3, v3, v5, vcc
; %bb.2304:
	s_or_b64 exec, exec, s[4:5]
	v_lshrrev_b32_e32 v2, 24, v2
	s_movk_i32 s4, 0x80
	v_and_or_b32 v2, v2, s4, v3
	global_store_byte v[0:1], v2, off
.LBB9_2305:
	s_mov_b64 s[4:5], 0
.LBB9_2306:
	s_andn2_b64 vcc, exec, s[4:5]
	s_cbranch_vccnz .LBB9_2316
; %bb.2307:
	v_cvt_f32_f64_e32 v2, v[12:13]
	s_mov_b32 s4, 0x47800000
                                        ; implicit-def: $vgpr3
	v_and_b32_e32 v4, 0x7fffffff, v2
	v_cmp_gt_u32_e32 vcc, s4, v4
	s_and_saveexec_b64 s[4:5], vcc
	s_xor_b64 s[4:5], exec, s[4:5]
	s_cbranch_execz .LBB9_2313
; %bb.2308:
	s_mov_b32 s6, 0x387fffff
	v_cmp_lt_u32_e32 vcc, s6, v4
                                        ; implicit-def: $vgpr3
	s_and_saveexec_b64 s[6:7], vcc
	s_xor_b64 s[6:7], exec, s[6:7]
; %bb.2309:
	v_bfe_u32 v3, v2, 21, 1
	s_mov_b32 s8, 0x80fffff
	v_add3_u32 v3, v2, v3, s8
	v_lshrrev_b32_e32 v3, 21, v3
; %bb.2310:
	s_andn2_saveexec_b64 s[6:7], s[6:7]
; %bb.2311:
	s_mov_b32 s8, 0x43000000
	v_add_f32_e64 v3, |v2|, s8
; %bb.2312:
	s_or_b64 exec, exec, s[6:7]
                                        ; implicit-def: $vgpr4
.LBB9_2313:
	s_andn2_saveexec_b64 s[4:5], s[4:5]
; %bb.2314:
	s_mov_b32 s6, 0x7f800000
	v_mov_b32_e32 v3, 0x7c
	v_mov_b32_e32 v5, 0x7f
	v_cmp_lt_u32_e32 vcc, s6, v4
	v_cndmask_b32_e32 v3, v3, v5, vcc
; %bb.2315:
	s_or_b64 exec, exec, s[4:5]
	v_lshrrev_b32_e32 v2, 24, v2
	s_movk_i32 s4, 0x80
	v_and_or_b32 v2, v2, s4, v3
	global_store_byte v[0:1], v2, off
.LBB9_2316:
	s_mov_b64 s[4:5], 0
.LBB9_2317:
	s_andn2_b64 vcc, exec, s[4:5]
	s_mov_b64 s[4:5], 0
	s_cbranch_vccnz .LBB9_2324
; %bb.2318:
	s_cmp_gt_i32 s12, 14
	s_mov_b64 s[6:7], -1
	s_cbranch_scc0 .LBB9_2322
; %bb.2319:
	s_cmp_eq_u32 s12, 15
	s_mov_b64 s[0:1], -1
	s_cbranch_scc0 .LBB9_2321
; %bb.2320:
	v_cvt_f32_f64_e32 v2, v[12:13]
	s_movk_i32 s0, 0x7fff
	v_mov_b32_e32 v3, 0x7fc0
	v_bfe_u32 v4, v2, 16, 1
	v_cmp_o_f32_e32 vcc, v2, v2
	v_add3_u32 v2, v2, v4, s0
	v_cndmask_b32_sdwa v2, v3, v2, vcc dst_sel:DWORD dst_unused:UNUSED_PAD src0_sel:DWORD src1_sel:WORD_1
	global_store_short v[0:1], v2, off
	s_mov_b64 s[0:1], 0
.LBB9_2321:
	s_mov_b64 s[6:7], 0
.LBB9_2322:
	s_and_b64 vcc, exec, s[6:7]
	s_cbranch_vccz .LBB9_2324
; %bb.2323:
	s_cmp_lg_u32 s12, 11
	s_mov_b64 s[4:5], -1
	s_cselect_b64 s[0:1], -1, 0
.LBB9_2324:
	s_and_b64 vcc, exec, s[0:1]
	s_cbranch_vccnz .LBB9_2346
.LBB9_2325:
	s_mov_b64 s[0:1], 0
	s_branch .LBB9_1927
.LBB9_2326:
	s_mov_b64 s[0:1], 0
                                        ; implicit-def: $vgpr0_vgpr1
                                        ; implicit-def: $sgpr14
	s_branch .LBB9_1926
.LBB9_2327:
	s_mov_b64 s[4:5], 0
	s_mov_b64 s[0:1], -1
	s_branch .LBB9_1927
.LBB9_2328:
	s_trap 2
	s_or_b64 s[2:3], s[2:3], exec
	s_cbranch_execz .LBB9_1771
	s_branch .LBB9_1772
.LBB9_2329:
	s_andn2_saveexec_b64 s[12:13], s[12:13]
	s_cbranch_execz .LBB9_1875
.LBB9_2330:
	s_mov_b32 s16, 0x46000000
	v_add_f32_e64 v3, |v2|, s16
	v_and_b32_e32 v3, 0xff, v3
	v_cmp_ne_u32_e32 vcc, 0, v3
	s_andn2_b64 s[10:11], s[10:11], exec
	s_and_b64 s[16:17], vcc, exec
	s_or_b64 s[10:11], s[10:11], s[16:17]
	s_or_b64 exec, exec, s[12:13]
	v_mov_b32_e32 v7, 0
	s_and_saveexec_b64 s[12:13], s[10:11]
	s_cbranch_execnz .LBB9_1876
	s_branch .LBB9_1877
.LBB9_2331:
	s_trap 2
	s_or_b64 s[2:3], s[2:3], exec
	s_cbranch_execz .LBB9_1923
	s_branch .LBB9_1924
.LBB9_2332:
	s_andn2_saveexec_b64 s[10:11], s[10:11]
	s_cbranch_execz .LBB9_1888
.LBB9_2333:
	s_mov_b32 s12, 0x42800000
	v_add_f32_e64 v3, |v2|, s12
	v_and_b32_e32 v3, 0xff, v3
	v_cmp_ne_u32_e32 vcc, 0, v3
	s_andn2_b64 s[6:7], s[6:7], exec
	s_and_b64 s[12:13], vcc, exec
	s_or_b64 s[6:7], s[6:7], s[12:13]
	s_or_b64 exec, exec, s[10:11]
	v_mov_b32_e32 v7, 0
	s_and_saveexec_b64 s[10:11], s[6:7]
	s_cbranch_execnz .LBB9_1889
	s_branch .LBB9_1890
.LBB9_2334:
	s_andn2_saveexec_b64 s[12:13], s[12:13]
	s_cbranch_execz .LBB9_2040
.LBB9_2335:
	s_mov_b32 s16, 0x46000000
	v_add_f32_e64 v3, |v2|, s16
	v_and_b32_e32 v3, 0xff, v3
	v_cmp_ne_u32_e32 vcc, 0, v3
	s_andn2_b64 s[10:11], s[10:11], exec
	s_and_b64 s[16:17], vcc, exec
	s_or_b64 s[10:11], s[10:11], s[16:17]
	s_or_b64 exec, exec, s[12:13]
	v_mov_b32_e32 v6, 0
	s_and_saveexec_b64 s[12:13], s[10:11]
	s_cbranch_execnz .LBB9_2041
	s_branch .LBB9_2042
.LBB9_2336:
	s_trap 2
	s_or_b64 s[2:3], s[2:3], exec
	s_cbranch_execz .LBB9_2088
	s_branch .LBB9_2089
.LBB9_2337:
	s_andn2_saveexec_b64 s[10:11], s[10:11]
	s_cbranch_execz .LBB9_2053
.LBB9_2338:
	s_mov_b32 s12, 0x42800000
	v_add_f32_e64 v3, |v2|, s12
	v_and_b32_e32 v3, 0xff, v3
	v_cmp_ne_u32_e32 vcc, 0, v3
	s_andn2_b64 s[6:7], s[6:7], exec
	s_and_b64 s[12:13], vcc, exec
	s_or_b64 s[6:7], s[6:7], s[12:13]
	s_or_b64 exec, exec, s[10:11]
	v_mov_b32_e32 v6, 0
	s_and_saveexec_b64 s[10:11], s[6:7]
	s_cbranch_execnz .LBB9_2054
	s_branch .LBB9_2055
.LBB9_2339:
	s_andn2_saveexec_b64 s[12:13], s[12:13]
	s_cbranch_execz .LBB9_2159
.LBB9_2340:
	s_mov_b32 s16, 0x46000000
	v_add_f32_e64 v3, |v2|, s16
	v_and_b32_e32 v3, 0xff, v3
	v_cmp_ne_u32_e32 vcc, 0, v3
	s_andn2_b64 s[10:11], s[10:11], exec
	s_and_b64 s[16:17], vcc, exec
	s_or_b64 s[10:11], s[10:11], s[16:17]
	s_or_b64 exec, exec, s[12:13]
	v_mov_b32_e32 v4, 0
	s_and_saveexec_b64 s[12:13], s[10:11]
	s_cbranch_execnz .LBB9_2160
	s_branch .LBB9_2161
.LBB9_2341:
	s_trap 2
	s_or_b64 s[2:3], s[2:3], exec
	s_cbranch_execz .LBB9_2207
	s_branch .LBB9_2208
.LBB9_2342:
	s_andn2_saveexec_b64 s[10:11], s[10:11]
	s_cbranch_execz .LBB9_2172
.LBB9_2343:
	s_mov_b32 s12, 0x42800000
	v_add_f32_e64 v3, |v2|, s12
	v_and_b32_e32 v3, 0xff, v3
	v_cmp_ne_u32_e32 vcc, 0, v3
	s_andn2_b64 s[6:7], s[6:7], exec
	s_and_b64 s[12:13], vcc, exec
	s_or_b64 s[6:7], s[6:7], s[12:13]
	s_or_b64 exec, exec, s[10:11]
	v_mov_b32_e32 v4, 0
	s_and_saveexec_b64 s[10:11], s[6:7]
	s_cbranch_execnz .LBB9_2173
	s_branch .LBB9_2174
.LBB9_2344:
	s_andn2_saveexec_b64 s[10:11], s[10:11]
	s_cbranch_execz .LBB9_2279
.LBB9_2345:
	s_mov_b32 s13, 0x46000000
	v_add_f32_e64 v3, |v2|, s13
	v_and_b32_e32 v3, 0xff, v3
	v_cmp_ne_u32_e32 vcc, 0, v3
	s_andn2_b64 s[8:9], s[8:9], exec
	s_and_b64 s[16:17], vcc, exec
	s_or_b64 s[8:9], s[8:9], s[16:17]
	s_or_b64 exec, exec, s[10:11]
	v_mov_b32_e32 v4, 0
	s_and_saveexec_b64 s[10:11], s[8:9]
	s_cbranch_execnz .LBB9_2280
	s_branch .LBB9_2281
.LBB9_2346:
	s_mov_b64 s[4:5], 0
	s_or_b64 s[2:3], s[2:3], exec
	s_trap 2
	s_branch .LBB9_2325
.LBB9_2347:
	s_andn2_saveexec_b64 s[8:9], s[8:9]
	s_cbranch_execz .LBB9_2291
.LBB9_2348:
	s_mov_b32 s10, 0x42800000
	v_add_f32_e64 v3, |v2|, s10
	v_and_b32_e32 v3, 0xff, v3
	v_cmp_ne_u32_e32 vcc, 0, v3
	s_andn2_b64 s[6:7], s[6:7], exec
	s_and_b64 s[10:11], vcc, exec
	s_or_b64 s[6:7], s[6:7], s[10:11]
	s_or_b64 exec, exec, s[8:9]
	v_mov_b32_e32 v4, 0
	s_and_saveexec_b64 s[8:9], s[6:7]
	s_cbranch_execnz .LBB9_2292
	s_branch .LBB9_2293
	.section	.rodata,"a",@progbits
	.p2align	6, 0x0
	.amdhsa_kernel _ZN2at6native32elementwise_kernel_manual_unrollILi128ELi4EZNS0_15gpu_kernel_implIZZZNS0_19digamma_kernel_cudaERNS_18TensorIteratorBaseEENKUlvE_clEvENKUlvE_clEvEUldE_EEvS4_RKT_EUlibE0_EEviT1_
		.amdhsa_group_segment_fixed_size 0
		.amdhsa_private_segment_fixed_size 0
		.amdhsa_kernarg_size 360
		.amdhsa_user_sgpr_count 6
		.amdhsa_user_sgpr_private_segment_buffer 1
		.amdhsa_user_sgpr_dispatch_ptr 0
		.amdhsa_user_sgpr_queue_ptr 0
		.amdhsa_user_sgpr_kernarg_segment_ptr 1
		.amdhsa_user_sgpr_dispatch_id 0
		.amdhsa_user_sgpr_flat_scratch_init 0
		.amdhsa_user_sgpr_private_segment_size 0
		.amdhsa_uses_dynamic_stack 0
		.amdhsa_system_sgpr_private_segment_wavefront_offset 0
		.amdhsa_system_sgpr_workgroup_id_x 1
		.amdhsa_system_sgpr_workgroup_id_y 0
		.amdhsa_system_sgpr_workgroup_id_z 0
		.amdhsa_system_sgpr_workgroup_info 0
		.amdhsa_system_vgpr_workitem_id 0
		.amdhsa_next_free_vgpr 49
		.amdhsa_next_free_sgpr 78
		.amdhsa_reserve_vcc 1
		.amdhsa_reserve_flat_scratch 0
		.amdhsa_float_round_mode_32 0
		.amdhsa_float_round_mode_16_64 0
		.amdhsa_float_denorm_mode_32 3
		.amdhsa_float_denorm_mode_16_64 3
		.amdhsa_dx10_clamp 1
		.amdhsa_ieee_mode 1
		.amdhsa_fp16_overflow 0
		.amdhsa_exception_fp_ieee_invalid_op 0
		.amdhsa_exception_fp_denorm_src 0
		.amdhsa_exception_fp_ieee_div_zero 0
		.amdhsa_exception_fp_ieee_overflow 0
		.amdhsa_exception_fp_ieee_underflow 0
		.amdhsa_exception_fp_ieee_inexact 0
		.amdhsa_exception_int_div_zero 0
	.end_amdhsa_kernel
	.section	.text._ZN2at6native32elementwise_kernel_manual_unrollILi128ELi4EZNS0_15gpu_kernel_implIZZZNS0_19digamma_kernel_cudaERNS_18TensorIteratorBaseEENKUlvE_clEvENKUlvE_clEvEUldE_EEvS4_RKT_EUlibE0_EEviT1_,"axG",@progbits,_ZN2at6native32elementwise_kernel_manual_unrollILi128ELi4EZNS0_15gpu_kernel_implIZZZNS0_19digamma_kernel_cudaERNS_18TensorIteratorBaseEENKUlvE_clEvENKUlvE_clEvEUldE_EEvS4_RKT_EUlibE0_EEviT1_,comdat
.Lfunc_end9:
	.size	_ZN2at6native32elementwise_kernel_manual_unrollILi128ELi4EZNS0_15gpu_kernel_implIZZZNS0_19digamma_kernel_cudaERNS_18TensorIteratorBaseEENKUlvE_clEvENKUlvE_clEvEUldE_EEvS4_RKT_EUlibE0_EEviT1_, .Lfunc_end9-_ZN2at6native32elementwise_kernel_manual_unrollILi128ELi4EZNS0_15gpu_kernel_implIZZZNS0_19digamma_kernel_cudaERNS_18TensorIteratorBaseEENKUlvE_clEvENKUlvE_clEvEUldE_EEvS4_RKT_EUlibE0_EEviT1_
                                        ; -- End function
	.set _ZN2at6native32elementwise_kernel_manual_unrollILi128ELi4EZNS0_15gpu_kernel_implIZZZNS0_19digamma_kernel_cudaERNS_18TensorIteratorBaseEENKUlvE_clEvENKUlvE_clEvEUldE_EEvS4_RKT_EUlibE0_EEviT1_.num_vgpr, 49
	.set _ZN2at6native32elementwise_kernel_manual_unrollILi128ELi4EZNS0_15gpu_kernel_implIZZZNS0_19digamma_kernel_cudaERNS_18TensorIteratorBaseEENKUlvE_clEvENKUlvE_clEvEUldE_EEvS4_RKT_EUlibE0_EEviT1_.num_agpr, 0
	.set _ZN2at6native32elementwise_kernel_manual_unrollILi128ELi4EZNS0_15gpu_kernel_implIZZZNS0_19digamma_kernel_cudaERNS_18TensorIteratorBaseEENKUlvE_clEvENKUlvE_clEvEUldE_EEvS4_RKT_EUlibE0_EEviT1_.numbered_sgpr, 78
	.set _ZN2at6native32elementwise_kernel_manual_unrollILi128ELi4EZNS0_15gpu_kernel_implIZZZNS0_19digamma_kernel_cudaERNS_18TensorIteratorBaseEENKUlvE_clEvENKUlvE_clEvEUldE_EEvS4_RKT_EUlibE0_EEviT1_.num_named_barrier, 0
	.set _ZN2at6native32elementwise_kernel_manual_unrollILi128ELi4EZNS0_15gpu_kernel_implIZZZNS0_19digamma_kernel_cudaERNS_18TensorIteratorBaseEENKUlvE_clEvENKUlvE_clEvEUldE_EEvS4_RKT_EUlibE0_EEviT1_.private_seg_size, 0
	.set _ZN2at6native32elementwise_kernel_manual_unrollILi128ELi4EZNS0_15gpu_kernel_implIZZZNS0_19digamma_kernel_cudaERNS_18TensorIteratorBaseEENKUlvE_clEvENKUlvE_clEvEUldE_EEvS4_RKT_EUlibE0_EEviT1_.uses_vcc, 1
	.set _ZN2at6native32elementwise_kernel_manual_unrollILi128ELi4EZNS0_15gpu_kernel_implIZZZNS0_19digamma_kernel_cudaERNS_18TensorIteratorBaseEENKUlvE_clEvENKUlvE_clEvEUldE_EEvS4_RKT_EUlibE0_EEviT1_.uses_flat_scratch, 0
	.set _ZN2at6native32elementwise_kernel_manual_unrollILi128ELi4EZNS0_15gpu_kernel_implIZZZNS0_19digamma_kernel_cudaERNS_18TensorIteratorBaseEENKUlvE_clEvENKUlvE_clEvEUldE_EEvS4_RKT_EUlibE0_EEviT1_.has_dyn_sized_stack, 0
	.set _ZN2at6native32elementwise_kernel_manual_unrollILi128ELi4EZNS0_15gpu_kernel_implIZZZNS0_19digamma_kernel_cudaERNS_18TensorIteratorBaseEENKUlvE_clEvENKUlvE_clEvEUldE_EEvS4_RKT_EUlibE0_EEviT1_.has_recursion, 0
	.set _ZN2at6native32elementwise_kernel_manual_unrollILi128ELi4EZNS0_15gpu_kernel_implIZZZNS0_19digamma_kernel_cudaERNS_18TensorIteratorBaseEENKUlvE_clEvENKUlvE_clEvEUldE_EEvS4_RKT_EUlibE0_EEviT1_.has_indirect_call, 0
	.section	.AMDGPU.csdata,"",@progbits
; Kernel info:
; codeLenInByte = 66200
; TotalNumSgprs: 82
; NumVgprs: 49
; ScratchSize: 0
; MemoryBound: 1
; FloatMode: 240
; IeeeMode: 1
; LDSByteSize: 0 bytes/workgroup (compile time only)
; SGPRBlocks: 10
; VGPRBlocks: 12
; NumSGPRsForWavesPerEU: 82
; NumVGPRsForWavesPerEU: 49
; Occupancy: 4
; WaveLimiterHint : 1
; COMPUTE_PGM_RSRC2:SCRATCH_EN: 0
; COMPUTE_PGM_RSRC2:USER_SGPR: 6
; COMPUTE_PGM_RSRC2:TRAP_HANDLER: 0
; COMPUTE_PGM_RSRC2:TGID_X_EN: 1
; COMPUTE_PGM_RSRC2:TGID_Y_EN: 0
; COMPUTE_PGM_RSRC2:TGID_Z_EN: 0
; COMPUTE_PGM_RSRC2:TIDIG_COMP_CNT: 0
	.text
	.p2align	2                               ; -- Begin function _ZN2at6native25elementwise_kernel_helperILb0EZZZNS0_19digamma_kernel_cudaERNS_18TensorIteratorBaseEENKUlvE_clEvENKUlvE0_clEvEUlfE_NS0_6memory8policies11unroll_baseILi256ESt5arrayIPcLm2EE23TrivialOffsetCalculatorILi1EjESE_NS7_15LoadWithoutCastENS7_16StoreWithoutCastELi4ELi1EEEEEvT0_T1_
	.type	_ZN2at6native25elementwise_kernel_helperILb0EZZZNS0_19digamma_kernel_cudaERNS_18TensorIteratorBaseEENKUlvE_clEvENKUlvE0_clEvEUlfE_NS0_6memory8policies11unroll_baseILi256ESt5arrayIPcLm2EE23TrivialOffsetCalculatorILi1EjESE_NS7_15LoadWithoutCastENS7_16StoreWithoutCastELi4ELi1EEEEEvT0_T1_,@function
_ZN2at6native25elementwise_kernel_helperILb0EZZZNS0_19digamma_kernel_cudaERNS_18TensorIteratorBaseEENKUlvE_clEvENKUlvE0_clEvEUlfE_NS0_6memory8policies11unroll_baseILi256ESt5arrayIPcLm2EE23TrivialOffsetCalculatorILi1EjESE_NS7_15LoadWithoutCastENS7_16StoreWithoutCastELi4ELi1EEEEEvT0_T1_: ; @_ZN2at6native25elementwise_kernel_helperILb0EZZZNS0_19digamma_kernel_cudaERNS_18TensorIteratorBaseEENKUlvE_clEvENKUlvE0_clEvEUlfE_NS0_6memory8policies11unroll_baseILi256ESt5arrayIPcLm2EE23TrivialOffsetCalculatorILi1EjESE_NS7_15LoadWithoutCastENS7_16StoreWithoutCastELi4ELi1EEEEEvT0_T1_
; %bb.0:
	s_waitcnt vmcnt(0) expcnt(0) lgkmcnt(0)
	v_and_b32_e32 v10, 0x3ff, v31
	s_lshl_b32 s20, s12, 10
	v_cmp_lt_i32_e64 s[4:5], v10, v4
	v_mov_b32_e32 v17, 0
	v_or_b32_e32 v5, s20, v10
	v_mov_b32_e32 v13, 0
	v_mov_b32_e32 v6, v10
	s_and_saveexec_b64 s[6:7], s[4:5]
	s_cbranch_execz .LBB10_2
; %bb.1:
	v_mov_b32_e32 v6, 0
	v_lshlrev_b64 v[6:7], 2, v[5:6]
	v_add_co_u32_e32 v6, vcc, v2, v6
	v_addc_co_u32_e32 v7, vcc, v3, v7, vcc
	flat_load_dword v13, v[6:7]
	v_add_u32_e32 v6, 0x100, v10
.LBB10_2:
	s_or_b64 exec, exec, s[6:7]
	v_cmp_lt_i32_e32 vcc, v6, v4
	s_and_saveexec_b64 s[6:7], vcc
	s_cbranch_execz .LBB10_4
; %bb.3:
	v_add_u32_e32 v7, s20, v6
	v_mov_b32_e32 v8, 0
	v_lshlrev_b64 v[7:8], 2, v[7:8]
	v_add_u32_e32 v6, 0x100, v6
	v_add_co_u32_e32 v7, vcc, v2, v7
	v_addc_co_u32_e32 v8, vcc, v3, v8, vcc
	flat_load_dword v17, v[7:8]
.LBB10_4:
	s_or_b64 exec, exec, s[6:7]
	v_cmp_lt_i32_e32 vcc, v6, v4
	v_mov_b32_e32 v11, 0
	v_mov_b32_e32 v14, 0
	s_and_saveexec_b64 s[6:7], vcc
	s_cbranch_execz .LBB10_6
; %bb.5:
	v_add_u32_e32 v7, s20, v6
	v_mov_b32_e32 v8, 0
	v_lshlrev_b64 v[7:8], 2, v[7:8]
	v_add_u32_e32 v6, 0x100, v6
	v_add_co_u32_e32 v7, vcc, v2, v7
	v_addc_co_u32_e32 v8, vcc, v3, v8, vcc
	flat_load_dword v14, v[7:8]
.LBB10_6:
	s_or_b64 exec, exec, s[6:7]
	v_cmp_lt_i32_e32 vcc, v6, v4
	s_and_saveexec_b64 s[6:7], vcc
	s_cbranch_execz .LBB10_8
; %bb.7:
	v_add_u32_e32 v6, s20, v6
	v_mov_b32_e32 v7, 0
	v_lshlrev_b64 v[6:7], 2, v[6:7]
	v_add_co_u32_e32 v2, vcc, v2, v6
	v_addc_co_u32_e32 v3, vcc, v3, v7, vcc
	flat_load_dword v11, v[2:3]
.LBB10_8:
	s_or_b64 exec, exec, s[6:7]
	v_mov_b32_e32 v12, 0
	v_mov_b32_e32 v18, v12
	v_mov_b32_e32 v16, v12
	v_mov_b32_e32 v15, v12
	s_and_saveexec_b64 s[8:9], s[4:5]
	s_cbranch_execz .LBB10_34
; %bb.9:
	s_waitcnt vmcnt(0) lgkmcnt(0)
	v_cmp_neq_f32_e32 vcc, 0, v13
                                        ; implicit-def: $vgpr12
	s_and_saveexec_b64 s[6:7], vcc
	s_xor_b64 s[10:11], exec, s[6:7]
	s_cbranch_execz .LBB10_31
; %bb.10:
	v_mov_b32_e32 v2, 0
	v_cmp_gt_f32_e32 vcc, 0, v13
	s_mov_b64 s[6:7], -1
	s_and_saveexec_b64 s[12:13], vcc
	s_cbranch_execz .LBB10_18
; %bb.11:
	v_trunc_f32_e32 v2, v13
	v_cmp_neq_f32_e32 vcc, v13, v2
	s_mov_b64 s[16:17], 0
	v_mov_b32_e32 v2, 0
	s_and_saveexec_b64 s[14:15], vcc
	s_cbranch_execz .LBB10_17
; %bb.12:
	v_cvt_f64_f32_e32 v[2:3], v13
	s_mov_b32 s6, 0
	s_mov_b32 s17, 0xc00921fb
	;; [unrolled: 1-line block ×3, first 2 shown]
	v_trunc_f64_e32 v[6:7], v[2:3]
	s_mov_b32 s7, 0x7ff00000
	v_cmp_neq_f64_e64 vcc, |v[2:3]|, s[6:7]
	v_bfrev_b32_e32 v8, 1
	s_mov_b32 s18, 0
	s_mov_b32 s19, 0x41d00000
                                        ; implicit-def: $vgpr12
	v_add_f64 v[6:7], v[2:3], -v[6:7]
	v_mul_f64 v[6:7], |v[6:7]|, s[16:17]
	v_cndmask_b32_e32 v3, v8, v7, vcc
	v_cndmask_b32_e32 v2, 0, v6, vcc
	v_cmp_nlt_f64_e64 s[18:19], |v[2:3]|, s[18:19]
                                        ; implicit-def: $vgpr6_vgpr7
                                        ; implicit-def: $vgpr8_vgpr9
	s_and_saveexec_b64 s[22:23], s[18:19]
	s_xor_b64 s[18:19], exec, s[22:23]
	s_cbranch_execz .LBB10_14
; %bb.13:
	v_trig_preop_f64 v[6:7], |v[2:3]|, 0
	s_mov_b32 s22, 0
	s_mov_b32 s23, 0x7b000000
	s_movk_i32 s17, 0xff80
	v_ldexp_f64 v[15:16], |v[2:3]|, s17
	v_cmp_ge_f64_e64 vcc, |v[2:3]|, s[22:23]
	v_trig_preop_f64 v[8:9], |v[2:3]|, 1
	v_and_b32_e32 v12, 0x7fffffff, v3
	v_trig_preop_f64 v[22:23], |v[2:3]|, 2
	s_mov_b32 s17, 0x3ff921fb
	v_cndmask_b32_e32 v16, v12, v16, vcc
	v_cndmask_b32_e32 v15, v2, v15, vcc
	v_mov_b32_e32 v12, 0x40100000
	v_mul_f64 v[18:19], v[6:7], v[15:16]
	v_mul_f64 v[20:21], v[8:9], v[15:16]
	;; [unrolled: 1-line block ×3, first 2 shown]
	v_fma_f64 v[6:7], v[6:7], v[15:16], -v[18:19]
	v_fma_f64 v[8:9], v[8:9], v[15:16], -v[20:21]
	;; [unrolled: 1-line block ×3, first 2 shown]
	v_add_f64 v[24:25], v[20:21], v[6:7]
	v_add_f64 v[26:27], v[24:25], -v[20:21]
	v_add_f64 v[22:23], v[18:19], v[24:25]
	v_add_f64 v[6:7], v[6:7], -v[26:27]
	v_add_f64 v[26:27], v[24:25], -v[26:27]
	v_add_f64 v[18:19], v[22:23], -v[18:19]
	v_ldexp_f64 v[22:23], v[22:23], -2
	v_add_f64 v[20:21], v[20:21], -v[26:27]
	v_add_f64 v[26:27], v[28:29], v[8:9]
	v_add_f64 v[18:19], v[24:25], -v[18:19]
	v_fract_f64_e32 v[24:25], v[22:23]
	v_cmp_neq_f64_e64 vcc, |v[22:23]|, s[6:7]
	v_add_f64 v[6:7], v[6:7], v[20:21]
	v_add_f64 v[20:21], v[26:27], -v[28:29]
	v_ldexp_f64 v[24:25], v[24:25], 2
	v_add_f64 v[8:9], v[8:9], -v[20:21]
	v_add_f64 v[20:21], v[26:27], -v[20:21]
	;; [unrolled: 1-line block ×3, first 2 shown]
	v_add_f64 v[28:29], v[26:27], v[6:7]
	v_add_f64 v[8:9], v[8:9], v[20:21]
	v_add_f64 v[22:23], v[28:29], -v[26:27]
	v_cndmask_b32_e32 v21, 0, v25, vcc
	v_cndmask_b32_e32 v20, 0, v24, vcc
	v_add_f64 v[24:25], v[18:19], v[28:29]
	v_add_f64 v[6:7], v[6:7], -v[22:23]
	v_add_f64 v[22:23], v[28:29], -v[22:23]
	;; [unrolled: 1-line block ×4, first 2 shown]
	v_add_f64 v[26:27], v[24:25], v[20:21]
	v_add_f64 v[18:19], v[28:29], -v[18:19]
	v_add_f64 v[6:7], v[6:7], v[22:23]
	v_cmp_gt_f64_e32 vcc, 0, v[26:27]
	v_mov_b32_e32 v26, 0
	v_add_f64 v[6:7], v[8:9], v[6:7]
	v_cndmask_b32_e32 v27, 0, v12, vcc
	v_add_f64 v[20:21], v[20:21], v[26:27]
	v_add_f64 v[6:7], v[15:16], v[6:7]
	v_add_f64 v[22:23], v[24:25], v[20:21]
	v_add_f64 v[6:7], v[18:19], v[6:7]
	v_mov_b32_e32 v18, 0x3ff00000
	v_cvt_i32_f64_e32 v12, v[22:23]
	v_cvt_f64_i32_e32 v[22:23], v12
	v_add_f64 v[20:21], v[20:21], -v[22:23]
	v_add_f64 v[8:9], v[24:25], v[20:21]
	v_add_f64 v[15:16], v[8:9], -v[20:21]
	v_cmp_le_f64_e32 vcc, 0.5, v[8:9]
	v_add_f64 v[15:16], v[24:25], -v[15:16]
	v_cndmask_b32_e32 v27, 0, v18, vcc
	v_add_f64 v[8:9], v[8:9], -v[26:27]
	v_addc_co_u32_e64 v12, s[6:7], 0, v12, vcc
	s_mov_b32 s6, 0x33145c07
	s_mov_b32 s7, 0x3c91a626
	v_add_f64 v[6:7], v[6:7], v[15:16]
	v_add_f64 v[15:16], v[8:9], v[6:7]
	v_mul_f64 v[18:19], v[15:16], s[16:17]
	v_add_f64 v[8:9], v[15:16], -v[8:9]
	v_fma_f64 v[20:21], v[15:16], s[16:17], -v[18:19]
	v_add_f64 v[6:7], v[6:7], -v[8:9]
	v_fma_f64 v[8:9], v[15:16], s[6:7], v[20:21]
	v_fma_f64 v[8:9], v[6:7], s[16:17], v[8:9]
	v_add_f64 v[6:7], v[18:19], v[8:9]
	v_add_f64 v[15:16], v[6:7], -v[18:19]
	v_add_f64 v[8:9], v[8:9], -v[15:16]
.LBB10_14:
	s_andn2_saveexec_b64 s[6:7], s[18:19]
	s_cbranch_execz .LBB10_16
; %bb.15:
	s_mov_b32 s16, 0x6dc9c883
	s_mov_b32 s17, 0x3fe45f30
	v_mul_f64 v[6:7], |v[2:3]|, s[16:17]
	s_mov_b32 s16, 0x54442d18
	s_mov_b32 s17, 0xbff921fb
	;; [unrolled: 1-line block ×4, first 2 shown]
	v_rndne_f64_e32 v[15:16], v[6:7]
	v_fma_f64 v[6:7], v[15:16], s[16:17], |v[2:3]|
	v_mul_f64 v[8:9], v[15:16], s[18:19]
	s_mov_b32 s16, 0x252049c0
	s_mov_b32 s17, 0xb97b839a
	v_cvt_i32_f64_e32 v12, v[15:16]
	v_fma_f64 v[22:23], v[15:16], s[18:19], v[6:7]
	v_add_f64 v[18:19], v[6:7], v[8:9]
	s_mov_b32 s19, 0x3c91a626
	v_add_f64 v[20:21], v[6:7], -v[18:19]
	v_add_f64 v[18:19], v[18:19], -v[22:23]
	v_add_f64 v[6:7], v[20:21], v[8:9]
	v_fma_f64 v[8:9], v[15:16], s[18:19], v[8:9]
	v_add_f64 v[6:7], v[18:19], v[6:7]
	v_add_f64 v[6:7], v[6:7], -v[8:9]
	v_fma_f64 v[8:9], v[15:16], s[16:17], v[6:7]
	v_add_f64 v[6:7], v[22:23], v[8:9]
	v_add_f64 v[18:19], v[6:7], -v[22:23]
	v_add_f64 v[8:9], v[8:9], -v[18:19]
.LBB10_16:
	s_or_b64 exec, exec, s[6:7]
	v_mul_f64 v[15:16], v[6:7], v[6:7]
	v_add_f64 v[18:19], v[8:9], v[8:9]
	s_mov_b32 s6, 0xc751c08c
	s_mov_b32 s7, 0x3ef5e089
	v_and_b32_e32 v12, 1, v12
	v_cmp_eq_u32_e32 vcc, 0, v12
	s_mov_b32 s18, 0x54442d18
	s_mov_b32 s19, 0xc00921fb
	v_fma_f64 v[20:21], v[6:7], v[6:7], -v[15:16]
	s_mov_b64 s[16:17], exec
	v_sub_f32_e32 v13, 1.0, v13
	v_fma_f64 v[18:19], v[6:7], v[18:19], v[20:21]
	v_add_f64 v[15:16], v[15:16], v[18:19]
	v_mov_b32_e32 v18, 0xa9a29f71
	v_mov_b32_e32 v19, 0xbf078809
	v_fma_f64 v[18:19], v[15:16], s[6:7], v[18:19]
	s_mov_b32 s6, 0x90a8aae0
	s_mov_b32 s7, 0x3f17746f
	v_fma_f64 v[18:19], v[15:16], v[18:19], s[6:7]
	s_mov_b32 s6, 0xa6fbf144
	s_mov_b32 s7, 0xbefbb44d
	;; [unrolled: 3-line block ×12, first 2 shown]
	v_fma_f64 v[18:19], v[15:16], v[18:19], s[6:7]
	s_movk_i32 s6, 0x1f8
	v_cmp_class_f64_e64 s[6:7], v[2:3], s6
	v_mul_f64 v[15:16], v[15:16], v[18:19]
	v_mul_f64 v[18:19], v[6:7], v[15:16]
	v_add_f64 v[20:21], v[6:7], v[18:19]
	v_fma_f64 v[15:16], v[6:7], v[15:16], -v[18:19]
	v_add_f64 v[6:7], v[20:21], -v[6:7]
	v_add_f64 v[8:9], v[8:9], v[15:16]
	v_add_f64 v[6:7], v[18:19], -v[6:7]
	v_add_f64 v[6:7], v[8:9], v[6:7]
	v_add_f64 v[8:9], v[20:21], v[6:7]
	v_rcp_f64_e32 v[15:16], v[8:9]
	v_fma_f64 v[18:19], -v[8:9], v[15:16], 1.0
	v_fma_f64 v[15:16], v[18:19], v[15:16], v[15:16]
	v_fma_f64 v[18:19], -v[8:9], v[15:16], 1.0
	v_fma_f64 v[15:16], v[18:19], v[15:16], v[15:16]
	v_add_f64 v[18:19], v[8:9], -v[20:21]
	v_mul_f64 v[20:21], v[8:9], v[15:16]
	v_add_f64 v[6:7], v[6:7], -v[18:19]
	v_fma_f64 v[18:19], v[15:16], v[8:9], -v[20:21]
	v_fma_f64 v[6:7], v[15:16], v[6:7], v[18:19]
	v_add_f64 v[18:19], v[20:21], v[6:7]
	v_add_f64 v[22:23], -v[18:19], 1.0
	v_add_f64 v[20:21], v[18:19], -v[20:21]
	v_add_f64 v[24:25], -v[22:23], 1.0
	v_add_f64 v[6:7], v[20:21], -v[6:7]
	v_add_f64 v[18:19], v[24:25], -v[18:19]
	v_add_f64 v[6:7], v[6:7], v[18:19]
	v_add_f64 v[6:7], v[22:23], v[6:7]
	v_mul_f64 v[6:7], v[15:16], v[6:7]
	v_add_f64 v[6:7], v[15:16], v[6:7]
	v_and_b32_e32 v15, 0x80000000, v3
	v_mov_b32_e32 v3, 0x7ff80000
	v_xor_b32_e32 v2, 0x80000000, v7
	v_cndmask_b32_e32 v6, v6, v8, vcc
	v_cndmask_b32_e32 v7, v2, v9, vcc
	v_cndmask_b32_e64 v2, 0, v6, s[6:7]
	v_xor_b32_e32 v6, v7, v15
	v_cndmask_b32_e64 v3, v3, v6, s[6:7]
	v_div_scale_f64 v[6:7], s[6:7], v[2:3], v[2:3], s[18:19]
	v_div_scale_f64 v[18:19], vcc, s[18:19], v[2:3], s[18:19]
	v_rcp_f64_e32 v[8:9], v[6:7]
	v_fma_f64 v[15:16], -v[6:7], v[8:9], 1.0
	v_fma_f64 v[8:9], v[8:9], v[15:16], v[8:9]
	v_fma_f64 v[15:16], -v[6:7], v[8:9], 1.0
	v_fma_f64 v[8:9], v[8:9], v[15:16], v[8:9]
	v_mul_f64 v[15:16], v[18:19], v[8:9]
	v_fma_f64 v[6:7], -v[6:7], v[15:16], v[18:19]
	v_div_fmas_f64 v[6:7], v[6:7], v[8:9], v[15:16]
	v_div_fixup_f64 v[2:3], v[6:7], v[2:3], s[18:19]
	v_cvt_f32_f64_e32 v2, v[2:3]
.LBB10_17:
	s_or_b64 exec, exec, s[14:15]
	s_orn2_b64 s[6:7], s[16:17], exec
.LBB10_18:
	s_or_b64 exec, exec, s[12:13]
	v_mov_b32_e32 v12, 0x7fc00000
	s_and_saveexec_b64 s[12:13], s[6:7]
	s_cbranch_execz .LBB10_30
; %bb.19:
	s_mov_b32 s16, 0x41200000
	v_cmp_gt_f32_e32 vcc, s16, v13
	s_and_saveexec_b64 s[6:7], vcc
	s_cbranch_execz .LBB10_23
; %bb.20:
	s_mov_b64 s[14:15], 0
.LBB10_21:                              ; =>This Inner Loop Header: Depth=1
	v_div_scale_f32 v3, s[18:19], v13, v13, 1.0
	v_div_scale_f32 v6, vcc, 1.0, v13, 1.0
	v_rcp_f32_e32 v7, v3
	v_fma_f32 v8, -v3, v7, 1.0
	v_fmac_f32_e32 v7, v8, v7
	v_mul_f32_e32 v8, v6, v7
	v_fma_f32 v9, -v3, v8, v6
	v_fmac_f32_e32 v8, v9, v7
	v_fma_f32 v3, -v3, v8, v6
	v_div_fmas_f32 v3, v3, v7, v8
	v_div_fixup_f32 v3, v3, v13, 1.0
	v_add_f32_e32 v13, 1.0, v13
	v_cmp_ngt_f32_e32 vcc, s16, v13
	s_or_b64 s[14:15], vcc, s[14:15]
	v_sub_f32_e32 v2, v2, v3
	s_andn2_b64 exec, exec, s[14:15]
	s_cbranch_execnz .LBB10_21
; %bb.22:
	s_or_b64 exec, exec, s[14:15]
.LBB10_23:
	s_or_b64 exec, exec, s[6:7]
	s_mov_b32 s6, 0x41200000
	v_cmp_neq_f32_e32 vcc, s6, v13
                                        ; implicit-def: $vgpr12
	s_and_saveexec_b64 s[6:7], vcc
	s_xor_b64 s[14:15], exec, s[6:7]
	s_cbranch_execz .LBB10_27
; %bb.24:
	v_cvt_f64_f32_e32 v[6:7], v13
	s_mov_b32 s6, 0x85d8a000
	s_mov_b32 s7, 0x43763457
	v_mov_b32_e32 v3, 0
	v_cmp_gt_f64_e32 vcc, s[6:7], v[6:7]
	s_and_saveexec_b64 s[6:7], vcc
	s_cbranch_execz .LBB10_26
; %bb.25:
	v_mul_f32_e32 v3, v13, v13
	v_div_scale_f32 v6, s[16:17], v3, v3, 1.0
	v_div_scale_f32 v7, vcc, 1.0, v3, 1.0
	v_mov_b32_e32 v15, 0x3b820821
	v_rcp_f32_e32 v8, v6
	v_fma_f32 v9, -v6, v8, 1.0
	v_fmac_f32_e32 v8, v9, v8
	v_mul_f32_e32 v9, v7, v8
	v_fma_f32 v12, -v6, v9, v7
	v_fmac_f32_e32 v9, v12, v8
	v_fma_f32 v6, -v6, v9, v7
	v_div_fmas_f32 v6, v6, v8, v9
	v_mov_b32_e32 v7, 0x3daaaaab
	v_mov_b32_e32 v8, 0xbcaccacd
	;; [unrolled: 1-line block ×4, first 2 shown]
	v_div_fixup_f32 v3, v6, v3, 1.0
	v_fma_f32 v6, 0, v3, v7
	v_fmac_f32_e32 v8, v3, v6
	v_fmac_f32_e32 v9, v3, v8
	v_fmac_f32_e32 v12, v3, v9
	v_fmac_f32_e32 v15, v3, v12
	v_mov_b32_e32 v6, 0xbc088889
	v_fmac_f32_e32 v6, v3, v15
	v_fmac_f32_e32 v7, v3, v6
	v_mul_f32_e32 v3, v3, v7
.LBB10_26:
	s_or_b64 exec, exec, s[6:7]
	v_div_scale_f32 v6, s[6:7], v13, v13, -0.5
	v_div_scale_f32 v7, vcc, -0.5, v13, -0.5
	s_mov_b32 s6, 0x800000
	v_cmp_gt_f32_e64 s[6:7], s6, v13
	v_cndmask_b32_e64 v9, 0, 32, s[6:7]
	s_mov_b32 s16, 0x3f317217
	v_rcp_f32_e32 v8, v6
	v_fma_f32 v12, -v6, v8, 1.0
	v_fmac_f32_e32 v8, v12, v8
	v_mul_f32_e32 v12, v7, v8
	v_fma_f32 v15, -v6, v12, v7
	v_fmac_f32_e32 v12, v15, v8
	v_fma_f32 v6, -v6, v12, v7
	v_div_fmas_f32 v6, v6, v8, v12
	v_ldexp_f32 v7, v13, v9
	v_log_f32_e32 v7, v7
	v_mul_f32_e32 v8, 0x3f317217, v7
	v_fma_f32 v8, v7, s16, -v8
	v_fmac_f32_e32 v8, 0x3377d1cf, v7
	s_mov_b32 s16, 0x7f800000
	v_fmac_f32_e32 v8, 0x3f317217, v7
	v_cmp_lt_f32_e64 vcc, |v7|, s16
	v_cndmask_b32_e32 v7, v7, v8, vcc
	v_mov_b32_e32 v8, 0x41b17218
	v_cndmask_b32_e64 v8, 0, v8, s[6:7]
	v_sub_f32_e32 v7, v7, v8
	v_div_fixup_f32 v6, v6, v13, -0.5
	v_add_f32_e32 v6, v7, v6
	v_sub_f32_e32 v3, v6, v3
	v_add_f32_e32 v12, v2, v3
                                        ; implicit-def: $vgpr2
.LBB10_27:
	s_andn2_saveexec_b64 s[6:7], s[14:15]
; %bb.28:
	v_add_f32_e32 v12, 0x40101cb7, v2
; %bb.29:
	s_or_b64 exec, exec, s[6:7]
.LBB10_30:
	s_or_b64 exec, exec, s[12:13]
                                        ; implicit-def: $vgpr13
.LBB10_31:
	s_andn2_saveexec_b64 s[6:7], s[10:11]
; %bb.32:
	v_xor_b32_e32 v2, 0x80000000, v13
	s_brev_b32 s10, -2
	v_mov_b32_e32 v3, 0x7f800000
	v_bfi_b32 v12, s10, v3, v2
; %bb.33:
	s_or_b64 exec, exec, s[6:7]
	v_mov_b32_e32 v18, 0
	v_mov_b32_e32 v16, v18
	;; [unrolled: 1-line block ×3, first 2 shown]
.LBB10_34:
	s_or_b64 exec, exec, s[8:9]
	s_waitcnt vmcnt(0) lgkmcnt(0)
	v_add_u32_e32 v13, 0x100, v10
	v_cmp_lt_i32_e32 vcc, v13, v4
	s_and_saveexec_b64 s[8:9], vcc
	s_cbranch_execz .LBB10_60
; %bb.35:
	v_cmp_neq_f32_e32 vcc, 0, v17
	s_and_saveexec_b64 s[6:7], vcc
	s_xor_b64 s[10:11], exec, s[6:7]
                                        ; implicit-def: $vgpr18
	s_cbranch_execz .LBB10_57
; %bb.36:
	v_mov_b32_e32 v2, 0
	v_cmp_gt_f32_e32 vcc, 0, v17
	s_mov_b64 s[6:7], -1
	s_and_saveexec_b64 s[12:13], vcc
	s_cbranch_execz .LBB10_44
; %bb.37:
	v_trunc_f32_e32 v2, v17
	v_cmp_neq_f32_e32 vcc, v17, v2
	s_mov_b64 s[16:17], 0
	v_mov_b32_e32 v2, 0
	s_and_saveexec_b64 s[14:15], vcc
	s_cbranch_execz .LBB10_43
; %bb.38:
	v_cvt_f64_f32_e32 v[2:3], v17
	s_mov_b32 s18, 0
	s_mov_b32 s7, 0xc00921fb
	;; [unrolled: 1-line block ×3, first 2 shown]
	v_trunc_f64_e32 v[6:7], v[2:3]
	s_mov_b32 s19, 0x7ff00000
	v_cmp_neq_f64_e64 vcc, |v[2:3]|, s[18:19]
	v_bfrev_b32_e32 v8, 1
	s_mov_b32 s16, 0
	s_mov_b32 s17, 0x41d00000
                                        ; implicit-def: $vgpr18
	v_add_f64 v[6:7], v[2:3], -v[6:7]
	v_mul_f64 v[6:7], |v[6:7]|, s[6:7]
	v_cndmask_b32_e32 v3, v8, v7, vcc
	v_cndmask_b32_e32 v2, 0, v6, vcc
	v_cmp_nlt_f64_e64 s[16:17], |v[2:3]|, s[16:17]
                                        ; implicit-def: $vgpr6_vgpr7
                                        ; implicit-def: $vgpr8_vgpr9
	s_and_saveexec_b64 s[22:23], s[16:17]
	s_xor_b64 s[16:17], exec, s[22:23]
	s_cbranch_execz .LBB10_40
; %bb.39:
	v_trig_preop_f64 v[6:7], |v[2:3]|, 0
	s_mov_b32 s22, 0
	s_mov_b32 s23, 0x7b000000
	s_movk_i32 s7, 0xff80
	v_cmp_ge_f64_e64 vcc, |v[2:3]|, s[22:23]
	v_ldexp_f64 v[8:9], |v[2:3]|, s7
	v_trig_preop_f64 v[18:19], |v[2:3]|, 1
	v_and_b32_e32 v20, 0x7fffffff, v3
	v_trig_preop_f64 v[24:25], |v[2:3]|, 2
	v_mov_b32_e32 v36, 0x40100000
	s_mov_b32 s7, 0x3ff921fb
	v_cndmask_b32_e32 v9, v20, v9, vcc
	v_cndmask_b32_e32 v8, v2, v8, vcc
	v_mul_f64 v[20:21], v[6:7], v[8:9]
	v_mul_f64 v[22:23], v[18:19], v[8:9]
	;; [unrolled: 1-line block ×3, first 2 shown]
	v_fma_f64 v[6:7], v[6:7], v[8:9], -v[20:21]
	v_fma_f64 v[18:19], v[18:19], v[8:9], -v[22:23]
	;; [unrolled: 1-line block ×3, first 2 shown]
	v_add_f64 v[26:27], v[22:23], v[6:7]
	v_add_f64 v[34:35], v[30:31], v[18:19]
	v_add_f64 v[28:29], v[26:27], -v[22:23]
	v_add_f64 v[32:33], v[26:27], -v[28:29]
	;; [unrolled: 1-line block ×3, first 2 shown]
	v_add_f64 v[28:29], v[20:21], v[26:27]
	v_add_f64 v[22:23], v[22:23], -v[32:33]
	v_add_f64 v[32:33], v[34:35], -v[30:31]
	;; [unrolled: 1-line block ×3, first 2 shown]
	v_ldexp_f64 v[28:29], v[28:29], -2
	v_add_f64 v[6:7], v[6:7], v[22:23]
	v_add_f64 v[22:23], v[34:35], -v[32:33]
	v_add_f64 v[18:19], v[18:19], -v[32:33]
	v_fract_f64_e32 v[32:33], v[28:29]
	v_add_f64 v[20:21], v[26:27], -v[20:21]
	v_cmp_neq_f64_e64 vcc, |v[28:29]|, s[18:19]
	s_mov_b32 s18, 0x33145c07
	s_mov_b32 s19, 0x3c91a626
	v_add_f64 v[26:27], v[34:35], v[6:7]
	v_add_f64 v[22:23], v[30:31], -v[22:23]
	v_ldexp_f64 v[28:29], v[32:33], 2
	v_add_f64 v[32:33], v[20:21], v[26:27]
	v_add_f64 v[18:19], v[18:19], v[22:23]
	v_cndmask_b32_e32 v23, 0, v29, vcc
	v_cndmask_b32_e32 v22, 0, v28, vcc
	v_add_f64 v[28:29], v[32:33], v[22:23]
	v_add_f64 v[20:21], v[32:33], -v[20:21]
	v_cmp_gt_f64_e32 vcc, 0, v[28:29]
	v_add_f64 v[28:29], v[26:27], -v[34:35]
	v_add_f64 v[20:21], v[26:27], -v[20:21]
	;; [unrolled: 1-line block ×5, first 2 shown]
	v_mov_b32_e32 v34, 0
	v_cndmask_b32_e32 v35, 0, v36, vcc
	v_add_f64 v[22:23], v[22:23], v[34:35]
	v_add_f64 v[6:7], v[6:7], v[28:29]
	v_add_f64 v[35:36], v[32:33], v[22:23]
	v_add_f64 v[6:7], v[18:19], v[6:7]
	v_cvt_i32_f64_e32 v36, v[35:36]
	v_cvt_f64_i32_e32 v[28:29], v36
	v_add_f64 v[6:7], v[8:9], v[6:7]
	v_add_f64 v[22:23], v[22:23], -v[28:29]
	v_add_f64 v[6:7], v[20:21], v[6:7]
	v_mov_b32_e32 v20, 0x3ff00000
	v_add_f64 v[18:19], v[32:33], v[22:23]
	v_add_f64 v[8:9], v[18:19], -v[22:23]
	v_cmp_le_f64_e32 vcc, 0.5, v[18:19]
	v_add_f64 v[8:9], v[32:33], -v[8:9]
	v_cndmask_b32_e32 v35, 0, v20, vcc
	v_add_f64 v[6:7], v[6:7], v[8:9]
	v_add_f64 v[8:9], v[18:19], -v[34:35]
	v_add_f64 v[18:19], v[8:9], v[6:7]
	v_mul_f64 v[20:21], v[18:19], s[6:7]
	v_add_f64 v[8:9], v[18:19], -v[8:9]
	v_fma_f64 v[22:23], v[18:19], s[6:7], -v[20:21]
	v_add_f64 v[6:7], v[6:7], -v[8:9]
	v_fma_f64 v[8:9], v[18:19], s[18:19], v[22:23]
	v_fma_f64 v[8:9], v[6:7], s[6:7], v[8:9]
	v_add_f64 v[6:7], v[20:21], v[8:9]
	v_add_f64 v[18:19], v[6:7], -v[20:21]
	v_add_f64 v[8:9], v[8:9], -v[18:19]
	v_addc_co_u32_e32 v18, vcc, 0, v36, vcc
.LBB10_40:
	s_andn2_saveexec_b64 s[6:7], s[16:17]
	s_cbranch_execz .LBB10_42
; %bb.41:
	s_mov_b32 s16, 0x6dc9c883
	s_mov_b32 s17, 0x3fe45f30
	v_mul_f64 v[6:7], |v[2:3]|, s[16:17]
	s_mov_b32 s16, 0x54442d18
	s_mov_b32 s17, 0xbff921fb
	;; [unrolled: 1-line block ×4, first 2 shown]
	v_rndne_f64_e32 v[18:19], v[6:7]
	v_fma_f64 v[6:7], v[18:19], s[16:17], |v[2:3]|
	v_mul_f64 v[8:9], v[18:19], s[18:19]
	s_mov_b32 s16, 0x252049c0
	s_mov_b32 s17, 0xb97b839a
	v_fma_f64 v[24:25], v[18:19], s[18:19], v[6:7]
	v_add_f64 v[20:21], v[6:7], v[8:9]
	s_mov_b32 s19, 0x3c91a626
	v_add_f64 v[22:23], v[6:7], -v[20:21]
	v_add_f64 v[20:21], v[20:21], -v[24:25]
	v_add_f64 v[6:7], v[22:23], v[8:9]
	v_fma_f64 v[8:9], v[18:19], s[18:19], v[8:9]
	v_add_f64 v[6:7], v[20:21], v[6:7]
	v_add_f64 v[6:7], v[6:7], -v[8:9]
	v_fma_f64 v[8:9], v[18:19], s[16:17], v[6:7]
	v_cvt_i32_f64_e32 v18, v[18:19]
	v_add_f64 v[6:7], v[24:25], v[8:9]
	v_add_f64 v[20:21], v[6:7], -v[24:25]
	v_add_f64 v[8:9], v[8:9], -v[20:21]
.LBB10_42:
	s_or_b64 exec, exec, s[6:7]
	v_mul_f64 v[19:20], v[6:7], v[6:7]
	v_add_f64 v[21:22], v[8:9], v[8:9]
	s_mov_b32 s6, 0xc751c08c
	s_mov_b32 s7, 0x3ef5e089
	v_and_b32_e32 v18, 1, v18
	v_cmp_eq_u32_e32 vcc, 0, v18
	s_mov_b32 s18, 0x54442d18
	s_mov_b32 s19, 0xc00921fb
	v_fma_f64 v[23:24], v[6:7], v[6:7], -v[19:20]
	s_mov_b64 s[16:17], exec
	v_sub_f32_e32 v17, 1.0, v17
	v_fma_f64 v[21:22], v[6:7], v[21:22], v[23:24]
	v_add_f64 v[19:20], v[19:20], v[21:22]
	v_mov_b32_e32 v21, 0xa9a29f71
	v_mov_b32_e32 v22, 0xbf078809
	v_fma_f64 v[21:22], v[19:20], s[6:7], v[21:22]
	s_mov_b32 s6, 0x90a8aae0
	s_mov_b32 s7, 0x3f17746f
	v_fma_f64 v[21:22], v[19:20], v[21:22], s[6:7]
	s_mov_b32 s6, 0xa6fbf144
	s_mov_b32 s7, 0xbefbb44d
	;; [unrolled: 3-line block ×12, first 2 shown]
	v_fma_f64 v[21:22], v[19:20], v[21:22], s[6:7]
	s_movk_i32 s6, 0x1f8
	v_cmp_class_f64_e64 s[6:7], v[2:3], s6
	v_mul_f64 v[19:20], v[19:20], v[21:22]
	v_mul_f64 v[21:22], v[6:7], v[19:20]
	v_add_f64 v[23:24], v[6:7], v[21:22]
	v_fma_f64 v[19:20], v[6:7], v[19:20], -v[21:22]
	v_add_f64 v[6:7], v[23:24], -v[6:7]
	v_add_f64 v[8:9], v[8:9], v[19:20]
	v_add_f64 v[6:7], v[21:22], -v[6:7]
	v_add_f64 v[6:7], v[8:9], v[6:7]
	v_add_f64 v[8:9], v[23:24], v[6:7]
	v_rcp_f64_e32 v[19:20], v[8:9]
	v_fma_f64 v[21:22], -v[8:9], v[19:20], 1.0
	v_fma_f64 v[19:20], v[21:22], v[19:20], v[19:20]
	v_fma_f64 v[21:22], -v[8:9], v[19:20], 1.0
	v_fma_f64 v[19:20], v[21:22], v[19:20], v[19:20]
	v_add_f64 v[21:22], v[8:9], -v[23:24]
	v_mul_f64 v[23:24], v[8:9], v[19:20]
	v_add_f64 v[6:7], v[6:7], -v[21:22]
	v_fma_f64 v[21:22], v[19:20], v[8:9], -v[23:24]
	v_fma_f64 v[6:7], v[19:20], v[6:7], v[21:22]
	v_add_f64 v[21:22], v[23:24], v[6:7]
	v_add_f64 v[25:26], -v[21:22], 1.0
	v_add_f64 v[23:24], v[21:22], -v[23:24]
	v_add_f64 v[27:28], -v[25:26], 1.0
	v_add_f64 v[6:7], v[23:24], -v[6:7]
	v_add_f64 v[21:22], v[27:28], -v[21:22]
	v_add_f64 v[6:7], v[6:7], v[21:22]
	v_add_f64 v[6:7], v[25:26], v[6:7]
	v_mul_f64 v[6:7], v[19:20], v[6:7]
	v_add_f64 v[6:7], v[19:20], v[6:7]
	v_and_b32_e32 v19, 0x80000000, v3
	v_mov_b32_e32 v3, 0x7ff80000
	v_xor_b32_e32 v2, 0x80000000, v7
	v_cndmask_b32_e32 v6, v6, v8, vcc
	v_cndmask_b32_e32 v7, v2, v9, vcc
	v_cndmask_b32_e64 v2, 0, v6, s[6:7]
	v_xor_b32_e32 v6, v7, v19
	v_cndmask_b32_e64 v3, v3, v6, s[6:7]
	v_div_scale_f64 v[6:7], s[6:7], v[2:3], v[2:3], s[18:19]
	v_div_scale_f64 v[20:21], vcc, s[18:19], v[2:3], s[18:19]
	v_rcp_f64_e32 v[8:9], v[6:7]
	v_fma_f64 v[18:19], -v[6:7], v[8:9], 1.0
	v_fma_f64 v[8:9], v[8:9], v[18:19], v[8:9]
	v_fma_f64 v[18:19], -v[6:7], v[8:9], 1.0
	v_fma_f64 v[8:9], v[8:9], v[18:19], v[8:9]
	v_mul_f64 v[18:19], v[20:21], v[8:9]
	v_fma_f64 v[6:7], -v[6:7], v[18:19], v[20:21]
	v_div_fmas_f64 v[6:7], v[6:7], v[8:9], v[18:19]
	v_div_fixup_f64 v[2:3], v[6:7], v[2:3], s[18:19]
	v_cvt_f32_f64_e32 v2, v[2:3]
.LBB10_43:
	s_or_b64 exec, exec, s[14:15]
	s_orn2_b64 s[6:7], s[16:17], exec
.LBB10_44:
	s_or_b64 exec, exec, s[12:13]
	v_mov_b32_e32 v18, 0x7fc00000
	s_and_saveexec_b64 s[12:13], s[6:7]
	s_cbranch_execz .LBB10_56
; %bb.45:
	s_mov_b32 s16, 0x41200000
	v_cmp_gt_f32_e32 vcc, s16, v17
	s_and_saveexec_b64 s[6:7], vcc
	s_cbranch_execz .LBB10_49
; %bb.46:
	s_mov_b64 s[14:15], 0
.LBB10_47:                              ; =>This Inner Loop Header: Depth=1
	v_div_scale_f32 v3, s[18:19], v17, v17, 1.0
	v_div_scale_f32 v6, vcc, 1.0, v17, 1.0
	v_rcp_f32_e32 v7, v3
	v_fma_f32 v8, -v3, v7, 1.0
	v_fmac_f32_e32 v7, v8, v7
	v_mul_f32_e32 v8, v6, v7
	v_fma_f32 v9, -v3, v8, v6
	v_fmac_f32_e32 v8, v9, v7
	v_fma_f32 v3, -v3, v8, v6
	v_div_fmas_f32 v3, v3, v7, v8
	v_div_fixup_f32 v3, v3, v17, 1.0
	v_add_f32_e32 v17, 1.0, v17
	v_cmp_ngt_f32_e32 vcc, s16, v17
	s_or_b64 s[14:15], vcc, s[14:15]
	v_sub_f32_e32 v2, v2, v3
	s_andn2_b64 exec, exec, s[14:15]
	s_cbranch_execnz .LBB10_47
; %bb.48:
	s_or_b64 exec, exec, s[14:15]
.LBB10_49:
	s_or_b64 exec, exec, s[6:7]
	s_mov_b32 s6, 0x41200000
	v_cmp_neq_f32_e32 vcc, s6, v17
	s_and_saveexec_b64 s[6:7], vcc
	s_xor_b64 s[14:15], exec, s[6:7]
                                        ; implicit-def: $vgpr18
	s_cbranch_execz .LBB10_53
; %bb.50:
	v_cvt_f64_f32_e32 v[6:7], v17
	s_mov_b32 s6, 0x85d8a000
	s_mov_b32 s7, 0x43763457
	v_mov_b32_e32 v3, 0
	v_cmp_gt_f64_e32 vcc, s[6:7], v[6:7]
	s_and_saveexec_b64 s[6:7], vcc
	s_cbranch_execz .LBB10_52
; %bb.51:
	v_mul_f32_e32 v3, v17, v17
	v_div_scale_f32 v6, s[16:17], v3, v3, 1.0
	v_div_scale_f32 v7, vcc, 1.0, v3, 1.0
	v_mov_b32_e32 v19, 0x3b820821
	v_rcp_f32_e32 v8, v6
	v_fma_f32 v9, -v6, v8, 1.0
	v_fmac_f32_e32 v8, v9, v8
	v_mul_f32_e32 v9, v7, v8
	v_fma_f32 v18, -v6, v9, v7
	v_fmac_f32_e32 v9, v18, v8
	v_fma_f32 v6, -v6, v9, v7
	v_div_fmas_f32 v6, v6, v8, v9
	v_mov_b32_e32 v7, 0x3daaaaab
	v_mov_b32_e32 v8, 0xbcaccacd
	;; [unrolled: 1-line block ×4, first 2 shown]
	v_div_fixup_f32 v3, v6, v3, 1.0
	v_fma_f32 v6, 0, v3, v7
	v_fmac_f32_e32 v8, v3, v6
	v_fmac_f32_e32 v9, v3, v8
	;; [unrolled: 1-line block ×4, first 2 shown]
	v_mov_b32_e32 v6, 0xbc088889
	v_fmac_f32_e32 v6, v3, v19
	v_fmac_f32_e32 v7, v3, v6
	v_mul_f32_e32 v3, v3, v7
.LBB10_52:
	s_or_b64 exec, exec, s[6:7]
	v_div_scale_f32 v6, s[6:7], v17, v17, -0.5
	v_div_scale_f32 v7, vcc, -0.5, v17, -0.5
	s_mov_b32 s6, 0x800000
	v_cmp_gt_f32_e64 s[6:7], s6, v17
	v_cndmask_b32_e64 v9, 0, 32, s[6:7]
	s_mov_b32 s16, 0x3f317217
	v_rcp_f32_e32 v8, v6
	v_fma_f32 v18, -v6, v8, 1.0
	v_fmac_f32_e32 v8, v18, v8
	v_mul_f32_e32 v18, v7, v8
	v_fma_f32 v19, -v6, v18, v7
	v_fmac_f32_e32 v18, v19, v8
	v_fma_f32 v6, -v6, v18, v7
	v_div_fmas_f32 v6, v6, v8, v18
	v_ldexp_f32 v7, v17, v9
	v_log_f32_e32 v7, v7
	v_mul_f32_e32 v8, 0x3f317217, v7
	v_fma_f32 v8, v7, s16, -v8
	v_fmac_f32_e32 v8, 0x3377d1cf, v7
	s_mov_b32 s16, 0x7f800000
	v_fmac_f32_e32 v8, 0x3f317217, v7
	v_cmp_lt_f32_e64 vcc, |v7|, s16
	v_cndmask_b32_e32 v7, v7, v8, vcc
	v_mov_b32_e32 v8, 0x41b17218
	v_cndmask_b32_e64 v8, 0, v8, s[6:7]
	v_sub_f32_e32 v7, v7, v8
	v_div_fixup_f32 v6, v6, v17, -0.5
	v_add_f32_e32 v6, v7, v6
	v_sub_f32_e32 v3, v6, v3
	v_add_f32_e32 v18, v2, v3
                                        ; implicit-def: $vgpr2
.LBB10_53:
	s_andn2_saveexec_b64 s[6:7], s[14:15]
; %bb.54:
	v_add_f32_e32 v18, 0x40101cb7, v2
; %bb.55:
	s_or_b64 exec, exec, s[6:7]
.LBB10_56:
	s_or_b64 exec, exec, s[12:13]
                                        ; implicit-def: $vgpr17
.LBB10_57:
	s_andn2_saveexec_b64 s[6:7], s[10:11]
; %bb.58:
	v_xor_b32_e32 v2, 0x80000000, v17
	s_brev_b32 s10, -2
	v_mov_b32_e32 v3, 0x7f800000
	v_bfi_b32 v18, s10, v3, v2
; %bb.59:
	s_or_b64 exec, exec, s[6:7]
.LBB10_60:
	s_or_b64 exec, exec, s[8:9]
	v_add_u32_e32 v2, 0x200, v10
	v_cmp_lt_i32_e32 vcc, v2, v4
	s_and_saveexec_b64 s[8:9], vcc
	s_cbranch_execz .LBB10_86
; %bb.61:
	v_cmp_neq_f32_e32 vcc, 0, v14
	s_and_saveexec_b64 s[6:7], vcc
	s_xor_b64 s[10:11], exec, s[6:7]
                                        ; implicit-def: $vgpr16
	s_cbranch_execz .LBB10_83
; %bb.62:
	v_mov_b32_e32 v2, 0
	v_cmp_gt_f32_e32 vcc, 0, v14
	s_mov_b64 s[6:7], -1
	s_and_saveexec_b64 s[12:13], vcc
	s_cbranch_execz .LBB10_70
; %bb.63:
	v_trunc_f32_e32 v2, v14
	v_cmp_neq_f32_e32 vcc, v14, v2
	s_mov_b64 s[16:17], 0
	v_mov_b32_e32 v2, 0
	s_and_saveexec_b64 s[14:15], vcc
	s_cbranch_execz .LBB10_69
; %bb.64:
	v_cvt_f64_f32_e32 v[2:3], v14
	s_mov_b32 s6, 0
	s_mov_b32 s17, 0xc00921fb
	;; [unrolled: 1-line block ×3, first 2 shown]
	v_trunc_f64_e32 v[6:7], v[2:3]
	s_mov_b32 s7, 0x7ff00000
	v_cmp_neq_f64_e64 vcc, |v[2:3]|, s[6:7]
	v_bfrev_b32_e32 v8, 1
	s_mov_b32 s18, 0
	s_mov_b32 s19, 0x41d00000
                                        ; implicit-def: $vgpr16
	v_add_f64 v[6:7], v[2:3], -v[6:7]
	v_mul_f64 v[6:7], |v[6:7]|, s[16:17]
	v_cndmask_b32_e32 v3, v8, v7, vcc
	v_cndmask_b32_e32 v2, 0, v6, vcc
	v_cmp_nlt_f64_e64 s[18:19], |v[2:3]|, s[18:19]
                                        ; implicit-def: $vgpr6_vgpr7
                                        ; implicit-def: $vgpr8_vgpr9
	s_and_saveexec_b64 s[22:23], s[18:19]
	s_xor_b64 s[18:19], exec, s[22:23]
	s_cbranch_execz .LBB10_66
; %bb.65:
	v_trig_preop_f64 v[6:7], |v[2:3]|, 0
	s_mov_b32 s22, 0
	s_mov_b32 s23, 0x7b000000
	s_movk_i32 s17, 0xff80
	v_cmp_ge_f64_e64 vcc, |v[2:3]|, s[22:23]
	v_ldexp_f64 v[16:17], |v[2:3]|, s17
	v_trig_preop_f64 v[8:9], |v[2:3]|, 1
	v_and_b32_e32 v19, 0x7fffffff, v3
	s_mov_b32 s17, 0x3ff921fb
	v_cndmask_b32_e32 v17, v19, v17, vcc
	v_cndmask_b32_e32 v16, v2, v16, vcc
	v_mul_f64 v[21:22], v[6:7], v[16:17]
	v_mul_f64 v[19:20], v[8:9], v[16:17]
	v_fma_f64 v[6:7], v[6:7], v[16:17], -v[21:22]
	v_fma_f64 v[8:9], v[8:9], v[16:17], -v[19:20]
	v_add_f64 v[23:24], v[19:20], v[6:7]
	v_add_f64 v[31:32], v[23:24], -v[19:20]
	v_add_f64 v[25:26], v[21:22], v[23:24]
	v_add_f64 v[6:7], v[6:7], -v[31:32]
	v_add_f64 v[31:32], v[23:24], -v[31:32]
	v_ldexp_f64 v[27:28], v[25:26], -2
	v_add_f64 v[21:22], v[25:26], -v[21:22]
	v_add_f64 v[31:32], v[19:20], -v[31:32]
	v_trig_preop_f64 v[19:20], |v[2:3]|, 2
	v_fract_f64_e32 v[29:30], v[27:28]
	v_add_f64 v[21:22], v[23:24], -v[21:22]
	v_cmp_neq_f64_e64 vcc, |v[27:28]|, s[6:7]
	v_add_f64 v[6:7], v[6:7], v[31:32]
	v_mul_f64 v[31:32], v[19:20], v[16:17]
	v_add_f64 v[33:34], v[31:32], v[8:9]
	v_add_f64 v[35:36], v[33:34], v[6:7]
	v_add_f64 v[25:26], v[35:36], -v[33:34]
	v_add_f64 v[23:24], v[21:22], v[35:36]
	v_add_f64 v[6:7], v[6:7], -v[25:26]
	v_add_f64 v[25:26], v[35:36], -v[25:26]
	;; [unrolled: 1-line block ×5, first 2 shown]
	v_add_f64 v[6:7], v[6:7], v[25:26]
	v_add_f64 v[25:26], v[33:34], -v[31:32]
	v_add_f64 v[8:9], v[8:9], -v[25:26]
	v_add_f64 v[25:26], v[33:34], -v[25:26]
	v_add_f64 v[25:26], v[31:32], -v[25:26]
	v_add_f64 v[8:9], v[8:9], v[25:26]
	v_add_f64 v[6:7], v[8:9], v[6:7]
	v_fma_f64 v[8:9], v[19:20], v[16:17], -v[31:32]
	v_mov_b32_e32 v19, 0
	v_add_f64 v[6:7], v[8:9], v[6:7]
	v_ldexp_f64 v[8:9], v[29:30], 2
	v_add_f64 v[6:7], v[21:22], v[6:7]
	v_cndmask_b32_e32 v9, 0, v9, vcc
	v_cndmask_b32_e32 v8, 0, v8, vcc
	v_add_f64 v[16:17], v[23:24], v[8:9]
	v_cmp_gt_f64_e32 vcc, 0, v[16:17]
	v_mov_b32_e32 v16, 0x40100000
	v_cndmask_b32_e32 v20, 0, v16, vcc
	v_add_f64 v[8:9], v[8:9], v[19:20]
	v_add_f64 v[16:17], v[23:24], v[8:9]
	v_cvt_i32_f64_e32 v20, v[16:17]
	v_cvt_f64_i32_e32 v[16:17], v20
	v_add_f64 v[8:9], v[8:9], -v[16:17]
	v_add_f64 v[21:22], v[23:24], v[8:9]
	v_add_f64 v[8:9], v[21:22], -v[8:9]
	v_cmp_le_f64_e32 vcc, 0.5, v[21:22]
	v_add_f64 v[8:9], v[23:24], -v[8:9]
	v_addc_co_u32_e64 v16, s[6:7], 0, v20, vcc
	s_mov_b32 s6, 0x33145c07
	s_mov_b32 s7, 0x3c91a626
	v_add_f64 v[6:7], v[6:7], v[8:9]
	v_mov_b32_e32 v8, 0x3ff00000
	v_cndmask_b32_e32 v20, 0, v8, vcc
	v_add_f64 v[8:9], v[21:22], -v[19:20]
	v_add_f64 v[19:20], v[8:9], v[6:7]
	v_add_f64 v[8:9], v[19:20], -v[8:9]
	v_add_f64 v[6:7], v[6:7], -v[8:9]
	v_mul_f64 v[8:9], v[19:20], s[16:17]
	v_fma_f64 v[21:22], v[19:20], s[16:17], -v[8:9]
	v_fma_f64 v[19:20], v[19:20], s[6:7], v[21:22]
	v_fma_f64 v[19:20], v[6:7], s[16:17], v[19:20]
	v_add_f64 v[6:7], v[8:9], v[19:20]
	v_add_f64 v[8:9], v[6:7], -v[8:9]
	v_add_f64 v[8:9], v[19:20], -v[8:9]
.LBB10_66:
	s_andn2_saveexec_b64 s[6:7], s[18:19]
	s_cbranch_execz .LBB10_68
; %bb.67:
	s_mov_b32 s16, 0x6dc9c883
	s_mov_b32 s17, 0x3fe45f30
	v_mul_f64 v[6:7], |v[2:3]|, s[16:17]
	s_mov_b32 s16, 0x54442d18
	s_mov_b32 s17, 0xbff921fb
	;; [unrolled: 1-line block ×4, first 2 shown]
	v_rndne_f64_e32 v[16:17], v[6:7]
	v_fma_f64 v[6:7], v[16:17], s[16:17], |v[2:3]|
	v_mul_f64 v[8:9], v[16:17], s[18:19]
	s_mov_b32 s16, 0x252049c0
	s_mov_b32 s17, 0xb97b839a
	v_fma_f64 v[23:24], v[16:17], s[18:19], v[6:7]
	v_add_f64 v[19:20], v[6:7], v[8:9]
	s_mov_b32 s19, 0x3c91a626
	v_add_f64 v[21:22], v[6:7], -v[19:20]
	v_add_f64 v[19:20], v[19:20], -v[23:24]
	v_add_f64 v[6:7], v[21:22], v[8:9]
	v_fma_f64 v[8:9], v[16:17], s[18:19], v[8:9]
	v_add_f64 v[6:7], v[19:20], v[6:7]
	v_add_f64 v[6:7], v[6:7], -v[8:9]
	v_fma_f64 v[8:9], v[16:17], s[16:17], v[6:7]
	v_cvt_i32_f64_e32 v16, v[16:17]
	v_add_f64 v[6:7], v[23:24], v[8:9]
	v_add_f64 v[19:20], v[6:7], -v[23:24]
	v_add_f64 v[8:9], v[8:9], -v[19:20]
.LBB10_68:
	s_or_b64 exec, exec, s[6:7]
	v_mul_f64 v[19:20], v[6:7], v[6:7]
	v_add_f64 v[21:22], v[8:9], v[8:9]
	s_mov_b32 s6, 0xc751c08c
	s_mov_b32 s7, 0x3ef5e089
	v_and_b32_e32 v16, 1, v16
	v_cmp_eq_u32_e32 vcc, 0, v16
	v_and_b32_e32 v17, 0x80000000, v3
	s_mov_b32 s18, 0x54442d18
	v_fma_f64 v[23:24], v[6:7], v[6:7], -v[19:20]
	s_mov_b32 s19, 0xc00921fb
	s_mov_b64 s[16:17], exec
	v_sub_f32_e32 v14, 1.0, v14
	v_fma_f64 v[21:22], v[6:7], v[21:22], v[23:24]
	v_add_f64 v[19:20], v[19:20], v[21:22]
	v_mov_b32_e32 v21, 0xa9a29f71
	v_mov_b32_e32 v22, 0xbf078809
	v_fma_f64 v[21:22], v[19:20], s[6:7], v[21:22]
	s_mov_b32 s6, 0x90a8aae0
	s_mov_b32 s7, 0x3f17746f
	v_fma_f64 v[21:22], v[19:20], v[21:22], s[6:7]
	s_mov_b32 s6, 0xa6fbf144
	s_mov_b32 s7, 0xbefbb44d
	;; [unrolled: 3-line block ×12, first 2 shown]
	v_fma_f64 v[21:22], v[19:20], v[21:22], s[6:7]
	s_movk_i32 s6, 0x1f8
	v_cmp_class_f64_e64 s[6:7], v[2:3], s6
	v_mov_b32_e32 v3, 0x7ff80000
	v_mul_f64 v[19:20], v[19:20], v[21:22]
	v_mul_f64 v[21:22], v[6:7], v[19:20]
	v_add_f64 v[23:24], v[6:7], v[21:22]
	v_fma_f64 v[19:20], v[6:7], v[19:20], -v[21:22]
	v_add_f64 v[6:7], v[23:24], -v[6:7]
	v_add_f64 v[8:9], v[8:9], v[19:20]
	v_add_f64 v[6:7], v[21:22], -v[6:7]
	v_add_f64 v[6:7], v[8:9], v[6:7]
	v_add_f64 v[8:9], v[23:24], v[6:7]
	v_rcp_f64_e32 v[19:20], v[8:9]
	v_fma_f64 v[21:22], -v[8:9], v[19:20], 1.0
	v_fma_f64 v[19:20], v[21:22], v[19:20], v[19:20]
	v_fma_f64 v[21:22], -v[8:9], v[19:20], 1.0
	v_fma_f64 v[19:20], v[21:22], v[19:20], v[19:20]
	v_add_f64 v[21:22], v[8:9], -v[23:24]
	v_mul_f64 v[23:24], v[8:9], v[19:20]
	v_add_f64 v[6:7], v[6:7], -v[21:22]
	v_fma_f64 v[21:22], v[19:20], v[8:9], -v[23:24]
	v_fma_f64 v[6:7], v[19:20], v[6:7], v[21:22]
	v_add_f64 v[21:22], v[23:24], v[6:7]
	v_add_f64 v[25:26], -v[21:22], 1.0
	v_add_f64 v[23:24], v[21:22], -v[23:24]
	v_add_f64 v[27:28], -v[25:26], 1.0
	v_add_f64 v[6:7], v[23:24], -v[6:7]
	v_add_f64 v[21:22], v[27:28], -v[21:22]
	v_add_f64 v[6:7], v[6:7], v[21:22]
	v_add_f64 v[6:7], v[25:26], v[6:7]
	v_mul_f64 v[6:7], v[19:20], v[6:7]
	v_add_f64 v[6:7], v[19:20], v[6:7]
	v_xor_b32_e32 v2, 0x80000000, v7
	v_cndmask_b32_e32 v6, v6, v8, vcc
	v_cndmask_b32_e32 v7, v2, v9, vcc
	v_cndmask_b32_e64 v2, 0, v6, s[6:7]
	v_xor_b32_e32 v6, v7, v17
	v_cndmask_b32_e64 v3, v3, v6, s[6:7]
	v_div_scale_f64 v[6:7], s[6:7], v[2:3], v[2:3], s[18:19]
	v_div_scale_f64 v[19:20], vcc, s[18:19], v[2:3], s[18:19]
	v_rcp_f64_e32 v[8:9], v[6:7]
	v_fma_f64 v[16:17], -v[6:7], v[8:9], 1.0
	v_fma_f64 v[8:9], v[8:9], v[16:17], v[8:9]
	v_fma_f64 v[16:17], -v[6:7], v[8:9], 1.0
	v_fma_f64 v[8:9], v[8:9], v[16:17], v[8:9]
	v_mul_f64 v[16:17], v[19:20], v[8:9]
	v_fma_f64 v[6:7], -v[6:7], v[16:17], v[19:20]
	v_div_fmas_f64 v[6:7], v[6:7], v[8:9], v[16:17]
	v_div_fixup_f64 v[2:3], v[6:7], v[2:3], s[18:19]
	v_cvt_f32_f64_e32 v2, v[2:3]
.LBB10_69:
	s_or_b64 exec, exec, s[14:15]
	s_orn2_b64 s[6:7], s[16:17], exec
.LBB10_70:
	s_or_b64 exec, exec, s[12:13]
	v_mov_b32_e32 v16, 0x7fc00000
	s_and_saveexec_b64 s[12:13], s[6:7]
	s_cbranch_execz .LBB10_82
; %bb.71:
	s_mov_b32 s16, 0x41200000
	v_cmp_gt_f32_e32 vcc, s16, v14
	s_and_saveexec_b64 s[6:7], vcc
	s_cbranch_execz .LBB10_75
; %bb.72:
	s_mov_b64 s[14:15], 0
.LBB10_73:                              ; =>This Inner Loop Header: Depth=1
	v_div_scale_f32 v3, s[18:19], v14, v14, 1.0
	v_div_scale_f32 v6, vcc, 1.0, v14, 1.0
	v_rcp_f32_e32 v7, v3
	v_fma_f32 v8, -v3, v7, 1.0
	v_fmac_f32_e32 v7, v8, v7
	v_mul_f32_e32 v8, v6, v7
	v_fma_f32 v9, -v3, v8, v6
	v_fmac_f32_e32 v8, v9, v7
	v_fma_f32 v3, -v3, v8, v6
	v_div_fmas_f32 v3, v3, v7, v8
	v_div_fixup_f32 v3, v3, v14, 1.0
	v_add_f32_e32 v14, 1.0, v14
	v_cmp_ngt_f32_e32 vcc, s16, v14
	s_or_b64 s[14:15], vcc, s[14:15]
	v_sub_f32_e32 v2, v2, v3
	s_andn2_b64 exec, exec, s[14:15]
	s_cbranch_execnz .LBB10_73
; %bb.74:
	s_or_b64 exec, exec, s[14:15]
.LBB10_75:
	s_or_b64 exec, exec, s[6:7]
	s_mov_b32 s6, 0x41200000
	v_cmp_neq_f32_e32 vcc, s6, v14
	s_and_saveexec_b64 s[6:7], vcc
	s_xor_b64 s[14:15], exec, s[6:7]
                                        ; implicit-def: $vgpr16
	s_cbranch_execz .LBB10_79
; %bb.76:
	v_cvt_f64_f32_e32 v[6:7], v14
	s_mov_b32 s6, 0x85d8a000
	s_mov_b32 s7, 0x43763457
	v_mov_b32_e32 v3, 0
	v_cmp_gt_f64_e32 vcc, s[6:7], v[6:7]
	s_and_saveexec_b64 s[6:7], vcc
	s_cbranch_execz .LBB10_78
; %bb.77:
	v_mul_f32_e32 v3, v14, v14
	v_div_scale_f32 v6, s[16:17], v3, v3, 1.0
	v_div_scale_f32 v7, vcc, 1.0, v3, 1.0
	v_mov_b32_e32 v17, 0x3b820821
	v_rcp_f32_e32 v8, v6
	v_fma_f32 v9, -v6, v8, 1.0
	v_fmac_f32_e32 v8, v9, v8
	v_mul_f32_e32 v9, v7, v8
	v_fma_f32 v16, -v6, v9, v7
	v_fmac_f32_e32 v9, v16, v8
	v_fma_f32 v6, -v6, v9, v7
	v_div_fmas_f32 v6, v6, v8, v9
	v_mov_b32_e32 v7, 0x3daaaaab
	v_mov_b32_e32 v8, 0xbcaccacd
	;; [unrolled: 1-line block ×4, first 2 shown]
	v_div_fixup_f32 v3, v6, v3, 1.0
	v_fma_f32 v6, 0, v3, v7
	v_fmac_f32_e32 v8, v3, v6
	v_fmac_f32_e32 v9, v3, v8
	;; [unrolled: 1-line block ×4, first 2 shown]
	v_mov_b32_e32 v6, 0xbc088889
	v_fmac_f32_e32 v6, v3, v17
	v_fmac_f32_e32 v7, v3, v6
	v_mul_f32_e32 v3, v3, v7
.LBB10_78:
	s_or_b64 exec, exec, s[6:7]
	v_div_scale_f32 v6, s[6:7], v14, v14, -0.5
	v_div_scale_f32 v7, vcc, -0.5, v14, -0.5
	s_mov_b32 s6, 0x800000
	v_cmp_gt_f32_e64 s[6:7], s6, v14
	v_cndmask_b32_e64 v9, 0, 32, s[6:7]
	s_mov_b32 s16, 0x3f317217
	v_rcp_f32_e32 v8, v6
	v_fma_f32 v16, -v6, v8, 1.0
	v_fmac_f32_e32 v8, v16, v8
	v_mul_f32_e32 v16, v7, v8
	v_fma_f32 v17, -v6, v16, v7
	v_fmac_f32_e32 v16, v17, v8
	v_fma_f32 v6, -v6, v16, v7
	v_div_fmas_f32 v6, v6, v8, v16
	v_ldexp_f32 v7, v14, v9
	v_log_f32_e32 v7, v7
	v_mul_f32_e32 v8, 0x3f317217, v7
	v_fma_f32 v8, v7, s16, -v8
	v_fmac_f32_e32 v8, 0x3377d1cf, v7
	s_mov_b32 s16, 0x7f800000
	v_fmac_f32_e32 v8, 0x3f317217, v7
	v_cmp_lt_f32_e64 vcc, |v7|, s16
	v_cndmask_b32_e32 v7, v7, v8, vcc
	v_mov_b32_e32 v8, 0x41b17218
	v_cndmask_b32_e64 v8, 0, v8, s[6:7]
	v_sub_f32_e32 v7, v7, v8
	v_div_fixup_f32 v6, v6, v14, -0.5
	v_add_f32_e32 v6, v7, v6
	v_sub_f32_e32 v3, v6, v3
	v_add_f32_e32 v16, v2, v3
                                        ; implicit-def: $vgpr2
.LBB10_79:
	s_andn2_saveexec_b64 s[6:7], s[14:15]
; %bb.80:
	v_add_f32_e32 v16, 0x40101cb7, v2
; %bb.81:
	s_or_b64 exec, exec, s[6:7]
.LBB10_82:
	s_or_b64 exec, exec, s[12:13]
                                        ; implicit-def: $vgpr14
.LBB10_83:
	s_andn2_saveexec_b64 s[6:7], s[10:11]
; %bb.84:
	v_xor_b32_e32 v2, 0x80000000, v14
	s_brev_b32 s10, -2
	v_mov_b32_e32 v3, 0x7f800000
	v_bfi_b32 v16, s10, v3, v2
; %bb.85:
	s_or_b64 exec, exec, s[6:7]
.LBB10_86:
	s_or_b64 exec, exec, s[8:9]
	v_add_u32_e32 v2, 0x300, v10
	v_cmp_lt_i32_e32 vcc, v2, v4
	s_and_saveexec_b64 s[8:9], vcc
	s_cbranch_execnz .LBB10_92
; %bb.87:
	s_or_b64 exec, exec, s[8:9]
	s_and_saveexec_b64 s[6:7], s[4:5]
	s_xor_b64 s[4:5], exec, s[6:7]
	s_cbranch_execnz .LBB10_117
.LBB10_88:
	s_or_b64 exec, exec, s[4:5]
	v_cmp_lt_i32_e32 vcc, v10, v4
	s_and_saveexec_b64 s[4:5], vcc
	s_cbranch_execnz .LBB10_118
.LBB10_89:
	s_or_b64 exec, exec, s[4:5]
	v_cmp_lt_i32_e32 vcc, v10, v4
	s_and_saveexec_b64 s[4:5], vcc
	s_cbranch_execnz .LBB10_119
.LBB10_90:
	s_or_b64 exec, exec, s[4:5]
	v_cmp_lt_i32_e32 vcc, v10, v4
	s_and_saveexec_b64 s[4:5], vcc
	s_cbranch_execnz .LBB10_120
.LBB10_91:
	s_or_b64 exec, exec, s[4:5]
	s_waitcnt vmcnt(0) lgkmcnt(0)
	s_setpc_b64 s[30:31]
.LBB10_92:
	v_cmp_neq_f32_e32 vcc, 0, v11
	s_and_saveexec_b64 s[6:7], vcc
	s_xor_b64 s[10:11], exec, s[6:7]
                                        ; implicit-def: $vgpr15
	s_cbranch_execz .LBB10_114
; %bb.93:
	v_mov_b32_e32 v2, 0
	v_cmp_gt_f32_e32 vcc, 0, v11
	s_mov_b64 s[6:7], -1
	s_and_saveexec_b64 s[12:13], vcc
	s_cbranch_execz .LBB10_101
; %bb.94:
	v_trunc_f32_e32 v2, v11
	v_cmp_neq_f32_e32 vcc, v11, v2
	s_mov_b64 s[16:17], 0
	v_mov_b32_e32 v2, 0
	s_and_saveexec_b64 s[14:15], vcc
	s_cbranch_execz .LBB10_100
; %bb.95:
	v_cvt_f64_f32_e32 v[2:3], v11
	s_mov_b32 s6, 0
	s_mov_b32 s17, 0xc00921fb
	s_mov_b32 s16, 0x54442d18
	v_trunc_f64_e32 v[6:7], v[2:3]
	s_mov_b32 s7, 0x7ff00000
	v_cmp_neq_f64_e64 vcc, |v[2:3]|, s[6:7]
	v_bfrev_b32_e32 v8, 1
	s_mov_b32 s18, 0
	s_mov_b32 s19, 0x41d00000
                                        ; implicit-def: $vgpr14
	v_add_f64 v[6:7], v[2:3], -v[6:7]
	v_mul_f64 v[6:7], |v[6:7]|, s[16:17]
	v_cndmask_b32_e32 v3, v8, v7, vcc
	v_cndmask_b32_e32 v2, 0, v6, vcc
	v_cmp_nlt_f64_e64 s[18:19], |v[2:3]|, s[18:19]
                                        ; implicit-def: $vgpr6_vgpr7
                                        ; implicit-def: $vgpr8_vgpr9
	s_and_saveexec_b64 s[22:23], s[18:19]
	s_xor_b64 s[18:19], exec, s[22:23]
	s_cbranch_execz .LBB10_97
; %bb.96:
	v_trig_preop_f64 v[6:7], |v[2:3]|, 0
	s_mov_b32 s22, 0
	s_mov_b32 s23, 0x7b000000
	s_movk_i32 s17, 0xff80
	v_cmp_ge_f64_e64 vcc, |v[2:3]|, s[22:23]
	v_ldexp_f64 v[14:15], |v[2:3]|, s17
	v_trig_preop_f64 v[8:9], |v[2:3]|, 1
	v_and_b32_e32 v17, 0x7fffffff, v3
	s_mov_b32 s17, 0x3ff921fb
	v_cndmask_b32_e32 v15, v17, v15, vcc
	v_cndmask_b32_e32 v14, v2, v14, vcc
	v_mul_f64 v[21:22], v[6:7], v[14:15]
	v_mul_f64 v[19:20], v[8:9], v[14:15]
	v_fma_f64 v[6:7], v[6:7], v[14:15], -v[21:22]
	v_fma_f64 v[8:9], v[8:9], v[14:15], -v[19:20]
	v_add_f64 v[23:24], v[19:20], v[6:7]
	v_add_f64 v[31:32], v[23:24], -v[19:20]
	v_add_f64 v[25:26], v[21:22], v[23:24]
	v_add_f64 v[6:7], v[6:7], -v[31:32]
	v_add_f64 v[31:32], v[23:24], -v[31:32]
	v_ldexp_f64 v[27:28], v[25:26], -2
	v_add_f64 v[21:22], v[25:26], -v[21:22]
	v_add_f64 v[31:32], v[19:20], -v[31:32]
	v_trig_preop_f64 v[19:20], |v[2:3]|, 2
	v_fract_f64_e32 v[29:30], v[27:28]
	v_add_f64 v[21:22], v[23:24], -v[21:22]
	v_cmp_neq_f64_e64 vcc, |v[27:28]|, s[6:7]
	v_add_f64 v[6:7], v[6:7], v[31:32]
	v_mul_f64 v[31:32], v[19:20], v[14:15]
	v_add_f64 v[33:34], v[31:32], v[8:9]
	v_add_f64 v[35:36], v[33:34], v[6:7]
	v_add_f64 v[25:26], v[35:36], -v[33:34]
	v_add_f64 v[23:24], v[21:22], v[35:36]
	v_add_f64 v[6:7], v[6:7], -v[25:26]
	v_add_f64 v[25:26], v[35:36], -v[25:26]
	;; [unrolled: 1-line block ×5, first 2 shown]
	v_add_f64 v[6:7], v[6:7], v[25:26]
	v_add_f64 v[25:26], v[33:34], -v[31:32]
	v_add_f64 v[8:9], v[8:9], -v[25:26]
	;; [unrolled: 1-line block ×4, first 2 shown]
	v_add_f64 v[8:9], v[8:9], v[25:26]
	v_add_f64 v[6:7], v[8:9], v[6:7]
	v_fma_f64 v[8:9], v[19:20], v[14:15], -v[31:32]
	v_mov_b32_e32 v19, 0
	v_add_f64 v[6:7], v[8:9], v[6:7]
	v_ldexp_f64 v[8:9], v[29:30], 2
	v_add_f64 v[6:7], v[21:22], v[6:7]
	v_cndmask_b32_e32 v9, 0, v9, vcc
	v_cndmask_b32_e32 v8, 0, v8, vcc
	v_add_f64 v[14:15], v[23:24], v[8:9]
	v_cmp_gt_f64_e32 vcc, 0, v[14:15]
	v_mov_b32_e32 v14, 0x40100000
	v_cndmask_b32_e32 v20, 0, v14, vcc
	v_add_f64 v[8:9], v[8:9], v[19:20]
	v_add_f64 v[14:15], v[23:24], v[8:9]
	v_cvt_i32_f64_e32 v17, v[14:15]
	v_cvt_f64_i32_e32 v[14:15], v17
	v_add_f64 v[8:9], v[8:9], -v[14:15]
	v_add_f64 v[21:22], v[23:24], v[8:9]
	v_add_f64 v[8:9], v[21:22], -v[8:9]
	v_cmp_le_f64_e32 vcc, 0.5, v[21:22]
	v_add_f64 v[8:9], v[23:24], -v[8:9]
	v_addc_co_u32_e64 v14, s[6:7], 0, v17, vcc
	s_mov_b32 s6, 0x33145c07
	s_mov_b32 s7, 0x3c91a626
	v_add_f64 v[6:7], v[6:7], v[8:9]
	v_mov_b32_e32 v8, 0x3ff00000
	v_cndmask_b32_e32 v20, 0, v8, vcc
	v_add_f64 v[8:9], v[21:22], -v[19:20]
	v_add_f64 v[19:20], v[8:9], v[6:7]
	v_add_f64 v[8:9], v[19:20], -v[8:9]
	v_add_f64 v[6:7], v[6:7], -v[8:9]
	v_mul_f64 v[8:9], v[19:20], s[16:17]
	v_fma_f64 v[21:22], v[19:20], s[16:17], -v[8:9]
	v_fma_f64 v[19:20], v[19:20], s[6:7], v[21:22]
	v_fma_f64 v[19:20], v[6:7], s[16:17], v[19:20]
	v_add_f64 v[6:7], v[8:9], v[19:20]
	v_add_f64 v[8:9], v[6:7], -v[8:9]
	v_add_f64 v[8:9], v[19:20], -v[8:9]
.LBB10_97:
	s_andn2_saveexec_b64 s[6:7], s[18:19]
	s_cbranch_execz .LBB10_99
; %bb.98:
	s_mov_b32 s16, 0x6dc9c883
	s_mov_b32 s17, 0x3fe45f30
	v_mul_f64 v[6:7], |v[2:3]|, s[16:17]
	s_mov_b32 s16, 0x54442d18
	s_mov_b32 s17, 0xbff921fb
	;; [unrolled: 1-line block ×4, first 2 shown]
	v_rndne_f64_e32 v[14:15], v[6:7]
	v_fma_f64 v[6:7], v[14:15], s[16:17], |v[2:3]|
	v_mul_f64 v[8:9], v[14:15], s[18:19]
	s_mov_b32 s16, 0x252049c0
	s_mov_b32 s17, 0xb97b839a
	v_fma_f64 v[23:24], v[14:15], s[18:19], v[6:7]
	v_add_f64 v[19:20], v[6:7], v[8:9]
	s_mov_b32 s19, 0x3c91a626
	v_add_f64 v[21:22], v[6:7], -v[19:20]
	v_add_f64 v[19:20], v[19:20], -v[23:24]
	v_add_f64 v[6:7], v[21:22], v[8:9]
	v_fma_f64 v[8:9], v[14:15], s[18:19], v[8:9]
	v_add_f64 v[6:7], v[19:20], v[6:7]
	v_add_f64 v[6:7], v[6:7], -v[8:9]
	v_fma_f64 v[8:9], v[14:15], s[16:17], v[6:7]
	v_cvt_i32_f64_e32 v14, v[14:15]
	v_add_f64 v[6:7], v[23:24], v[8:9]
	v_add_f64 v[19:20], v[6:7], -v[23:24]
	v_add_f64 v[8:9], v[8:9], -v[19:20]
.LBB10_99:
	s_or_b64 exec, exec, s[6:7]
	v_mul_f64 v[19:20], v[6:7], v[6:7]
	v_add_f64 v[21:22], v[8:9], v[8:9]
	s_mov_b32 s6, 0xc751c08c
	s_mov_b32 s7, 0x3ef5e089
	v_and_b32_e32 v14, 1, v14
	v_cmp_eq_u32_e32 vcc, 0, v14
	v_and_b32_e32 v15, 0x80000000, v3
	s_mov_b32 s18, 0x54442d18
	v_fma_f64 v[23:24], v[6:7], v[6:7], -v[19:20]
	s_mov_b32 s19, 0xc00921fb
	s_mov_b64 s[16:17], exec
	v_sub_f32_e32 v11, 1.0, v11
	v_fma_f64 v[21:22], v[6:7], v[21:22], v[23:24]
	v_add_f64 v[19:20], v[19:20], v[21:22]
	v_mov_b32_e32 v21, 0xa9a29f71
	v_mov_b32_e32 v22, 0xbf078809
	v_fma_f64 v[21:22], v[19:20], s[6:7], v[21:22]
	s_mov_b32 s6, 0x90a8aae0
	s_mov_b32 s7, 0x3f17746f
	v_fma_f64 v[21:22], v[19:20], v[21:22], s[6:7]
	s_mov_b32 s6, 0xa6fbf144
	s_mov_b32 s7, 0xbefbb44d
	;; [unrolled: 3-line block ×12, first 2 shown]
	v_fma_f64 v[21:22], v[19:20], v[21:22], s[6:7]
	s_movk_i32 s6, 0x1f8
	v_cmp_class_f64_e64 s[6:7], v[2:3], s6
	v_mov_b32_e32 v3, 0x7ff80000
	v_mul_f64 v[19:20], v[19:20], v[21:22]
	v_mul_f64 v[21:22], v[6:7], v[19:20]
	v_add_f64 v[23:24], v[6:7], v[21:22]
	v_fma_f64 v[19:20], v[6:7], v[19:20], -v[21:22]
	v_add_f64 v[6:7], v[23:24], -v[6:7]
	v_add_f64 v[8:9], v[8:9], v[19:20]
	v_add_f64 v[6:7], v[21:22], -v[6:7]
	v_add_f64 v[6:7], v[8:9], v[6:7]
	v_add_f64 v[8:9], v[23:24], v[6:7]
	v_rcp_f64_e32 v[19:20], v[8:9]
	v_fma_f64 v[21:22], -v[8:9], v[19:20], 1.0
	v_fma_f64 v[19:20], v[21:22], v[19:20], v[19:20]
	v_fma_f64 v[21:22], -v[8:9], v[19:20], 1.0
	v_fma_f64 v[19:20], v[21:22], v[19:20], v[19:20]
	v_add_f64 v[21:22], v[8:9], -v[23:24]
	v_mul_f64 v[23:24], v[8:9], v[19:20]
	v_add_f64 v[6:7], v[6:7], -v[21:22]
	v_fma_f64 v[21:22], v[19:20], v[8:9], -v[23:24]
	v_fma_f64 v[6:7], v[19:20], v[6:7], v[21:22]
	v_add_f64 v[21:22], v[23:24], v[6:7]
	v_add_f64 v[25:26], -v[21:22], 1.0
	v_add_f64 v[23:24], v[21:22], -v[23:24]
	v_add_f64 v[27:28], -v[25:26], 1.0
	v_add_f64 v[6:7], v[23:24], -v[6:7]
	v_add_f64 v[21:22], v[27:28], -v[21:22]
	v_add_f64 v[6:7], v[6:7], v[21:22]
	v_add_f64 v[6:7], v[25:26], v[6:7]
	v_mul_f64 v[6:7], v[19:20], v[6:7]
	v_add_f64 v[6:7], v[19:20], v[6:7]
	v_xor_b32_e32 v2, 0x80000000, v7
	v_cndmask_b32_e32 v6, v6, v8, vcc
	v_cndmask_b32_e32 v7, v2, v9, vcc
	v_cndmask_b32_e64 v2, 0, v6, s[6:7]
	v_xor_b32_e32 v6, v7, v15
	v_cndmask_b32_e64 v3, v3, v6, s[6:7]
	v_div_scale_f64 v[6:7], s[6:7], v[2:3], v[2:3], s[18:19]
	v_div_scale_f64 v[19:20], vcc, s[18:19], v[2:3], s[18:19]
	v_rcp_f64_e32 v[8:9], v[6:7]
	v_fma_f64 v[14:15], -v[6:7], v[8:9], 1.0
	v_fma_f64 v[8:9], v[8:9], v[14:15], v[8:9]
	v_fma_f64 v[14:15], -v[6:7], v[8:9], 1.0
	v_fma_f64 v[8:9], v[8:9], v[14:15], v[8:9]
	v_mul_f64 v[14:15], v[19:20], v[8:9]
	v_fma_f64 v[6:7], -v[6:7], v[14:15], v[19:20]
	v_div_fmas_f64 v[6:7], v[6:7], v[8:9], v[14:15]
	v_div_fixup_f64 v[2:3], v[6:7], v[2:3], s[18:19]
	v_cvt_f32_f64_e32 v2, v[2:3]
.LBB10_100:
	s_or_b64 exec, exec, s[14:15]
	s_orn2_b64 s[6:7], s[16:17], exec
.LBB10_101:
	s_or_b64 exec, exec, s[12:13]
	v_mov_b32_e32 v15, 0x7fc00000
	s_and_saveexec_b64 s[12:13], s[6:7]
	s_cbranch_execz .LBB10_113
; %bb.102:
	s_mov_b32 s16, 0x41200000
	v_cmp_gt_f32_e32 vcc, s16, v11
	s_and_saveexec_b64 s[6:7], vcc
	s_cbranch_execz .LBB10_106
; %bb.103:
	s_mov_b64 s[14:15], 0
.LBB10_104:                             ; =>This Inner Loop Header: Depth=1
	v_div_scale_f32 v3, s[18:19], v11, v11, 1.0
	v_div_scale_f32 v6, vcc, 1.0, v11, 1.0
	v_rcp_f32_e32 v7, v3
	v_fma_f32 v8, -v3, v7, 1.0
	v_fmac_f32_e32 v7, v8, v7
	v_mul_f32_e32 v8, v6, v7
	v_fma_f32 v9, -v3, v8, v6
	v_fmac_f32_e32 v8, v9, v7
	v_fma_f32 v3, -v3, v8, v6
	v_div_fmas_f32 v3, v3, v7, v8
	v_div_fixup_f32 v3, v3, v11, 1.0
	v_add_f32_e32 v11, 1.0, v11
	v_cmp_ngt_f32_e32 vcc, s16, v11
	s_or_b64 s[14:15], vcc, s[14:15]
	v_sub_f32_e32 v2, v2, v3
	s_andn2_b64 exec, exec, s[14:15]
	s_cbranch_execnz .LBB10_104
; %bb.105:
	s_or_b64 exec, exec, s[14:15]
.LBB10_106:
	s_or_b64 exec, exec, s[6:7]
	s_mov_b32 s6, 0x41200000
	v_cmp_neq_f32_e32 vcc, s6, v11
	s_and_saveexec_b64 s[6:7], vcc
	s_xor_b64 s[14:15], exec, s[6:7]
                                        ; implicit-def: $vgpr15
	s_cbranch_execz .LBB10_110
; %bb.107:
	v_cvt_f64_f32_e32 v[6:7], v11
	s_mov_b32 s6, 0x85d8a000
	s_mov_b32 s7, 0x43763457
	v_mov_b32_e32 v3, 0
	v_cmp_gt_f64_e32 vcc, s[6:7], v[6:7]
	s_and_saveexec_b64 s[6:7], vcc
	s_cbranch_execz .LBB10_109
; %bb.108:
	v_mul_f32_e32 v3, v11, v11
	v_div_scale_f32 v6, s[16:17], v3, v3, 1.0
	v_div_scale_f32 v7, vcc, 1.0, v3, 1.0
	v_mov_b32_e32 v15, 0x3b820821
	v_rcp_f32_e32 v8, v6
	v_fma_f32 v9, -v6, v8, 1.0
	v_fmac_f32_e32 v8, v9, v8
	v_mul_f32_e32 v9, v7, v8
	v_fma_f32 v14, -v6, v9, v7
	v_fmac_f32_e32 v9, v14, v8
	v_fma_f32 v6, -v6, v9, v7
	v_div_fmas_f32 v6, v6, v8, v9
	v_mov_b32_e32 v7, 0x3daaaaab
	v_mov_b32_e32 v8, 0xbcaccacd
	;; [unrolled: 1-line block ×4, first 2 shown]
	v_div_fixup_f32 v3, v6, v3, 1.0
	v_fma_f32 v6, 0, v3, v7
	v_fmac_f32_e32 v8, v3, v6
	v_fmac_f32_e32 v9, v3, v8
	;; [unrolled: 1-line block ×4, first 2 shown]
	v_mov_b32_e32 v6, 0xbc088889
	v_fmac_f32_e32 v6, v3, v15
	v_fmac_f32_e32 v7, v3, v6
	v_mul_f32_e32 v3, v3, v7
.LBB10_109:
	s_or_b64 exec, exec, s[6:7]
	v_div_scale_f32 v6, s[6:7], v11, v11, -0.5
	v_div_scale_f32 v7, vcc, -0.5, v11, -0.5
	s_mov_b32 s6, 0x800000
	v_cmp_gt_f32_e64 s[6:7], s6, v11
	v_cndmask_b32_e64 v9, 0, 32, s[6:7]
	s_mov_b32 s16, 0x3f317217
	v_rcp_f32_e32 v8, v6
	v_fma_f32 v14, -v6, v8, 1.0
	v_fmac_f32_e32 v8, v14, v8
	v_mul_f32_e32 v14, v7, v8
	v_fma_f32 v15, -v6, v14, v7
	v_fmac_f32_e32 v14, v15, v8
	v_fma_f32 v6, -v6, v14, v7
	v_div_fmas_f32 v6, v6, v8, v14
	v_ldexp_f32 v7, v11, v9
	v_log_f32_e32 v7, v7
	v_mul_f32_e32 v8, 0x3f317217, v7
	v_fma_f32 v8, v7, s16, -v8
	v_fmac_f32_e32 v8, 0x3377d1cf, v7
	s_mov_b32 s16, 0x7f800000
	v_fmac_f32_e32 v8, 0x3f317217, v7
	v_cmp_lt_f32_e64 vcc, |v7|, s16
	v_cndmask_b32_e32 v7, v7, v8, vcc
	v_mov_b32_e32 v8, 0x41b17218
	v_cndmask_b32_e64 v8, 0, v8, s[6:7]
	v_sub_f32_e32 v7, v7, v8
	v_div_fixup_f32 v6, v6, v11, -0.5
	v_add_f32_e32 v6, v7, v6
	v_sub_f32_e32 v3, v6, v3
	v_add_f32_e32 v15, v2, v3
                                        ; implicit-def: $vgpr2
.LBB10_110:
	s_andn2_saveexec_b64 s[6:7], s[14:15]
; %bb.111:
	v_add_f32_e32 v15, 0x40101cb7, v2
; %bb.112:
	s_or_b64 exec, exec, s[6:7]
.LBB10_113:
	s_or_b64 exec, exec, s[12:13]
                                        ; implicit-def: $vgpr11
.LBB10_114:
	s_andn2_saveexec_b64 s[6:7], s[10:11]
; %bb.115:
	v_xor_b32_e32 v2, 0x80000000, v11
	s_brev_b32 s10, -2
	v_mov_b32_e32 v3, 0x7f800000
	v_bfi_b32 v15, s10, v3, v2
; %bb.116:
	s_or_b64 exec, exec, s[6:7]
	s_or_b64 exec, exec, s[8:9]
	s_and_saveexec_b64 s[6:7], s[4:5]
	s_xor_b64 s[4:5], exec, s[6:7]
	s_cbranch_execz .LBB10_88
.LBB10_117:
	v_mov_b32_e32 v6, 0
	v_lshlrev_b64 v[2:3], 2, v[5:6]
	v_mov_b32_e32 v10, v13
	v_add_co_u32_e32 v2, vcc, v0, v2
	v_addc_co_u32_e32 v3, vcc, v1, v3, vcc
	flat_store_dword v[2:3], v12
	s_or_b64 exec, exec, s[4:5]
	v_cmp_lt_i32_e32 vcc, v10, v4
	s_and_saveexec_b64 s[4:5], vcc
	s_cbranch_execz .LBB10_89
.LBB10_118:
	v_add_u32_e32 v2, s20, v10
	v_mov_b32_e32 v3, 0
	v_lshlrev_b64 v[2:3], 2, v[2:3]
	v_add_u32_e32 v10, 0x100, v10
	v_add_co_u32_e32 v2, vcc, v0, v2
	v_addc_co_u32_e32 v3, vcc, v1, v3, vcc
	flat_store_dword v[2:3], v18
	s_or_b64 exec, exec, s[4:5]
	v_cmp_lt_i32_e32 vcc, v10, v4
	s_and_saveexec_b64 s[4:5], vcc
	s_cbranch_execz .LBB10_90
.LBB10_119:
	v_add_u32_e32 v2, s20, v10
	v_mov_b32_e32 v3, 0
	v_lshlrev_b64 v[2:3], 2, v[2:3]
	v_add_u32_e32 v10, 0x100, v10
	v_add_co_u32_e32 v2, vcc, v0, v2
	v_addc_co_u32_e32 v3, vcc, v1, v3, vcc
	flat_store_dword v[2:3], v16
	s_or_b64 exec, exec, s[4:5]
	v_cmp_lt_i32_e32 vcc, v10, v4
	s_and_saveexec_b64 s[4:5], vcc
	s_cbranch_execz .LBB10_91
.LBB10_120:
	v_add_u32_e32 v2, s20, v10
	v_mov_b32_e32 v3, 0
	v_lshlrev_b64 v[2:3], 2, v[2:3]
	v_add_co_u32_e32 v0, vcc, v0, v2
	v_addc_co_u32_e32 v1, vcc, v1, v3, vcc
	flat_store_dword v[0:1], v15
	s_or_b64 exec, exec, s[4:5]
	s_waitcnt vmcnt(0) lgkmcnt(0)
	s_setpc_b64 s[30:31]
.Lfunc_end10:
	.size	_ZN2at6native25elementwise_kernel_helperILb0EZZZNS0_19digamma_kernel_cudaERNS_18TensorIteratorBaseEENKUlvE_clEvENKUlvE0_clEvEUlfE_NS0_6memory8policies11unroll_baseILi256ESt5arrayIPcLm2EE23TrivialOffsetCalculatorILi1EjESE_NS7_15LoadWithoutCastENS7_16StoreWithoutCastELi4ELi1EEEEEvT0_T1_, .Lfunc_end10-_ZN2at6native25elementwise_kernel_helperILb0EZZZNS0_19digamma_kernel_cudaERNS_18TensorIteratorBaseEENKUlvE_clEvENKUlvE0_clEvEUlfE_NS0_6memory8policies11unroll_baseILi256ESt5arrayIPcLm2EE23TrivialOffsetCalculatorILi1EjESE_NS7_15LoadWithoutCastENS7_16StoreWithoutCastELi4ELi1EEEEEvT0_T1_
                                        ; -- End function
	.set .L_ZN2at6native25elementwise_kernel_helperILb0EZZZNS0_19digamma_kernel_cudaERNS_18TensorIteratorBaseEENKUlvE_clEvENKUlvE0_clEvEUlfE_NS0_6memory8policies11unroll_baseILi256ESt5arrayIPcLm2EE23TrivialOffsetCalculatorILi1EjESE_NS7_15LoadWithoutCastENS7_16StoreWithoutCastELi4ELi1EEEEEvT0_T1_.num_vgpr, 37
	.set .L_ZN2at6native25elementwise_kernel_helperILb0EZZZNS0_19digamma_kernel_cudaERNS_18TensorIteratorBaseEENKUlvE_clEvENKUlvE0_clEvEUlfE_NS0_6memory8policies11unroll_baseILi256ESt5arrayIPcLm2EE23TrivialOffsetCalculatorILi1EjESE_NS7_15LoadWithoutCastENS7_16StoreWithoutCastELi4ELi1EEEEEvT0_T1_.num_agpr, 0
	.set .L_ZN2at6native25elementwise_kernel_helperILb0EZZZNS0_19digamma_kernel_cudaERNS_18TensorIteratorBaseEENKUlvE_clEvENKUlvE0_clEvEUlfE_NS0_6memory8policies11unroll_baseILi256ESt5arrayIPcLm2EE23TrivialOffsetCalculatorILi1EjESE_NS7_15LoadWithoutCastENS7_16StoreWithoutCastELi4ELi1EEEEEvT0_T1_.numbered_sgpr, 32
	.set .L_ZN2at6native25elementwise_kernel_helperILb0EZZZNS0_19digamma_kernel_cudaERNS_18TensorIteratorBaseEENKUlvE_clEvENKUlvE0_clEvEUlfE_NS0_6memory8policies11unroll_baseILi256ESt5arrayIPcLm2EE23TrivialOffsetCalculatorILi1EjESE_NS7_15LoadWithoutCastENS7_16StoreWithoutCastELi4ELi1EEEEEvT0_T1_.num_named_barrier, 0
	.set .L_ZN2at6native25elementwise_kernel_helperILb0EZZZNS0_19digamma_kernel_cudaERNS_18TensorIteratorBaseEENKUlvE_clEvENKUlvE0_clEvEUlfE_NS0_6memory8policies11unroll_baseILi256ESt5arrayIPcLm2EE23TrivialOffsetCalculatorILi1EjESE_NS7_15LoadWithoutCastENS7_16StoreWithoutCastELi4ELi1EEEEEvT0_T1_.private_seg_size, 0
	.set .L_ZN2at6native25elementwise_kernel_helperILb0EZZZNS0_19digamma_kernel_cudaERNS_18TensorIteratorBaseEENKUlvE_clEvENKUlvE0_clEvEUlfE_NS0_6memory8policies11unroll_baseILi256ESt5arrayIPcLm2EE23TrivialOffsetCalculatorILi1EjESE_NS7_15LoadWithoutCastENS7_16StoreWithoutCastELi4ELi1EEEEEvT0_T1_.uses_vcc, 1
	.set .L_ZN2at6native25elementwise_kernel_helperILb0EZZZNS0_19digamma_kernel_cudaERNS_18TensorIteratorBaseEENKUlvE_clEvENKUlvE0_clEvEUlfE_NS0_6memory8policies11unroll_baseILi256ESt5arrayIPcLm2EE23TrivialOffsetCalculatorILi1EjESE_NS7_15LoadWithoutCastENS7_16StoreWithoutCastELi4ELi1EEEEEvT0_T1_.uses_flat_scratch, 0
	.set .L_ZN2at6native25elementwise_kernel_helperILb0EZZZNS0_19digamma_kernel_cudaERNS_18TensorIteratorBaseEENKUlvE_clEvENKUlvE0_clEvEUlfE_NS0_6memory8policies11unroll_baseILi256ESt5arrayIPcLm2EE23TrivialOffsetCalculatorILi1EjESE_NS7_15LoadWithoutCastENS7_16StoreWithoutCastELi4ELi1EEEEEvT0_T1_.has_dyn_sized_stack, 0
	.set .L_ZN2at6native25elementwise_kernel_helperILb0EZZZNS0_19digamma_kernel_cudaERNS_18TensorIteratorBaseEENKUlvE_clEvENKUlvE0_clEvEUlfE_NS0_6memory8policies11unroll_baseILi256ESt5arrayIPcLm2EE23TrivialOffsetCalculatorILi1EjESE_NS7_15LoadWithoutCastENS7_16StoreWithoutCastELi4ELi1EEEEEvT0_T1_.has_recursion, 0
	.set .L_ZN2at6native25elementwise_kernel_helperILb0EZZZNS0_19digamma_kernel_cudaERNS_18TensorIteratorBaseEENKUlvE_clEvENKUlvE0_clEvEUlfE_NS0_6memory8policies11unroll_baseILi256ESt5arrayIPcLm2EE23TrivialOffsetCalculatorILi1EjESE_NS7_15LoadWithoutCastENS7_16StoreWithoutCastELi4ELi1EEEEEvT0_T1_.has_indirect_call, 0
	.section	.AMDGPU.csdata,"",@progbits
; Function info:
; codeLenInByte = 10232
; TotalNumSgprs: 36
; NumVgprs: 37
; ScratchSize: 0
; MemoryBound: 0
	.text
	.p2align	2                               ; -- Begin function _ZN2at6native25elementwise_kernel_helperILb0EZZZNS0_19digamma_kernel_cudaERNS_18TensorIteratorBaseEENKUlvE_clEvENKUlvE0_clEvEUlfE_NS0_6memory8policies10vectorizedILi4ESt5arrayIPcLm2EELi4EEEEEvT0_T1_
	.type	_ZN2at6native25elementwise_kernel_helperILb0EZZZNS0_19digamma_kernel_cudaERNS_18TensorIteratorBaseEENKUlvE_clEvENKUlvE0_clEvEUlfE_NS0_6memory8policies10vectorizedILi4ESt5arrayIPcLm2EELi4EEEEEvT0_T1_,@function
_ZN2at6native25elementwise_kernel_helperILb0EZZZNS0_19digamma_kernel_cudaERNS_18TensorIteratorBaseEENKUlvE_clEvENKUlvE0_clEvEUlfE_NS0_6memory8policies10vectorizedILi4ESt5arrayIPcLm2EELi4EEEEEvT0_T1_: ; @_ZN2at6native25elementwise_kernel_helperILb0EZZZNS0_19digamma_kernel_cudaERNS_18TensorIteratorBaseEENKUlvE_clEvENKUlvE0_clEvEUlfE_NS0_6memory8policies10vectorizedILi4ESt5arrayIPcLm2EELi4EEEEEvT0_T1_
; %bb.0:
	s_waitcnt vmcnt(0) expcnt(0) lgkmcnt(0)
	s_lshl_b32 s4, s12, 10
	s_ashr_i32 s5, s4, 31
	s_lshl_b64 s[6:7], s[4:5], 2
	v_mov_b32_e32 v4, s7
	v_add_co_u32_e32 v2, vcc, s6, v2
	v_addc_co_u32_e32 v3, vcc, v3, v4, vcc
	v_and_b32_e32 v4, 0x3ff, v31
	v_lshlrev_b32_e32 v13, 4, v4
	v_add_co_u32_e32 v2, vcc, v2, v13
	v_addc_co_u32_e32 v3, vcc, 0, v3, vcc
	flat_load_dwordx4 v[2:5], v[2:3]
	v_mov_b32_e32 v7, 0
                                        ; implicit-def: $vgpr6
	s_waitcnt vmcnt(0) lgkmcnt(0)
	v_mov_b32_e32 v8, v2
	v_cmp_neq_f32_e32 vcc, 0, v2
	s_and_saveexec_b64 s[4:5], vcc
	s_xor_b64 s[8:9], exec, s[4:5]
	s_cbranch_execz .LBB11_22
; %bb.1:
	v_cmp_gt_f32_e32 vcc, 0, v2
	s_mov_b64 s[4:5], -1
	s_and_saveexec_b64 s[10:11], vcc
	s_cbranch_execz .LBB11_9
; %bb.2:
	v_trunc_f32_e32 v6, v2
	v_cmp_neq_f32_e32 vcc, v2, v6
	s_mov_b64 s[14:15], 0
	v_mov_b32_e32 v7, 0
                                        ; implicit-def: $vgpr8
	s_and_saveexec_b64 s[12:13], vcc
	s_cbranch_execz .LBB11_8
; %bb.3:
	v_cvt_f64_f32_e32 v[6:7], v2
	s_mov_b32 s4, 0
	s_mov_b32 s15, 0xc00921fb
	;; [unrolled: 1-line block ×3, first 2 shown]
	v_trunc_f64_e32 v[8:9], v[6:7]
	s_mov_b32 s5, 0x7ff00000
	v_cmp_neq_f64_e64 vcc, |v[6:7]|, s[4:5]
	v_bfrev_b32_e32 v10, 1
	s_mov_b32 s16, 0
	s_mov_b32 s17, 0x41d00000
                                        ; implicit-def: $vgpr12
	v_add_f64 v[8:9], v[6:7], -v[8:9]
	v_mul_f64 v[8:9], |v[8:9]|, s[14:15]
	v_cndmask_b32_e32 v7, v10, v9, vcc
	v_cndmask_b32_e32 v6, 0, v8, vcc
	v_cmp_nlt_f64_e64 s[16:17], |v[6:7]|, s[16:17]
                                        ; implicit-def: $vgpr8_vgpr9
                                        ; implicit-def: $vgpr10_vgpr11
	s_and_saveexec_b64 s[18:19], s[16:17]
	s_xor_b64 s[16:17], exec, s[18:19]
	s_cbranch_execz .LBB11_5
; %bb.4:
	v_trig_preop_f64 v[8:9], |v[6:7]|, 0
	s_mov_b32 s18, 0
	s_mov_b32 s19, 0x7b000000
	s_movk_i32 s15, 0xff80
	v_ldexp_f64 v[14:15], |v[6:7]|, s15
	v_cmp_ge_f64_e64 vcc, |v[6:7]|, s[18:19]
	v_trig_preop_f64 v[10:11], |v[6:7]|, 1
	v_and_b32_e32 v12, 0x7fffffff, v7
	v_trig_preop_f64 v[20:21], |v[6:7]|, 2
	s_mov_b32 s15, 0x3ff921fb
	v_cndmask_b32_e32 v15, v12, v15, vcc
	v_cndmask_b32_e32 v14, v6, v14, vcc
	v_mov_b32_e32 v12, 0x40100000
	v_mul_f64 v[16:17], v[8:9], v[14:15]
	v_mul_f64 v[18:19], v[10:11], v[14:15]
	;; [unrolled: 1-line block ×3, first 2 shown]
	v_fma_f64 v[8:9], v[8:9], v[14:15], -v[16:17]
	v_fma_f64 v[10:11], v[10:11], v[14:15], -v[18:19]
	;; [unrolled: 1-line block ×3, first 2 shown]
	v_add_f64 v[22:23], v[18:19], v[8:9]
	v_add_f64 v[24:25], v[22:23], -v[18:19]
	v_add_f64 v[20:21], v[16:17], v[22:23]
	v_add_f64 v[8:9], v[8:9], -v[24:25]
	v_add_f64 v[24:25], v[22:23], -v[24:25]
	;; [unrolled: 1-line block ×3, first 2 shown]
	v_ldexp_f64 v[20:21], v[20:21], -2
	v_add_f64 v[18:19], v[18:19], -v[24:25]
	v_add_f64 v[24:25], v[26:27], v[10:11]
	v_add_f64 v[16:17], v[22:23], -v[16:17]
	v_fract_f64_e32 v[22:23], v[20:21]
	v_cmp_neq_f64_e64 vcc, |v[20:21]|, s[4:5]
	v_add_f64 v[8:9], v[8:9], v[18:19]
	v_add_f64 v[18:19], v[24:25], -v[26:27]
	v_ldexp_f64 v[22:23], v[22:23], 2
	v_add_f64 v[10:11], v[10:11], -v[18:19]
	v_add_f64 v[18:19], v[24:25], -v[18:19]
	;; [unrolled: 1-line block ×3, first 2 shown]
	v_add_f64 v[26:27], v[24:25], v[8:9]
	v_add_f64 v[10:11], v[10:11], v[18:19]
	v_add_f64 v[20:21], v[26:27], -v[24:25]
	v_cndmask_b32_e32 v19, 0, v23, vcc
	v_cndmask_b32_e32 v18, 0, v22, vcc
	v_add_f64 v[22:23], v[16:17], v[26:27]
	v_add_f64 v[8:9], v[8:9], -v[20:21]
	v_add_f64 v[20:21], v[26:27], -v[20:21]
	;; [unrolled: 1-line block ×4, first 2 shown]
	v_add_f64 v[24:25], v[22:23], v[18:19]
	v_add_f64 v[16:17], v[26:27], -v[16:17]
	v_add_f64 v[8:9], v[8:9], v[20:21]
	v_cmp_gt_f64_e32 vcc, 0, v[24:25]
	v_mov_b32_e32 v24, 0
	v_add_f64 v[8:9], v[10:11], v[8:9]
	v_cndmask_b32_e32 v25, 0, v12, vcc
	v_add_f64 v[18:19], v[18:19], v[24:25]
	v_add_f64 v[8:9], v[14:15], v[8:9]
	;; [unrolled: 1-line block ×4, first 2 shown]
	v_mov_b32_e32 v16, 0x3ff00000
	v_cvt_i32_f64_e32 v12, v[20:21]
	v_cvt_f64_i32_e32 v[20:21], v12
	v_add_f64 v[18:19], v[18:19], -v[20:21]
	v_add_f64 v[10:11], v[22:23], v[18:19]
	v_add_f64 v[14:15], v[10:11], -v[18:19]
	v_cmp_le_f64_e32 vcc, 0.5, v[10:11]
	v_add_f64 v[14:15], v[22:23], -v[14:15]
	v_cndmask_b32_e32 v25, 0, v16, vcc
	v_add_f64 v[10:11], v[10:11], -v[24:25]
	v_addc_co_u32_e64 v12, s[4:5], 0, v12, vcc
	s_mov_b32 s4, 0x33145c07
	s_mov_b32 s5, 0x3c91a626
	v_add_f64 v[8:9], v[8:9], v[14:15]
	v_add_f64 v[14:15], v[10:11], v[8:9]
	v_mul_f64 v[16:17], v[14:15], s[14:15]
	v_add_f64 v[10:11], v[14:15], -v[10:11]
	v_fma_f64 v[18:19], v[14:15], s[14:15], -v[16:17]
	v_add_f64 v[8:9], v[8:9], -v[10:11]
	v_fma_f64 v[10:11], v[14:15], s[4:5], v[18:19]
	v_fma_f64 v[10:11], v[8:9], s[14:15], v[10:11]
	v_add_f64 v[8:9], v[16:17], v[10:11]
	v_add_f64 v[14:15], v[8:9], -v[16:17]
	v_add_f64 v[10:11], v[10:11], -v[14:15]
.LBB11_5:
	s_andn2_saveexec_b64 s[4:5], s[16:17]
	s_cbranch_execz .LBB11_7
; %bb.6:
	s_mov_b32 s14, 0x6dc9c883
	s_mov_b32 s15, 0x3fe45f30
	v_mul_f64 v[8:9], |v[6:7]|, s[14:15]
	s_mov_b32 s14, 0x54442d18
	s_mov_b32 s15, 0xbff921fb
	;; [unrolled: 1-line block ×4, first 2 shown]
	v_rndne_f64_e32 v[14:15], v[8:9]
	v_fma_f64 v[8:9], v[14:15], s[14:15], |v[6:7]|
	v_mul_f64 v[10:11], v[14:15], s[16:17]
	s_mov_b32 s14, 0x252049c0
	s_mov_b32 s15, 0xb97b839a
	v_cvt_i32_f64_e32 v12, v[14:15]
	v_fma_f64 v[20:21], v[14:15], s[16:17], v[8:9]
	v_add_f64 v[16:17], v[8:9], v[10:11]
	s_mov_b32 s17, 0x3c91a626
	v_add_f64 v[18:19], v[8:9], -v[16:17]
	v_add_f64 v[16:17], v[16:17], -v[20:21]
	v_add_f64 v[8:9], v[18:19], v[10:11]
	v_fma_f64 v[10:11], v[14:15], s[16:17], v[10:11]
	v_add_f64 v[8:9], v[16:17], v[8:9]
	v_add_f64 v[8:9], v[8:9], -v[10:11]
	v_fma_f64 v[10:11], v[14:15], s[14:15], v[8:9]
	v_add_f64 v[8:9], v[20:21], v[10:11]
	v_add_f64 v[16:17], v[8:9], -v[20:21]
	v_add_f64 v[10:11], v[10:11], -v[16:17]
.LBB11_7:
	s_or_b64 exec, exec, s[4:5]
	v_mul_f64 v[14:15], v[8:9], v[8:9]
	v_add_f64 v[16:17], v[10:11], v[10:11]
	s_mov_b32 s4, 0xc751c08c
	s_mov_b32 s5, 0x3ef5e089
	v_and_b32_e32 v12, 1, v12
	v_cmp_eq_u32_e32 vcc, 0, v12
	s_mov_b32 s16, 0x54442d18
	s_mov_b32 s17, 0xc00921fb
	v_fma_f64 v[18:19], v[8:9], v[8:9], -v[14:15]
	s_mov_b64 s[14:15], exec
	v_fma_f64 v[16:17], v[8:9], v[16:17], v[18:19]
	v_add_f64 v[14:15], v[14:15], v[16:17]
	v_mov_b32_e32 v16, 0xa9a29f71
	v_mov_b32_e32 v17, 0xbf078809
	v_fma_f64 v[16:17], v[14:15], s[4:5], v[16:17]
	s_mov_b32 s4, 0x90a8aae0
	s_mov_b32 s5, 0x3f17746f
	v_fma_f64 v[16:17], v[14:15], v[16:17], s[4:5]
	s_mov_b32 s4, 0xa6fbf144
	s_mov_b32 s5, 0xbefbb44d
	;; [unrolled: 3-line block ×12, first 2 shown]
	v_fma_f64 v[16:17], v[14:15], v[16:17], s[4:5]
	s_movk_i32 s4, 0x1f8
	v_cmp_class_f64_e64 s[4:5], v[6:7], s4
	v_mul_f64 v[14:15], v[14:15], v[16:17]
	v_mul_f64 v[16:17], v[8:9], v[14:15]
	v_add_f64 v[18:19], v[8:9], v[16:17]
	v_fma_f64 v[14:15], v[8:9], v[14:15], -v[16:17]
	v_add_f64 v[8:9], v[18:19], -v[8:9]
	v_add_f64 v[10:11], v[10:11], v[14:15]
	v_add_f64 v[8:9], v[16:17], -v[8:9]
	v_add_f64 v[8:9], v[10:11], v[8:9]
	v_add_f64 v[10:11], v[18:19], v[8:9]
	v_rcp_f64_e32 v[14:15], v[10:11]
	v_fma_f64 v[16:17], -v[10:11], v[14:15], 1.0
	v_fma_f64 v[14:15], v[16:17], v[14:15], v[14:15]
	v_fma_f64 v[16:17], -v[10:11], v[14:15], 1.0
	v_fma_f64 v[14:15], v[16:17], v[14:15], v[14:15]
	v_add_f64 v[16:17], v[10:11], -v[18:19]
	v_mul_f64 v[18:19], v[10:11], v[14:15]
	v_add_f64 v[8:9], v[8:9], -v[16:17]
	v_fma_f64 v[16:17], v[14:15], v[10:11], -v[18:19]
	v_fma_f64 v[8:9], v[14:15], v[8:9], v[16:17]
	v_add_f64 v[16:17], v[18:19], v[8:9]
	v_add_f64 v[20:21], -v[16:17], 1.0
	v_add_f64 v[18:19], v[16:17], -v[18:19]
	v_add_f64 v[22:23], -v[20:21], 1.0
	v_add_f64 v[8:9], v[18:19], -v[8:9]
	v_add_f64 v[16:17], v[22:23], -v[16:17]
	v_add_f64 v[8:9], v[8:9], v[16:17]
	v_add_f64 v[8:9], v[20:21], v[8:9]
	v_mul_f64 v[8:9], v[14:15], v[8:9]
	v_add_f64 v[8:9], v[14:15], v[8:9]
	v_and_b32_e32 v14, 0x80000000, v7
	v_mov_b32_e32 v7, 0x7ff80000
	v_xor_b32_e32 v6, 0x80000000, v9
	v_cndmask_b32_e32 v8, v8, v10, vcc
	v_cndmask_b32_e32 v9, v6, v11, vcc
	v_cndmask_b32_e64 v6, 0, v8, s[4:5]
	v_xor_b32_e32 v8, v9, v14
	v_cndmask_b32_e64 v7, v7, v8, s[4:5]
	v_div_scale_f64 v[8:9], s[4:5], v[6:7], v[6:7], s[16:17]
	v_div_scale_f64 v[16:17], vcc, s[16:17], v[6:7], s[16:17]
	v_rcp_f64_e32 v[10:11], v[8:9]
	v_fma_f64 v[14:15], -v[8:9], v[10:11], 1.0
	v_fma_f64 v[10:11], v[10:11], v[14:15], v[10:11]
	v_fma_f64 v[14:15], -v[8:9], v[10:11], 1.0
	v_fma_f64 v[10:11], v[10:11], v[14:15], v[10:11]
	v_mul_f64 v[14:15], v[16:17], v[10:11]
	v_fma_f64 v[8:9], -v[8:9], v[14:15], v[16:17]
	v_div_fmas_f64 v[8:9], v[8:9], v[10:11], v[14:15]
	v_div_fixup_f64 v[6:7], v[8:9], v[6:7], s[16:17]
	v_sub_f32_e32 v8, 1.0, v2
	v_cvt_f32_f64_e32 v7, v[6:7]
.LBB11_8:
	s_or_b64 exec, exec, s[12:13]
	s_orn2_b64 s[4:5], s[14:15], exec
.LBB11_9:
	s_or_b64 exec, exec, s[10:11]
	v_mov_b32_e32 v6, 0x7fc00000
	s_and_saveexec_b64 s[10:11], s[4:5]
	s_cbranch_execz .LBB11_21
; %bb.10:
	s_mov_b32 s14, 0x41200000
	v_cmp_gt_f32_e32 vcc, s14, v8
	s_and_saveexec_b64 s[4:5], vcc
	s_cbranch_execz .LBB11_14
; %bb.11:
	s_mov_b64 s[12:13], 0
.LBB11_12:                              ; =>This Inner Loop Header: Depth=1
	v_div_scale_f32 v6, s[16:17], v8, v8, 1.0
	v_div_scale_f32 v9, vcc, 1.0, v8, 1.0
	v_rcp_f32_e32 v10, v6
	v_fma_f32 v11, -v6, v10, 1.0
	v_fmac_f32_e32 v10, v11, v10
	v_mul_f32_e32 v11, v9, v10
	v_fma_f32 v12, -v6, v11, v9
	v_fmac_f32_e32 v11, v12, v10
	v_fma_f32 v6, -v6, v11, v9
	v_div_fmas_f32 v6, v6, v10, v11
	v_div_fixup_f32 v6, v6, v8, 1.0
	v_add_f32_e32 v8, 1.0, v8
	v_cmp_ngt_f32_e32 vcc, s14, v8
	s_or_b64 s[12:13], vcc, s[12:13]
	v_sub_f32_e32 v7, v7, v6
	s_andn2_b64 exec, exec, s[12:13]
	s_cbranch_execnz .LBB11_12
; %bb.13:
	s_or_b64 exec, exec, s[12:13]
.LBB11_14:
	s_or_b64 exec, exec, s[4:5]
	s_mov_b32 s4, 0x41200000
	v_cmp_neq_f32_e32 vcc, s4, v8
                                        ; implicit-def: $vgpr6
	s_and_saveexec_b64 s[4:5], vcc
	s_xor_b64 s[12:13], exec, s[4:5]
	s_cbranch_execz .LBB11_18
; %bb.15:
	v_cvt_f64_f32_e32 v[9:10], v8
	s_mov_b32 s4, 0x85d8a000
	s_mov_b32 s5, 0x43763457
	v_mov_b32_e32 v6, 0
	v_cmp_gt_f64_e32 vcc, s[4:5], v[9:10]
	s_and_saveexec_b64 s[4:5], vcc
	s_cbranch_execz .LBB11_17
; %bb.16:
	v_mul_f32_e32 v6, v8, v8
	v_div_scale_f32 v9, s[14:15], v6, v6, 1.0
	v_div_scale_f32 v10, vcc, 1.0, v6, 1.0
	v_mov_b32_e32 v15, 0x3b820821
	v_rcp_f32_e32 v11, v9
	v_fma_f32 v12, -v9, v11, 1.0
	v_fmac_f32_e32 v11, v12, v11
	v_mul_f32_e32 v12, v10, v11
	v_fma_f32 v14, -v9, v12, v10
	v_fmac_f32_e32 v12, v14, v11
	v_fma_f32 v9, -v9, v12, v10
	v_div_fmas_f32 v9, v9, v11, v12
	v_mov_b32_e32 v10, 0x3daaaaab
	v_mov_b32_e32 v11, 0xbcaccacd
	;; [unrolled: 1-line block ×4, first 2 shown]
	v_div_fixup_f32 v6, v9, v6, 1.0
	v_fma_f32 v9, 0, v6, v10
	v_fmac_f32_e32 v11, v6, v9
	v_fmac_f32_e32 v12, v6, v11
	;; [unrolled: 1-line block ×4, first 2 shown]
	v_mov_b32_e32 v9, 0xbc088889
	v_fmac_f32_e32 v9, v6, v15
	v_fmac_f32_e32 v10, v6, v9
	v_mul_f32_e32 v6, v6, v10
.LBB11_17:
	s_or_b64 exec, exec, s[4:5]
	v_div_scale_f32 v9, s[4:5], v8, v8, -0.5
	v_div_scale_f32 v10, vcc, -0.5, v8, -0.5
	s_mov_b32 s4, 0x800000
	v_cmp_gt_f32_e64 s[4:5], s4, v8
	v_cndmask_b32_e64 v12, 0, 32, s[4:5]
	s_mov_b32 s14, 0x3f317217
	v_rcp_f32_e32 v11, v9
	v_fma_f32 v14, -v9, v11, 1.0
	v_fmac_f32_e32 v11, v14, v11
	v_mul_f32_e32 v14, v10, v11
	v_fma_f32 v15, -v9, v14, v10
	v_fmac_f32_e32 v14, v15, v11
	v_fma_f32 v9, -v9, v14, v10
	v_div_fmas_f32 v9, v9, v11, v14
	v_ldexp_f32 v10, v8, v12
	v_log_f32_e32 v10, v10
	v_mul_f32_e32 v11, 0x3f317217, v10
	v_fma_f32 v11, v10, s14, -v11
	v_fmac_f32_e32 v11, 0x3377d1cf, v10
	s_mov_b32 s14, 0x7f800000
	v_fmac_f32_e32 v11, 0x3f317217, v10
	v_cmp_lt_f32_e64 vcc, |v10|, s14
	v_cndmask_b32_e32 v10, v10, v11, vcc
	v_mov_b32_e32 v11, 0x41b17218
	v_cndmask_b32_e64 v11, 0, v11, s[4:5]
	v_sub_f32_e32 v10, v10, v11
	v_div_fixup_f32 v8, v9, v8, -0.5
	v_add_f32_e32 v8, v10, v8
	v_sub_f32_e32 v6, v8, v6
	v_add_f32_e32 v6, v7, v6
                                        ; implicit-def: $vgpr7
.LBB11_18:
	s_andn2_saveexec_b64 s[4:5], s[12:13]
; %bb.19:
	v_add_f32_e32 v6, 0x40101cb7, v7
; %bb.20:
	s_or_b64 exec, exec, s[4:5]
.LBB11_21:
	s_or_b64 exec, exec, s[10:11]
.LBB11_22:
	s_andn2_saveexec_b64 s[4:5], s[8:9]
; %bb.23:
	v_xor_b32_e32 v2, 0x80000000, v2
	s_brev_b32 s8, -2
	v_mov_b32_e32 v6, 0x7f800000
	v_bfi_b32 v6, s8, v6, v2
; %bb.24:
	s_or_b64 exec, exec, s[4:5]
	v_cmp_neq_f32_e32 vcc, 0, v3
	s_and_saveexec_b64 s[4:5], vcc
	s_xor_b64 s[8:9], exec, s[4:5]
	s_cbranch_execz .LBB11_46
; %bb.25:
	v_mov_b32_e32 v2, 0
	v_cmp_gt_f32_e32 vcc, 0, v3
	s_mov_b64 s[4:5], -1
	v_mov_b32_e32 v8, v3
	s_and_saveexec_b64 s[10:11], vcc
	s_cbranch_execz .LBB11_33
; %bb.26:
	v_trunc_f32_e32 v2, v3
	v_cmp_neq_f32_e32 vcc, v3, v2
	s_mov_b64 s[14:15], 0
	v_mov_b32_e32 v2, 0
                                        ; implicit-def: $vgpr8
	s_and_saveexec_b64 s[12:13], vcc
	s_cbranch_execz .LBB11_32
; %bb.27:
	v_cvt_f64_f32_e32 v[7:8], v3
	s_mov_b32 s16, 0
	s_mov_b32 s5, 0xc00921fb
	;; [unrolled: 1-line block ×3, first 2 shown]
	v_trunc_f64_e32 v[9:10], v[7:8]
	s_mov_b32 s17, 0x7ff00000
	v_cmp_neq_f64_e64 vcc, |v[7:8]|, s[16:17]
	v_bfrev_b32_e32 v2, 1
	s_mov_b32 s14, 0
	s_mov_b32 s15, 0x41d00000
                                        ; implicit-def: $vgpr11_vgpr12
	v_add_f64 v[9:10], v[7:8], -v[9:10]
	v_mul_f64 v[9:10], |v[9:10]|, s[4:5]
	v_cndmask_b32_e32 v8, v2, v10, vcc
	v_cndmask_b32_e32 v7, 0, v9, vcc
	v_cmp_nlt_f64_e64 s[14:15], |v[7:8]|, s[14:15]
                                        ; implicit-def: $vgpr2
                                        ; implicit-def: $vgpr9_vgpr10
	s_and_saveexec_b64 s[18:19], s[14:15]
	s_xor_b64 s[14:15], exec, s[18:19]
	s_cbranch_execz .LBB11_29
; %bb.28:
	v_trig_preop_f64 v[9:10], |v[7:8]|, 0
	s_mov_b32 s18, 0
	s_mov_b32 s19, 0x7b000000
	s_movk_i32 s5, 0xff80
	v_cmp_ge_f64_e64 vcc, |v[7:8]|, s[18:19]
	v_ldexp_f64 v[11:12], |v[7:8]|, s5
	v_trig_preop_f64 v[14:15], |v[7:8]|, 1
	v_and_b32_e32 v2, 0x7fffffff, v8
	v_trig_preop_f64 v[20:21], |v[7:8]|, 2
	s_mov_b32 s5, 0x3ff921fb
	v_cndmask_b32_e32 v12, v2, v12, vcc
	v_cndmask_b32_e32 v11, v7, v11, vcc
	v_mov_b32_e32 v2, 0x40100000
	v_mul_f64 v[16:17], v[9:10], v[11:12]
	v_mul_f64 v[18:19], v[14:15], v[11:12]
	;; [unrolled: 1-line block ×3, first 2 shown]
	v_fma_f64 v[9:10], v[9:10], v[11:12], -v[16:17]
	v_fma_f64 v[14:15], v[14:15], v[11:12], -v[18:19]
	;; [unrolled: 1-line block ×3, first 2 shown]
	v_add_f64 v[22:23], v[18:19], v[9:10]
	v_add_f64 v[24:25], v[22:23], -v[18:19]
	v_add_f64 v[20:21], v[16:17], v[22:23]
	v_add_f64 v[9:10], v[9:10], -v[24:25]
	v_add_f64 v[24:25], v[22:23], -v[24:25]
	;; [unrolled: 1-line block ×3, first 2 shown]
	v_ldexp_f64 v[20:21], v[20:21], -2
	v_add_f64 v[18:19], v[18:19], -v[24:25]
	v_add_f64 v[24:25], v[26:27], v[14:15]
	v_add_f64 v[16:17], v[22:23], -v[16:17]
	v_fract_f64_e32 v[22:23], v[20:21]
	v_cmp_neq_f64_e64 vcc, |v[20:21]|, s[16:17]
	s_mov_b32 s16, 0x33145c07
	s_mov_b32 s17, 0x3c91a626
	v_add_f64 v[9:10], v[9:10], v[18:19]
	v_add_f64 v[18:19], v[24:25], -v[26:27]
	v_ldexp_f64 v[20:21], v[22:23], 2
	v_add_f64 v[14:15], v[14:15], -v[18:19]
	v_add_f64 v[18:19], v[24:25], -v[18:19]
	;; [unrolled: 1-line block ×3, first 2 shown]
	v_add_f64 v[26:27], v[24:25], v[9:10]
	v_add_f64 v[14:15], v[14:15], v[18:19]
	;; [unrolled: 1-line block ×3, first 2 shown]
	v_cndmask_b32_e32 v19, 0, v21, vcc
	v_cndmask_b32_e32 v18, 0, v20, vcc
	v_add_f64 v[20:21], v[22:23], v[18:19]
	v_add_f64 v[16:17], v[22:23], -v[16:17]
	v_cmp_gt_f64_e32 vcc, 0, v[20:21]
	v_add_f64 v[20:21], v[26:27], -v[24:25]
	v_add_f64 v[16:17], v[26:27], -v[16:17]
	;; [unrolled: 1-line block ×5, first 2 shown]
	v_mov_b32_e32 v24, 0
	v_cndmask_b32_e32 v25, 0, v2, vcc
	v_add_f64 v[18:19], v[18:19], v[24:25]
	v_add_f64 v[9:10], v[9:10], v[20:21]
	;; [unrolled: 1-line block ×4, first 2 shown]
	v_cvt_i32_f64_e32 v2, v[28:29]
	v_cvt_f64_i32_e32 v[20:21], v2
	v_add_f64 v[9:10], v[11:12], v[9:10]
	v_add_f64 v[18:19], v[18:19], -v[20:21]
	v_add_f64 v[9:10], v[16:17], v[9:10]
	v_mov_b32_e32 v16, 0x3ff00000
	v_add_f64 v[14:15], v[22:23], v[18:19]
	v_add_f64 v[11:12], v[14:15], -v[18:19]
	v_cmp_le_f64_e32 vcc, 0.5, v[14:15]
	v_add_f64 v[11:12], v[22:23], -v[11:12]
	v_cndmask_b32_e32 v25, 0, v16, vcc
	v_addc_co_u32_e32 v2, vcc, 0, v2, vcc
	v_add_f64 v[9:10], v[9:10], v[11:12]
	v_add_f64 v[11:12], v[14:15], -v[24:25]
	v_add_f64 v[14:15], v[11:12], v[9:10]
	v_mul_f64 v[16:17], v[14:15], s[4:5]
	v_add_f64 v[11:12], v[14:15], -v[11:12]
	v_fma_f64 v[18:19], v[14:15], s[4:5], -v[16:17]
	v_add_f64 v[9:10], v[9:10], -v[11:12]
	v_fma_f64 v[11:12], v[14:15], s[16:17], v[18:19]
	v_fma_f64 v[11:12], v[9:10], s[4:5], v[11:12]
	v_add_f64 v[9:10], v[16:17], v[11:12]
	v_add_f64 v[14:15], v[9:10], -v[16:17]
	v_add_f64 v[11:12], v[11:12], -v[14:15]
.LBB11_29:
	s_andn2_saveexec_b64 s[4:5], s[14:15]
	s_cbranch_execz .LBB11_31
; %bb.30:
	s_mov_b32 s14, 0x6dc9c883
	s_mov_b32 s15, 0x3fe45f30
	v_mul_f64 v[9:10], |v[7:8]|, s[14:15]
	s_mov_b32 s14, 0x54442d18
	s_mov_b32 s15, 0xbff921fb
	;; [unrolled: 1-line block ×4, first 2 shown]
	v_rndne_f64_e32 v[14:15], v[9:10]
	v_fma_f64 v[9:10], v[14:15], s[14:15], |v[7:8]|
	v_mul_f64 v[11:12], v[14:15], s[16:17]
	s_mov_b32 s14, 0x252049c0
	s_mov_b32 s15, 0xb97b839a
	v_cvt_i32_f64_e32 v2, v[14:15]
	v_fma_f64 v[20:21], v[14:15], s[16:17], v[9:10]
	v_add_f64 v[16:17], v[9:10], v[11:12]
	s_mov_b32 s17, 0x3c91a626
	v_add_f64 v[18:19], v[9:10], -v[16:17]
	v_add_f64 v[16:17], v[16:17], -v[20:21]
	v_add_f64 v[9:10], v[18:19], v[11:12]
	v_fma_f64 v[11:12], v[14:15], s[16:17], v[11:12]
	v_add_f64 v[9:10], v[16:17], v[9:10]
	v_add_f64 v[9:10], v[9:10], -v[11:12]
	v_fma_f64 v[11:12], v[14:15], s[14:15], v[9:10]
	v_add_f64 v[9:10], v[20:21], v[11:12]
	v_add_f64 v[16:17], v[9:10], -v[20:21]
	v_add_f64 v[11:12], v[11:12], -v[16:17]
.LBB11_31:
	s_or_b64 exec, exec, s[4:5]
	v_mul_f64 v[14:15], v[9:10], v[9:10]
	v_add_f64 v[16:17], v[11:12], v[11:12]
	s_mov_b32 s4, 0xc751c08c
	s_mov_b32 s5, 0x3ef5e089
	v_and_b32_e32 v2, 1, v2
	v_cmp_eq_u32_e32 vcc, 0, v2
	s_mov_b32 s16, 0x54442d18
	s_mov_b32 s17, 0xc00921fb
	v_fma_f64 v[18:19], v[9:10], v[9:10], -v[14:15]
	s_mov_b64 s[14:15], exec
	v_fma_f64 v[16:17], v[9:10], v[16:17], v[18:19]
	v_add_f64 v[14:15], v[14:15], v[16:17]
	v_mov_b32_e32 v16, 0xa9a29f71
	v_mov_b32_e32 v17, 0xbf078809
	v_fma_f64 v[16:17], v[14:15], s[4:5], v[16:17]
	s_mov_b32 s4, 0x90a8aae0
	s_mov_b32 s5, 0x3f17746f
	v_fma_f64 v[16:17], v[14:15], v[16:17], s[4:5]
	s_mov_b32 s4, 0xa6fbf144
	s_mov_b32 s5, 0xbefbb44d
	v_fma_f64 v[16:17], v[14:15], v[16:17], s[4:5]
	s_mov_b32 s4, 0xa7943acf
	s_mov_b32 s5, 0x3f21e634
	v_fma_f64 v[16:17], v[14:15], v[16:17], s[4:5]
	s_mov_b32 s4, 0xdeb68feb
	s_mov_b32 s5, 0x3f2d250f
	v_fma_f64 v[16:17], v[14:15], v[16:17], s[4:5]
	s_mov_b32 s4, 0xb58c4d95
	s_mov_b32 s5, 0x3f437fd9
	v_fma_f64 v[16:17], v[14:15], v[16:17], s[4:5]
	s_mov_b32 s4, 0x15120e2c
	s_mov_b32 s5, 0x3f57d5af
	v_fma_f64 v[16:17], v[14:15], v[16:17], s[4:5]
	s_mov_b32 s4, 0xe09491df
	s_mov_b32 s5, 0x3f6d6d93
	v_fma_f64 v[16:17], v[14:15], v[16:17], s[4:5]
	s_mov_b32 s4, 0x2033784d
	s_mov_b32 s5, 0x3f8226e1
	v_fma_f64 v[16:17], v[14:15], v[16:17], s[4:5]
	s_mov_b32 s4, 0x9ac36ae2
	s_mov_b32 s5, 0x3f9664f4
	v_fma_f64 v[16:17], v[14:15], v[16:17], s[4:5]
	s_mov_b32 s4, 0x1b451c21
	s_mov_b32 s5, 0x3faba1ba
	v_fma_f64 v[16:17], v[14:15], v[16:17], s[4:5]
	s_mov_b32 s4, 0x111185b7
	s_mov_b32 s5, 0x3fc11111
	v_fma_f64 v[16:17], v[14:15], v[16:17], s[4:5]
	s_mov_b32 s4, 0x555554ee
	s_mov_b32 s5, 0x3fd55555
	v_fma_f64 v[16:17], v[14:15], v[16:17], s[4:5]
	s_movk_i32 s4, 0x1f8
	v_cmp_class_f64_e64 s[4:5], v[7:8], s4
	v_mul_f64 v[14:15], v[14:15], v[16:17]
	v_mul_f64 v[16:17], v[9:10], v[14:15]
	v_add_f64 v[18:19], v[9:10], v[16:17]
	v_fma_f64 v[14:15], v[9:10], v[14:15], -v[16:17]
	v_add_f64 v[9:10], v[18:19], -v[9:10]
	v_add_f64 v[11:12], v[11:12], v[14:15]
	v_add_f64 v[9:10], v[16:17], -v[9:10]
	v_add_f64 v[9:10], v[11:12], v[9:10]
	v_add_f64 v[11:12], v[18:19], v[9:10]
	v_rcp_f64_e32 v[14:15], v[11:12]
	v_fma_f64 v[16:17], -v[11:12], v[14:15], 1.0
	v_fma_f64 v[14:15], v[16:17], v[14:15], v[14:15]
	v_fma_f64 v[16:17], -v[11:12], v[14:15], 1.0
	v_fma_f64 v[14:15], v[16:17], v[14:15], v[14:15]
	v_add_f64 v[16:17], v[11:12], -v[18:19]
	v_mul_f64 v[18:19], v[11:12], v[14:15]
	v_add_f64 v[9:10], v[9:10], -v[16:17]
	v_fma_f64 v[16:17], v[14:15], v[11:12], -v[18:19]
	v_fma_f64 v[9:10], v[14:15], v[9:10], v[16:17]
	v_add_f64 v[16:17], v[18:19], v[9:10]
	v_add_f64 v[20:21], -v[16:17], 1.0
	v_add_f64 v[18:19], v[16:17], -v[18:19]
	v_add_f64 v[22:23], -v[20:21], 1.0
	v_add_f64 v[9:10], v[18:19], -v[9:10]
	v_add_f64 v[16:17], v[22:23], -v[16:17]
	v_add_f64 v[9:10], v[9:10], v[16:17]
	v_add_f64 v[9:10], v[20:21], v[9:10]
	v_mul_f64 v[9:10], v[14:15], v[9:10]
	v_add_f64 v[9:10], v[14:15], v[9:10]
	v_and_b32_e32 v14, 0x80000000, v8
	v_mov_b32_e32 v8, 0x7ff80000
	v_xor_b32_e32 v7, 0x80000000, v10
	v_cndmask_b32_e32 v2, v9, v11, vcc
	v_cndmask_b32_e32 v9, v7, v12, vcc
	v_cndmask_b32_e64 v7, 0, v2, s[4:5]
	v_xor_b32_e32 v2, v9, v14
	v_cndmask_b32_e64 v8, v8, v2, s[4:5]
	v_div_scale_f64 v[9:10], s[4:5], v[7:8], v[7:8], s[16:17]
	v_div_scale_f64 v[16:17], vcc, s[16:17], v[7:8], s[16:17]
	v_rcp_f64_e32 v[11:12], v[9:10]
	v_fma_f64 v[14:15], -v[9:10], v[11:12], 1.0
	v_fma_f64 v[11:12], v[11:12], v[14:15], v[11:12]
	v_fma_f64 v[14:15], -v[9:10], v[11:12], 1.0
	v_fma_f64 v[11:12], v[11:12], v[14:15], v[11:12]
	v_mul_f64 v[14:15], v[16:17], v[11:12]
	v_fma_f64 v[9:10], -v[9:10], v[14:15], v[16:17]
	v_div_fmas_f64 v[9:10], v[9:10], v[11:12], v[14:15]
	v_div_fixup_f64 v[7:8], v[9:10], v[7:8], s[16:17]
	v_cvt_f32_f64_e32 v2, v[7:8]
	v_sub_f32_e32 v8, 1.0, v3
.LBB11_32:
	s_or_b64 exec, exec, s[12:13]
	s_orn2_b64 s[4:5], s[14:15], exec
.LBB11_33:
	s_or_b64 exec, exec, s[10:11]
	v_mov_b32_e32 v7, 0x7fc00000
	s_and_saveexec_b64 s[10:11], s[4:5]
	s_cbranch_execz .LBB11_45
; %bb.34:
	s_mov_b32 s14, 0x41200000
	v_cmp_gt_f32_e32 vcc, s14, v8
	s_and_saveexec_b64 s[4:5], vcc
	s_cbranch_execz .LBB11_38
; %bb.35:
	s_mov_b64 s[12:13], 0
.LBB11_36:                              ; =>This Inner Loop Header: Depth=1
	v_div_scale_f32 v7, s[16:17], v8, v8, 1.0
	v_div_scale_f32 v9, vcc, 1.0, v8, 1.0
	v_rcp_f32_e32 v10, v7
	v_fma_f32 v11, -v7, v10, 1.0
	v_fmac_f32_e32 v10, v11, v10
	v_mul_f32_e32 v11, v9, v10
	v_fma_f32 v12, -v7, v11, v9
	v_fmac_f32_e32 v11, v12, v10
	v_fma_f32 v7, -v7, v11, v9
	v_div_fmas_f32 v7, v7, v10, v11
	v_div_fixup_f32 v7, v7, v8, 1.0
	v_add_f32_e32 v8, 1.0, v8
	v_cmp_ngt_f32_e32 vcc, s14, v8
	s_or_b64 s[12:13], vcc, s[12:13]
	v_sub_f32_e32 v2, v2, v7
	s_andn2_b64 exec, exec, s[12:13]
	s_cbranch_execnz .LBB11_36
; %bb.37:
	s_or_b64 exec, exec, s[12:13]
.LBB11_38:
	s_or_b64 exec, exec, s[4:5]
	s_mov_b32 s4, 0x41200000
	v_cmp_neq_f32_e32 vcc, s4, v8
	s_and_saveexec_b64 s[4:5], vcc
	s_xor_b64 s[12:13], exec, s[4:5]
	s_cbranch_execz .LBB11_42
; %bb.39:
	v_cvt_f64_f32_e32 v[9:10], v8
	s_mov_b32 s4, 0x85d8a000
	s_mov_b32 s5, 0x43763457
	v_mov_b32_e32 v7, 0
	v_cmp_gt_f64_e32 vcc, s[4:5], v[9:10]
	s_and_saveexec_b64 s[4:5], vcc
	s_cbranch_execz .LBB11_41
; %bb.40:
	v_mul_f32_e32 v7, v8, v8
	v_div_scale_f32 v9, s[14:15], v7, v7, 1.0
	v_div_scale_f32 v10, vcc, 1.0, v7, 1.0
	v_mov_b32_e32 v15, 0x3b820821
	v_rcp_f32_e32 v11, v9
	v_fma_f32 v12, -v9, v11, 1.0
	v_fmac_f32_e32 v11, v12, v11
	v_mul_f32_e32 v12, v10, v11
	v_fma_f32 v14, -v9, v12, v10
	v_fmac_f32_e32 v12, v14, v11
	v_fma_f32 v9, -v9, v12, v10
	v_div_fmas_f32 v9, v9, v11, v12
	v_mov_b32_e32 v10, 0x3daaaaab
	v_mov_b32_e32 v11, 0xbcaccacd
	;; [unrolled: 1-line block ×4, first 2 shown]
	v_div_fixup_f32 v7, v9, v7, 1.0
	v_fma_f32 v9, 0, v7, v10
	v_fmac_f32_e32 v11, v7, v9
	v_fmac_f32_e32 v12, v7, v11
	;; [unrolled: 1-line block ×4, first 2 shown]
	v_mov_b32_e32 v9, 0xbc088889
	v_fmac_f32_e32 v9, v7, v15
	v_fmac_f32_e32 v10, v7, v9
	v_mul_f32_e32 v7, v7, v10
.LBB11_41:
	s_or_b64 exec, exec, s[4:5]
	v_div_scale_f32 v9, s[4:5], v8, v8, -0.5
	v_div_scale_f32 v10, vcc, -0.5, v8, -0.5
	s_mov_b32 s4, 0x800000
	v_cmp_gt_f32_e64 s[4:5], s4, v8
	v_cndmask_b32_e64 v12, 0, 32, s[4:5]
	s_mov_b32 s14, 0x3f317217
	v_rcp_f32_e32 v11, v9
	v_fma_f32 v14, -v9, v11, 1.0
	v_fmac_f32_e32 v11, v14, v11
	v_mul_f32_e32 v14, v10, v11
	v_fma_f32 v15, -v9, v14, v10
	v_fmac_f32_e32 v14, v15, v11
	v_fma_f32 v9, -v9, v14, v10
	v_div_fmas_f32 v9, v9, v11, v14
	v_ldexp_f32 v10, v8, v12
	v_log_f32_e32 v10, v10
	v_mul_f32_e32 v11, 0x3f317217, v10
	v_fma_f32 v11, v10, s14, -v11
	v_fmac_f32_e32 v11, 0x3377d1cf, v10
	s_mov_b32 s14, 0x7f800000
	v_fmac_f32_e32 v11, 0x3f317217, v10
	v_cmp_lt_f32_e64 vcc, |v10|, s14
	v_cndmask_b32_e32 v10, v10, v11, vcc
	v_mov_b32_e32 v11, 0x41b17218
	v_cndmask_b32_e64 v11, 0, v11, s[4:5]
	v_sub_f32_e32 v10, v10, v11
	v_div_fixup_f32 v8, v9, v8, -0.5
	v_add_f32_e32 v8, v10, v8
	v_sub_f32_e32 v7, v8, v7
	v_add_f32_e32 v7, v2, v7
                                        ; implicit-def: $vgpr2
.LBB11_42:
	s_andn2_saveexec_b64 s[4:5], s[12:13]
; %bb.43:
	v_add_f32_e32 v7, 0x40101cb7, v2
; %bb.44:
	s_or_b64 exec, exec, s[4:5]
.LBB11_45:
	s_or_b64 exec, exec, s[10:11]
.LBB11_46:
	s_andn2_saveexec_b64 s[4:5], s[8:9]
; %bb.47:
	v_xor_b32_e32 v2, 0x80000000, v3
	s_brev_b32 s8, -2
	v_mov_b32_e32 v3, 0x7f800000
	v_bfi_b32 v7, s8, v3, v2
; %bb.48:
	s_or_b64 exec, exec, s[4:5]
	v_cmp_neq_f32_e32 vcc, 0, v4
	s_and_saveexec_b64 s[4:5], vcc
	s_xor_b64 s[8:9], exec, s[4:5]
	s_cbranch_execz .LBB11_70
; %bb.49:
	v_mov_b32_e32 v2, 0
	v_cmp_gt_f32_e32 vcc, 0, v4
	s_mov_b64 s[4:5], -1
	v_mov_b32_e32 v3, v4
	s_and_saveexec_b64 s[10:11], vcc
	s_cbranch_execz .LBB11_57
; %bb.50:
	v_trunc_f32_e32 v2, v4
	v_cmp_neq_f32_e32 vcc, v4, v2
	s_mov_b64 s[14:15], 0
	v_mov_b32_e32 v2, 0
                                        ; implicit-def: $vgpr3
	s_and_saveexec_b64 s[12:13], vcc
	s_cbranch_execz .LBB11_56
; %bb.51:
	v_cvt_f64_f32_e32 v[2:3], v4
	s_mov_b32 s16, 0
	s_mov_b32 s5, 0xc00921fb
	;; [unrolled: 1-line block ×3, first 2 shown]
	v_trunc_f64_e32 v[8:9], v[2:3]
	s_mov_b32 s17, 0x7ff00000
	v_cmp_neq_f64_e64 vcc, |v[2:3]|, s[16:17]
	v_bfrev_b32_e32 v10, 1
	s_mov_b32 s14, 0
	s_mov_b32 s15, 0x41d00000
                                        ; implicit-def: $vgpr12
	v_add_f64 v[8:9], v[2:3], -v[8:9]
	v_mul_f64 v[8:9], |v[8:9]|, s[4:5]
	v_cndmask_b32_e32 v3, v10, v9, vcc
	v_cndmask_b32_e32 v2, 0, v8, vcc
	v_cmp_nlt_f64_e64 s[14:15], |v[2:3]|, s[14:15]
                                        ; implicit-def: $vgpr8_vgpr9
                                        ; implicit-def: $vgpr10_vgpr11
	s_and_saveexec_b64 s[18:19], s[14:15]
	s_xor_b64 s[14:15], exec, s[18:19]
	s_cbranch_execz .LBB11_53
; %bb.52:
	v_trig_preop_f64 v[8:9], |v[2:3]|, 0
	s_mov_b32 s18, 0
	s_mov_b32 s19, 0x7b000000
	s_movk_i32 s5, 0xff80
	v_cmp_ge_f64_e64 vcc, |v[2:3]|, s[18:19]
	v_ldexp_f64 v[10:11], |v[2:3]|, s5
	v_trig_preop_f64 v[14:15], |v[2:3]|, 1
	v_and_b32_e32 v12, 0x7fffffff, v3
	v_trig_preop_f64 v[20:21], |v[2:3]|, 2
	s_mov_b32 s5, 0x3ff921fb
	v_cndmask_b32_e32 v11, v12, v11, vcc
	v_cndmask_b32_e32 v10, v2, v10, vcc
	v_mov_b32_e32 v12, 0x40100000
	v_mul_f64 v[16:17], v[8:9], v[10:11]
	v_mul_f64 v[18:19], v[14:15], v[10:11]
	;; [unrolled: 1-line block ×3, first 2 shown]
	v_fma_f64 v[8:9], v[8:9], v[10:11], -v[16:17]
	v_fma_f64 v[14:15], v[14:15], v[10:11], -v[18:19]
	v_fma_f64 v[10:11], v[20:21], v[10:11], -v[26:27]
	v_add_f64 v[22:23], v[18:19], v[8:9]
	v_add_f64 v[24:25], v[22:23], -v[18:19]
	v_add_f64 v[20:21], v[16:17], v[22:23]
	v_add_f64 v[8:9], v[8:9], -v[24:25]
	v_add_f64 v[24:25], v[22:23], -v[24:25]
	;; [unrolled: 1-line block ×3, first 2 shown]
	v_ldexp_f64 v[20:21], v[20:21], -2
	v_add_f64 v[18:19], v[18:19], -v[24:25]
	v_add_f64 v[24:25], v[26:27], v[14:15]
	v_add_f64 v[16:17], v[22:23], -v[16:17]
	v_fract_f64_e32 v[22:23], v[20:21]
	v_cmp_neq_f64_e64 vcc, |v[20:21]|, s[16:17]
	s_mov_b32 s16, 0x33145c07
	s_mov_b32 s17, 0x3c91a626
	v_add_f64 v[8:9], v[8:9], v[18:19]
	v_add_f64 v[18:19], v[24:25], -v[26:27]
	v_ldexp_f64 v[20:21], v[22:23], 2
	v_add_f64 v[14:15], v[14:15], -v[18:19]
	v_add_f64 v[18:19], v[24:25], -v[18:19]
	;; [unrolled: 1-line block ×3, first 2 shown]
	v_add_f64 v[26:27], v[24:25], v[8:9]
	v_add_f64 v[14:15], v[14:15], v[18:19]
	;; [unrolled: 1-line block ×3, first 2 shown]
	v_cndmask_b32_e32 v19, 0, v21, vcc
	v_cndmask_b32_e32 v18, 0, v20, vcc
	v_add_f64 v[20:21], v[22:23], v[18:19]
	v_add_f64 v[16:17], v[22:23], -v[16:17]
	v_cmp_gt_f64_e32 vcc, 0, v[20:21]
	v_add_f64 v[20:21], v[26:27], -v[24:25]
	v_add_f64 v[16:17], v[26:27], -v[16:17]
	;; [unrolled: 1-line block ×5, first 2 shown]
	v_mov_b32_e32 v24, 0
	v_cndmask_b32_e32 v25, 0, v12, vcc
	v_add_f64 v[18:19], v[18:19], v[24:25]
	v_add_f64 v[8:9], v[8:9], v[20:21]
	;; [unrolled: 1-line block ×4, first 2 shown]
	v_cvt_i32_f64_e32 v12, v[28:29]
	v_cvt_f64_i32_e32 v[20:21], v12
	v_add_f64 v[8:9], v[10:11], v[8:9]
	v_add_f64 v[18:19], v[18:19], -v[20:21]
	v_add_f64 v[8:9], v[16:17], v[8:9]
	v_mov_b32_e32 v16, 0x3ff00000
	v_add_f64 v[14:15], v[22:23], v[18:19]
	v_add_f64 v[10:11], v[14:15], -v[18:19]
	v_cmp_le_f64_e32 vcc, 0.5, v[14:15]
	v_add_f64 v[10:11], v[22:23], -v[10:11]
	v_cndmask_b32_e32 v25, 0, v16, vcc
	v_addc_co_u32_e32 v12, vcc, 0, v12, vcc
	v_add_f64 v[8:9], v[8:9], v[10:11]
	v_add_f64 v[10:11], v[14:15], -v[24:25]
	v_add_f64 v[14:15], v[10:11], v[8:9]
	v_mul_f64 v[16:17], v[14:15], s[4:5]
	v_add_f64 v[10:11], v[14:15], -v[10:11]
	v_fma_f64 v[18:19], v[14:15], s[4:5], -v[16:17]
	v_add_f64 v[8:9], v[8:9], -v[10:11]
	v_fma_f64 v[10:11], v[14:15], s[16:17], v[18:19]
	v_fma_f64 v[10:11], v[8:9], s[4:5], v[10:11]
	v_add_f64 v[8:9], v[16:17], v[10:11]
	v_add_f64 v[14:15], v[8:9], -v[16:17]
	v_add_f64 v[10:11], v[10:11], -v[14:15]
.LBB11_53:
	s_andn2_saveexec_b64 s[4:5], s[14:15]
	s_cbranch_execz .LBB11_55
; %bb.54:
	s_mov_b32 s14, 0x6dc9c883
	s_mov_b32 s15, 0x3fe45f30
	v_mul_f64 v[8:9], |v[2:3]|, s[14:15]
	s_mov_b32 s14, 0x54442d18
	s_mov_b32 s15, 0xbff921fb
	;; [unrolled: 1-line block ×4, first 2 shown]
	v_rndne_f64_e32 v[14:15], v[8:9]
	v_fma_f64 v[8:9], v[14:15], s[14:15], |v[2:3]|
	v_mul_f64 v[10:11], v[14:15], s[16:17]
	s_mov_b32 s14, 0x252049c0
	s_mov_b32 s15, 0xb97b839a
	v_cvt_i32_f64_e32 v12, v[14:15]
	v_fma_f64 v[20:21], v[14:15], s[16:17], v[8:9]
	v_add_f64 v[16:17], v[8:9], v[10:11]
	s_mov_b32 s17, 0x3c91a626
	v_add_f64 v[18:19], v[8:9], -v[16:17]
	v_add_f64 v[16:17], v[16:17], -v[20:21]
	v_add_f64 v[8:9], v[18:19], v[10:11]
	v_fma_f64 v[10:11], v[14:15], s[16:17], v[10:11]
	v_add_f64 v[8:9], v[16:17], v[8:9]
	v_add_f64 v[8:9], v[8:9], -v[10:11]
	v_fma_f64 v[10:11], v[14:15], s[14:15], v[8:9]
	v_add_f64 v[8:9], v[20:21], v[10:11]
	v_add_f64 v[16:17], v[8:9], -v[20:21]
	v_add_f64 v[10:11], v[10:11], -v[16:17]
.LBB11_55:
	s_or_b64 exec, exec, s[4:5]
	v_mul_f64 v[14:15], v[8:9], v[8:9]
	v_add_f64 v[16:17], v[10:11], v[10:11]
	s_mov_b32 s4, 0xc751c08c
	s_mov_b32 s5, 0x3ef5e089
	v_and_b32_e32 v12, 1, v12
	v_cmp_eq_u32_e32 vcc, 0, v12
	s_mov_b32 s16, 0x54442d18
	s_mov_b32 s17, 0xc00921fb
	v_fma_f64 v[18:19], v[8:9], v[8:9], -v[14:15]
	s_mov_b64 s[14:15], exec
	v_fma_f64 v[16:17], v[8:9], v[16:17], v[18:19]
	v_add_f64 v[14:15], v[14:15], v[16:17]
	v_mov_b32_e32 v16, 0xa9a29f71
	v_mov_b32_e32 v17, 0xbf078809
	v_fma_f64 v[16:17], v[14:15], s[4:5], v[16:17]
	s_mov_b32 s4, 0x90a8aae0
	s_mov_b32 s5, 0x3f17746f
	v_fma_f64 v[16:17], v[14:15], v[16:17], s[4:5]
	s_mov_b32 s4, 0xa6fbf144
	s_mov_b32 s5, 0xbefbb44d
	;; [unrolled: 3-line block ×12, first 2 shown]
	v_fma_f64 v[16:17], v[14:15], v[16:17], s[4:5]
	s_movk_i32 s4, 0x1f8
	v_cmp_class_f64_e64 s[4:5], v[2:3], s4
	v_mul_f64 v[14:15], v[14:15], v[16:17]
	v_mul_f64 v[16:17], v[8:9], v[14:15]
	v_add_f64 v[18:19], v[8:9], v[16:17]
	v_fma_f64 v[14:15], v[8:9], v[14:15], -v[16:17]
	v_add_f64 v[8:9], v[18:19], -v[8:9]
	v_add_f64 v[10:11], v[10:11], v[14:15]
	v_add_f64 v[8:9], v[16:17], -v[8:9]
	v_add_f64 v[8:9], v[10:11], v[8:9]
	v_add_f64 v[10:11], v[18:19], v[8:9]
	v_rcp_f64_e32 v[14:15], v[10:11]
	v_fma_f64 v[16:17], -v[10:11], v[14:15], 1.0
	v_fma_f64 v[14:15], v[16:17], v[14:15], v[14:15]
	v_fma_f64 v[16:17], -v[10:11], v[14:15], 1.0
	v_fma_f64 v[14:15], v[16:17], v[14:15], v[14:15]
	v_add_f64 v[16:17], v[10:11], -v[18:19]
	v_mul_f64 v[18:19], v[10:11], v[14:15]
	v_add_f64 v[8:9], v[8:9], -v[16:17]
	v_fma_f64 v[16:17], v[14:15], v[10:11], -v[18:19]
	v_fma_f64 v[8:9], v[14:15], v[8:9], v[16:17]
	v_add_f64 v[16:17], v[18:19], v[8:9]
	v_add_f64 v[20:21], -v[16:17], 1.0
	v_add_f64 v[18:19], v[16:17], -v[18:19]
	v_add_f64 v[22:23], -v[20:21], 1.0
	v_add_f64 v[8:9], v[18:19], -v[8:9]
	v_add_f64 v[16:17], v[22:23], -v[16:17]
	v_add_f64 v[8:9], v[8:9], v[16:17]
	v_add_f64 v[8:9], v[20:21], v[8:9]
	v_mul_f64 v[8:9], v[14:15], v[8:9]
	v_add_f64 v[8:9], v[14:15], v[8:9]
	v_and_b32_e32 v14, 0x80000000, v3
	v_mov_b32_e32 v3, 0x7ff80000
	v_xor_b32_e32 v2, 0x80000000, v9
	v_cndmask_b32_e32 v8, v8, v10, vcc
	v_cndmask_b32_e32 v9, v2, v11, vcc
	v_cndmask_b32_e64 v2, 0, v8, s[4:5]
	v_xor_b32_e32 v8, v9, v14
	v_cndmask_b32_e64 v3, v3, v8, s[4:5]
	v_div_scale_f64 v[8:9], s[4:5], v[2:3], v[2:3], s[16:17]
	v_div_scale_f64 v[16:17], vcc, s[16:17], v[2:3], s[16:17]
	v_rcp_f64_e32 v[10:11], v[8:9]
	v_fma_f64 v[14:15], -v[8:9], v[10:11], 1.0
	v_fma_f64 v[10:11], v[10:11], v[14:15], v[10:11]
	v_fma_f64 v[14:15], -v[8:9], v[10:11], 1.0
	v_fma_f64 v[10:11], v[10:11], v[14:15], v[10:11]
	v_mul_f64 v[14:15], v[16:17], v[10:11]
	v_fma_f64 v[8:9], -v[8:9], v[14:15], v[16:17]
	v_div_fmas_f64 v[8:9], v[8:9], v[10:11], v[14:15]
	v_div_fixup_f64 v[2:3], v[8:9], v[2:3], s[16:17]
	v_cvt_f32_f64_e32 v2, v[2:3]
	v_sub_f32_e32 v3, 1.0, v4
.LBB11_56:
	s_or_b64 exec, exec, s[12:13]
	s_orn2_b64 s[4:5], s[14:15], exec
.LBB11_57:
	s_or_b64 exec, exec, s[10:11]
	v_mov_b32_e32 v8, 0x7fc00000
	s_and_saveexec_b64 s[10:11], s[4:5]
	s_cbranch_execz .LBB11_69
; %bb.58:
	s_mov_b32 s14, 0x41200000
	v_cmp_gt_f32_e32 vcc, s14, v3
	s_and_saveexec_b64 s[4:5], vcc
	s_cbranch_execz .LBB11_62
; %bb.59:
	s_mov_b64 s[12:13], 0
.LBB11_60:                              ; =>This Inner Loop Header: Depth=1
	v_div_scale_f32 v8, s[16:17], v3, v3, 1.0
	v_div_scale_f32 v9, vcc, 1.0, v3, 1.0
	v_rcp_f32_e32 v10, v8
	v_fma_f32 v11, -v8, v10, 1.0
	v_fmac_f32_e32 v10, v11, v10
	v_mul_f32_e32 v11, v9, v10
	v_fma_f32 v12, -v8, v11, v9
	v_fmac_f32_e32 v11, v12, v10
	v_fma_f32 v8, -v8, v11, v9
	v_div_fmas_f32 v8, v8, v10, v11
	v_div_fixup_f32 v8, v8, v3, 1.0
	v_add_f32_e32 v3, 1.0, v3
	v_cmp_ngt_f32_e32 vcc, s14, v3
	s_or_b64 s[12:13], vcc, s[12:13]
	v_sub_f32_e32 v2, v2, v8
	s_andn2_b64 exec, exec, s[12:13]
	s_cbranch_execnz .LBB11_60
; %bb.61:
	s_or_b64 exec, exec, s[12:13]
.LBB11_62:
	s_or_b64 exec, exec, s[4:5]
	s_mov_b32 s4, 0x41200000
	v_cmp_neq_f32_e32 vcc, s4, v3
	s_and_saveexec_b64 s[4:5], vcc
	s_xor_b64 s[12:13], exec, s[4:5]
	s_cbranch_execz .LBB11_66
; %bb.63:
	v_cvt_f64_f32_e32 v[8:9], v3
	s_mov_b32 s4, 0x85d8a000
	s_mov_b32 s5, 0x43763457
	v_cmp_gt_f64_e32 vcc, s[4:5], v[8:9]
	v_mov_b32_e32 v8, 0
	s_and_saveexec_b64 s[4:5], vcc
	s_cbranch_execz .LBB11_65
; %bb.64:
	v_mul_f32_e32 v8, v3, v3
	v_div_scale_f32 v9, s[14:15], v8, v8, 1.0
	v_div_scale_f32 v10, vcc, 1.0, v8, 1.0
	v_mov_b32_e32 v15, 0x3b820821
	v_rcp_f32_e32 v11, v9
	v_fma_f32 v12, -v9, v11, 1.0
	v_fmac_f32_e32 v11, v12, v11
	v_mul_f32_e32 v12, v10, v11
	v_fma_f32 v14, -v9, v12, v10
	v_fmac_f32_e32 v12, v14, v11
	v_fma_f32 v9, -v9, v12, v10
	v_div_fmas_f32 v9, v9, v11, v12
	v_mov_b32_e32 v10, 0x3daaaaab
	v_mov_b32_e32 v11, 0xbcaccacd
	;; [unrolled: 1-line block ×4, first 2 shown]
	v_div_fixup_f32 v8, v9, v8, 1.0
	v_fma_f32 v9, 0, v8, v10
	v_fmac_f32_e32 v11, v8, v9
	v_fmac_f32_e32 v12, v8, v11
	;; [unrolled: 1-line block ×4, first 2 shown]
	v_mov_b32_e32 v9, 0xbc088889
	v_fmac_f32_e32 v9, v8, v15
	v_fmac_f32_e32 v10, v8, v9
	v_mul_f32_e32 v8, v8, v10
.LBB11_65:
	s_or_b64 exec, exec, s[4:5]
	v_div_scale_f32 v9, s[4:5], v3, v3, -0.5
	v_div_scale_f32 v10, vcc, -0.5, v3, -0.5
	s_mov_b32 s4, 0x800000
	v_cmp_gt_f32_e64 s[4:5], s4, v3
	v_cndmask_b32_e64 v12, 0, 32, s[4:5]
	s_mov_b32 s14, 0x3f317217
	v_rcp_f32_e32 v11, v9
	v_fma_f32 v14, -v9, v11, 1.0
	v_fmac_f32_e32 v11, v14, v11
	v_mul_f32_e32 v14, v10, v11
	v_fma_f32 v15, -v9, v14, v10
	v_fmac_f32_e32 v14, v15, v11
	v_fma_f32 v9, -v9, v14, v10
	v_div_fmas_f32 v9, v9, v11, v14
	v_ldexp_f32 v10, v3, v12
	v_log_f32_e32 v10, v10
	v_mul_f32_e32 v11, 0x3f317217, v10
	v_fma_f32 v11, v10, s14, -v11
	v_fmac_f32_e32 v11, 0x3377d1cf, v10
	s_mov_b32 s14, 0x7f800000
	v_fmac_f32_e32 v11, 0x3f317217, v10
	v_cmp_lt_f32_e64 vcc, |v10|, s14
	v_cndmask_b32_e32 v10, v10, v11, vcc
	v_mov_b32_e32 v11, 0x41b17218
	v_cndmask_b32_e64 v11, 0, v11, s[4:5]
	v_sub_f32_e32 v10, v10, v11
	v_div_fixup_f32 v3, v9, v3, -0.5
	v_add_f32_e32 v3, v10, v3
	v_sub_f32_e32 v3, v3, v8
	v_add_f32_e32 v8, v2, v3
                                        ; implicit-def: $vgpr2
.LBB11_66:
	s_andn2_saveexec_b64 s[4:5], s[12:13]
; %bb.67:
	v_add_f32_e32 v8, 0x40101cb7, v2
; %bb.68:
	s_or_b64 exec, exec, s[4:5]
.LBB11_69:
	s_or_b64 exec, exec, s[10:11]
.LBB11_70:
	s_andn2_saveexec_b64 s[4:5], s[8:9]
; %bb.71:
	v_xor_b32_e32 v2, 0x80000000, v4
	s_brev_b32 s8, -2
	v_mov_b32_e32 v3, 0x7f800000
	v_bfi_b32 v8, s8, v3, v2
; %bb.72:
	s_or_b64 exec, exec, s[4:5]
	v_cmp_neq_f32_e32 vcc, 0, v5
	s_and_saveexec_b64 s[4:5], vcc
	s_xor_b64 s[8:9], exec, s[4:5]
	s_cbranch_execz .LBB11_94
; %bb.73:
	v_mov_b32_e32 v2, 0
	v_cmp_gt_f32_e32 vcc, 0, v5
	s_mov_b64 s[4:5], -1
	s_and_saveexec_b64 s[10:11], vcc
	s_cbranch_execz .LBB11_81
; %bb.74:
	v_trunc_f32_e32 v2, v5
	v_cmp_neq_f32_e32 vcc, v5, v2
	s_mov_b64 s[14:15], 0
	v_mov_b32_e32 v2, 0
	s_and_saveexec_b64 s[12:13], vcc
	s_cbranch_execz .LBB11_80
; %bb.75:
	v_cvt_f64_f32_e32 v[2:3], v5
	s_mov_b32 s16, 0
	s_mov_b32 s5, 0xc00921fb
	;; [unrolled: 1-line block ×3, first 2 shown]
	v_trunc_f64_e32 v[9:10], v[2:3]
	s_mov_b32 s17, 0x7ff00000
	v_cmp_neq_f64_e64 vcc, |v[2:3]|, s[16:17]
	v_bfrev_b32_e32 v4, 1
	s_mov_b32 s14, 0
	s_mov_b32 s15, 0x41d00000
                                        ; implicit-def: $vgpr11_vgpr12
	v_add_f64 v[9:10], v[2:3], -v[9:10]
	v_mul_f64 v[9:10], |v[9:10]|, s[4:5]
	v_cndmask_b32_e32 v3, v4, v10, vcc
	v_cndmask_b32_e32 v2, 0, v9, vcc
	v_cmp_nlt_f64_e64 s[14:15], |v[2:3]|, s[14:15]
                                        ; implicit-def: $vgpr4
                                        ; implicit-def: $vgpr9_vgpr10
	s_and_saveexec_b64 s[18:19], s[14:15]
	s_xor_b64 s[14:15], exec, s[18:19]
	s_cbranch_execz .LBB11_77
; %bb.76:
	v_trig_preop_f64 v[9:10], |v[2:3]|, 0
	s_mov_b32 s18, 0
	s_mov_b32 s19, 0x7b000000
	s_movk_i32 s5, 0xff80
	v_cmp_ge_f64_e64 vcc, |v[2:3]|, s[18:19]
	v_ldexp_f64 v[11:12], |v[2:3]|, s5
	v_trig_preop_f64 v[14:15], |v[2:3]|, 1
	v_and_b32_e32 v4, 0x7fffffff, v3
	v_trig_preop_f64 v[20:21], |v[2:3]|, 2
	s_mov_b32 s5, 0x3ff921fb
	v_cndmask_b32_e32 v12, v4, v12, vcc
	v_cndmask_b32_e32 v11, v2, v11, vcc
	v_mov_b32_e32 v4, 0x40100000
	v_mul_f64 v[16:17], v[9:10], v[11:12]
	v_mul_f64 v[18:19], v[14:15], v[11:12]
	;; [unrolled: 1-line block ×3, first 2 shown]
	v_fma_f64 v[9:10], v[9:10], v[11:12], -v[16:17]
	v_fma_f64 v[14:15], v[14:15], v[11:12], -v[18:19]
	;; [unrolled: 1-line block ×3, first 2 shown]
	v_add_f64 v[22:23], v[18:19], v[9:10]
	v_add_f64 v[24:25], v[22:23], -v[18:19]
	v_add_f64 v[20:21], v[16:17], v[22:23]
	v_add_f64 v[9:10], v[9:10], -v[24:25]
	v_add_f64 v[24:25], v[22:23], -v[24:25]
	;; [unrolled: 1-line block ×3, first 2 shown]
	v_ldexp_f64 v[20:21], v[20:21], -2
	v_add_f64 v[18:19], v[18:19], -v[24:25]
	v_add_f64 v[24:25], v[26:27], v[14:15]
	v_add_f64 v[16:17], v[22:23], -v[16:17]
	v_fract_f64_e32 v[22:23], v[20:21]
	v_cmp_neq_f64_e64 vcc, |v[20:21]|, s[16:17]
	s_mov_b32 s16, 0x33145c07
	s_mov_b32 s17, 0x3c91a626
	v_add_f64 v[9:10], v[9:10], v[18:19]
	v_add_f64 v[18:19], v[24:25], -v[26:27]
	v_ldexp_f64 v[20:21], v[22:23], 2
	v_add_f64 v[14:15], v[14:15], -v[18:19]
	v_add_f64 v[18:19], v[24:25], -v[18:19]
	;; [unrolled: 1-line block ×3, first 2 shown]
	v_add_f64 v[26:27], v[24:25], v[9:10]
	v_add_f64 v[14:15], v[14:15], v[18:19]
	;; [unrolled: 1-line block ×3, first 2 shown]
	v_cndmask_b32_e32 v19, 0, v21, vcc
	v_cndmask_b32_e32 v18, 0, v20, vcc
	v_add_f64 v[20:21], v[22:23], v[18:19]
	v_add_f64 v[16:17], v[22:23], -v[16:17]
	v_cmp_gt_f64_e32 vcc, 0, v[20:21]
	v_add_f64 v[20:21], v[26:27], -v[24:25]
	v_add_f64 v[16:17], v[26:27], -v[16:17]
	;; [unrolled: 1-line block ×5, first 2 shown]
	v_mov_b32_e32 v24, 0
	v_cndmask_b32_e32 v25, 0, v4, vcc
	v_add_f64 v[18:19], v[18:19], v[24:25]
	v_add_f64 v[9:10], v[9:10], v[20:21]
	;; [unrolled: 1-line block ×4, first 2 shown]
	v_cvt_i32_f64_e32 v4, v[28:29]
	v_cvt_f64_i32_e32 v[20:21], v4
	v_add_f64 v[9:10], v[11:12], v[9:10]
	v_add_f64 v[18:19], v[18:19], -v[20:21]
	v_add_f64 v[9:10], v[16:17], v[9:10]
	v_mov_b32_e32 v16, 0x3ff00000
	v_add_f64 v[14:15], v[22:23], v[18:19]
	v_add_f64 v[11:12], v[14:15], -v[18:19]
	v_cmp_le_f64_e32 vcc, 0.5, v[14:15]
	v_add_f64 v[11:12], v[22:23], -v[11:12]
	v_cndmask_b32_e32 v25, 0, v16, vcc
	v_addc_co_u32_e32 v4, vcc, 0, v4, vcc
	v_add_f64 v[9:10], v[9:10], v[11:12]
	v_add_f64 v[11:12], v[14:15], -v[24:25]
	v_add_f64 v[14:15], v[11:12], v[9:10]
	v_mul_f64 v[16:17], v[14:15], s[4:5]
	v_add_f64 v[11:12], v[14:15], -v[11:12]
	v_fma_f64 v[18:19], v[14:15], s[4:5], -v[16:17]
	v_add_f64 v[9:10], v[9:10], -v[11:12]
	v_fma_f64 v[11:12], v[14:15], s[16:17], v[18:19]
	v_fma_f64 v[11:12], v[9:10], s[4:5], v[11:12]
	v_add_f64 v[9:10], v[16:17], v[11:12]
	v_add_f64 v[14:15], v[9:10], -v[16:17]
	v_add_f64 v[11:12], v[11:12], -v[14:15]
.LBB11_77:
	s_andn2_saveexec_b64 s[4:5], s[14:15]
	s_cbranch_execz .LBB11_79
; %bb.78:
	s_mov_b32 s14, 0x6dc9c883
	s_mov_b32 s15, 0x3fe45f30
	v_mul_f64 v[9:10], |v[2:3]|, s[14:15]
	s_mov_b32 s14, 0x54442d18
	s_mov_b32 s15, 0xbff921fb
	;; [unrolled: 1-line block ×4, first 2 shown]
	v_rndne_f64_e32 v[14:15], v[9:10]
	v_fma_f64 v[9:10], v[14:15], s[14:15], |v[2:3]|
	v_mul_f64 v[11:12], v[14:15], s[16:17]
	s_mov_b32 s14, 0x252049c0
	s_mov_b32 s15, 0xb97b839a
	v_cvt_i32_f64_e32 v4, v[14:15]
	v_fma_f64 v[20:21], v[14:15], s[16:17], v[9:10]
	v_add_f64 v[16:17], v[9:10], v[11:12]
	s_mov_b32 s17, 0x3c91a626
	v_add_f64 v[18:19], v[9:10], -v[16:17]
	v_add_f64 v[16:17], v[16:17], -v[20:21]
	v_add_f64 v[9:10], v[18:19], v[11:12]
	v_fma_f64 v[11:12], v[14:15], s[16:17], v[11:12]
	v_add_f64 v[9:10], v[16:17], v[9:10]
	v_add_f64 v[9:10], v[9:10], -v[11:12]
	v_fma_f64 v[11:12], v[14:15], s[14:15], v[9:10]
	v_add_f64 v[9:10], v[20:21], v[11:12]
	v_add_f64 v[16:17], v[9:10], -v[20:21]
	v_add_f64 v[11:12], v[11:12], -v[16:17]
.LBB11_79:
	s_or_b64 exec, exec, s[4:5]
	v_mul_f64 v[14:15], v[9:10], v[9:10]
	v_add_f64 v[16:17], v[11:12], v[11:12]
	s_mov_b32 s4, 0xc751c08c
	s_mov_b32 s5, 0x3ef5e089
	v_and_b32_e32 v4, 1, v4
	v_cmp_eq_u32_e32 vcc, 0, v4
	s_mov_b32 s16, 0x54442d18
	s_mov_b32 s17, 0xc00921fb
	v_fma_f64 v[18:19], v[9:10], v[9:10], -v[14:15]
	s_mov_b64 s[14:15], exec
	v_sub_f32_e32 v5, 1.0, v5
	v_fma_f64 v[16:17], v[9:10], v[16:17], v[18:19]
	v_add_f64 v[14:15], v[14:15], v[16:17]
	v_mov_b32_e32 v16, 0xa9a29f71
	v_mov_b32_e32 v17, 0xbf078809
	v_fma_f64 v[16:17], v[14:15], s[4:5], v[16:17]
	s_mov_b32 s4, 0x90a8aae0
	s_mov_b32 s5, 0x3f17746f
	v_fma_f64 v[16:17], v[14:15], v[16:17], s[4:5]
	s_mov_b32 s4, 0xa6fbf144
	s_mov_b32 s5, 0xbefbb44d
	;; [unrolled: 3-line block ×12, first 2 shown]
	v_fma_f64 v[16:17], v[14:15], v[16:17], s[4:5]
	s_movk_i32 s4, 0x1f8
	v_cmp_class_f64_e64 s[4:5], v[2:3], s4
	v_mul_f64 v[14:15], v[14:15], v[16:17]
	v_mul_f64 v[16:17], v[9:10], v[14:15]
	v_add_f64 v[18:19], v[9:10], v[16:17]
	v_fma_f64 v[14:15], v[9:10], v[14:15], -v[16:17]
	v_add_f64 v[9:10], v[18:19], -v[9:10]
	v_add_f64 v[11:12], v[11:12], v[14:15]
	v_add_f64 v[9:10], v[16:17], -v[9:10]
	v_add_f64 v[9:10], v[11:12], v[9:10]
	v_add_f64 v[11:12], v[18:19], v[9:10]
	v_rcp_f64_e32 v[14:15], v[11:12]
	v_fma_f64 v[16:17], -v[11:12], v[14:15], 1.0
	v_fma_f64 v[14:15], v[16:17], v[14:15], v[14:15]
	v_fma_f64 v[16:17], -v[11:12], v[14:15], 1.0
	v_fma_f64 v[14:15], v[16:17], v[14:15], v[14:15]
	v_add_f64 v[16:17], v[11:12], -v[18:19]
	v_mul_f64 v[18:19], v[11:12], v[14:15]
	v_add_f64 v[9:10], v[9:10], -v[16:17]
	v_fma_f64 v[16:17], v[14:15], v[11:12], -v[18:19]
	v_fma_f64 v[9:10], v[14:15], v[9:10], v[16:17]
	v_add_f64 v[16:17], v[18:19], v[9:10]
	v_add_f64 v[20:21], -v[16:17], 1.0
	v_add_f64 v[18:19], v[16:17], -v[18:19]
	v_add_f64 v[22:23], -v[20:21], 1.0
	v_add_f64 v[9:10], v[18:19], -v[9:10]
	v_add_f64 v[16:17], v[22:23], -v[16:17]
	v_add_f64 v[9:10], v[9:10], v[16:17]
	v_add_f64 v[9:10], v[20:21], v[9:10]
	v_mul_f64 v[9:10], v[14:15], v[9:10]
	v_add_f64 v[9:10], v[14:15], v[9:10]
	v_and_b32_e32 v14, 0x80000000, v3
	v_mov_b32_e32 v3, 0x7ff80000
	v_xor_b32_e32 v2, 0x80000000, v10
	v_cndmask_b32_e32 v4, v9, v11, vcc
	v_cndmask_b32_e32 v9, v2, v12, vcc
	v_cndmask_b32_e64 v2, 0, v4, s[4:5]
	v_xor_b32_e32 v4, v9, v14
	v_cndmask_b32_e64 v3, v3, v4, s[4:5]
	v_div_scale_f64 v[9:10], s[4:5], v[2:3], v[2:3], s[16:17]
	v_div_scale_f64 v[16:17], vcc, s[16:17], v[2:3], s[16:17]
	v_rcp_f64_e32 v[11:12], v[9:10]
	v_fma_f64 v[14:15], -v[9:10], v[11:12], 1.0
	v_fma_f64 v[11:12], v[11:12], v[14:15], v[11:12]
	v_fma_f64 v[14:15], -v[9:10], v[11:12], 1.0
	v_fma_f64 v[11:12], v[11:12], v[14:15], v[11:12]
	v_mul_f64 v[14:15], v[16:17], v[11:12]
	v_fma_f64 v[9:10], -v[9:10], v[14:15], v[16:17]
	v_div_fmas_f64 v[9:10], v[9:10], v[11:12], v[14:15]
	v_div_fixup_f64 v[2:3], v[9:10], v[2:3], s[16:17]
	v_cvt_f32_f64_e32 v2, v[2:3]
.LBB11_80:
	s_or_b64 exec, exec, s[12:13]
	s_orn2_b64 s[4:5], s[14:15], exec
.LBB11_81:
	s_or_b64 exec, exec, s[10:11]
	v_mov_b32_e32 v9, 0x7fc00000
	s_and_saveexec_b64 s[10:11], s[4:5]
	s_cbranch_execz .LBB11_93
; %bb.82:
	s_mov_b32 s14, 0x41200000
	v_cmp_gt_f32_e32 vcc, s14, v5
	s_and_saveexec_b64 s[4:5], vcc
	s_cbranch_execz .LBB11_86
; %bb.83:
	s_mov_b64 s[12:13], 0
.LBB11_84:                              ; =>This Inner Loop Header: Depth=1
	v_div_scale_f32 v3, s[16:17], v5, v5, 1.0
	v_div_scale_f32 v4, vcc, 1.0, v5, 1.0
	v_rcp_f32_e32 v9, v3
	v_fma_f32 v10, -v3, v9, 1.0
	v_fmac_f32_e32 v9, v10, v9
	v_mul_f32_e32 v10, v4, v9
	v_fma_f32 v11, -v3, v10, v4
	v_fmac_f32_e32 v10, v11, v9
	v_fma_f32 v3, -v3, v10, v4
	v_div_fmas_f32 v3, v3, v9, v10
	v_div_fixup_f32 v3, v3, v5, 1.0
	v_add_f32_e32 v5, 1.0, v5
	v_cmp_ngt_f32_e32 vcc, s14, v5
	s_or_b64 s[12:13], vcc, s[12:13]
	v_sub_f32_e32 v2, v2, v3
	s_andn2_b64 exec, exec, s[12:13]
	s_cbranch_execnz .LBB11_84
; %bb.85:
	s_or_b64 exec, exec, s[12:13]
.LBB11_86:
	s_or_b64 exec, exec, s[4:5]
	s_mov_b32 s4, 0x41200000
	v_cmp_neq_f32_e32 vcc, s4, v5
	s_and_saveexec_b64 s[4:5], vcc
	s_xor_b64 s[12:13], exec, s[4:5]
	s_cbranch_execz .LBB11_90
; %bb.87:
	v_cvt_f64_f32_e32 v[3:4], v5
	s_mov_b32 s4, 0x85d8a000
	s_mov_b32 s5, 0x43763457
	v_cmp_gt_f64_e32 vcc, s[4:5], v[3:4]
	v_mov_b32_e32 v3, 0
	s_and_saveexec_b64 s[4:5], vcc
	s_cbranch_execz .LBB11_89
; %bb.88:
	v_mul_f32_e32 v3, v5, v5
	v_div_scale_f32 v4, s[14:15], v3, v3, 1.0
	v_div_scale_f32 v9, vcc, 1.0, v3, 1.0
	v_mov_b32_e32 v14, 0x3b820821
	v_rcp_f32_e32 v10, v4
	v_fma_f32 v11, -v4, v10, 1.0
	v_fmac_f32_e32 v10, v11, v10
	v_mul_f32_e32 v11, v9, v10
	v_fma_f32 v12, -v4, v11, v9
	v_fmac_f32_e32 v11, v12, v10
	v_fma_f32 v4, -v4, v11, v9
	v_div_fmas_f32 v4, v4, v10, v11
	v_mov_b32_e32 v9, 0x3daaaaab
	v_mov_b32_e32 v10, 0xbcaccacd
	;; [unrolled: 1-line block ×4, first 2 shown]
	v_div_fixup_f32 v3, v4, v3, 1.0
	v_fma_f32 v4, 0, v3, v9
	v_fmac_f32_e32 v10, v3, v4
	v_fmac_f32_e32 v11, v3, v10
	;; [unrolled: 1-line block ×4, first 2 shown]
	v_mov_b32_e32 v4, 0xbc088889
	v_fmac_f32_e32 v4, v3, v14
	v_fmac_f32_e32 v9, v3, v4
	v_mul_f32_e32 v3, v3, v9
.LBB11_89:
	s_or_b64 exec, exec, s[4:5]
	v_div_scale_f32 v4, s[4:5], v5, v5, -0.5
	v_div_scale_f32 v9, vcc, -0.5, v5, -0.5
	s_mov_b32 s4, 0x800000
	v_cmp_gt_f32_e64 s[4:5], s4, v5
	v_cndmask_b32_e64 v11, 0, 32, s[4:5]
	s_mov_b32 s14, 0x3f317217
	v_rcp_f32_e32 v10, v4
	v_fma_f32 v12, -v4, v10, 1.0
	v_fmac_f32_e32 v10, v12, v10
	v_mul_f32_e32 v12, v9, v10
	v_fma_f32 v14, -v4, v12, v9
	v_fmac_f32_e32 v12, v14, v10
	v_fma_f32 v4, -v4, v12, v9
	v_div_fmas_f32 v4, v4, v10, v12
	v_ldexp_f32 v9, v5, v11
	v_log_f32_e32 v9, v9
	v_mul_f32_e32 v10, 0x3f317217, v9
	v_fma_f32 v10, v9, s14, -v10
	v_fmac_f32_e32 v10, 0x3377d1cf, v9
	s_mov_b32 s14, 0x7f800000
	v_fmac_f32_e32 v10, 0x3f317217, v9
	v_cmp_lt_f32_e64 vcc, |v9|, s14
	v_cndmask_b32_e32 v9, v9, v10, vcc
	v_mov_b32_e32 v10, 0x41b17218
	v_cndmask_b32_e64 v10, 0, v10, s[4:5]
	v_sub_f32_e32 v9, v9, v10
	v_div_fixup_f32 v4, v4, v5, -0.5
	v_add_f32_e32 v4, v9, v4
	v_sub_f32_e32 v3, v4, v3
	v_add_f32_e32 v9, v2, v3
                                        ; implicit-def: $vgpr2
.LBB11_90:
	s_andn2_saveexec_b64 s[4:5], s[12:13]
; %bb.91:
	v_add_f32_e32 v9, 0x40101cb7, v2
; %bb.92:
	s_or_b64 exec, exec, s[4:5]
.LBB11_93:
	s_or_b64 exec, exec, s[10:11]
                                        ; implicit-def: $vgpr2_vgpr3_vgpr4_vgpr5
.LBB11_94:
	s_andn2_saveexec_b64 s[4:5], s[8:9]
; %bb.95:
	v_xor_b32_e32 v2, 0x80000000, v5
	s_brev_b32 s8, -2
	v_mov_b32_e32 v3, 0x7f800000
	v_bfi_b32 v9, s8, v3, v2
; %bb.96:
	s_or_b64 exec, exec, s[4:5]
	v_mov_b32_e32 v2, s7
	v_add_co_u32_e32 v0, vcc, s6, v0
	v_addc_co_u32_e32 v1, vcc, v1, v2, vcc
	v_add_co_u32_e32 v0, vcc, v0, v13
	v_addc_co_u32_e32 v1, vcc, 0, v1, vcc
	flat_store_dwordx4 v[0:1], v[6:9]
	s_waitcnt vmcnt(0) lgkmcnt(0)
	s_setpc_b64 s[30:31]
.Lfunc_end11:
	.size	_ZN2at6native25elementwise_kernel_helperILb0EZZZNS0_19digamma_kernel_cudaERNS_18TensorIteratorBaseEENKUlvE_clEvENKUlvE0_clEvEUlfE_NS0_6memory8policies10vectorizedILi4ESt5arrayIPcLm2EELi4EEEEEvT0_T1_, .Lfunc_end11-_ZN2at6native25elementwise_kernel_helperILb0EZZZNS0_19digamma_kernel_cudaERNS_18TensorIteratorBaseEENKUlvE_clEvENKUlvE0_clEvEUlfE_NS0_6memory8policies10vectorizedILi4ESt5arrayIPcLm2EELi4EEEEEvT0_T1_
                                        ; -- End function
	.set .L_ZN2at6native25elementwise_kernel_helperILb0EZZZNS0_19digamma_kernel_cudaERNS_18TensorIteratorBaseEENKUlvE_clEvENKUlvE0_clEvEUlfE_NS0_6memory8policies10vectorizedILi4ESt5arrayIPcLm2EELi4EEEEEvT0_T1_.num_vgpr, 32
	.set .L_ZN2at6native25elementwise_kernel_helperILb0EZZZNS0_19digamma_kernel_cudaERNS_18TensorIteratorBaseEENKUlvE_clEvENKUlvE0_clEvEUlfE_NS0_6memory8policies10vectorizedILi4ESt5arrayIPcLm2EELi4EEEEEvT0_T1_.num_agpr, 0
	.set .L_ZN2at6native25elementwise_kernel_helperILb0EZZZNS0_19digamma_kernel_cudaERNS_18TensorIteratorBaseEENKUlvE_clEvENKUlvE0_clEvEUlfE_NS0_6memory8policies10vectorizedILi4ESt5arrayIPcLm2EELi4EEEEEvT0_T1_.numbered_sgpr, 32
	.set .L_ZN2at6native25elementwise_kernel_helperILb0EZZZNS0_19digamma_kernel_cudaERNS_18TensorIteratorBaseEENKUlvE_clEvENKUlvE0_clEvEUlfE_NS0_6memory8policies10vectorizedILi4ESt5arrayIPcLm2EELi4EEEEEvT0_T1_.num_named_barrier, 0
	.set .L_ZN2at6native25elementwise_kernel_helperILb0EZZZNS0_19digamma_kernel_cudaERNS_18TensorIteratorBaseEENKUlvE_clEvENKUlvE0_clEvEUlfE_NS0_6memory8policies10vectorizedILi4ESt5arrayIPcLm2EELi4EEEEEvT0_T1_.private_seg_size, 0
	.set .L_ZN2at6native25elementwise_kernel_helperILb0EZZZNS0_19digamma_kernel_cudaERNS_18TensorIteratorBaseEENKUlvE_clEvENKUlvE0_clEvEUlfE_NS0_6memory8policies10vectorizedILi4ESt5arrayIPcLm2EELi4EEEEEvT0_T1_.uses_vcc, 1
	.set .L_ZN2at6native25elementwise_kernel_helperILb0EZZZNS0_19digamma_kernel_cudaERNS_18TensorIteratorBaseEENKUlvE_clEvENKUlvE0_clEvEUlfE_NS0_6memory8policies10vectorizedILi4ESt5arrayIPcLm2EELi4EEEEEvT0_T1_.uses_flat_scratch, 0
	.set .L_ZN2at6native25elementwise_kernel_helperILb0EZZZNS0_19digamma_kernel_cudaERNS_18TensorIteratorBaseEENKUlvE_clEvENKUlvE0_clEvEUlfE_NS0_6memory8policies10vectorizedILi4ESt5arrayIPcLm2EELi4EEEEEvT0_T1_.has_dyn_sized_stack, 0
	.set .L_ZN2at6native25elementwise_kernel_helperILb0EZZZNS0_19digamma_kernel_cudaERNS_18TensorIteratorBaseEENKUlvE_clEvENKUlvE0_clEvEUlfE_NS0_6memory8policies10vectorizedILi4ESt5arrayIPcLm2EELi4EEEEEvT0_T1_.has_recursion, 0
	.set .L_ZN2at6native25elementwise_kernel_helperILb0EZZZNS0_19digamma_kernel_cudaERNS_18TensorIteratorBaseEENKUlvE_clEvENKUlvE0_clEvEUlfE_NS0_6memory8policies10vectorizedILi4ESt5arrayIPcLm2EELi4EEEEEvT0_T1_.has_indirect_call, 0
	.section	.AMDGPU.csdata,"",@progbits
; Function info:
; codeLenInByte = 9664
; TotalNumSgprs: 36
; NumVgprs: 32
; ScratchSize: 0
; MemoryBound: 0
	.section	.text._ZN2at6native29vectorized_elementwise_kernelILi16EZZZNS0_19digamma_kernel_cudaERNS_18TensorIteratorBaseEENKUlvE_clEvENKUlvE0_clEvEUlfE_St5arrayIPcLm2EEEEviT0_T1_,"axG",@progbits,_ZN2at6native29vectorized_elementwise_kernelILi16EZZZNS0_19digamma_kernel_cudaERNS_18TensorIteratorBaseEENKUlvE_clEvENKUlvE0_clEvEUlfE_St5arrayIPcLm2EEEEviT0_T1_,comdat
	.globl	_ZN2at6native29vectorized_elementwise_kernelILi16EZZZNS0_19digamma_kernel_cudaERNS_18TensorIteratorBaseEENKUlvE_clEvENKUlvE0_clEvEUlfE_St5arrayIPcLm2EEEEviT0_T1_ ; -- Begin function _ZN2at6native29vectorized_elementwise_kernelILi16EZZZNS0_19digamma_kernel_cudaERNS_18TensorIteratorBaseEENKUlvE_clEvENKUlvE0_clEvEUlfE_St5arrayIPcLm2EEEEviT0_T1_
	.p2align	8
	.type	_ZN2at6native29vectorized_elementwise_kernelILi16EZZZNS0_19digamma_kernel_cudaERNS_18TensorIteratorBaseEENKUlvE_clEvENKUlvE0_clEvEUlfE_St5arrayIPcLm2EEEEviT0_T1_,@function
_ZN2at6native29vectorized_elementwise_kernelILi16EZZZNS0_19digamma_kernel_cudaERNS_18TensorIteratorBaseEENKUlvE_clEvENKUlvE0_clEvEUlfE_St5arrayIPcLm2EEEEviT0_T1_: ; @_ZN2at6native29vectorized_elementwise_kernelILi16EZZZNS0_19digamma_kernel_cudaERNS_18TensorIteratorBaseEENKUlvE_clEvENKUlvE0_clEvEUlfE_St5arrayIPcLm2EEEEviT0_T1_
; %bb.0:
	s_mov_b32 s20, s6
	s_load_dword s6, s[4:5], 0x0
	s_load_dwordx4 s[24:27], s[4:5], 0x8
	s_add_u32 s0, s0, s7
	s_addc_u32 s1, s1, 0
	s_lshl_b32 s4, s20, 10
	s_waitcnt lgkmcnt(0)
	s_sub_i32 s21, s6, s4
	v_mov_b32_e32 v31, v0
	s_cmpk_gt_i32 s21, 0x3ff
	s_mov_b64 s[4:5], -1
	s_mov_b32 s32, 0
	s_cbranch_scc1 .LBB12_3
; %bb.1:
	s_andn2_b64 vcc, exec, s[4:5]
	s_cbranch_vccz .LBB12_4
.LBB12_2:
	s_endpgm
.LBB12_3:
	s_getpc_b64 s[4:5]
	s_add_u32 s4, s4, _ZN2at6native25elementwise_kernel_helperILb0EZZZNS0_19digamma_kernel_cudaERNS_18TensorIteratorBaseEENKUlvE_clEvENKUlvE0_clEvEUlfE_NS0_6memory8policies10vectorizedILi4ESt5arrayIPcLm2EELi4EEEEEvT0_T1_@rel32@lo+4
	s_addc_u32 s5, s5, _ZN2at6native25elementwise_kernel_helperILb0EZZZNS0_19digamma_kernel_cudaERNS_18TensorIteratorBaseEENKUlvE_clEvENKUlvE0_clEvEUlfE_NS0_6memory8policies10vectorizedILi4ESt5arrayIPcLm2EELi4EEEEEvT0_T1_@rel32@hi+12
	s_mov_b32 s12, s20
	v_mov_b32_e32 v0, s24
	v_mov_b32_e32 v1, s25
	;; [unrolled: 1-line block ×4, first 2 shown]
	s_swappc_b64 s[30:31], s[4:5]
	s_cbranch_execnz .LBB12_2
.LBB12_4:
	s_getpc_b64 s[4:5]
	s_add_u32 s4, s4, _ZN2at6native25elementwise_kernel_helperILb0EZZZNS0_19digamma_kernel_cudaERNS_18TensorIteratorBaseEENKUlvE_clEvENKUlvE0_clEvEUlfE_NS0_6memory8policies11unroll_baseILi256ESt5arrayIPcLm2EE23TrivialOffsetCalculatorILi1EjESE_NS7_15LoadWithoutCastENS7_16StoreWithoutCastELi4ELi1EEEEEvT0_T1_@rel32@lo+4
	s_addc_u32 s5, s5, _ZN2at6native25elementwise_kernel_helperILb0EZZZNS0_19digamma_kernel_cudaERNS_18TensorIteratorBaseEENKUlvE_clEvENKUlvE0_clEvEUlfE_NS0_6memory8policies11unroll_baseILi256ESt5arrayIPcLm2EE23TrivialOffsetCalculatorILi1EjESE_NS7_15LoadWithoutCastENS7_16StoreWithoutCastELi4ELi1EEEEEvT0_T1_@rel32@hi+12
	s_mov_b32 s12, s20
	v_mov_b32_e32 v0, s24
	v_mov_b32_e32 v1, s25
	;; [unrolled: 1-line block ×5, first 2 shown]
	s_swappc_b64 s[30:31], s[4:5]
	s_endpgm
	.section	.rodata,"a",@progbits
	.p2align	6, 0x0
	.amdhsa_kernel _ZN2at6native29vectorized_elementwise_kernelILi16EZZZNS0_19digamma_kernel_cudaERNS_18TensorIteratorBaseEENKUlvE_clEvENKUlvE0_clEvEUlfE_St5arrayIPcLm2EEEEviT0_T1_
		.amdhsa_group_segment_fixed_size 0
		.amdhsa_private_segment_fixed_size 0
		.amdhsa_kernarg_size 24
		.amdhsa_user_sgpr_count 6
		.amdhsa_user_sgpr_private_segment_buffer 1
		.amdhsa_user_sgpr_dispatch_ptr 0
		.amdhsa_user_sgpr_queue_ptr 0
		.amdhsa_user_sgpr_kernarg_segment_ptr 1
		.amdhsa_user_sgpr_dispatch_id 0
		.amdhsa_user_sgpr_flat_scratch_init 0
		.amdhsa_user_sgpr_private_segment_size 0
		.amdhsa_uses_dynamic_stack 0
		.amdhsa_system_sgpr_private_segment_wavefront_offset 0
		.amdhsa_system_sgpr_workgroup_id_x 1
		.amdhsa_system_sgpr_workgroup_id_y 0
		.amdhsa_system_sgpr_workgroup_id_z 0
		.amdhsa_system_sgpr_workgroup_info 0
		.amdhsa_system_vgpr_workitem_id 0
		.amdhsa_next_free_vgpr 37
		.amdhsa_next_free_sgpr 33
		.amdhsa_reserve_vcc 1
		.amdhsa_reserve_flat_scratch 0
		.amdhsa_float_round_mode_32 0
		.amdhsa_float_round_mode_16_64 0
		.amdhsa_float_denorm_mode_32 3
		.amdhsa_float_denorm_mode_16_64 3
		.amdhsa_dx10_clamp 1
		.amdhsa_ieee_mode 1
		.amdhsa_fp16_overflow 0
		.amdhsa_exception_fp_ieee_invalid_op 0
		.amdhsa_exception_fp_denorm_src 0
		.amdhsa_exception_fp_ieee_div_zero 0
		.amdhsa_exception_fp_ieee_overflow 0
		.amdhsa_exception_fp_ieee_underflow 0
		.amdhsa_exception_fp_ieee_inexact 0
		.amdhsa_exception_int_div_zero 0
	.end_amdhsa_kernel
	.section	.text._ZN2at6native29vectorized_elementwise_kernelILi16EZZZNS0_19digamma_kernel_cudaERNS_18TensorIteratorBaseEENKUlvE_clEvENKUlvE0_clEvEUlfE_St5arrayIPcLm2EEEEviT0_T1_,"axG",@progbits,_ZN2at6native29vectorized_elementwise_kernelILi16EZZZNS0_19digamma_kernel_cudaERNS_18TensorIteratorBaseEENKUlvE_clEvENKUlvE0_clEvEUlfE_St5arrayIPcLm2EEEEviT0_T1_,comdat
.Lfunc_end12:
	.size	_ZN2at6native29vectorized_elementwise_kernelILi16EZZZNS0_19digamma_kernel_cudaERNS_18TensorIteratorBaseEENKUlvE_clEvENKUlvE0_clEvEUlfE_St5arrayIPcLm2EEEEviT0_T1_, .Lfunc_end12-_ZN2at6native29vectorized_elementwise_kernelILi16EZZZNS0_19digamma_kernel_cudaERNS_18TensorIteratorBaseEENKUlvE_clEvENKUlvE0_clEvEUlfE_St5arrayIPcLm2EEEEviT0_T1_
                                        ; -- End function
	.set _ZN2at6native29vectorized_elementwise_kernelILi16EZZZNS0_19digamma_kernel_cudaERNS_18TensorIteratorBaseEENKUlvE_clEvENKUlvE0_clEvEUlfE_St5arrayIPcLm2EEEEviT0_T1_.num_vgpr, max(32, .L_ZN2at6native25elementwise_kernel_helperILb0EZZZNS0_19digamma_kernel_cudaERNS_18TensorIteratorBaseEENKUlvE_clEvENKUlvE0_clEvEUlfE_NS0_6memory8policies10vectorizedILi4ESt5arrayIPcLm2EELi4EEEEEvT0_T1_.num_vgpr, .L_ZN2at6native25elementwise_kernel_helperILb0EZZZNS0_19digamma_kernel_cudaERNS_18TensorIteratorBaseEENKUlvE_clEvENKUlvE0_clEvEUlfE_NS0_6memory8policies11unroll_baseILi256ESt5arrayIPcLm2EE23TrivialOffsetCalculatorILi1EjESE_NS7_15LoadWithoutCastENS7_16StoreWithoutCastELi4ELi1EEEEEvT0_T1_.num_vgpr)
	.set _ZN2at6native29vectorized_elementwise_kernelILi16EZZZNS0_19digamma_kernel_cudaERNS_18TensorIteratorBaseEENKUlvE_clEvENKUlvE0_clEvEUlfE_St5arrayIPcLm2EEEEviT0_T1_.num_agpr, max(0, .L_ZN2at6native25elementwise_kernel_helperILb0EZZZNS0_19digamma_kernel_cudaERNS_18TensorIteratorBaseEENKUlvE_clEvENKUlvE0_clEvEUlfE_NS0_6memory8policies10vectorizedILi4ESt5arrayIPcLm2EELi4EEEEEvT0_T1_.num_agpr, .L_ZN2at6native25elementwise_kernel_helperILb0EZZZNS0_19digamma_kernel_cudaERNS_18TensorIteratorBaseEENKUlvE_clEvENKUlvE0_clEvEUlfE_NS0_6memory8policies11unroll_baseILi256ESt5arrayIPcLm2EE23TrivialOffsetCalculatorILi1EjESE_NS7_15LoadWithoutCastENS7_16StoreWithoutCastELi4ELi1EEEEEvT0_T1_.num_agpr)
	.set _ZN2at6native29vectorized_elementwise_kernelILi16EZZZNS0_19digamma_kernel_cudaERNS_18TensorIteratorBaseEENKUlvE_clEvENKUlvE0_clEvEUlfE_St5arrayIPcLm2EEEEviT0_T1_.numbered_sgpr, max(33, .L_ZN2at6native25elementwise_kernel_helperILb0EZZZNS0_19digamma_kernel_cudaERNS_18TensorIteratorBaseEENKUlvE_clEvENKUlvE0_clEvEUlfE_NS0_6memory8policies10vectorizedILi4ESt5arrayIPcLm2EELi4EEEEEvT0_T1_.numbered_sgpr, .L_ZN2at6native25elementwise_kernel_helperILb0EZZZNS0_19digamma_kernel_cudaERNS_18TensorIteratorBaseEENKUlvE_clEvENKUlvE0_clEvEUlfE_NS0_6memory8policies11unroll_baseILi256ESt5arrayIPcLm2EE23TrivialOffsetCalculatorILi1EjESE_NS7_15LoadWithoutCastENS7_16StoreWithoutCastELi4ELi1EEEEEvT0_T1_.numbered_sgpr)
	.set _ZN2at6native29vectorized_elementwise_kernelILi16EZZZNS0_19digamma_kernel_cudaERNS_18TensorIteratorBaseEENKUlvE_clEvENKUlvE0_clEvEUlfE_St5arrayIPcLm2EEEEviT0_T1_.num_named_barrier, max(0, .L_ZN2at6native25elementwise_kernel_helperILb0EZZZNS0_19digamma_kernel_cudaERNS_18TensorIteratorBaseEENKUlvE_clEvENKUlvE0_clEvEUlfE_NS0_6memory8policies10vectorizedILi4ESt5arrayIPcLm2EELi4EEEEEvT0_T1_.num_named_barrier, .L_ZN2at6native25elementwise_kernel_helperILb0EZZZNS0_19digamma_kernel_cudaERNS_18TensorIteratorBaseEENKUlvE_clEvENKUlvE0_clEvEUlfE_NS0_6memory8policies11unroll_baseILi256ESt5arrayIPcLm2EE23TrivialOffsetCalculatorILi1EjESE_NS7_15LoadWithoutCastENS7_16StoreWithoutCastELi4ELi1EEEEEvT0_T1_.num_named_barrier)
	.set _ZN2at6native29vectorized_elementwise_kernelILi16EZZZNS0_19digamma_kernel_cudaERNS_18TensorIteratorBaseEENKUlvE_clEvENKUlvE0_clEvEUlfE_St5arrayIPcLm2EEEEviT0_T1_.private_seg_size, 0+max(.L_ZN2at6native25elementwise_kernel_helperILb0EZZZNS0_19digamma_kernel_cudaERNS_18TensorIteratorBaseEENKUlvE_clEvENKUlvE0_clEvEUlfE_NS0_6memory8policies10vectorizedILi4ESt5arrayIPcLm2EELi4EEEEEvT0_T1_.private_seg_size, .L_ZN2at6native25elementwise_kernel_helperILb0EZZZNS0_19digamma_kernel_cudaERNS_18TensorIteratorBaseEENKUlvE_clEvENKUlvE0_clEvEUlfE_NS0_6memory8policies11unroll_baseILi256ESt5arrayIPcLm2EE23TrivialOffsetCalculatorILi1EjESE_NS7_15LoadWithoutCastENS7_16StoreWithoutCastELi4ELi1EEEEEvT0_T1_.private_seg_size)
	.set _ZN2at6native29vectorized_elementwise_kernelILi16EZZZNS0_19digamma_kernel_cudaERNS_18TensorIteratorBaseEENKUlvE_clEvENKUlvE0_clEvEUlfE_St5arrayIPcLm2EEEEviT0_T1_.uses_vcc, or(1, .L_ZN2at6native25elementwise_kernel_helperILb0EZZZNS0_19digamma_kernel_cudaERNS_18TensorIteratorBaseEENKUlvE_clEvENKUlvE0_clEvEUlfE_NS0_6memory8policies10vectorizedILi4ESt5arrayIPcLm2EELi4EEEEEvT0_T1_.uses_vcc, .L_ZN2at6native25elementwise_kernel_helperILb0EZZZNS0_19digamma_kernel_cudaERNS_18TensorIteratorBaseEENKUlvE_clEvENKUlvE0_clEvEUlfE_NS0_6memory8policies11unroll_baseILi256ESt5arrayIPcLm2EE23TrivialOffsetCalculatorILi1EjESE_NS7_15LoadWithoutCastENS7_16StoreWithoutCastELi4ELi1EEEEEvT0_T1_.uses_vcc)
	.set _ZN2at6native29vectorized_elementwise_kernelILi16EZZZNS0_19digamma_kernel_cudaERNS_18TensorIteratorBaseEENKUlvE_clEvENKUlvE0_clEvEUlfE_St5arrayIPcLm2EEEEviT0_T1_.uses_flat_scratch, or(0, .L_ZN2at6native25elementwise_kernel_helperILb0EZZZNS0_19digamma_kernel_cudaERNS_18TensorIteratorBaseEENKUlvE_clEvENKUlvE0_clEvEUlfE_NS0_6memory8policies10vectorizedILi4ESt5arrayIPcLm2EELi4EEEEEvT0_T1_.uses_flat_scratch, .L_ZN2at6native25elementwise_kernel_helperILb0EZZZNS0_19digamma_kernel_cudaERNS_18TensorIteratorBaseEENKUlvE_clEvENKUlvE0_clEvEUlfE_NS0_6memory8policies11unroll_baseILi256ESt5arrayIPcLm2EE23TrivialOffsetCalculatorILi1EjESE_NS7_15LoadWithoutCastENS7_16StoreWithoutCastELi4ELi1EEEEEvT0_T1_.uses_flat_scratch)
	.set _ZN2at6native29vectorized_elementwise_kernelILi16EZZZNS0_19digamma_kernel_cudaERNS_18TensorIteratorBaseEENKUlvE_clEvENKUlvE0_clEvEUlfE_St5arrayIPcLm2EEEEviT0_T1_.has_dyn_sized_stack, or(0, .L_ZN2at6native25elementwise_kernel_helperILb0EZZZNS0_19digamma_kernel_cudaERNS_18TensorIteratorBaseEENKUlvE_clEvENKUlvE0_clEvEUlfE_NS0_6memory8policies10vectorizedILi4ESt5arrayIPcLm2EELi4EEEEEvT0_T1_.has_dyn_sized_stack, .L_ZN2at6native25elementwise_kernel_helperILb0EZZZNS0_19digamma_kernel_cudaERNS_18TensorIteratorBaseEENKUlvE_clEvENKUlvE0_clEvEUlfE_NS0_6memory8policies11unroll_baseILi256ESt5arrayIPcLm2EE23TrivialOffsetCalculatorILi1EjESE_NS7_15LoadWithoutCastENS7_16StoreWithoutCastELi4ELi1EEEEEvT0_T1_.has_dyn_sized_stack)
	.set _ZN2at6native29vectorized_elementwise_kernelILi16EZZZNS0_19digamma_kernel_cudaERNS_18TensorIteratorBaseEENKUlvE_clEvENKUlvE0_clEvEUlfE_St5arrayIPcLm2EEEEviT0_T1_.has_recursion, or(0, .L_ZN2at6native25elementwise_kernel_helperILb0EZZZNS0_19digamma_kernel_cudaERNS_18TensorIteratorBaseEENKUlvE_clEvENKUlvE0_clEvEUlfE_NS0_6memory8policies10vectorizedILi4ESt5arrayIPcLm2EELi4EEEEEvT0_T1_.has_recursion, .L_ZN2at6native25elementwise_kernel_helperILb0EZZZNS0_19digamma_kernel_cudaERNS_18TensorIteratorBaseEENKUlvE_clEvENKUlvE0_clEvEUlfE_NS0_6memory8policies11unroll_baseILi256ESt5arrayIPcLm2EE23TrivialOffsetCalculatorILi1EjESE_NS7_15LoadWithoutCastENS7_16StoreWithoutCastELi4ELi1EEEEEvT0_T1_.has_recursion)
	.set _ZN2at6native29vectorized_elementwise_kernelILi16EZZZNS0_19digamma_kernel_cudaERNS_18TensorIteratorBaseEENKUlvE_clEvENKUlvE0_clEvEUlfE_St5arrayIPcLm2EEEEviT0_T1_.has_indirect_call, or(0, .L_ZN2at6native25elementwise_kernel_helperILb0EZZZNS0_19digamma_kernel_cudaERNS_18TensorIteratorBaseEENKUlvE_clEvENKUlvE0_clEvEUlfE_NS0_6memory8policies10vectorizedILi4ESt5arrayIPcLm2EELi4EEEEEvT0_T1_.has_indirect_call, .L_ZN2at6native25elementwise_kernel_helperILb0EZZZNS0_19digamma_kernel_cudaERNS_18TensorIteratorBaseEENKUlvE_clEvENKUlvE0_clEvEUlfE_NS0_6memory8policies11unroll_baseILi256ESt5arrayIPcLm2EE23TrivialOffsetCalculatorILi1EjESE_NS7_15LoadWithoutCastENS7_16StoreWithoutCastELi4ELi1EEEEEvT0_T1_.has_indirect_call)
	.section	.AMDGPU.csdata,"",@progbits
; Kernel info:
; codeLenInByte = 172
; TotalNumSgprs: 37
; NumVgprs: 37
; ScratchSize: 0
; MemoryBound: 0
; FloatMode: 240
; IeeeMode: 1
; LDSByteSize: 0 bytes/workgroup (compile time only)
; SGPRBlocks: 4
; VGPRBlocks: 9
; NumSGPRsForWavesPerEU: 37
; NumVGPRsForWavesPerEU: 37
; Occupancy: 6
; WaveLimiterHint : 0
; COMPUTE_PGM_RSRC2:SCRATCH_EN: 0
; COMPUTE_PGM_RSRC2:USER_SGPR: 6
; COMPUTE_PGM_RSRC2:TRAP_HANDLER: 0
; COMPUTE_PGM_RSRC2:TGID_X_EN: 1
; COMPUTE_PGM_RSRC2:TGID_Y_EN: 0
; COMPUTE_PGM_RSRC2:TGID_Z_EN: 0
; COMPUTE_PGM_RSRC2:TIDIG_COMP_CNT: 0
	.section	.text._ZN2at6native29vectorized_elementwise_kernelILi8EZZZNS0_19digamma_kernel_cudaERNS_18TensorIteratorBaseEENKUlvE_clEvENKUlvE0_clEvEUlfE_St5arrayIPcLm2EEEEviT0_T1_,"axG",@progbits,_ZN2at6native29vectorized_elementwise_kernelILi8EZZZNS0_19digamma_kernel_cudaERNS_18TensorIteratorBaseEENKUlvE_clEvENKUlvE0_clEvEUlfE_St5arrayIPcLm2EEEEviT0_T1_,comdat
	.globl	_ZN2at6native29vectorized_elementwise_kernelILi8EZZZNS0_19digamma_kernel_cudaERNS_18TensorIteratorBaseEENKUlvE_clEvENKUlvE0_clEvEUlfE_St5arrayIPcLm2EEEEviT0_T1_ ; -- Begin function _ZN2at6native29vectorized_elementwise_kernelILi8EZZZNS0_19digamma_kernel_cudaERNS_18TensorIteratorBaseEENKUlvE_clEvENKUlvE0_clEvEUlfE_St5arrayIPcLm2EEEEviT0_T1_
	.p2align	8
	.type	_ZN2at6native29vectorized_elementwise_kernelILi8EZZZNS0_19digamma_kernel_cudaERNS_18TensorIteratorBaseEENKUlvE_clEvENKUlvE0_clEvEUlfE_St5arrayIPcLm2EEEEviT0_T1_,@function
_ZN2at6native29vectorized_elementwise_kernelILi8EZZZNS0_19digamma_kernel_cudaERNS_18TensorIteratorBaseEENKUlvE_clEvENKUlvE0_clEvEUlfE_St5arrayIPcLm2EEEEviT0_T1_: ; @_ZN2at6native29vectorized_elementwise_kernelILi8EZZZNS0_19digamma_kernel_cudaERNS_18TensorIteratorBaseEENKUlvE_clEvENKUlvE0_clEvEUlfE_St5arrayIPcLm2EEEEviT0_T1_
; %bb.0:
	s_mov_b32 s20, s6
	s_load_dword s6, s[4:5], 0x0
	s_load_dwordx4 s[24:27], s[4:5], 0x8
	s_add_u32 s0, s0, s7
	s_addc_u32 s1, s1, 0
	s_lshl_b32 s4, s20, 10
	s_waitcnt lgkmcnt(0)
	s_sub_i32 s21, s6, s4
	v_mov_b32_e32 v31, v0
	s_cmpk_gt_i32 s21, 0x3ff
	s_mov_b64 s[4:5], -1
	s_mov_b32 s32, 0
	s_cbranch_scc1 .LBB13_3
; %bb.1:
	s_andn2_b64 vcc, exec, s[4:5]
	s_cbranch_vccz .LBB13_4
.LBB13_2:
	s_endpgm
.LBB13_3:
	s_getpc_b64 s[4:5]
	s_add_u32 s4, s4, _ZN2at6native25elementwise_kernel_helperILb0EZZZNS0_19digamma_kernel_cudaERNS_18TensorIteratorBaseEENKUlvE_clEvENKUlvE0_clEvEUlfE_NS0_6memory8policies10vectorizedILi4ESt5arrayIPcLm2EELi4EEEEEvT0_T1_@rel32@lo+4
	s_addc_u32 s5, s5, _ZN2at6native25elementwise_kernel_helperILb0EZZZNS0_19digamma_kernel_cudaERNS_18TensorIteratorBaseEENKUlvE_clEvENKUlvE0_clEvEUlfE_NS0_6memory8policies10vectorizedILi4ESt5arrayIPcLm2EELi4EEEEEvT0_T1_@rel32@hi+12
	s_mov_b32 s12, s20
	v_mov_b32_e32 v0, s24
	v_mov_b32_e32 v1, s25
	;; [unrolled: 1-line block ×4, first 2 shown]
	s_swappc_b64 s[30:31], s[4:5]
	s_cbranch_execnz .LBB13_2
.LBB13_4:
	s_getpc_b64 s[4:5]
	s_add_u32 s4, s4, _ZN2at6native25elementwise_kernel_helperILb0EZZZNS0_19digamma_kernel_cudaERNS_18TensorIteratorBaseEENKUlvE_clEvENKUlvE0_clEvEUlfE_NS0_6memory8policies11unroll_baseILi256ESt5arrayIPcLm2EE23TrivialOffsetCalculatorILi1EjESE_NS7_15LoadWithoutCastENS7_16StoreWithoutCastELi4ELi1EEEEEvT0_T1_@rel32@lo+4
	s_addc_u32 s5, s5, _ZN2at6native25elementwise_kernel_helperILb0EZZZNS0_19digamma_kernel_cudaERNS_18TensorIteratorBaseEENKUlvE_clEvENKUlvE0_clEvEUlfE_NS0_6memory8policies11unroll_baseILi256ESt5arrayIPcLm2EE23TrivialOffsetCalculatorILi1EjESE_NS7_15LoadWithoutCastENS7_16StoreWithoutCastELi4ELi1EEEEEvT0_T1_@rel32@hi+12
	s_mov_b32 s12, s20
	v_mov_b32_e32 v0, s24
	v_mov_b32_e32 v1, s25
	;; [unrolled: 1-line block ×5, first 2 shown]
	s_swappc_b64 s[30:31], s[4:5]
	s_endpgm
	.section	.rodata,"a",@progbits
	.p2align	6, 0x0
	.amdhsa_kernel _ZN2at6native29vectorized_elementwise_kernelILi8EZZZNS0_19digamma_kernel_cudaERNS_18TensorIteratorBaseEENKUlvE_clEvENKUlvE0_clEvEUlfE_St5arrayIPcLm2EEEEviT0_T1_
		.amdhsa_group_segment_fixed_size 0
		.amdhsa_private_segment_fixed_size 0
		.amdhsa_kernarg_size 24
		.amdhsa_user_sgpr_count 6
		.amdhsa_user_sgpr_private_segment_buffer 1
		.amdhsa_user_sgpr_dispatch_ptr 0
		.amdhsa_user_sgpr_queue_ptr 0
		.amdhsa_user_sgpr_kernarg_segment_ptr 1
		.amdhsa_user_sgpr_dispatch_id 0
		.amdhsa_user_sgpr_flat_scratch_init 0
		.amdhsa_user_sgpr_private_segment_size 0
		.amdhsa_uses_dynamic_stack 0
		.amdhsa_system_sgpr_private_segment_wavefront_offset 0
		.amdhsa_system_sgpr_workgroup_id_x 1
		.amdhsa_system_sgpr_workgroup_id_y 0
		.amdhsa_system_sgpr_workgroup_id_z 0
		.amdhsa_system_sgpr_workgroup_info 0
		.amdhsa_system_vgpr_workitem_id 0
		.amdhsa_next_free_vgpr 37
		.amdhsa_next_free_sgpr 33
		.amdhsa_reserve_vcc 1
		.amdhsa_reserve_flat_scratch 0
		.amdhsa_float_round_mode_32 0
		.amdhsa_float_round_mode_16_64 0
		.amdhsa_float_denorm_mode_32 3
		.amdhsa_float_denorm_mode_16_64 3
		.amdhsa_dx10_clamp 1
		.amdhsa_ieee_mode 1
		.amdhsa_fp16_overflow 0
		.amdhsa_exception_fp_ieee_invalid_op 0
		.amdhsa_exception_fp_denorm_src 0
		.amdhsa_exception_fp_ieee_div_zero 0
		.amdhsa_exception_fp_ieee_overflow 0
		.amdhsa_exception_fp_ieee_underflow 0
		.amdhsa_exception_fp_ieee_inexact 0
		.amdhsa_exception_int_div_zero 0
	.end_amdhsa_kernel
	.section	.text._ZN2at6native29vectorized_elementwise_kernelILi8EZZZNS0_19digamma_kernel_cudaERNS_18TensorIteratorBaseEENKUlvE_clEvENKUlvE0_clEvEUlfE_St5arrayIPcLm2EEEEviT0_T1_,"axG",@progbits,_ZN2at6native29vectorized_elementwise_kernelILi8EZZZNS0_19digamma_kernel_cudaERNS_18TensorIteratorBaseEENKUlvE_clEvENKUlvE0_clEvEUlfE_St5arrayIPcLm2EEEEviT0_T1_,comdat
.Lfunc_end13:
	.size	_ZN2at6native29vectorized_elementwise_kernelILi8EZZZNS0_19digamma_kernel_cudaERNS_18TensorIteratorBaseEENKUlvE_clEvENKUlvE0_clEvEUlfE_St5arrayIPcLm2EEEEviT0_T1_, .Lfunc_end13-_ZN2at6native29vectorized_elementwise_kernelILi8EZZZNS0_19digamma_kernel_cudaERNS_18TensorIteratorBaseEENKUlvE_clEvENKUlvE0_clEvEUlfE_St5arrayIPcLm2EEEEviT0_T1_
                                        ; -- End function
	.set _ZN2at6native29vectorized_elementwise_kernelILi8EZZZNS0_19digamma_kernel_cudaERNS_18TensorIteratorBaseEENKUlvE_clEvENKUlvE0_clEvEUlfE_St5arrayIPcLm2EEEEviT0_T1_.num_vgpr, max(32, .L_ZN2at6native25elementwise_kernel_helperILb0EZZZNS0_19digamma_kernel_cudaERNS_18TensorIteratorBaseEENKUlvE_clEvENKUlvE0_clEvEUlfE_NS0_6memory8policies10vectorizedILi4ESt5arrayIPcLm2EELi4EEEEEvT0_T1_.num_vgpr, .L_ZN2at6native25elementwise_kernel_helperILb0EZZZNS0_19digamma_kernel_cudaERNS_18TensorIteratorBaseEENKUlvE_clEvENKUlvE0_clEvEUlfE_NS0_6memory8policies11unroll_baseILi256ESt5arrayIPcLm2EE23TrivialOffsetCalculatorILi1EjESE_NS7_15LoadWithoutCastENS7_16StoreWithoutCastELi4ELi1EEEEEvT0_T1_.num_vgpr)
	.set _ZN2at6native29vectorized_elementwise_kernelILi8EZZZNS0_19digamma_kernel_cudaERNS_18TensorIteratorBaseEENKUlvE_clEvENKUlvE0_clEvEUlfE_St5arrayIPcLm2EEEEviT0_T1_.num_agpr, max(0, .L_ZN2at6native25elementwise_kernel_helperILb0EZZZNS0_19digamma_kernel_cudaERNS_18TensorIteratorBaseEENKUlvE_clEvENKUlvE0_clEvEUlfE_NS0_6memory8policies10vectorizedILi4ESt5arrayIPcLm2EELi4EEEEEvT0_T1_.num_agpr, .L_ZN2at6native25elementwise_kernel_helperILb0EZZZNS0_19digamma_kernel_cudaERNS_18TensorIteratorBaseEENKUlvE_clEvENKUlvE0_clEvEUlfE_NS0_6memory8policies11unroll_baseILi256ESt5arrayIPcLm2EE23TrivialOffsetCalculatorILi1EjESE_NS7_15LoadWithoutCastENS7_16StoreWithoutCastELi4ELi1EEEEEvT0_T1_.num_agpr)
	.set _ZN2at6native29vectorized_elementwise_kernelILi8EZZZNS0_19digamma_kernel_cudaERNS_18TensorIteratorBaseEENKUlvE_clEvENKUlvE0_clEvEUlfE_St5arrayIPcLm2EEEEviT0_T1_.numbered_sgpr, max(33, .L_ZN2at6native25elementwise_kernel_helperILb0EZZZNS0_19digamma_kernel_cudaERNS_18TensorIteratorBaseEENKUlvE_clEvENKUlvE0_clEvEUlfE_NS0_6memory8policies10vectorizedILi4ESt5arrayIPcLm2EELi4EEEEEvT0_T1_.numbered_sgpr, .L_ZN2at6native25elementwise_kernel_helperILb0EZZZNS0_19digamma_kernel_cudaERNS_18TensorIteratorBaseEENKUlvE_clEvENKUlvE0_clEvEUlfE_NS0_6memory8policies11unroll_baseILi256ESt5arrayIPcLm2EE23TrivialOffsetCalculatorILi1EjESE_NS7_15LoadWithoutCastENS7_16StoreWithoutCastELi4ELi1EEEEEvT0_T1_.numbered_sgpr)
	.set _ZN2at6native29vectorized_elementwise_kernelILi8EZZZNS0_19digamma_kernel_cudaERNS_18TensorIteratorBaseEENKUlvE_clEvENKUlvE0_clEvEUlfE_St5arrayIPcLm2EEEEviT0_T1_.num_named_barrier, max(0, .L_ZN2at6native25elementwise_kernel_helperILb0EZZZNS0_19digamma_kernel_cudaERNS_18TensorIteratorBaseEENKUlvE_clEvENKUlvE0_clEvEUlfE_NS0_6memory8policies10vectorizedILi4ESt5arrayIPcLm2EELi4EEEEEvT0_T1_.num_named_barrier, .L_ZN2at6native25elementwise_kernel_helperILb0EZZZNS0_19digamma_kernel_cudaERNS_18TensorIteratorBaseEENKUlvE_clEvENKUlvE0_clEvEUlfE_NS0_6memory8policies11unroll_baseILi256ESt5arrayIPcLm2EE23TrivialOffsetCalculatorILi1EjESE_NS7_15LoadWithoutCastENS7_16StoreWithoutCastELi4ELi1EEEEEvT0_T1_.num_named_barrier)
	.set _ZN2at6native29vectorized_elementwise_kernelILi8EZZZNS0_19digamma_kernel_cudaERNS_18TensorIteratorBaseEENKUlvE_clEvENKUlvE0_clEvEUlfE_St5arrayIPcLm2EEEEviT0_T1_.private_seg_size, 0+max(.L_ZN2at6native25elementwise_kernel_helperILb0EZZZNS0_19digamma_kernel_cudaERNS_18TensorIteratorBaseEENKUlvE_clEvENKUlvE0_clEvEUlfE_NS0_6memory8policies10vectorizedILi4ESt5arrayIPcLm2EELi4EEEEEvT0_T1_.private_seg_size, .L_ZN2at6native25elementwise_kernel_helperILb0EZZZNS0_19digamma_kernel_cudaERNS_18TensorIteratorBaseEENKUlvE_clEvENKUlvE0_clEvEUlfE_NS0_6memory8policies11unroll_baseILi256ESt5arrayIPcLm2EE23TrivialOffsetCalculatorILi1EjESE_NS7_15LoadWithoutCastENS7_16StoreWithoutCastELi4ELi1EEEEEvT0_T1_.private_seg_size)
	.set _ZN2at6native29vectorized_elementwise_kernelILi8EZZZNS0_19digamma_kernel_cudaERNS_18TensorIteratorBaseEENKUlvE_clEvENKUlvE0_clEvEUlfE_St5arrayIPcLm2EEEEviT0_T1_.uses_vcc, or(1, .L_ZN2at6native25elementwise_kernel_helperILb0EZZZNS0_19digamma_kernel_cudaERNS_18TensorIteratorBaseEENKUlvE_clEvENKUlvE0_clEvEUlfE_NS0_6memory8policies10vectorizedILi4ESt5arrayIPcLm2EELi4EEEEEvT0_T1_.uses_vcc, .L_ZN2at6native25elementwise_kernel_helperILb0EZZZNS0_19digamma_kernel_cudaERNS_18TensorIteratorBaseEENKUlvE_clEvENKUlvE0_clEvEUlfE_NS0_6memory8policies11unroll_baseILi256ESt5arrayIPcLm2EE23TrivialOffsetCalculatorILi1EjESE_NS7_15LoadWithoutCastENS7_16StoreWithoutCastELi4ELi1EEEEEvT0_T1_.uses_vcc)
	.set _ZN2at6native29vectorized_elementwise_kernelILi8EZZZNS0_19digamma_kernel_cudaERNS_18TensorIteratorBaseEENKUlvE_clEvENKUlvE0_clEvEUlfE_St5arrayIPcLm2EEEEviT0_T1_.uses_flat_scratch, or(0, .L_ZN2at6native25elementwise_kernel_helperILb0EZZZNS0_19digamma_kernel_cudaERNS_18TensorIteratorBaseEENKUlvE_clEvENKUlvE0_clEvEUlfE_NS0_6memory8policies10vectorizedILi4ESt5arrayIPcLm2EELi4EEEEEvT0_T1_.uses_flat_scratch, .L_ZN2at6native25elementwise_kernel_helperILb0EZZZNS0_19digamma_kernel_cudaERNS_18TensorIteratorBaseEENKUlvE_clEvENKUlvE0_clEvEUlfE_NS0_6memory8policies11unroll_baseILi256ESt5arrayIPcLm2EE23TrivialOffsetCalculatorILi1EjESE_NS7_15LoadWithoutCastENS7_16StoreWithoutCastELi4ELi1EEEEEvT0_T1_.uses_flat_scratch)
	.set _ZN2at6native29vectorized_elementwise_kernelILi8EZZZNS0_19digamma_kernel_cudaERNS_18TensorIteratorBaseEENKUlvE_clEvENKUlvE0_clEvEUlfE_St5arrayIPcLm2EEEEviT0_T1_.has_dyn_sized_stack, or(0, .L_ZN2at6native25elementwise_kernel_helperILb0EZZZNS0_19digamma_kernel_cudaERNS_18TensorIteratorBaseEENKUlvE_clEvENKUlvE0_clEvEUlfE_NS0_6memory8policies10vectorizedILi4ESt5arrayIPcLm2EELi4EEEEEvT0_T1_.has_dyn_sized_stack, .L_ZN2at6native25elementwise_kernel_helperILb0EZZZNS0_19digamma_kernel_cudaERNS_18TensorIteratorBaseEENKUlvE_clEvENKUlvE0_clEvEUlfE_NS0_6memory8policies11unroll_baseILi256ESt5arrayIPcLm2EE23TrivialOffsetCalculatorILi1EjESE_NS7_15LoadWithoutCastENS7_16StoreWithoutCastELi4ELi1EEEEEvT0_T1_.has_dyn_sized_stack)
	.set _ZN2at6native29vectorized_elementwise_kernelILi8EZZZNS0_19digamma_kernel_cudaERNS_18TensorIteratorBaseEENKUlvE_clEvENKUlvE0_clEvEUlfE_St5arrayIPcLm2EEEEviT0_T1_.has_recursion, or(0, .L_ZN2at6native25elementwise_kernel_helperILb0EZZZNS0_19digamma_kernel_cudaERNS_18TensorIteratorBaseEENKUlvE_clEvENKUlvE0_clEvEUlfE_NS0_6memory8policies10vectorizedILi4ESt5arrayIPcLm2EELi4EEEEEvT0_T1_.has_recursion, .L_ZN2at6native25elementwise_kernel_helperILb0EZZZNS0_19digamma_kernel_cudaERNS_18TensorIteratorBaseEENKUlvE_clEvENKUlvE0_clEvEUlfE_NS0_6memory8policies11unroll_baseILi256ESt5arrayIPcLm2EE23TrivialOffsetCalculatorILi1EjESE_NS7_15LoadWithoutCastENS7_16StoreWithoutCastELi4ELi1EEEEEvT0_T1_.has_recursion)
	.set _ZN2at6native29vectorized_elementwise_kernelILi8EZZZNS0_19digamma_kernel_cudaERNS_18TensorIteratorBaseEENKUlvE_clEvENKUlvE0_clEvEUlfE_St5arrayIPcLm2EEEEviT0_T1_.has_indirect_call, or(0, .L_ZN2at6native25elementwise_kernel_helperILb0EZZZNS0_19digamma_kernel_cudaERNS_18TensorIteratorBaseEENKUlvE_clEvENKUlvE0_clEvEUlfE_NS0_6memory8policies10vectorizedILi4ESt5arrayIPcLm2EELi4EEEEEvT0_T1_.has_indirect_call, .L_ZN2at6native25elementwise_kernel_helperILb0EZZZNS0_19digamma_kernel_cudaERNS_18TensorIteratorBaseEENKUlvE_clEvENKUlvE0_clEvEUlfE_NS0_6memory8policies11unroll_baseILi256ESt5arrayIPcLm2EE23TrivialOffsetCalculatorILi1EjESE_NS7_15LoadWithoutCastENS7_16StoreWithoutCastELi4ELi1EEEEEvT0_T1_.has_indirect_call)
	.section	.AMDGPU.csdata,"",@progbits
; Kernel info:
; codeLenInByte = 172
; TotalNumSgprs: 37
; NumVgprs: 37
; ScratchSize: 0
; MemoryBound: 0
; FloatMode: 240
; IeeeMode: 1
; LDSByteSize: 0 bytes/workgroup (compile time only)
; SGPRBlocks: 4
; VGPRBlocks: 9
; NumSGPRsForWavesPerEU: 37
; NumVGPRsForWavesPerEU: 37
; Occupancy: 6
; WaveLimiterHint : 0
; COMPUTE_PGM_RSRC2:SCRATCH_EN: 0
; COMPUTE_PGM_RSRC2:USER_SGPR: 6
; COMPUTE_PGM_RSRC2:TRAP_HANDLER: 0
; COMPUTE_PGM_RSRC2:TGID_X_EN: 1
; COMPUTE_PGM_RSRC2:TGID_Y_EN: 0
; COMPUTE_PGM_RSRC2:TGID_Z_EN: 0
; COMPUTE_PGM_RSRC2:TIDIG_COMP_CNT: 0
	.section	.text._ZN2at6native29vectorized_elementwise_kernelILi4EZZZNS0_19digamma_kernel_cudaERNS_18TensorIteratorBaseEENKUlvE_clEvENKUlvE0_clEvEUlfE_St5arrayIPcLm2EEEEviT0_T1_,"axG",@progbits,_ZN2at6native29vectorized_elementwise_kernelILi4EZZZNS0_19digamma_kernel_cudaERNS_18TensorIteratorBaseEENKUlvE_clEvENKUlvE0_clEvEUlfE_St5arrayIPcLm2EEEEviT0_T1_,comdat
	.globl	_ZN2at6native29vectorized_elementwise_kernelILi4EZZZNS0_19digamma_kernel_cudaERNS_18TensorIteratorBaseEENKUlvE_clEvENKUlvE0_clEvEUlfE_St5arrayIPcLm2EEEEviT0_T1_ ; -- Begin function _ZN2at6native29vectorized_elementwise_kernelILi4EZZZNS0_19digamma_kernel_cudaERNS_18TensorIteratorBaseEENKUlvE_clEvENKUlvE0_clEvEUlfE_St5arrayIPcLm2EEEEviT0_T1_
	.p2align	8
	.type	_ZN2at6native29vectorized_elementwise_kernelILi4EZZZNS0_19digamma_kernel_cudaERNS_18TensorIteratorBaseEENKUlvE_clEvENKUlvE0_clEvEUlfE_St5arrayIPcLm2EEEEviT0_T1_,@function
_ZN2at6native29vectorized_elementwise_kernelILi4EZZZNS0_19digamma_kernel_cudaERNS_18TensorIteratorBaseEENKUlvE_clEvENKUlvE0_clEvEUlfE_St5arrayIPcLm2EEEEviT0_T1_: ; @_ZN2at6native29vectorized_elementwise_kernelILi4EZZZNS0_19digamma_kernel_cudaERNS_18TensorIteratorBaseEENKUlvE_clEvENKUlvE0_clEvEUlfE_St5arrayIPcLm2EEEEviT0_T1_
; %bb.0:
	s_mov_b32 s20, s6
	s_load_dword s6, s[4:5], 0x0
	s_load_dwordx4 s[24:27], s[4:5], 0x8
	s_add_u32 s0, s0, s7
	s_addc_u32 s1, s1, 0
	s_lshl_b32 s4, s20, 10
	s_waitcnt lgkmcnt(0)
	s_sub_i32 s21, s6, s4
	v_mov_b32_e32 v31, v0
	s_cmpk_gt_i32 s21, 0x3ff
	s_mov_b64 s[4:5], -1
	s_mov_b32 s32, 0
	s_cbranch_scc1 .LBB14_3
; %bb.1:
	s_andn2_b64 vcc, exec, s[4:5]
	s_cbranch_vccz .LBB14_4
.LBB14_2:
	s_endpgm
.LBB14_3:
	s_getpc_b64 s[4:5]
	s_add_u32 s4, s4, _ZN2at6native25elementwise_kernel_helperILb0EZZZNS0_19digamma_kernel_cudaERNS_18TensorIteratorBaseEENKUlvE_clEvENKUlvE0_clEvEUlfE_NS0_6memory8policies10vectorizedILi4ESt5arrayIPcLm2EELi4EEEEEvT0_T1_@rel32@lo+4
	s_addc_u32 s5, s5, _ZN2at6native25elementwise_kernel_helperILb0EZZZNS0_19digamma_kernel_cudaERNS_18TensorIteratorBaseEENKUlvE_clEvENKUlvE0_clEvEUlfE_NS0_6memory8policies10vectorizedILi4ESt5arrayIPcLm2EELi4EEEEEvT0_T1_@rel32@hi+12
	s_mov_b32 s12, s20
	v_mov_b32_e32 v0, s24
	v_mov_b32_e32 v1, s25
	;; [unrolled: 1-line block ×4, first 2 shown]
	s_swappc_b64 s[30:31], s[4:5]
	s_cbranch_execnz .LBB14_2
.LBB14_4:
	s_getpc_b64 s[4:5]
	s_add_u32 s4, s4, _ZN2at6native25elementwise_kernel_helperILb0EZZZNS0_19digamma_kernel_cudaERNS_18TensorIteratorBaseEENKUlvE_clEvENKUlvE0_clEvEUlfE_NS0_6memory8policies11unroll_baseILi256ESt5arrayIPcLm2EE23TrivialOffsetCalculatorILi1EjESE_NS7_15LoadWithoutCastENS7_16StoreWithoutCastELi4ELi1EEEEEvT0_T1_@rel32@lo+4
	s_addc_u32 s5, s5, _ZN2at6native25elementwise_kernel_helperILb0EZZZNS0_19digamma_kernel_cudaERNS_18TensorIteratorBaseEENKUlvE_clEvENKUlvE0_clEvEUlfE_NS0_6memory8policies11unroll_baseILi256ESt5arrayIPcLm2EE23TrivialOffsetCalculatorILi1EjESE_NS7_15LoadWithoutCastENS7_16StoreWithoutCastELi4ELi1EEEEEvT0_T1_@rel32@hi+12
	s_mov_b32 s12, s20
	v_mov_b32_e32 v0, s24
	v_mov_b32_e32 v1, s25
	;; [unrolled: 1-line block ×5, first 2 shown]
	s_swappc_b64 s[30:31], s[4:5]
	s_endpgm
	.section	.rodata,"a",@progbits
	.p2align	6, 0x0
	.amdhsa_kernel _ZN2at6native29vectorized_elementwise_kernelILi4EZZZNS0_19digamma_kernel_cudaERNS_18TensorIteratorBaseEENKUlvE_clEvENKUlvE0_clEvEUlfE_St5arrayIPcLm2EEEEviT0_T1_
		.amdhsa_group_segment_fixed_size 0
		.amdhsa_private_segment_fixed_size 0
		.amdhsa_kernarg_size 24
		.amdhsa_user_sgpr_count 6
		.amdhsa_user_sgpr_private_segment_buffer 1
		.amdhsa_user_sgpr_dispatch_ptr 0
		.amdhsa_user_sgpr_queue_ptr 0
		.amdhsa_user_sgpr_kernarg_segment_ptr 1
		.amdhsa_user_sgpr_dispatch_id 0
		.amdhsa_user_sgpr_flat_scratch_init 0
		.amdhsa_user_sgpr_private_segment_size 0
		.amdhsa_uses_dynamic_stack 0
		.amdhsa_system_sgpr_private_segment_wavefront_offset 0
		.amdhsa_system_sgpr_workgroup_id_x 1
		.amdhsa_system_sgpr_workgroup_id_y 0
		.amdhsa_system_sgpr_workgroup_id_z 0
		.amdhsa_system_sgpr_workgroup_info 0
		.amdhsa_system_vgpr_workitem_id 0
		.amdhsa_next_free_vgpr 37
		.amdhsa_next_free_sgpr 33
		.amdhsa_reserve_vcc 1
		.amdhsa_reserve_flat_scratch 0
		.amdhsa_float_round_mode_32 0
		.amdhsa_float_round_mode_16_64 0
		.amdhsa_float_denorm_mode_32 3
		.amdhsa_float_denorm_mode_16_64 3
		.amdhsa_dx10_clamp 1
		.amdhsa_ieee_mode 1
		.amdhsa_fp16_overflow 0
		.amdhsa_exception_fp_ieee_invalid_op 0
		.amdhsa_exception_fp_denorm_src 0
		.amdhsa_exception_fp_ieee_div_zero 0
		.amdhsa_exception_fp_ieee_overflow 0
		.amdhsa_exception_fp_ieee_underflow 0
		.amdhsa_exception_fp_ieee_inexact 0
		.amdhsa_exception_int_div_zero 0
	.end_amdhsa_kernel
	.section	.text._ZN2at6native29vectorized_elementwise_kernelILi4EZZZNS0_19digamma_kernel_cudaERNS_18TensorIteratorBaseEENKUlvE_clEvENKUlvE0_clEvEUlfE_St5arrayIPcLm2EEEEviT0_T1_,"axG",@progbits,_ZN2at6native29vectorized_elementwise_kernelILi4EZZZNS0_19digamma_kernel_cudaERNS_18TensorIteratorBaseEENKUlvE_clEvENKUlvE0_clEvEUlfE_St5arrayIPcLm2EEEEviT0_T1_,comdat
.Lfunc_end14:
	.size	_ZN2at6native29vectorized_elementwise_kernelILi4EZZZNS0_19digamma_kernel_cudaERNS_18TensorIteratorBaseEENKUlvE_clEvENKUlvE0_clEvEUlfE_St5arrayIPcLm2EEEEviT0_T1_, .Lfunc_end14-_ZN2at6native29vectorized_elementwise_kernelILi4EZZZNS0_19digamma_kernel_cudaERNS_18TensorIteratorBaseEENKUlvE_clEvENKUlvE0_clEvEUlfE_St5arrayIPcLm2EEEEviT0_T1_
                                        ; -- End function
	.set _ZN2at6native29vectorized_elementwise_kernelILi4EZZZNS0_19digamma_kernel_cudaERNS_18TensorIteratorBaseEENKUlvE_clEvENKUlvE0_clEvEUlfE_St5arrayIPcLm2EEEEviT0_T1_.num_vgpr, max(32, .L_ZN2at6native25elementwise_kernel_helperILb0EZZZNS0_19digamma_kernel_cudaERNS_18TensorIteratorBaseEENKUlvE_clEvENKUlvE0_clEvEUlfE_NS0_6memory8policies10vectorizedILi4ESt5arrayIPcLm2EELi4EEEEEvT0_T1_.num_vgpr, .L_ZN2at6native25elementwise_kernel_helperILb0EZZZNS0_19digamma_kernel_cudaERNS_18TensorIteratorBaseEENKUlvE_clEvENKUlvE0_clEvEUlfE_NS0_6memory8policies11unroll_baseILi256ESt5arrayIPcLm2EE23TrivialOffsetCalculatorILi1EjESE_NS7_15LoadWithoutCastENS7_16StoreWithoutCastELi4ELi1EEEEEvT0_T1_.num_vgpr)
	.set _ZN2at6native29vectorized_elementwise_kernelILi4EZZZNS0_19digamma_kernel_cudaERNS_18TensorIteratorBaseEENKUlvE_clEvENKUlvE0_clEvEUlfE_St5arrayIPcLm2EEEEviT0_T1_.num_agpr, max(0, .L_ZN2at6native25elementwise_kernel_helperILb0EZZZNS0_19digamma_kernel_cudaERNS_18TensorIteratorBaseEENKUlvE_clEvENKUlvE0_clEvEUlfE_NS0_6memory8policies10vectorizedILi4ESt5arrayIPcLm2EELi4EEEEEvT0_T1_.num_agpr, .L_ZN2at6native25elementwise_kernel_helperILb0EZZZNS0_19digamma_kernel_cudaERNS_18TensorIteratorBaseEENKUlvE_clEvENKUlvE0_clEvEUlfE_NS0_6memory8policies11unroll_baseILi256ESt5arrayIPcLm2EE23TrivialOffsetCalculatorILi1EjESE_NS7_15LoadWithoutCastENS7_16StoreWithoutCastELi4ELi1EEEEEvT0_T1_.num_agpr)
	.set _ZN2at6native29vectorized_elementwise_kernelILi4EZZZNS0_19digamma_kernel_cudaERNS_18TensorIteratorBaseEENKUlvE_clEvENKUlvE0_clEvEUlfE_St5arrayIPcLm2EEEEviT0_T1_.numbered_sgpr, max(33, .L_ZN2at6native25elementwise_kernel_helperILb0EZZZNS0_19digamma_kernel_cudaERNS_18TensorIteratorBaseEENKUlvE_clEvENKUlvE0_clEvEUlfE_NS0_6memory8policies10vectorizedILi4ESt5arrayIPcLm2EELi4EEEEEvT0_T1_.numbered_sgpr, .L_ZN2at6native25elementwise_kernel_helperILb0EZZZNS0_19digamma_kernel_cudaERNS_18TensorIteratorBaseEENKUlvE_clEvENKUlvE0_clEvEUlfE_NS0_6memory8policies11unroll_baseILi256ESt5arrayIPcLm2EE23TrivialOffsetCalculatorILi1EjESE_NS7_15LoadWithoutCastENS7_16StoreWithoutCastELi4ELi1EEEEEvT0_T1_.numbered_sgpr)
	.set _ZN2at6native29vectorized_elementwise_kernelILi4EZZZNS0_19digamma_kernel_cudaERNS_18TensorIteratorBaseEENKUlvE_clEvENKUlvE0_clEvEUlfE_St5arrayIPcLm2EEEEviT0_T1_.num_named_barrier, max(0, .L_ZN2at6native25elementwise_kernel_helperILb0EZZZNS0_19digamma_kernel_cudaERNS_18TensorIteratorBaseEENKUlvE_clEvENKUlvE0_clEvEUlfE_NS0_6memory8policies10vectorizedILi4ESt5arrayIPcLm2EELi4EEEEEvT0_T1_.num_named_barrier, .L_ZN2at6native25elementwise_kernel_helperILb0EZZZNS0_19digamma_kernel_cudaERNS_18TensorIteratorBaseEENKUlvE_clEvENKUlvE0_clEvEUlfE_NS0_6memory8policies11unroll_baseILi256ESt5arrayIPcLm2EE23TrivialOffsetCalculatorILi1EjESE_NS7_15LoadWithoutCastENS7_16StoreWithoutCastELi4ELi1EEEEEvT0_T1_.num_named_barrier)
	.set _ZN2at6native29vectorized_elementwise_kernelILi4EZZZNS0_19digamma_kernel_cudaERNS_18TensorIteratorBaseEENKUlvE_clEvENKUlvE0_clEvEUlfE_St5arrayIPcLm2EEEEviT0_T1_.private_seg_size, 0+max(.L_ZN2at6native25elementwise_kernel_helperILb0EZZZNS0_19digamma_kernel_cudaERNS_18TensorIteratorBaseEENKUlvE_clEvENKUlvE0_clEvEUlfE_NS0_6memory8policies10vectorizedILi4ESt5arrayIPcLm2EELi4EEEEEvT0_T1_.private_seg_size, .L_ZN2at6native25elementwise_kernel_helperILb0EZZZNS0_19digamma_kernel_cudaERNS_18TensorIteratorBaseEENKUlvE_clEvENKUlvE0_clEvEUlfE_NS0_6memory8policies11unroll_baseILi256ESt5arrayIPcLm2EE23TrivialOffsetCalculatorILi1EjESE_NS7_15LoadWithoutCastENS7_16StoreWithoutCastELi4ELi1EEEEEvT0_T1_.private_seg_size)
	.set _ZN2at6native29vectorized_elementwise_kernelILi4EZZZNS0_19digamma_kernel_cudaERNS_18TensorIteratorBaseEENKUlvE_clEvENKUlvE0_clEvEUlfE_St5arrayIPcLm2EEEEviT0_T1_.uses_vcc, or(1, .L_ZN2at6native25elementwise_kernel_helperILb0EZZZNS0_19digamma_kernel_cudaERNS_18TensorIteratorBaseEENKUlvE_clEvENKUlvE0_clEvEUlfE_NS0_6memory8policies10vectorizedILi4ESt5arrayIPcLm2EELi4EEEEEvT0_T1_.uses_vcc, .L_ZN2at6native25elementwise_kernel_helperILb0EZZZNS0_19digamma_kernel_cudaERNS_18TensorIteratorBaseEENKUlvE_clEvENKUlvE0_clEvEUlfE_NS0_6memory8policies11unroll_baseILi256ESt5arrayIPcLm2EE23TrivialOffsetCalculatorILi1EjESE_NS7_15LoadWithoutCastENS7_16StoreWithoutCastELi4ELi1EEEEEvT0_T1_.uses_vcc)
	.set _ZN2at6native29vectorized_elementwise_kernelILi4EZZZNS0_19digamma_kernel_cudaERNS_18TensorIteratorBaseEENKUlvE_clEvENKUlvE0_clEvEUlfE_St5arrayIPcLm2EEEEviT0_T1_.uses_flat_scratch, or(0, .L_ZN2at6native25elementwise_kernel_helperILb0EZZZNS0_19digamma_kernel_cudaERNS_18TensorIteratorBaseEENKUlvE_clEvENKUlvE0_clEvEUlfE_NS0_6memory8policies10vectorizedILi4ESt5arrayIPcLm2EELi4EEEEEvT0_T1_.uses_flat_scratch, .L_ZN2at6native25elementwise_kernel_helperILb0EZZZNS0_19digamma_kernel_cudaERNS_18TensorIteratorBaseEENKUlvE_clEvENKUlvE0_clEvEUlfE_NS0_6memory8policies11unroll_baseILi256ESt5arrayIPcLm2EE23TrivialOffsetCalculatorILi1EjESE_NS7_15LoadWithoutCastENS7_16StoreWithoutCastELi4ELi1EEEEEvT0_T1_.uses_flat_scratch)
	.set _ZN2at6native29vectorized_elementwise_kernelILi4EZZZNS0_19digamma_kernel_cudaERNS_18TensorIteratorBaseEENKUlvE_clEvENKUlvE0_clEvEUlfE_St5arrayIPcLm2EEEEviT0_T1_.has_dyn_sized_stack, or(0, .L_ZN2at6native25elementwise_kernel_helperILb0EZZZNS0_19digamma_kernel_cudaERNS_18TensorIteratorBaseEENKUlvE_clEvENKUlvE0_clEvEUlfE_NS0_6memory8policies10vectorizedILi4ESt5arrayIPcLm2EELi4EEEEEvT0_T1_.has_dyn_sized_stack, .L_ZN2at6native25elementwise_kernel_helperILb0EZZZNS0_19digamma_kernel_cudaERNS_18TensorIteratorBaseEENKUlvE_clEvENKUlvE0_clEvEUlfE_NS0_6memory8policies11unroll_baseILi256ESt5arrayIPcLm2EE23TrivialOffsetCalculatorILi1EjESE_NS7_15LoadWithoutCastENS7_16StoreWithoutCastELi4ELi1EEEEEvT0_T1_.has_dyn_sized_stack)
	.set _ZN2at6native29vectorized_elementwise_kernelILi4EZZZNS0_19digamma_kernel_cudaERNS_18TensorIteratorBaseEENKUlvE_clEvENKUlvE0_clEvEUlfE_St5arrayIPcLm2EEEEviT0_T1_.has_recursion, or(0, .L_ZN2at6native25elementwise_kernel_helperILb0EZZZNS0_19digamma_kernel_cudaERNS_18TensorIteratorBaseEENKUlvE_clEvENKUlvE0_clEvEUlfE_NS0_6memory8policies10vectorizedILi4ESt5arrayIPcLm2EELi4EEEEEvT0_T1_.has_recursion, .L_ZN2at6native25elementwise_kernel_helperILb0EZZZNS0_19digamma_kernel_cudaERNS_18TensorIteratorBaseEENKUlvE_clEvENKUlvE0_clEvEUlfE_NS0_6memory8policies11unroll_baseILi256ESt5arrayIPcLm2EE23TrivialOffsetCalculatorILi1EjESE_NS7_15LoadWithoutCastENS7_16StoreWithoutCastELi4ELi1EEEEEvT0_T1_.has_recursion)
	.set _ZN2at6native29vectorized_elementwise_kernelILi4EZZZNS0_19digamma_kernel_cudaERNS_18TensorIteratorBaseEENKUlvE_clEvENKUlvE0_clEvEUlfE_St5arrayIPcLm2EEEEviT0_T1_.has_indirect_call, or(0, .L_ZN2at6native25elementwise_kernel_helperILb0EZZZNS0_19digamma_kernel_cudaERNS_18TensorIteratorBaseEENKUlvE_clEvENKUlvE0_clEvEUlfE_NS0_6memory8policies10vectorizedILi4ESt5arrayIPcLm2EELi4EEEEEvT0_T1_.has_indirect_call, .L_ZN2at6native25elementwise_kernel_helperILb0EZZZNS0_19digamma_kernel_cudaERNS_18TensorIteratorBaseEENKUlvE_clEvENKUlvE0_clEvEUlfE_NS0_6memory8policies11unroll_baseILi256ESt5arrayIPcLm2EE23TrivialOffsetCalculatorILi1EjESE_NS7_15LoadWithoutCastENS7_16StoreWithoutCastELi4ELi1EEEEEvT0_T1_.has_indirect_call)
	.section	.AMDGPU.csdata,"",@progbits
; Kernel info:
; codeLenInByte = 172
; TotalNumSgprs: 37
; NumVgprs: 37
; ScratchSize: 0
; MemoryBound: 0
; FloatMode: 240
; IeeeMode: 1
; LDSByteSize: 0 bytes/workgroup (compile time only)
; SGPRBlocks: 4
; VGPRBlocks: 9
; NumSGPRsForWavesPerEU: 37
; NumVGPRsForWavesPerEU: 37
; Occupancy: 6
; WaveLimiterHint : 0
; COMPUTE_PGM_RSRC2:SCRATCH_EN: 0
; COMPUTE_PGM_RSRC2:USER_SGPR: 6
; COMPUTE_PGM_RSRC2:TRAP_HANDLER: 0
; COMPUTE_PGM_RSRC2:TGID_X_EN: 1
; COMPUTE_PGM_RSRC2:TGID_Y_EN: 0
; COMPUTE_PGM_RSRC2:TGID_Z_EN: 0
; COMPUTE_PGM_RSRC2:TIDIG_COMP_CNT: 0
	.section	.text._ZN2at6native29vectorized_elementwise_kernelILi2EZZZNS0_19digamma_kernel_cudaERNS_18TensorIteratorBaseEENKUlvE_clEvENKUlvE0_clEvEUlfE_St5arrayIPcLm2EEEEviT0_T1_,"axG",@progbits,_ZN2at6native29vectorized_elementwise_kernelILi2EZZZNS0_19digamma_kernel_cudaERNS_18TensorIteratorBaseEENKUlvE_clEvENKUlvE0_clEvEUlfE_St5arrayIPcLm2EEEEviT0_T1_,comdat
	.globl	_ZN2at6native29vectorized_elementwise_kernelILi2EZZZNS0_19digamma_kernel_cudaERNS_18TensorIteratorBaseEENKUlvE_clEvENKUlvE0_clEvEUlfE_St5arrayIPcLm2EEEEviT0_T1_ ; -- Begin function _ZN2at6native29vectorized_elementwise_kernelILi2EZZZNS0_19digamma_kernel_cudaERNS_18TensorIteratorBaseEENKUlvE_clEvENKUlvE0_clEvEUlfE_St5arrayIPcLm2EEEEviT0_T1_
	.p2align	8
	.type	_ZN2at6native29vectorized_elementwise_kernelILi2EZZZNS0_19digamma_kernel_cudaERNS_18TensorIteratorBaseEENKUlvE_clEvENKUlvE0_clEvEUlfE_St5arrayIPcLm2EEEEviT0_T1_,@function
_ZN2at6native29vectorized_elementwise_kernelILi2EZZZNS0_19digamma_kernel_cudaERNS_18TensorIteratorBaseEENKUlvE_clEvENKUlvE0_clEvEUlfE_St5arrayIPcLm2EEEEviT0_T1_: ; @_ZN2at6native29vectorized_elementwise_kernelILi2EZZZNS0_19digamma_kernel_cudaERNS_18TensorIteratorBaseEENKUlvE_clEvENKUlvE0_clEvEUlfE_St5arrayIPcLm2EEEEviT0_T1_
; %bb.0:
	s_add_u32 s0, s0, s7
	s_load_dword s7, s[4:5], 0x0
	s_load_dwordx4 s[8:11], s[4:5], 0x8
	s_addc_u32 s1, s1, 0
	s_lshl_b32 s4, s6, 10
	s_mov_b64 s[12:13], -1
	s_waitcnt lgkmcnt(0)
	s_sub_i32 s7, s7, s4
	s_cmpk_gt_i32 s7, 0x3ff
	s_mov_b32 s32, 0
	s_cbranch_scc1 .LBB15_3
; %bb.1:
	s_and_b64 vcc, exec, s[12:13]
	s_cbranch_vccnz .LBB15_100
.LBB15_2:
	s_endpgm
.LBB15_3:
	s_ashr_i32 s5, s4, 31
	s_lshl_b64 s[12:13], s[4:5], 2
	s_add_u32 s4, s10, s12
	s_addc_u32 s5, s11, s13
	v_lshlrev_b32_e32 v12, 3, v0
	global_load_dwordx2 v[5:6], v12, s[4:5]
	global_load_dwordx2 v[1:2], v12, s[4:5] offset:2048
	v_mov_b32_e32 v4, 0
                                        ; implicit-def: $vgpr3
	s_waitcnt vmcnt(1)
	v_cmp_neq_f32_e32 vcc, 0, v5
	s_and_saveexec_b64 s[4:5], vcc
	s_xor_b64 s[14:15], exec, s[4:5]
	s_cbranch_execz .LBB15_25
; %bb.4:
	v_cmp_gt_f32_e32 vcc, 0, v5
	s_mov_b64 s[4:5], -1
	v_mov_b32_e32 v7, v5
	s_and_saveexec_b64 s[16:17], vcc
	s_cbranch_execz .LBB15_12
; %bb.5:
	v_trunc_f32_e32 v3, v5
	v_cmp_neq_f32_e32 vcc, v5, v3
	s_mov_b64 s[20:21], 0
	v_mov_b32_e32 v4, 0
                                        ; implicit-def: $vgpr7
	s_and_saveexec_b64 s[18:19], vcc
	s_cbranch_execz .LBB15_11
; %bb.6:
	v_cvt_f64_f32_e32 v[3:4], v5
	s_mov_b32 s4, 0
	s_mov_b32 s21, 0xc00921fb
	;; [unrolled: 1-line block ×3, first 2 shown]
	v_trunc_f64_e32 v[7:8], v[3:4]
	s_mov_b32 s5, 0x7ff00000
	v_cmp_neq_f64_e64 vcc, |v[3:4]|, s[4:5]
	v_bfrev_b32_e32 v9, 1
	s_mov_b32 s22, 0
	s_mov_b32 s23, 0x41d00000
                                        ; implicit-def: $vgpr11
	v_add_f64 v[7:8], v[3:4], -v[7:8]
	v_mul_f64 v[7:8], |v[7:8]|, s[20:21]
	v_cndmask_b32_e32 v4, v9, v8, vcc
	v_cndmask_b32_e32 v3, 0, v7, vcc
	v_cmp_nlt_f64_e64 s[22:23], |v[3:4]|, s[22:23]
                                        ; implicit-def: $vgpr7_vgpr8
                                        ; implicit-def: $vgpr9_vgpr10
	s_and_saveexec_b64 s[24:25], s[22:23]
	s_xor_b64 s[22:23], exec, s[24:25]
	s_cbranch_execz .LBB15_8
; %bb.7:
	v_trig_preop_f64 v[7:8], |v[3:4]|, 0
	s_mov_b32 s24, 0
	s_mov_b32 s25, 0x7b000000
	s_movk_i32 s21, 0xff80
	v_ldexp_f64 v[13:14], |v[3:4]|, s21
	v_cmp_ge_f64_e64 vcc, |v[3:4]|, s[24:25]
	v_trig_preop_f64 v[9:10], |v[3:4]|, 1
	v_and_b32_e32 v11, 0x7fffffff, v4
	v_trig_preop_f64 v[21:22], |v[3:4]|, 2
	v_mov_b32_e32 v31, 0
	s_mov_b32 s21, 0x3ff921fb
	v_cndmask_b32_e32 v14, v11, v14, vcc
	v_cndmask_b32_e32 v13, v3, v13, vcc
	v_mov_b32_e32 v11, 0x40100000
	v_mul_f64 v[15:16], v[7:8], v[13:14]
	v_mul_f64 v[17:18], v[9:10], v[13:14]
	;; [unrolled: 1-line block ×3, first 2 shown]
	v_fma_f64 v[7:8], v[7:8], v[13:14], -v[15:16]
	v_fma_f64 v[9:10], v[9:10], v[13:14], -v[17:18]
	;; [unrolled: 1-line block ×3, first 2 shown]
	v_add_f64 v[19:20], v[17:18], v[7:8]
	v_add_f64 v[23:24], v[19:20], -v[17:18]
	v_add_f64 v[29:30], v[15:16], v[19:20]
	v_add_f64 v[25:26], v[19:20], -v[23:24]
	v_add_f64 v[7:8], v[7:8], -v[23:24]
	v_add_f64 v[23:24], v[27:28], v[9:10]
	v_add_f64 v[15:16], v[29:30], -v[15:16]
	v_add_f64 v[17:18], v[17:18], -v[25:26]
	v_ldexp_f64 v[25:26], v[29:30], -2
	v_add_f64 v[33:34], v[23:24], -v[27:28]
	v_add_f64 v[15:16], v[19:20], -v[15:16]
	v_add_f64 v[7:8], v[7:8], v[17:18]
	v_fract_f64_e32 v[17:18], v[25:26]
	v_cmp_neq_f64_e64 vcc, |v[25:26]|, s[4:5]
	v_add_f64 v[9:10], v[9:10], -v[33:34]
	v_add_f64 v[19:20], v[23:24], v[7:8]
	v_ldexp_f64 v[17:18], v[17:18], 2
	v_add_f64 v[25:26], v[15:16], v[19:20]
	v_cndmask_b32_e32 v18, 0, v18, vcc
	v_cndmask_b32_e32 v17, 0, v17, vcc
	v_add_f64 v[35:36], v[19:20], -v[23:24]
	v_add_f64 v[29:30], v[25:26], v[17:18]
	v_add_f64 v[15:16], v[25:26], -v[15:16]
	v_add_f64 v[37:38], v[19:20], -v[35:36]
	;; [unrolled: 1-line block ×3, first 2 shown]
	v_cmp_gt_f64_e32 vcc, 0, v[29:30]
	v_add_f64 v[29:30], v[23:24], -v[33:34]
	v_add_f64 v[15:16], v[19:20], -v[15:16]
	;; [unrolled: 1-line block ×3, first 2 shown]
	v_cndmask_b32_e32 v32, 0, v11, vcc
	v_add_f64 v[17:18], v[17:18], v[31:32]
	v_add_f64 v[29:30], v[27:28], -v[29:30]
	v_add_f64 v[7:8], v[7:8], v[23:24]
	v_add_f64 v[32:33], v[25:26], v[17:18]
	;; [unrolled: 1-line block ×3, first 2 shown]
	v_cvt_i32_f64_e32 v11, v[32:33]
	v_add_f64 v[7:8], v[9:10], v[7:8]
	v_cvt_f64_i32_e32 v[32:33], v11
	v_add_f64 v[17:18], v[17:18], -v[32:33]
	v_add_f64 v[7:8], v[13:14], v[7:8]
	v_add_f64 v[9:10], v[25:26], v[17:18]
	;; [unrolled: 1-line block ×3, first 2 shown]
	v_mov_b32_e32 v15, 0x3ff00000
	v_add_f64 v[13:14], v[9:10], -v[17:18]
	v_cmp_le_f64_e32 vcc, 0.5, v[9:10]
	v_add_f64 v[13:14], v[25:26], -v[13:14]
	v_cndmask_b32_e32 v32, 0, v15, vcc
	v_add_f64 v[9:10], v[9:10], -v[31:32]
	v_addc_co_u32_e64 v11, s[4:5], 0, v11, vcc
	s_mov_b32 s4, 0x33145c07
	s_mov_b32 s5, 0x3c91a626
	v_add_f64 v[7:8], v[7:8], v[13:14]
	v_add_f64 v[13:14], v[9:10], v[7:8]
	v_mul_f64 v[15:16], v[13:14], s[20:21]
	v_add_f64 v[9:10], v[13:14], -v[9:10]
	v_fma_f64 v[17:18], v[13:14], s[20:21], -v[15:16]
	v_add_f64 v[7:8], v[7:8], -v[9:10]
	v_fma_f64 v[9:10], v[13:14], s[4:5], v[17:18]
	v_fma_f64 v[9:10], v[7:8], s[20:21], v[9:10]
	v_add_f64 v[7:8], v[15:16], v[9:10]
	v_add_f64 v[13:14], v[7:8], -v[15:16]
	v_add_f64 v[9:10], v[9:10], -v[13:14]
.LBB15_8:
	s_andn2_saveexec_b64 s[4:5], s[22:23]
	s_cbranch_execz .LBB15_10
; %bb.9:
	s_mov_b32 s20, 0x6dc9c883
	s_mov_b32 s21, 0x3fe45f30
	v_mul_f64 v[7:8], |v[3:4]|, s[20:21]
	s_mov_b32 s20, 0x54442d18
	s_mov_b32 s21, 0xbff921fb
	;; [unrolled: 1-line block ×4, first 2 shown]
	v_rndne_f64_e32 v[13:14], v[7:8]
	v_fma_f64 v[7:8], v[13:14], s[20:21], |v[3:4]|
	v_mul_f64 v[9:10], v[13:14], s[22:23]
	s_mov_b32 s20, 0x252049c0
	s_mov_b32 s21, 0xb97b839a
	v_cvt_i32_f64_e32 v11, v[13:14]
	v_fma_f64 v[19:20], v[13:14], s[22:23], v[7:8]
	v_add_f64 v[15:16], v[7:8], v[9:10]
	s_mov_b32 s23, 0x3c91a626
	v_add_f64 v[17:18], v[7:8], -v[15:16]
	v_add_f64 v[15:16], v[15:16], -v[19:20]
	v_add_f64 v[7:8], v[17:18], v[9:10]
	v_fma_f64 v[9:10], v[13:14], s[22:23], v[9:10]
	v_add_f64 v[7:8], v[15:16], v[7:8]
	v_add_f64 v[7:8], v[7:8], -v[9:10]
	v_fma_f64 v[9:10], v[13:14], s[20:21], v[7:8]
	v_add_f64 v[7:8], v[19:20], v[9:10]
	v_add_f64 v[15:16], v[7:8], -v[19:20]
	v_add_f64 v[9:10], v[9:10], -v[15:16]
.LBB15_10:
	s_or_b64 exec, exec, s[4:5]
	v_mul_f64 v[13:14], v[7:8], v[7:8]
	v_add_f64 v[15:16], v[9:10], v[9:10]
	s_mov_b32 s4, 0xc751c08c
	s_mov_b32 s5, 0x3ef5e089
	v_and_b32_e32 v11, 1, v11
	v_cmp_eq_u32_e32 vcc, 0, v11
	s_mov_b32 s22, 0x54442d18
	s_mov_b32 s23, 0xc00921fb
	v_fma_f64 v[17:18], v[7:8], v[7:8], -v[13:14]
	s_mov_b64 s[20:21], exec
	v_fma_f64 v[15:16], v[7:8], v[15:16], v[17:18]
	v_add_f64 v[13:14], v[13:14], v[15:16]
	v_mov_b32_e32 v15, 0xa9a29f71
	v_mov_b32_e32 v16, 0xbf078809
	v_fma_f64 v[15:16], v[13:14], s[4:5], v[15:16]
	s_mov_b32 s4, 0x90a8aae0
	s_mov_b32 s5, 0x3f17746f
	v_fma_f64 v[15:16], v[13:14], v[15:16], s[4:5]
	s_mov_b32 s4, 0xa6fbf144
	s_mov_b32 s5, 0xbefbb44d
	v_fma_f64 v[15:16], v[13:14], v[15:16], s[4:5]
	s_mov_b32 s4, 0xa7943acf
	s_mov_b32 s5, 0x3f21e634
	v_fma_f64 v[15:16], v[13:14], v[15:16], s[4:5]
	s_mov_b32 s4, 0xdeb68feb
	s_mov_b32 s5, 0x3f2d250f
	v_fma_f64 v[15:16], v[13:14], v[15:16], s[4:5]
	s_mov_b32 s4, 0xb58c4d95
	s_mov_b32 s5, 0x3f437fd9
	v_fma_f64 v[15:16], v[13:14], v[15:16], s[4:5]
	s_mov_b32 s4, 0x15120e2c
	s_mov_b32 s5, 0x3f57d5af
	v_fma_f64 v[15:16], v[13:14], v[15:16], s[4:5]
	s_mov_b32 s4, 0xe09491df
	s_mov_b32 s5, 0x3f6d6d93
	v_fma_f64 v[15:16], v[13:14], v[15:16], s[4:5]
	s_mov_b32 s4, 0x2033784d
	s_mov_b32 s5, 0x3f8226e1
	v_fma_f64 v[15:16], v[13:14], v[15:16], s[4:5]
	s_mov_b32 s4, 0x9ac36ae2
	s_mov_b32 s5, 0x3f9664f4
	v_fma_f64 v[15:16], v[13:14], v[15:16], s[4:5]
	s_mov_b32 s4, 0x1b451c21
	s_mov_b32 s5, 0x3faba1ba
	v_fma_f64 v[15:16], v[13:14], v[15:16], s[4:5]
	s_mov_b32 s4, 0x111185b7
	s_mov_b32 s5, 0x3fc11111
	v_fma_f64 v[15:16], v[13:14], v[15:16], s[4:5]
	s_mov_b32 s4, 0x555554ee
	s_mov_b32 s5, 0x3fd55555
	v_fma_f64 v[15:16], v[13:14], v[15:16], s[4:5]
	s_movk_i32 s4, 0x1f8
	v_cmp_class_f64_e64 s[4:5], v[3:4], s4
	v_mul_f64 v[13:14], v[13:14], v[15:16]
	v_mul_f64 v[15:16], v[7:8], v[13:14]
	v_add_f64 v[17:18], v[7:8], v[15:16]
	v_fma_f64 v[13:14], v[7:8], v[13:14], -v[15:16]
	v_add_f64 v[7:8], v[17:18], -v[7:8]
	v_add_f64 v[9:10], v[9:10], v[13:14]
	v_add_f64 v[7:8], v[15:16], -v[7:8]
	v_add_f64 v[7:8], v[9:10], v[7:8]
	v_add_f64 v[9:10], v[17:18], v[7:8]
	v_rcp_f64_e32 v[13:14], v[9:10]
	v_fma_f64 v[15:16], -v[9:10], v[13:14], 1.0
	v_fma_f64 v[13:14], v[15:16], v[13:14], v[13:14]
	v_fma_f64 v[15:16], -v[9:10], v[13:14], 1.0
	v_fma_f64 v[13:14], v[15:16], v[13:14], v[13:14]
	v_add_f64 v[15:16], v[9:10], -v[17:18]
	v_mul_f64 v[17:18], v[9:10], v[13:14]
	v_add_f64 v[7:8], v[7:8], -v[15:16]
	v_fma_f64 v[15:16], v[13:14], v[9:10], -v[17:18]
	v_fma_f64 v[7:8], v[13:14], v[7:8], v[15:16]
	v_add_f64 v[15:16], v[17:18], v[7:8]
	v_add_f64 v[19:20], -v[15:16], 1.0
	v_add_f64 v[17:18], v[15:16], -v[17:18]
	v_add_f64 v[21:22], -v[19:20], 1.0
	v_add_f64 v[7:8], v[17:18], -v[7:8]
	v_add_f64 v[15:16], v[21:22], -v[15:16]
	v_add_f64 v[7:8], v[7:8], v[15:16]
	v_add_f64 v[7:8], v[19:20], v[7:8]
	v_mul_f64 v[7:8], v[13:14], v[7:8]
	v_add_f64 v[7:8], v[13:14], v[7:8]
	v_and_b32_e32 v13, 0x80000000, v4
	v_mov_b32_e32 v4, 0x7ff80000
	v_xor_b32_e32 v3, 0x80000000, v8
	v_cndmask_b32_e32 v7, v7, v9, vcc
	v_cndmask_b32_e32 v8, v3, v10, vcc
	v_cndmask_b32_e64 v3, 0, v7, s[4:5]
	v_xor_b32_e32 v7, v8, v13
	v_cndmask_b32_e64 v4, v4, v7, s[4:5]
	v_div_scale_f64 v[7:8], s[4:5], v[3:4], v[3:4], s[22:23]
	v_div_scale_f64 v[15:16], vcc, s[22:23], v[3:4], s[22:23]
	v_rcp_f64_e32 v[9:10], v[7:8]
	v_fma_f64 v[13:14], -v[7:8], v[9:10], 1.0
	v_fma_f64 v[9:10], v[9:10], v[13:14], v[9:10]
	v_fma_f64 v[13:14], -v[7:8], v[9:10], 1.0
	v_fma_f64 v[9:10], v[9:10], v[13:14], v[9:10]
	v_mul_f64 v[13:14], v[15:16], v[9:10]
	v_fma_f64 v[7:8], -v[7:8], v[13:14], v[15:16]
	v_div_fmas_f64 v[7:8], v[7:8], v[9:10], v[13:14]
	v_div_fixup_f64 v[3:4], v[7:8], v[3:4], s[22:23]
	v_sub_f32_e32 v7, 1.0, v5
	v_cvt_f32_f64_e32 v4, v[3:4]
.LBB15_11:
	s_or_b64 exec, exec, s[18:19]
	s_orn2_b64 s[4:5], s[20:21], exec
.LBB15_12:
	s_or_b64 exec, exec, s[16:17]
	v_mov_b32_e32 v3, 0x7fc00000
	s_and_saveexec_b64 s[16:17], s[4:5]
	s_cbranch_execz .LBB15_24
; %bb.13:
	s_mov_b32 s20, 0x41200000
	v_cmp_gt_f32_e32 vcc, s20, v7
	s_and_saveexec_b64 s[4:5], vcc
	s_cbranch_execz .LBB15_17
; %bb.14:
	s_mov_b64 s[18:19], 0
.LBB15_15:                              ; =>This Inner Loop Header: Depth=1
	v_div_scale_f32 v3, s[22:23], v7, v7, 1.0
	v_div_scale_f32 v8, vcc, 1.0, v7, 1.0
	v_rcp_f32_e32 v9, v3
	v_fma_f32 v10, -v3, v9, 1.0
	v_fmac_f32_e32 v9, v10, v9
	v_mul_f32_e32 v10, v8, v9
	v_fma_f32 v11, -v3, v10, v8
	v_fmac_f32_e32 v10, v11, v9
	v_fma_f32 v3, -v3, v10, v8
	v_div_fmas_f32 v3, v3, v9, v10
	v_div_fixup_f32 v3, v3, v7, 1.0
	v_add_f32_e32 v7, 1.0, v7
	v_cmp_ngt_f32_e32 vcc, s20, v7
	s_or_b64 s[18:19], vcc, s[18:19]
	v_sub_f32_e32 v4, v4, v3
	s_andn2_b64 exec, exec, s[18:19]
	s_cbranch_execnz .LBB15_15
; %bb.16:
	s_or_b64 exec, exec, s[18:19]
.LBB15_17:
	s_or_b64 exec, exec, s[4:5]
	s_mov_b32 s4, 0x41200000
	v_cmp_neq_f32_e32 vcc, s4, v7
                                        ; implicit-def: $vgpr3
	s_and_saveexec_b64 s[4:5], vcc
	s_xor_b64 s[18:19], exec, s[4:5]
	s_cbranch_execz .LBB15_21
; %bb.18:
	v_cvt_f64_f32_e32 v[8:9], v7
	s_mov_b32 s4, 0x85d8a000
	s_mov_b32 s5, 0x43763457
	v_mov_b32_e32 v3, 0
	v_cmp_gt_f64_e32 vcc, s[4:5], v[8:9]
	s_and_saveexec_b64 s[4:5], vcc
	s_cbranch_execz .LBB15_20
; %bb.19:
	v_mul_f32_e32 v3, v7, v7
	v_div_scale_f32 v8, s[20:21], v3, v3, 1.0
	v_div_scale_f32 v9, vcc, 1.0, v3, 1.0
	v_mov_b32_e32 v14, 0x3b820821
	v_rcp_f32_e32 v10, v8
	v_fma_f32 v11, -v8, v10, 1.0
	v_fmac_f32_e32 v10, v11, v10
	v_mul_f32_e32 v11, v9, v10
	v_fma_f32 v13, -v8, v11, v9
	v_fmac_f32_e32 v11, v13, v10
	v_fma_f32 v8, -v8, v11, v9
	v_div_fmas_f32 v8, v8, v10, v11
	v_mov_b32_e32 v9, 0x3daaaaab
	v_mov_b32_e32 v10, 0xbcaccacd
	;; [unrolled: 1-line block ×4, first 2 shown]
	v_div_fixup_f32 v3, v8, v3, 1.0
	v_fma_f32 v8, 0, v3, v9
	v_fmac_f32_e32 v10, v3, v8
	v_fmac_f32_e32 v11, v3, v10
	;; [unrolled: 1-line block ×4, first 2 shown]
	v_mov_b32_e32 v8, 0xbc088889
	v_fmac_f32_e32 v8, v3, v14
	v_fmac_f32_e32 v9, v3, v8
	v_mul_f32_e32 v3, v3, v9
.LBB15_20:
	s_or_b64 exec, exec, s[4:5]
	v_div_scale_f32 v8, s[4:5], v7, v7, -0.5
	v_div_scale_f32 v9, vcc, -0.5, v7, -0.5
	s_mov_b32 s4, 0x800000
	v_cmp_gt_f32_e64 s[4:5], s4, v7
	v_cndmask_b32_e64 v11, 0, 32, s[4:5]
	s_mov_b32 s20, 0x3f317217
	v_rcp_f32_e32 v10, v8
	v_fma_f32 v13, -v8, v10, 1.0
	v_fmac_f32_e32 v10, v13, v10
	v_mul_f32_e32 v13, v9, v10
	v_fma_f32 v14, -v8, v13, v9
	v_fmac_f32_e32 v13, v14, v10
	v_fma_f32 v8, -v8, v13, v9
	v_div_fmas_f32 v8, v8, v10, v13
	v_ldexp_f32 v9, v7, v11
	v_log_f32_e32 v9, v9
	v_mul_f32_e32 v10, 0x3f317217, v9
	v_fma_f32 v10, v9, s20, -v10
	v_fmac_f32_e32 v10, 0x3377d1cf, v9
	s_mov_b32 s20, 0x7f800000
	v_fmac_f32_e32 v10, 0x3f317217, v9
	v_cmp_lt_f32_e64 vcc, |v9|, s20
	v_cndmask_b32_e32 v9, v9, v10, vcc
	v_mov_b32_e32 v10, 0x41b17218
	v_cndmask_b32_e64 v10, 0, v10, s[4:5]
	v_sub_f32_e32 v9, v9, v10
	v_div_fixup_f32 v7, v8, v7, -0.5
	v_add_f32_e32 v7, v9, v7
	v_sub_f32_e32 v3, v7, v3
	v_add_f32_e32 v3, v4, v3
                                        ; implicit-def: $vgpr4
.LBB15_21:
	s_andn2_saveexec_b64 s[4:5], s[18:19]
; %bb.22:
	v_add_f32_e32 v3, 0x40101cb7, v4
; %bb.23:
	s_or_b64 exec, exec, s[4:5]
.LBB15_24:
	s_or_b64 exec, exec, s[16:17]
.LBB15_25:
	s_andn2_saveexec_b64 s[4:5], s[14:15]
; %bb.26:
	v_xor_b32_e32 v3, 0x80000000, v5
	s_brev_b32 s14, -2
	v_mov_b32_e32 v4, 0x7f800000
	v_bfi_b32 v3, s14, v4, v3
; %bb.27:
	s_or_b64 exec, exec, s[4:5]
	v_cmp_neq_f32_e32 vcc, 0, v6
	s_and_saveexec_b64 s[4:5], vcc
	s_xor_b64 s[14:15], exec, s[4:5]
	s_cbranch_execz .LBB15_49
; %bb.28:
	v_mov_b32_e32 v5, 0
	v_cmp_gt_f32_e32 vcc, 0, v6
	s_mov_b64 s[4:5], -1
	s_and_saveexec_b64 s[16:17], vcc
	s_cbranch_execz .LBB15_36
; %bb.29:
	v_trunc_f32_e32 v4, v6
	v_cmp_neq_f32_e32 vcc, v6, v4
	s_mov_b64 s[20:21], 0
	v_mov_b32_e32 v5, 0
	s_and_saveexec_b64 s[18:19], vcc
	s_cbranch_execz .LBB15_35
; %bb.30:
	v_cvt_f64_f32_e32 v[4:5], v6
	s_mov_b32 s4, 0
	s_mov_b32 s21, 0xc00921fb
	;; [unrolled: 1-line block ×3, first 2 shown]
	v_trunc_f64_e32 v[7:8], v[4:5]
	s_mov_b32 s5, 0x7ff00000
	v_cmp_neq_f64_e64 vcc, |v[4:5]|, s[4:5]
	v_bfrev_b32_e32 v9, 1
	s_mov_b32 s22, 0
	s_mov_b32 s23, 0x41d00000
                                        ; implicit-def: $vgpr11
	v_add_f64 v[7:8], v[4:5], -v[7:8]
	v_mul_f64 v[7:8], |v[7:8]|, s[20:21]
	v_cndmask_b32_e32 v5, v9, v8, vcc
	v_cndmask_b32_e32 v4, 0, v7, vcc
	v_cmp_nlt_f64_e64 s[22:23], |v[4:5]|, s[22:23]
                                        ; implicit-def: $vgpr7_vgpr8
                                        ; implicit-def: $vgpr9_vgpr10
	s_and_saveexec_b64 s[24:25], s[22:23]
	s_xor_b64 s[22:23], exec, s[24:25]
	s_cbranch_execz .LBB15_32
; %bb.31:
	v_trig_preop_f64 v[7:8], |v[4:5]|, 0
	s_mov_b32 s24, 0
	s_mov_b32 s25, 0x7b000000
	s_movk_i32 s21, 0xff80
	v_ldexp_f64 v[13:14], |v[4:5]|, s21
	v_cmp_ge_f64_e64 vcc, |v[4:5]|, s[24:25]
	v_trig_preop_f64 v[9:10], |v[4:5]|, 1
	v_and_b32_e32 v11, 0x7fffffff, v5
	v_trig_preop_f64 v[21:22], |v[4:5]|, 2
	v_mov_b32_e32 v31, 0
	s_mov_b32 s21, 0x3ff921fb
	v_cndmask_b32_e32 v14, v11, v14, vcc
	v_cndmask_b32_e32 v13, v4, v13, vcc
	v_mov_b32_e32 v11, 0x40100000
	v_mul_f64 v[15:16], v[7:8], v[13:14]
	v_mul_f64 v[17:18], v[9:10], v[13:14]
	;; [unrolled: 1-line block ×3, first 2 shown]
	v_fma_f64 v[7:8], v[7:8], v[13:14], -v[15:16]
	v_fma_f64 v[9:10], v[9:10], v[13:14], -v[17:18]
	;; [unrolled: 1-line block ×3, first 2 shown]
	v_add_f64 v[19:20], v[17:18], v[7:8]
	v_add_f64 v[23:24], v[19:20], -v[17:18]
	v_add_f64 v[29:30], v[15:16], v[19:20]
	v_add_f64 v[25:26], v[19:20], -v[23:24]
	v_add_f64 v[7:8], v[7:8], -v[23:24]
	v_add_f64 v[23:24], v[27:28], v[9:10]
	v_add_f64 v[15:16], v[29:30], -v[15:16]
	v_add_f64 v[17:18], v[17:18], -v[25:26]
	v_ldexp_f64 v[25:26], v[29:30], -2
	v_add_f64 v[33:34], v[23:24], -v[27:28]
	v_add_f64 v[15:16], v[19:20], -v[15:16]
	v_add_f64 v[7:8], v[7:8], v[17:18]
	v_fract_f64_e32 v[17:18], v[25:26]
	v_cmp_neq_f64_e64 vcc, |v[25:26]|, s[4:5]
	v_add_f64 v[9:10], v[9:10], -v[33:34]
	v_add_f64 v[19:20], v[23:24], v[7:8]
	v_ldexp_f64 v[17:18], v[17:18], 2
	v_add_f64 v[25:26], v[15:16], v[19:20]
	v_cndmask_b32_e32 v18, 0, v18, vcc
	v_cndmask_b32_e32 v17, 0, v17, vcc
	v_add_f64 v[35:36], v[19:20], -v[23:24]
	v_add_f64 v[29:30], v[25:26], v[17:18]
	v_add_f64 v[15:16], v[25:26], -v[15:16]
	v_add_f64 v[37:38], v[19:20], -v[35:36]
	;; [unrolled: 1-line block ×3, first 2 shown]
	v_cmp_gt_f64_e32 vcc, 0, v[29:30]
	v_add_f64 v[29:30], v[23:24], -v[33:34]
	v_add_f64 v[15:16], v[19:20], -v[15:16]
	;; [unrolled: 1-line block ×3, first 2 shown]
	v_cndmask_b32_e32 v32, 0, v11, vcc
	v_add_f64 v[17:18], v[17:18], v[31:32]
	v_add_f64 v[29:30], v[27:28], -v[29:30]
	v_add_f64 v[7:8], v[7:8], v[23:24]
	v_add_f64 v[39:40], v[25:26], v[17:18]
	;; [unrolled: 1-line block ×3, first 2 shown]
	v_cvt_i32_f64_e32 v11, v[39:40]
	v_add_f64 v[7:8], v[9:10], v[7:8]
	v_cvt_f64_i32_e32 v[32:33], v11
	v_add_f64 v[17:18], v[17:18], -v[32:33]
	v_add_f64 v[7:8], v[13:14], v[7:8]
	v_add_f64 v[9:10], v[25:26], v[17:18]
	;; [unrolled: 1-line block ×3, first 2 shown]
	v_mov_b32_e32 v15, 0x3ff00000
	v_add_f64 v[13:14], v[9:10], -v[17:18]
	v_cmp_le_f64_e32 vcc, 0.5, v[9:10]
	v_add_f64 v[13:14], v[25:26], -v[13:14]
	v_cndmask_b32_e32 v32, 0, v15, vcc
	v_add_f64 v[9:10], v[9:10], -v[31:32]
	v_addc_co_u32_e64 v11, s[4:5], 0, v11, vcc
	s_mov_b32 s4, 0x33145c07
	s_mov_b32 s5, 0x3c91a626
	v_add_f64 v[7:8], v[7:8], v[13:14]
	v_add_f64 v[13:14], v[9:10], v[7:8]
	v_mul_f64 v[15:16], v[13:14], s[20:21]
	v_add_f64 v[9:10], v[13:14], -v[9:10]
	v_fma_f64 v[17:18], v[13:14], s[20:21], -v[15:16]
	v_add_f64 v[7:8], v[7:8], -v[9:10]
	v_fma_f64 v[9:10], v[13:14], s[4:5], v[17:18]
	v_fma_f64 v[9:10], v[7:8], s[20:21], v[9:10]
	v_add_f64 v[7:8], v[15:16], v[9:10]
	v_add_f64 v[13:14], v[7:8], -v[15:16]
	v_add_f64 v[9:10], v[9:10], -v[13:14]
.LBB15_32:
	s_andn2_saveexec_b64 s[4:5], s[22:23]
	s_cbranch_execz .LBB15_34
; %bb.33:
	s_mov_b32 s20, 0x6dc9c883
	s_mov_b32 s21, 0x3fe45f30
	v_mul_f64 v[7:8], |v[4:5]|, s[20:21]
	s_mov_b32 s20, 0x54442d18
	s_mov_b32 s21, 0xbff921fb
	;; [unrolled: 1-line block ×4, first 2 shown]
	v_rndne_f64_e32 v[13:14], v[7:8]
	v_fma_f64 v[7:8], v[13:14], s[20:21], |v[4:5]|
	v_mul_f64 v[9:10], v[13:14], s[22:23]
	s_mov_b32 s20, 0x252049c0
	s_mov_b32 s21, 0xb97b839a
	v_cvt_i32_f64_e32 v11, v[13:14]
	v_fma_f64 v[19:20], v[13:14], s[22:23], v[7:8]
	v_add_f64 v[15:16], v[7:8], v[9:10]
	s_mov_b32 s23, 0x3c91a626
	v_add_f64 v[17:18], v[7:8], -v[15:16]
	v_add_f64 v[15:16], v[15:16], -v[19:20]
	v_add_f64 v[7:8], v[17:18], v[9:10]
	v_fma_f64 v[9:10], v[13:14], s[22:23], v[9:10]
	v_add_f64 v[7:8], v[15:16], v[7:8]
	v_add_f64 v[7:8], v[7:8], -v[9:10]
	v_fma_f64 v[9:10], v[13:14], s[20:21], v[7:8]
	v_add_f64 v[7:8], v[19:20], v[9:10]
	v_add_f64 v[15:16], v[7:8], -v[19:20]
	v_add_f64 v[9:10], v[9:10], -v[15:16]
.LBB15_34:
	s_or_b64 exec, exec, s[4:5]
	v_mul_f64 v[13:14], v[7:8], v[7:8]
	v_add_f64 v[15:16], v[9:10], v[9:10]
	s_mov_b32 s4, 0xc751c08c
	s_mov_b32 s5, 0x3ef5e089
	v_and_b32_e32 v11, 1, v11
	v_cmp_eq_u32_e32 vcc, 0, v11
	s_mov_b32 s22, 0x54442d18
	s_mov_b32 s23, 0xc00921fb
	v_fma_f64 v[17:18], v[7:8], v[7:8], -v[13:14]
	s_mov_b64 s[20:21], exec
	v_sub_f32_e32 v6, 1.0, v6
	v_fma_f64 v[15:16], v[7:8], v[15:16], v[17:18]
	v_add_f64 v[13:14], v[13:14], v[15:16]
	v_mov_b32_e32 v15, 0xa9a29f71
	v_mov_b32_e32 v16, 0xbf078809
	v_fma_f64 v[15:16], v[13:14], s[4:5], v[15:16]
	s_mov_b32 s4, 0x90a8aae0
	s_mov_b32 s5, 0x3f17746f
	v_fma_f64 v[15:16], v[13:14], v[15:16], s[4:5]
	s_mov_b32 s4, 0xa6fbf144
	s_mov_b32 s5, 0xbefbb44d
	;; [unrolled: 3-line block ×12, first 2 shown]
	v_fma_f64 v[15:16], v[13:14], v[15:16], s[4:5]
	s_movk_i32 s4, 0x1f8
	v_cmp_class_f64_e64 s[4:5], v[4:5], s4
	v_mul_f64 v[13:14], v[13:14], v[15:16]
	v_mul_f64 v[15:16], v[7:8], v[13:14]
	v_add_f64 v[17:18], v[7:8], v[15:16]
	v_fma_f64 v[13:14], v[7:8], v[13:14], -v[15:16]
	v_add_f64 v[7:8], v[17:18], -v[7:8]
	v_add_f64 v[9:10], v[9:10], v[13:14]
	v_add_f64 v[7:8], v[15:16], -v[7:8]
	v_add_f64 v[7:8], v[9:10], v[7:8]
	v_add_f64 v[9:10], v[17:18], v[7:8]
	v_rcp_f64_e32 v[13:14], v[9:10]
	v_fma_f64 v[15:16], -v[9:10], v[13:14], 1.0
	v_fma_f64 v[13:14], v[15:16], v[13:14], v[13:14]
	v_fma_f64 v[15:16], -v[9:10], v[13:14], 1.0
	v_fma_f64 v[13:14], v[15:16], v[13:14], v[13:14]
	v_add_f64 v[15:16], v[9:10], -v[17:18]
	v_mul_f64 v[17:18], v[9:10], v[13:14]
	v_add_f64 v[7:8], v[7:8], -v[15:16]
	v_fma_f64 v[15:16], v[13:14], v[9:10], -v[17:18]
	v_fma_f64 v[7:8], v[13:14], v[7:8], v[15:16]
	v_add_f64 v[15:16], v[17:18], v[7:8]
	v_add_f64 v[19:20], -v[15:16], 1.0
	v_add_f64 v[17:18], v[15:16], -v[17:18]
	v_add_f64 v[21:22], -v[19:20], 1.0
	v_add_f64 v[7:8], v[17:18], -v[7:8]
	v_add_f64 v[15:16], v[21:22], -v[15:16]
	v_add_f64 v[7:8], v[7:8], v[15:16]
	v_add_f64 v[7:8], v[19:20], v[7:8]
	v_mul_f64 v[7:8], v[13:14], v[7:8]
	v_add_f64 v[7:8], v[13:14], v[7:8]
	v_and_b32_e32 v13, 0x80000000, v5
	v_mov_b32_e32 v5, 0x7ff80000
	v_xor_b32_e32 v4, 0x80000000, v8
	v_cndmask_b32_e32 v7, v7, v9, vcc
	v_cndmask_b32_e32 v8, v4, v10, vcc
	v_cndmask_b32_e64 v4, 0, v7, s[4:5]
	v_xor_b32_e32 v7, v8, v13
	v_cndmask_b32_e64 v5, v5, v7, s[4:5]
	v_div_scale_f64 v[7:8], s[4:5], v[4:5], v[4:5], s[22:23]
	v_div_scale_f64 v[15:16], vcc, s[22:23], v[4:5], s[22:23]
	v_rcp_f64_e32 v[9:10], v[7:8]
	v_fma_f64 v[13:14], -v[7:8], v[9:10], 1.0
	v_fma_f64 v[9:10], v[9:10], v[13:14], v[9:10]
	v_fma_f64 v[13:14], -v[7:8], v[9:10], 1.0
	v_fma_f64 v[9:10], v[9:10], v[13:14], v[9:10]
	v_mul_f64 v[13:14], v[15:16], v[9:10]
	v_fma_f64 v[7:8], -v[7:8], v[13:14], v[15:16]
	v_div_fmas_f64 v[7:8], v[7:8], v[9:10], v[13:14]
	v_div_fixup_f64 v[4:5], v[7:8], v[4:5], s[22:23]
	v_cvt_f32_f64_e32 v5, v[4:5]
.LBB15_35:
	s_or_b64 exec, exec, s[18:19]
	s_orn2_b64 s[4:5], s[20:21], exec
.LBB15_36:
	s_or_b64 exec, exec, s[16:17]
	v_mov_b32_e32 v4, 0x7fc00000
	s_and_saveexec_b64 s[16:17], s[4:5]
	s_cbranch_execz .LBB15_48
; %bb.37:
	s_mov_b32 s20, 0x41200000
	v_cmp_gt_f32_e32 vcc, s20, v6
	s_and_saveexec_b64 s[4:5], vcc
	s_cbranch_execz .LBB15_41
; %bb.38:
	s_mov_b64 s[18:19], 0
.LBB15_39:                              ; =>This Inner Loop Header: Depth=1
	v_div_scale_f32 v4, s[22:23], v6, v6, 1.0
	v_div_scale_f32 v7, vcc, 1.0, v6, 1.0
	v_rcp_f32_e32 v8, v4
	v_fma_f32 v9, -v4, v8, 1.0
	v_fmac_f32_e32 v8, v9, v8
	v_mul_f32_e32 v9, v7, v8
	v_fma_f32 v10, -v4, v9, v7
	v_fmac_f32_e32 v9, v10, v8
	v_fma_f32 v4, -v4, v9, v7
	v_div_fmas_f32 v4, v4, v8, v9
	v_div_fixup_f32 v4, v4, v6, 1.0
	v_add_f32_e32 v6, 1.0, v6
	v_cmp_ngt_f32_e32 vcc, s20, v6
	s_or_b64 s[18:19], vcc, s[18:19]
	v_sub_f32_e32 v5, v5, v4
	s_andn2_b64 exec, exec, s[18:19]
	s_cbranch_execnz .LBB15_39
; %bb.40:
	s_or_b64 exec, exec, s[18:19]
.LBB15_41:
	s_or_b64 exec, exec, s[4:5]
	s_mov_b32 s4, 0x41200000
	v_cmp_neq_f32_e32 vcc, s4, v6
	s_and_saveexec_b64 s[4:5], vcc
	s_xor_b64 s[18:19], exec, s[4:5]
	s_cbranch_execz .LBB15_45
; %bb.42:
	v_cvt_f64_f32_e32 v[7:8], v6
	s_mov_b32 s4, 0x85d8a000
	s_mov_b32 s5, 0x43763457
	v_mov_b32_e32 v4, 0
	v_cmp_gt_f64_e32 vcc, s[4:5], v[7:8]
	s_and_saveexec_b64 s[4:5], vcc
	s_cbranch_execz .LBB15_44
; %bb.43:
	v_mul_f32_e32 v4, v6, v6
	v_div_scale_f32 v7, s[20:21], v4, v4, 1.0
	v_div_scale_f32 v8, vcc, 1.0, v4, 1.0
	v_mov_b32_e32 v13, 0x3b820821
	v_rcp_f32_e32 v9, v7
	v_fma_f32 v10, -v7, v9, 1.0
	v_fmac_f32_e32 v9, v10, v9
	v_mul_f32_e32 v10, v8, v9
	v_fma_f32 v11, -v7, v10, v8
	v_fmac_f32_e32 v10, v11, v9
	v_fma_f32 v7, -v7, v10, v8
	v_div_fmas_f32 v7, v7, v9, v10
	v_mov_b32_e32 v8, 0x3daaaaab
	v_mov_b32_e32 v9, 0xbcaccacd
	;; [unrolled: 1-line block ×4, first 2 shown]
	v_div_fixup_f32 v4, v7, v4, 1.0
	v_fma_f32 v7, 0, v4, v8
	v_fmac_f32_e32 v9, v4, v7
	v_fmac_f32_e32 v10, v4, v9
	;; [unrolled: 1-line block ×4, first 2 shown]
	v_mov_b32_e32 v7, 0xbc088889
	v_fmac_f32_e32 v7, v4, v13
	v_fmac_f32_e32 v8, v4, v7
	v_mul_f32_e32 v4, v4, v8
.LBB15_44:
	s_or_b64 exec, exec, s[4:5]
	v_div_scale_f32 v7, s[4:5], v6, v6, -0.5
	v_div_scale_f32 v8, vcc, -0.5, v6, -0.5
	s_mov_b32 s4, 0x800000
	v_cmp_gt_f32_e64 s[4:5], s4, v6
	v_cndmask_b32_e64 v10, 0, 32, s[4:5]
	s_mov_b32 s20, 0x3f317217
	v_rcp_f32_e32 v9, v7
	v_fma_f32 v11, -v7, v9, 1.0
	v_fmac_f32_e32 v9, v11, v9
	v_mul_f32_e32 v11, v8, v9
	v_fma_f32 v13, -v7, v11, v8
	v_fmac_f32_e32 v11, v13, v9
	v_fma_f32 v7, -v7, v11, v8
	v_div_fmas_f32 v7, v7, v9, v11
	v_ldexp_f32 v8, v6, v10
	v_log_f32_e32 v8, v8
	v_mul_f32_e32 v9, 0x3f317217, v8
	v_fma_f32 v9, v8, s20, -v9
	v_fmac_f32_e32 v9, 0x3377d1cf, v8
	s_mov_b32 s20, 0x7f800000
	v_fmac_f32_e32 v9, 0x3f317217, v8
	v_cmp_lt_f32_e64 vcc, |v8|, s20
	v_cndmask_b32_e32 v8, v8, v9, vcc
	v_mov_b32_e32 v9, 0x41b17218
	v_cndmask_b32_e64 v9, 0, v9, s[4:5]
	v_sub_f32_e32 v8, v8, v9
	v_div_fixup_f32 v6, v7, v6, -0.5
	v_add_f32_e32 v6, v8, v6
	v_sub_f32_e32 v4, v6, v4
	v_add_f32_e32 v4, v5, v4
                                        ; implicit-def: $vgpr5
.LBB15_45:
	s_andn2_saveexec_b64 s[4:5], s[18:19]
; %bb.46:
	v_add_f32_e32 v4, 0x40101cb7, v5
; %bb.47:
	s_or_b64 exec, exec, s[4:5]
.LBB15_48:
	s_or_b64 exec, exec, s[16:17]
                                        ; implicit-def: $vgpr5_vgpr6
.LBB15_49:
	s_andn2_saveexec_b64 s[4:5], s[14:15]
; %bb.50:
	v_xor_b32_e32 v4, 0x80000000, v6
	s_brev_b32 s14, -2
	v_mov_b32_e32 v5, 0x7f800000
	v_bfi_b32 v4, s14, v5, v4
; %bb.51:
	s_or_b64 exec, exec, s[4:5]
	s_waitcnt vmcnt(0)
	v_cmp_neq_f32_e32 vcc, 0, v1
                                        ; implicit-def: $vgpr5
	s_and_saveexec_b64 s[4:5], vcc
	s_xor_b64 s[14:15], exec, s[4:5]
	s_cbranch_execz .LBB15_73
; %bb.52:
	v_mov_b32_e32 v6, 0
	v_cmp_gt_f32_e32 vcc, 0, v1
	s_mov_b64 s[4:5], -1
	v_mov_b32_e32 v7, v1
	s_and_saveexec_b64 s[16:17], vcc
	s_cbranch_execz .LBB15_60
; %bb.53:
	v_trunc_f32_e32 v5, v1
	v_cmp_neq_f32_e32 vcc, v1, v5
	s_mov_b64 s[20:21], 0
	v_mov_b32_e32 v6, 0
                                        ; implicit-def: $vgpr7
	s_and_saveexec_b64 s[18:19], vcc
	s_cbranch_execz .LBB15_59
; %bb.54:
	v_cvt_f64_f32_e32 v[5:6], v1
	s_mov_b32 s4, 0
	s_mov_b32 s21, 0xc00921fb
	;; [unrolled: 1-line block ×3, first 2 shown]
	v_trunc_f64_e32 v[7:8], v[5:6]
	s_mov_b32 s5, 0x7ff00000
	v_cmp_neq_f64_e64 vcc, |v[5:6]|, s[4:5]
	v_bfrev_b32_e32 v9, 1
	s_mov_b32 s22, 0
	s_mov_b32 s23, 0x41d00000
                                        ; implicit-def: $vgpr11
	v_add_f64 v[7:8], v[5:6], -v[7:8]
	v_mul_f64 v[7:8], |v[7:8]|, s[20:21]
	v_cndmask_b32_e32 v6, v9, v8, vcc
	v_cndmask_b32_e32 v5, 0, v7, vcc
	v_cmp_nlt_f64_e64 s[22:23], |v[5:6]|, s[22:23]
                                        ; implicit-def: $vgpr7_vgpr8
                                        ; implicit-def: $vgpr9_vgpr10
	s_and_saveexec_b64 s[24:25], s[22:23]
	s_xor_b64 s[22:23], exec, s[24:25]
	s_cbranch_execz .LBB15_56
; %bb.55:
	v_trig_preop_f64 v[7:8], |v[5:6]|, 0
	s_mov_b32 s24, 0
	s_mov_b32 s25, 0x7b000000
	s_movk_i32 s21, 0xff80
	v_ldexp_f64 v[13:14], |v[5:6]|, s21
	v_cmp_ge_f64_e64 vcc, |v[5:6]|, s[24:25]
	v_trig_preop_f64 v[9:10], |v[5:6]|, 1
	v_and_b32_e32 v11, 0x7fffffff, v6
	v_trig_preop_f64 v[21:22], |v[5:6]|, 2
	v_mov_b32_e32 v31, 0
	s_mov_b32 s21, 0x3ff921fb
	v_cndmask_b32_e32 v14, v11, v14, vcc
	v_cndmask_b32_e32 v13, v5, v13, vcc
	v_mov_b32_e32 v11, 0x40100000
	v_mul_f64 v[15:16], v[7:8], v[13:14]
	v_mul_f64 v[17:18], v[9:10], v[13:14]
	;; [unrolled: 1-line block ×3, first 2 shown]
	v_fma_f64 v[7:8], v[7:8], v[13:14], -v[15:16]
	v_fma_f64 v[9:10], v[9:10], v[13:14], -v[17:18]
	;; [unrolled: 1-line block ×3, first 2 shown]
	v_add_f64 v[19:20], v[17:18], v[7:8]
	v_add_f64 v[23:24], v[19:20], -v[17:18]
	v_add_f64 v[29:30], v[15:16], v[19:20]
	v_add_f64 v[25:26], v[19:20], -v[23:24]
	v_add_f64 v[7:8], v[7:8], -v[23:24]
	v_add_f64 v[23:24], v[27:28], v[9:10]
	v_add_f64 v[15:16], v[29:30], -v[15:16]
	v_add_f64 v[17:18], v[17:18], -v[25:26]
	v_ldexp_f64 v[25:26], v[29:30], -2
	v_add_f64 v[33:34], v[23:24], -v[27:28]
	v_add_f64 v[15:16], v[19:20], -v[15:16]
	v_add_f64 v[7:8], v[7:8], v[17:18]
	v_fract_f64_e32 v[17:18], v[25:26]
	v_cmp_neq_f64_e64 vcc, |v[25:26]|, s[4:5]
	v_add_f64 v[9:10], v[9:10], -v[33:34]
	v_add_f64 v[19:20], v[23:24], v[7:8]
	v_ldexp_f64 v[17:18], v[17:18], 2
	v_add_f64 v[25:26], v[15:16], v[19:20]
	v_cndmask_b32_e32 v18, 0, v18, vcc
	v_cndmask_b32_e32 v17, 0, v17, vcc
	v_add_f64 v[35:36], v[19:20], -v[23:24]
	v_add_f64 v[29:30], v[25:26], v[17:18]
	v_add_f64 v[15:16], v[25:26], -v[15:16]
	v_add_f64 v[37:38], v[19:20], -v[35:36]
	;; [unrolled: 1-line block ×3, first 2 shown]
	v_cmp_gt_f64_e32 vcc, 0, v[29:30]
	v_add_f64 v[29:30], v[23:24], -v[33:34]
	v_add_f64 v[15:16], v[19:20], -v[15:16]
	;; [unrolled: 1-line block ×3, first 2 shown]
	v_cndmask_b32_e32 v32, 0, v11, vcc
	v_add_f64 v[17:18], v[17:18], v[31:32]
	v_add_f64 v[29:30], v[27:28], -v[29:30]
	v_add_f64 v[7:8], v[7:8], v[23:24]
	v_add_f64 v[39:40], v[25:26], v[17:18]
	;; [unrolled: 1-line block ×3, first 2 shown]
	v_cvt_i32_f64_e32 v11, v[39:40]
	v_add_f64 v[7:8], v[9:10], v[7:8]
	v_cvt_f64_i32_e32 v[32:33], v11
	v_add_f64 v[17:18], v[17:18], -v[32:33]
	v_add_f64 v[7:8], v[13:14], v[7:8]
	v_add_f64 v[9:10], v[25:26], v[17:18]
	;; [unrolled: 1-line block ×3, first 2 shown]
	v_mov_b32_e32 v15, 0x3ff00000
	v_add_f64 v[13:14], v[9:10], -v[17:18]
	v_cmp_le_f64_e32 vcc, 0.5, v[9:10]
	v_add_f64 v[13:14], v[25:26], -v[13:14]
	v_cndmask_b32_e32 v32, 0, v15, vcc
	v_add_f64 v[9:10], v[9:10], -v[31:32]
	v_addc_co_u32_e64 v11, s[4:5], 0, v11, vcc
	s_mov_b32 s4, 0x33145c07
	s_mov_b32 s5, 0x3c91a626
	v_add_f64 v[7:8], v[7:8], v[13:14]
	v_add_f64 v[13:14], v[9:10], v[7:8]
	v_mul_f64 v[15:16], v[13:14], s[20:21]
	v_add_f64 v[9:10], v[13:14], -v[9:10]
	v_fma_f64 v[17:18], v[13:14], s[20:21], -v[15:16]
	v_add_f64 v[7:8], v[7:8], -v[9:10]
	v_fma_f64 v[9:10], v[13:14], s[4:5], v[17:18]
	v_fma_f64 v[9:10], v[7:8], s[20:21], v[9:10]
	v_add_f64 v[7:8], v[15:16], v[9:10]
	v_add_f64 v[13:14], v[7:8], -v[15:16]
	v_add_f64 v[9:10], v[9:10], -v[13:14]
.LBB15_56:
	s_andn2_saveexec_b64 s[4:5], s[22:23]
	s_cbranch_execz .LBB15_58
; %bb.57:
	s_mov_b32 s20, 0x6dc9c883
	s_mov_b32 s21, 0x3fe45f30
	v_mul_f64 v[7:8], |v[5:6]|, s[20:21]
	s_mov_b32 s20, 0x54442d18
	s_mov_b32 s21, 0xbff921fb
	;; [unrolled: 1-line block ×4, first 2 shown]
	v_rndne_f64_e32 v[13:14], v[7:8]
	v_fma_f64 v[7:8], v[13:14], s[20:21], |v[5:6]|
	v_mul_f64 v[9:10], v[13:14], s[22:23]
	s_mov_b32 s20, 0x252049c0
	s_mov_b32 s21, 0xb97b839a
	v_cvt_i32_f64_e32 v11, v[13:14]
	v_fma_f64 v[19:20], v[13:14], s[22:23], v[7:8]
	v_add_f64 v[15:16], v[7:8], v[9:10]
	s_mov_b32 s23, 0x3c91a626
	v_add_f64 v[17:18], v[7:8], -v[15:16]
	v_add_f64 v[15:16], v[15:16], -v[19:20]
	v_add_f64 v[7:8], v[17:18], v[9:10]
	v_fma_f64 v[9:10], v[13:14], s[22:23], v[9:10]
	v_add_f64 v[7:8], v[15:16], v[7:8]
	v_add_f64 v[7:8], v[7:8], -v[9:10]
	v_fma_f64 v[9:10], v[13:14], s[20:21], v[7:8]
	v_add_f64 v[7:8], v[19:20], v[9:10]
	v_add_f64 v[15:16], v[7:8], -v[19:20]
	v_add_f64 v[9:10], v[9:10], -v[15:16]
.LBB15_58:
	s_or_b64 exec, exec, s[4:5]
	v_mul_f64 v[13:14], v[7:8], v[7:8]
	v_add_f64 v[15:16], v[9:10], v[9:10]
	s_mov_b32 s4, 0xc751c08c
	s_mov_b32 s5, 0x3ef5e089
	v_and_b32_e32 v11, 1, v11
	v_cmp_eq_u32_e32 vcc, 0, v11
	s_mov_b32 s22, 0x54442d18
	s_mov_b32 s23, 0xc00921fb
	v_fma_f64 v[17:18], v[7:8], v[7:8], -v[13:14]
	s_mov_b64 s[20:21], exec
	v_fma_f64 v[15:16], v[7:8], v[15:16], v[17:18]
	v_add_f64 v[13:14], v[13:14], v[15:16]
	v_mov_b32_e32 v15, 0xa9a29f71
	v_mov_b32_e32 v16, 0xbf078809
	v_fma_f64 v[15:16], v[13:14], s[4:5], v[15:16]
	s_mov_b32 s4, 0x90a8aae0
	s_mov_b32 s5, 0x3f17746f
	v_fma_f64 v[15:16], v[13:14], v[15:16], s[4:5]
	s_mov_b32 s4, 0xa6fbf144
	s_mov_b32 s5, 0xbefbb44d
	;; [unrolled: 3-line block ×12, first 2 shown]
	v_fma_f64 v[15:16], v[13:14], v[15:16], s[4:5]
	s_movk_i32 s4, 0x1f8
	v_cmp_class_f64_e64 s[4:5], v[5:6], s4
	v_mul_f64 v[13:14], v[13:14], v[15:16]
	v_mul_f64 v[15:16], v[7:8], v[13:14]
	v_add_f64 v[17:18], v[7:8], v[15:16]
	v_fma_f64 v[13:14], v[7:8], v[13:14], -v[15:16]
	v_add_f64 v[7:8], v[17:18], -v[7:8]
	v_add_f64 v[9:10], v[9:10], v[13:14]
	v_add_f64 v[7:8], v[15:16], -v[7:8]
	v_add_f64 v[7:8], v[9:10], v[7:8]
	v_add_f64 v[9:10], v[17:18], v[7:8]
	v_rcp_f64_e32 v[13:14], v[9:10]
	v_fma_f64 v[15:16], -v[9:10], v[13:14], 1.0
	v_fma_f64 v[13:14], v[15:16], v[13:14], v[13:14]
	v_fma_f64 v[15:16], -v[9:10], v[13:14], 1.0
	v_fma_f64 v[13:14], v[15:16], v[13:14], v[13:14]
	v_add_f64 v[15:16], v[9:10], -v[17:18]
	v_mul_f64 v[17:18], v[9:10], v[13:14]
	v_add_f64 v[7:8], v[7:8], -v[15:16]
	v_fma_f64 v[15:16], v[13:14], v[9:10], -v[17:18]
	v_fma_f64 v[7:8], v[13:14], v[7:8], v[15:16]
	v_add_f64 v[15:16], v[17:18], v[7:8]
	v_add_f64 v[19:20], -v[15:16], 1.0
	v_add_f64 v[17:18], v[15:16], -v[17:18]
	v_add_f64 v[21:22], -v[19:20], 1.0
	v_add_f64 v[7:8], v[17:18], -v[7:8]
	v_add_f64 v[15:16], v[21:22], -v[15:16]
	v_add_f64 v[7:8], v[7:8], v[15:16]
	v_add_f64 v[7:8], v[19:20], v[7:8]
	v_mul_f64 v[7:8], v[13:14], v[7:8]
	v_add_f64 v[7:8], v[13:14], v[7:8]
	v_and_b32_e32 v13, 0x80000000, v6
	v_mov_b32_e32 v6, 0x7ff80000
	v_xor_b32_e32 v5, 0x80000000, v8
	v_cndmask_b32_e32 v7, v7, v9, vcc
	v_cndmask_b32_e32 v8, v5, v10, vcc
	v_cndmask_b32_e64 v5, 0, v7, s[4:5]
	v_xor_b32_e32 v7, v8, v13
	v_cndmask_b32_e64 v6, v6, v7, s[4:5]
	v_div_scale_f64 v[7:8], s[4:5], v[5:6], v[5:6], s[22:23]
	v_div_scale_f64 v[15:16], vcc, s[22:23], v[5:6], s[22:23]
	v_rcp_f64_e32 v[9:10], v[7:8]
	v_fma_f64 v[13:14], -v[7:8], v[9:10], 1.0
	v_fma_f64 v[9:10], v[9:10], v[13:14], v[9:10]
	v_fma_f64 v[13:14], -v[7:8], v[9:10], 1.0
	v_fma_f64 v[9:10], v[9:10], v[13:14], v[9:10]
	v_mul_f64 v[13:14], v[15:16], v[9:10]
	v_fma_f64 v[7:8], -v[7:8], v[13:14], v[15:16]
	v_div_fmas_f64 v[7:8], v[7:8], v[9:10], v[13:14]
	v_div_fixup_f64 v[5:6], v[7:8], v[5:6], s[22:23]
	v_sub_f32_e32 v7, 1.0, v1
	v_cvt_f32_f64_e32 v6, v[5:6]
.LBB15_59:
	s_or_b64 exec, exec, s[18:19]
	s_orn2_b64 s[4:5], s[20:21], exec
.LBB15_60:
	s_or_b64 exec, exec, s[16:17]
	v_mov_b32_e32 v5, 0x7fc00000
	s_and_saveexec_b64 s[16:17], s[4:5]
	s_cbranch_execz .LBB15_72
; %bb.61:
	s_mov_b32 s20, 0x41200000
	v_cmp_gt_f32_e32 vcc, s20, v7
	s_and_saveexec_b64 s[4:5], vcc
	s_cbranch_execz .LBB15_65
; %bb.62:
	s_mov_b64 s[18:19], 0
.LBB15_63:                              ; =>This Inner Loop Header: Depth=1
	v_div_scale_f32 v5, s[22:23], v7, v7, 1.0
	v_div_scale_f32 v8, vcc, 1.0, v7, 1.0
	v_rcp_f32_e32 v9, v5
	v_fma_f32 v10, -v5, v9, 1.0
	v_fmac_f32_e32 v9, v10, v9
	v_mul_f32_e32 v10, v8, v9
	v_fma_f32 v11, -v5, v10, v8
	v_fmac_f32_e32 v10, v11, v9
	v_fma_f32 v5, -v5, v10, v8
	v_div_fmas_f32 v5, v5, v9, v10
	v_div_fixup_f32 v5, v5, v7, 1.0
	v_add_f32_e32 v7, 1.0, v7
	v_cmp_ngt_f32_e32 vcc, s20, v7
	s_or_b64 s[18:19], vcc, s[18:19]
	v_sub_f32_e32 v6, v6, v5
	s_andn2_b64 exec, exec, s[18:19]
	s_cbranch_execnz .LBB15_63
; %bb.64:
	s_or_b64 exec, exec, s[18:19]
.LBB15_65:
	s_or_b64 exec, exec, s[4:5]
	s_mov_b32 s4, 0x41200000
	v_cmp_neq_f32_e32 vcc, s4, v7
                                        ; implicit-def: $vgpr5
	s_and_saveexec_b64 s[4:5], vcc
	s_xor_b64 s[18:19], exec, s[4:5]
	s_cbranch_execz .LBB15_69
; %bb.66:
	v_cvt_f64_f32_e32 v[8:9], v7
	s_mov_b32 s4, 0x85d8a000
	s_mov_b32 s5, 0x43763457
	v_mov_b32_e32 v5, 0
	v_cmp_gt_f64_e32 vcc, s[4:5], v[8:9]
	s_and_saveexec_b64 s[4:5], vcc
	s_cbranch_execz .LBB15_68
; %bb.67:
	v_mul_f32_e32 v5, v7, v7
	v_div_scale_f32 v8, s[20:21], v5, v5, 1.0
	v_div_scale_f32 v9, vcc, 1.0, v5, 1.0
	v_mov_b32_e32 v14, 0x3b820821
	v_rcp_f32_e32 v10, v8
	v_fma_f32 v11, -v8, v10, 1.0
	v_fmac_f32_e32 v10, v11, v10
	v_mul_f32_e32 v11, v9, v10
	v_fma_f32 v13, -v8, v11, v9
	v_fmac_f32_e32 v11, v13, v10
	v_fma_f32 v8, -v8, v11, v9
	v_div_fmas_f32 v8, v8, v10, v11
	v_mov_b32_e32 v9, 0x3daaaaab
	v_mov_b32_e32 v10, 0xbcaccacd
	v_mov_b32_e32 v11, 0x3bf83e10
	v_mov_b32_e32 v13, 0xbb888889
	v_div_fixup_f32 v5, v8, v5, 1.0
	v_fma_f32 v8, 0, v5, v9
	v_fmac_f32_e32 v10, v5, v8
	v_fmac_f32_e32 v11, v5, v10
	;; [unrolled: 1-line block ×4, first 2 shown]
	v_mov_b32_e32 v8, 0xbc088889
	v_fmac_f32_e32 v8, v5, v14
	v_fmac_f32_e32 v9, v5, v8
	v_mul_f32_e32 v5, v5, v9
.LBB15_68:
	s_or_b64 exec, exec, s[4:5]
	v_div_scale_f32 v8, s[4:5], v7, v7, -0.5
	v_div_scale_f32 v9, vcc, -0.5, v7, -0.5
	s_mov_b32 s4, 0x800000
	v_cmp_gt_f32_e64 s[4:5], s4, v7
	v_cndmask_b32_e64 v11, 0, 32, s[4:5]
	s_mov_b32 s20, 0x3f317217
	v_rcp_f32_e32 v10, v8
	v_fma_f32 v13, -v8, v10, 1.0
	v_fmac_f32_e32 v10, v13, v10
	v_mul_f32_e32 v13, v9, v10
	v_fma_f32 v14, -v8, v13, v9
	v_fmac_f32_e32 v13, v14, v10
	v_fma_f32 v8, -v8, v13, v9
	v_div_fmas_f32 v8, v8, v10, v13
	v_ldexp_f32 v9, v7, v11
	v_log_f32_e32 v9, v9
	v_mul_f32_e32 v10, 0x3f317217, v9
	v_fma_f32 v10, v9, s20, -v10
	v_fmac_f32_e32 v10, 0x3377d1cf, v9
	s_mov_b32 s20, 0x7f800000
	v_fmac_f32_e32 v10, 0x3f317217, v9
	v_cmp_lt_f32_e64 vcc, |v9|, s20
	v_cndmask_b32_e32 v9, v9, v10, vcc
	v_mov_b32_e32 v10, 0x41b17218
	v_cndmask_b32_e64 v10, 0, v10, s[4:5]
	v_sub_f32_e32 v9, v9, v10
	v_div_fixup_f32 v7, v8, v7, -0.5
	v_add_f32_e32 v7, v9, v7
	v_sub_f32_e32 v5, v7, v5
	v_add_f32_e32 v5, v6, v5
                                        ; implicit-def: $vgpr6
.LBB15_69:
	s_andn2_saveexec_b64 s[4:5], s[18:19]
; %bb.70:
	v_add_f32_e32 v5, 0x40101cb7, v6
; %bb.71:
	s_or_b64 exec, exec, s[4:5]
.LBB15_72:
	s_or_b64 exec, exec, s[16:17]
.LBB15_73:
	s_andn2_saveexec_b64 s[4:5], s[14:15]
; %bb.74:
	v_xor_b32_e32 v1, 0x80000000, v1
	s_brev_b32 s14, -2
	v_mov_b32_e32 v5, 0x7f800000
	v_bfi_b32 v5, s14, v5, v1
; %bb.75:
	s_or_b64 exec, exec, s[4:5]
	v_cmp_neq_f32_e32 vcc, 0, v2
	s_and_saveexec_b64 s[4:5], vcc
	s_xor_b64 s[14:15], exec, s[4:5]
	s_cbranch_execz .LBB15_97
; %bb.76:
	v_mov_b32_e32 v1, 0
	v_cmp_gt_f32_e32 vcc, 0, v2
	s_mov_b64 s[4:5], -1
	s_and_saveexec_b64 s[16:17], vcc
	s_cbranch_execz .LBB15_84
; %bb.77:
	v_trunc_f32_e32 v1, v2
	v_cmp_neq_f32_e32 vcc, v2, v1
	s_mov_b64 s[20:21], 0
	v_mov_b32_e32 v1, 0
	s_and_saveexec_b64 s[18:19], vcc
	s_cbranch_execz .LBB15_83
; %bb.78:
	v_cvt_f64_f32_e32 v[6:7], v2
	s_mov_b32 s22, 0
	s_mov_b32 s5, 0xc00921fb
	;; [unrolled: 1-line block ×3, first 2 shown]
	v_trunc_f64_e32 v[8:9], v[6:7]
	s_mov_b32 s23, 0x7ff00000
	v_cmp_neq_f64_e64 vcc, |v[6:7]|, s[22:23]
	v_bfrev_b32_e32 v1, 1
	s_mov_b32 s20, 0
	s_mov_b32 s21, 0x41d00000
                                        ; implicit-def: $vgpr10_vgpr11
	v_add_f64 v[8:9], v[6:7], -v[8:9]
	v_mul_f64 v[8:9], |v[8:9]|, s[4:5]
	v_cndmask_b32_e32 v7, v1, v9, vcc
	v_cndmask_b32_e32 v6, 0, v8, vcc
	v_cmp_nlt_f64_e64 s[20:21], |v[6:7]|, s[20:21]
                                        ; implicit-def: $vgpr1
                                        ; implicit-def: $vgpr8_vgpr9
	s_and_saveexec_b64 s[24:25], s[20:21]
	s_xor_b64 s[20:21], exec, s[24:25]
	s_cbranch_execz .LBB15_80
; %bb.79:
	v_trig_preop_f64 v[8:9], |v[6:7]|, 0
	s_mov_b32 s24, 0
	s_mov_b32 s25, 0x7b000000
	s_movk_i32 s5, 0xff80
	v_ldexp_f64 v[13:14], |v[6:7]|, s5
	v_cmp_ge_f64_e64 vcc, |v[6:7]|, s[24:25]
	v_trig_preop_f64 v[10:11], |v[6:7]|, 1
	v_and_b32_e32 v1, 0x7fffffff, v7
	v_trig_preop_f64 v[21:22], |v[6:7]|, 2
	v_mov_b32_e32 v31, 0
	s_mov_b32 s5, 0x3ff921fb
	v_cndmask_b32_e32 v14, v1, v14, vcc
	v_cndmask_b32_e32 v13, v6, v13, vcc
	v_mov_b32_e32 v1, 0x40100000
	v_mul_f64 v[15:16], v[8:9], v[13:14]
	v_mul_f64 v[17:18], v[10:11], v[13:14]
	;; [unrolled: 1-line block ×3, first 2 shown]
	v_fma_f64 v[8:9], v[8:9], v[13:14], -v[15:16]
	v_fma_f64 v[10:11], v[10:11], v[13:14], -v[17:18]
	;; [unrolled: 1-line block ×3, first 2 shown]
	v_add_f64 v[19:20], v[17:18], v[8:9]
	v_add_f64 v[23:24], v[19:20], -v[17:18]
	v_add_f64 v[29:30], v[15:16], v[19:20]
	v_add_f64 v[25:26], v[19:20], -v[23:24]
	v_add_f64 v[8:9], v[8:9], -v[23:24]
	v_add_f64 v[23:24], v[27:28], v[10:11]
	v_add_f64 v[15:16], v[29:30], -v[15:16]
	v_add_f64 v[17:18], v[17:18], -v[25:26]
	v_ldexp_f64 v[25:26], v[29:30], -2
	v_add_f64 v[33:34], v[23:24], -v[27:28]
	v_add_f64 v[15:16], v[19:20], -v[15:16]
	v_add_f64 v[8:9], v[8:9], v[17:18]
	v_fract_f64_e32 v[17:18], v[25:26]
	v_cmp_neq_f64_e64 vcc, |v[25:26]|, s[22:23]
	v_add_f64 v[10:11], v[10:11], -v[33:34]
	s_mov_b32 s22, 0x33145c07
	s_mov_b32 s23, 0x3c91a626
	v_add_f64 v[19:20], v[23:24], v[8:9]
	v_ldexp_f64 v[17:18], v[17:18], 2
	v_add_f64 v[25:26], v[15:16], v[19:20]
	v_cndmask_b32_e32 v18, 0, v18, vcc
	v_cndmask_b32_e32 v17, 0, v17, vcc
	v_add_f64 v[35:36], v[19:20], -v[23:24]
	v_add_f64 v[29:30], v[25:26], v[17:18]
	v_add_f64 v[15:16], v[25:26], -v[15:16]
	v_add_f64 v[37:38], v[19:20], -v[35:36]
	v_add_f64 v[8:9], v[8:9], -v[35:36]
	v_cmp_gt_f64_e32 vcc, 0, v[29:30]
	v_add_f64 v[29:30], v[23:24], -v[33:34]
	v_add_f64 v[15:16], v[19:20], -v[15:16]
	;; [unrolled: 1-line block ×3, first 2 shown]
	v_cndmask_b32_e32 v32, 0, v1, vcc
	v_add_f64 v[17:18], v[17:18], v[31:32]
	v_add_f64 v[29:30], v[27:28], -v[29:30]
	v_add_f64 v[8:9], v[8:9], v[23:24]
	v_add_f64 v[39:40], v[25:26], v[17:18]
	v_add_f64 v[10:11], v[10:11], v[29:30]
	v_cvt_i32_f64_e32 v1, v[39:40]
	v_add_f64 v[8:9], v[10:11], v[8:9]
	v_cvt_f64_i32_e32 v[32:33], v1
	v_add_f64 v[17:18], v[17:18], -v[32:33]
	v_add_f64 v[8:9], v[13:14], v[8:9]
	v_add_f64 v[10:11], v[25:26], v[17:18]
	;; [unrolled: 1-line block ×3, first 2 shown]
	v_mov_b32_e32 v15, 0x3ff00000
	v_add_f64 v[13:14], v[10:11], -v[17:18]
	v_cmp_le_f64_e32 vcc, 0.5, v[10:11]
	v_add_f64 v[13:14], v[25:26], -v[13:14]
	v_cndmask_b32_e32 v32, 0, v15, vcc
	v_add_f64 v[10:11], v[10:11], -v[31:32]
	v_addc_co_u32_e32 v1, vcc, 0, v1, vcc
	v_add_f64 v[8:9], v[8:9], v[13:14]
	v_add_f64 v[13:14], v[10:11], v[8:9]
	v_mul_f64 v[15:16], v[13:14], s[4:5]
	v_add_f64 v[10:11], v[13:14], -v[10:11]
	v_fma_f64 v[17:18], v[13:14], s[4:5], -v[15:16]
	v_add_f64 v[8:9], v[8:9], -v[10:11]
	v_fma_f64 v[10:11], v[13:14], s[22:23], v[17:18]
	v_fma_f64 v[10:11], v[8:9], s[4:5], v[10:11]
	v_add_f64 v[8:9], v[15:16], v[10:11]
	v_add_f64 v[13:14], v[8:9], -v[15:16]
	v_add_f64 v[10:11], v[10:11], -v[13:14]
.LBB15_80:
	s_andn2_saveexec_b64 s[4:5], s[20:21]
	s_cbranch_execz .LBB15_82
; %bb.81:
	s_mov_b32 s20, 0x6dc9c883
	s_mov_b32 s21, 0x3fe45f30
	v_mul_f64 v[8:9], |v[6:7]|, s[20:21]
	s_mov_b32 s20, 0x54442d18
	s_mov_b32 s21, 0xbff921fb
	;; [unrolled: 1-line block ×4, first 2 shown]
	v_rndne_f64_e32 v[13:14], v[8:9]
	v_fma_f64 v[8:9], v[13:14], s[20:21], |v[6:7]|
	v_mul_f64 v[10:11], v[13:14], s[22:23]
	s_mov_b32 s20, 0x252049c0
	s_mov_b32 s21, 0xb97b839a
	v_cvt_i32_f64_e32 v1, v[13:14]
	v_fma_f64 v[19:20], v[13:14], s[22:23], v[8:9]
	v_add_f64 v[15:16], v[8:9], v[10:11]
	s_mov_b32 s23, 0x3c91a626
	v_add_f64 v[17:18], v[8:9], -v[15:16]
	v_add_f64 v[15:16], v[15:16], -v[19:20]
	v_add_f64 v[8:9], v[17:18], v[10:11]
	v_fma_f64 v[10:11], v[13:14], s[22:23], v[10:11]
	v_add_f64 v[8:9], v[15:16], v[8:9]
	v_add_f64 v[8:9], v[8:9], -v[10:11]
	v_fma_f64 v[10:11], v[13:14], s[20:21], v[8:9]
	v_add_f64 v[8:9], v[19:20], v[10:11]
	v_add_f64 v[15:16], v[8:9], -v[19:20]
	v_add_f64 v[10:11], v[10:11], -v[15:16]
.LBB15_82:
	s_or_b64 exec, exec, s[4:5]
	v_mul_f64 v[13:14], v[8:9], v[8:9]
	v_add_f64 v[15:16], v[10:11], v[10:11]
	s_mov_b32 s4, 0xc751c08c
	s_mov_b32 s5, 0x3ef5e089
	v_and_b32_e32 v1, 1, v1
	v_cmp_eq_u32_e32 vcc, 0, v1
	s_mov_b32 s22, 0x54442d18
	s_mov_b32 s23, 0xc00921fb
	v_fma_f64 v[17:18], v[8:9], v[8:9], -v[13:14]
	s_mov_b64 s[20:21], exec
	v_sub_f32_e32 v2, 1.0, v2
	v_fma_f64 v[15:16], v[8:9], v[15:16], v[17:18]
	v_add_f64 v[13:14], v[13:14], v[15:16]
	v_mov_b32_e32 v15, 0xa9a29f71
	v_mov_b32_e32 v16, 0xbf078809
	v_fma_f64 v[15:16], v[13:14], s[4:5], v[15:16]
	s_mov_b32 s4, 0x90a8aae0
	s_mov_b32 s5, 0x3f17746f
	v_fma_f64 v[15:16], v[13:14], v[15:16], s[4:5]
	s_mov_b32 s4, 0xa6fbf144
	s_mov_b32 s5, 0xbefbb44d
	;; [unrolled: 3-line block ×12, first 2 shown]
	v_fma_f64 v[15:16], v[13:14], v[15:16], s[4:5]
	s_movk_i32 s4, 0x1f8
	v_cmp_class_f64_e64 s[4:5], v[6:7], s4
	v_mul_f64 v[13:14], v[13:14], v[15:16]
	v_mul_f64 v[15:16], v[8:9], v[13:14]
	v_add_f64 v[17:18], v[8:9], v[15:16]
	v_fma_f64 v[13:14], v[8:9], v[13:14], -v[15:16]
	v_add_f64 v[8:9], v[17:18], -v[8:9]
	v_add_f64 v[10:11], v[10:11], v[13:14]
	v_add_f64 v[8:9], v[15:16], -v[8:9]
	v_add_f64 v[8:9], v[10:11], v[8:9]
	v_add_f64 v[10:11], v[17:18], v[8:9]
	v_rcp_f64_e32 v[13:14], v[10:11]
	v_fma_f64 v[15:16], -v[10:11], v[13:14], 1.0
	v_fma_f64 v[13:14], v[15:16], v[13:14], v[13:14]
	v_fma_f64 v[15:16], -v[10:11], v[13:14], 1.0
	v_fma_f64 v[13:14], v[15:16], v[13:14], v[13:14]
	v_add_f64 v[15:16], v[10:11], -v[17:18]
	v_mul_f64 v[17:18], v[10:11], v[13:14]
	v_add_f64 v[8:9], v[8:9], -v[15:16]
	v_fma_f64 v[15:16], v[13:14], v[10:11], -v[17:18]
	v_fma_f64 v[8:9], v[13:14], v[8:9], v[15:16]
	v_add_f64 v[15:16], v[17:18], v[8:9]
	v_add_f64 v[19:20], -v[15:16], 1.0
	v_add_f64 v[17:18], v[15:16], -v[17:18]
	v_add_f64 v[21:22], -v[19:20], 1.0
	v_add_f64 v[8:9], v[17:18], -v[8:9]
	v_add_f64 v[15:16], v[21:22], -v[15:16]
	v_add_f64 v[8:9], v[8:9], v[15:16]
	v_add_f64 v[8:9], v[19:20], v[8:9]
	v_mul_f64 v[8:9], v[13:14], v[8:9]
	v_add_f64 v[8:9], v[13:14], v[8:9]
	v_and_b32_e32 v13, 0x80000000, v7
	v_mov_b32_e32 v7, 0x7ff80000
	v_xor_b32_e32 v6, 0x80000000, v9
	v_cndmask_b32_e32 v1, v8, v10, vcc
	v_cndmask_b32_e32 v8, v6, v11, vcc
	v_cndmask_b32_e64 v6, 0, v1, s[4:5]
	v_xor_b32_e32 v1, v8, v13
	v_cndmask_b32_e64 v7, v7, v1, s[4:5]
	v_div_scale_f64 v[8:9], s[4:5], v[6:7], v[6:7], s[22:23]
	v_div_scale_f64 v[15:16], vcc, s[22:23], v[6:7], s[22:23]
	v_rcp_f64_e32 v[10:11], v[8:9]
	v_fma_f64 v[13:14], -v[8:9], v[10:11], 1.0
	v_fma_f64 v[10:11], v[10:11], v[13:14], v[10:11]
	v_fma_f64 v[13:14], -v[8:9], v[10:11], 1.0
	v_fma_f64 v[10:11], v[10:11], v[13:14], v[10:11]
	v_mul_f64 v[13:14], v[15:16], v[10:11]
	v_fma_f64 v[8:9], -v[8:9], v[13:14], v[15:16]
	v_div_fmas_f64 v[8:9], v[8:9], v[10:11], v[13:14]
	v_div_fixup_f64 v[6:7], v[8:9], v[6:7], s[22:23]
	v_cvt_f32_f64_e32 v1, v[6:7]
.LBB15_83:
	s_or_b64 exec, exec, s[18:19]
	s_orn2_b64 s[4:5], s[20:21], exec
.LBB15_84:
	s_or_b64 exec, exec, s[16:17]
	v_mov_b32_e32 v6, 0x7fc00000
	s_and_saveexec_b64 s[16:17], s[4:5]
	s_cbranch_execz .LBB15_96
; %bb.85:
	s_mov_b32 s20, 0x41200000
	v_cmp_gt_f32_e32 vcc, s20, v2
	s_and_saveexec_b64 s[4:5], vcc
	s_cbranch_execz .LBB15_89
; %bb.86:
	s_mov_b64 s[18:19], 0
.LBB15_87:                              ; =>This Inner Loop Header: Depth=1
	v_div_scale_f32 v6, s[22:23], v2, v2, 1.0
	v_div_scale_f32 v7, vcc, 1.0, v2, 1.0
	v_rcp_f32_e32 v8, v6
	v_fma_f32 v9, -v6, v8, 1.0
	v_fmac_f32_e32 v8, v9, v8
	v_mul_f32_e32 v9, v7, v8
	v_fma_f32 v10, -v6, v9, v7
	v_fmac_f32_e32 v9, v10, v8
	v_fma_f32 v6, -v6, v9, v7
	v_div_fmas_f32 v6, v6, v8, v9
	v_div_fixup_f32 v6, v6, v2, 1.0
	v_add_f32_e32 v2, 1.0, v2
	v_cmp_ngt_f32_e32 vcc, s20, v2
	s_or_b64 s[18:19], vcc, s[18:19]
	v_sub_f32_e32 v1, v1, v6
	s_andn2_b64 exec, exec, s[18:19]
	s_cbranch_execnz .LBB15_87
; %bb.88:
	s_or_b64 exec, exec, s[18:19]
.LBB15_89:
	s_or_b64 exec, exec, s[4:5]
	s_mov_b32 s4, 0x41200000
	v_cmp_neq_f32_e32 vcc, s4, v2
	s_and_saveexec_b64 s[4:5], vcc
	s_xor_b64 s[18:19], exec, s[4:5]
	s_cbranch_execz .LBB15_93
; %bb.90:
	v_cvt_f64_f32_e32 v[6:7], v2
	s_mov_b32 s4, 0x85d8a000
	s_mov_b32 s5, 0x43763457
	v_cmp_gt_f64_e32 vcc, s[4:5], v[6:7]
	v_mov_b32_e32 v6, 0
	s_and_saveexec_b64 s[4:5], vcc
	s_cbranch_execz .LBB15_92
; %bb.91:
	v_mul_f32_e32 v6, v2, v2
	v_div_scale_f32 v7, s[20:21], v6, v6, 1.0
	v_div_scale_f32 v8, vcc, 1.0, v6, 1.0
	v_mov_b32_e32 v13, 0x3b820821
	v_rcp_f32_e32 v9, v7
	v_fma_f32 v10, -v7, v9, 1.0
	v_fmac_f32_e32 v9, v10, v9
	v_mul_f32_e32 v10, v8, v9
	v_fma_f32 v11, -v7, v10, v8
	v_fmac_f32_e32 v10, v11, v9
	v_fma_f32 v7, -v7, v10, v8
	v_div_fmas_f32 v7, v7, v9, v10
	v_mov_b32_e32 v8, 0x3daaaaab
	v_mov_b32_e32 v9, 0xbcaccacd
	v_mov_b32_e32 v10, 0x3bf83e10
	v_mov_b32_e32 v11, 0xbb888889
	v_div_fixup_f32 v6, v7, v6, 1.0
	v_fma_f32 v7, 0, v6, v8
	v_fmac_f32_e32 v9, v6, v7
	v_fmac_f32_e32 v10, v6, v9
	;; [unrolled: 1-line block ×4, first 2 shown]
	v_mov_b32_e32 v7, 0xbc088889
	v_fmac_f32_e32 v7, v6, v13
	v_fmac_f32_e32 v8, v6, v7
	v_mul_f32_e32 v6, v6, v8
.LBB15_92:
	s_or_b64 exec, exec, s[4:5]
	v_div_scale_f32 v7, s[4:5], v2, v2, -0.5
	v_div_scale_f32 v8, vcc, -0.5, v2, -0.5
	s_mov_b32 s4, 0x800000
	v_cmp_gt_f32_e64 s[4:5], s4, v2
	v_cndmask_b32_e64 v10, 0, 32, s[4:5]
	s_mov_b32 s20, 0x3f317217
	v_rcp_f32_e32 v9, v7
	v_fma_f32 v11, -v7, v9, 1.0
	v_fmac_f32_e32 v9, v11, v9
	v_mul_f32_e32 v11, v8, v9
	v_fma_f32 v13, -v7, v11, v8
	v_fmac_f32_e32 v11, v13, v9
	v_fma_f32 v7, -v7, v11, v8
	v_div_fmas_f32 v7, v7, v9, v11
	v_ldexp_f32 v8, v2, v10
	v_log_f32_e32 v8, v8
	v_mul_f32_e32 v9, 0x3f317217, v8
	v_fma_f32 v9, v8, s20, -v9
	v_fmac_f32_e32 v9, 0x3377d1cf, v8
	s_mov_b32 s20, 0x7f800000
	v_fmac_f32_e32 v9, 0x3f317217, v8
	v_cmp_lt_f32_e64 vcc, |v8|, s20
	v_cndmask_b32_e32 v8, v8, v9, vcc
	v_mov_b32_e32 v9, 0x41b17218
	v_cndmask_b32_e64 v9, 0, v9, s[4:5]
	v_sub_f32_e32 v8, v8, v9
	v_div_fixup_f32 v2, v7, v2, -0.5
	v_add_f32_e32 v2, v8, v2
	v_sub_f32_e32 v2, v2, v6
	v_add_f32_e32 v6, v1, v2
                                        ; implicit-def: $vgpr1
.LBB15_93:
	s_andn2_saveexec_b64 s[4:5], s[18:19]
; %bb.94:
	v_add_f32_e32 v6, 0x40101cb7, v1
; %bb.95:
	s_or_b64 exec, exec, s[4:5]
.LBB15_96:
	s_or_b64 exec, exec, s[16:17]
                                        ; implicit-def: $vgpr1_vgpr2
.LBB15_97:
	s_andn2_saveexec_b64 s[4:5], s[14:15]
; %bb.98:
	v_xor_b32_e32 v1, 0x80000000, v2
	s_brev_b32 s14, -2
	v_mov_b32_e32 v2, 0x7f800000
	v_bfi_b32 v6, s14, v2, v1
; %bb.99:
	s_or_b64 exec, exec, s[4:5]
	s_add_u32 s4, s8, s12
	s_addc_u32 s5, s9, s13
	global_store_dwordx2 v12, v[3:4], s[4:5]
	global_store_dwordx2 v12, v[5:6], s[4:5] offset:2048
	s_branch .LBB15_2
.LBB15_100:
	s_getpc_b64 s[4:5]
	s_add_u32 s4, s4, _ZN2at6native25elementwise_kernel_helperILb0EZZZNS0_19digamma_kernel_cudaERNS_18TensorIteratorBaseEENKUlvE_clEvENKUlvE0_clEvEUlfE_NS0_6memory8policies11unroll_baseILi256ESt5arrayIPcLm2EE23TrivialOffsetCalculatorILi1EjESE_NS7_15LoadWithoutCastENS7_16StoreWithoutCastELi4ELi1EEEEEvT0_T1_@rel32@lo+4
	s_addc_u32 s5, s5, _ZN2at6native25elementwise_kernel_helperILb0EZZZNS0_19digamma_kernel_cudaERNS_18TensorIteratorBaseEENKUlvE_clEvENKUlvE0_clEvEUlfE_NS0_6memory8policies11unroll_baseILi256ESt5arrayIPcLm2EE23TrivialOffsetCalculatorILi1EjESE_NS7_15LoadWithoutCastENS7_16StoreWithoutCastELi4ELi1EEEEEvT0_T1_@rel32@hi+12
	s_mov_b32 s12, s6
	v_mov_b32_e32 v31, v0
	v_mov_b32_e32 v0, s8
	;; [unrolled: 1-line block ×6, first 2 shown]
	s_swappc_b64 s[30:31], s[4:5]
	s_endpgm
	.section	.rodata,"a",@progbits
	.p2align	6, 0x0
	.amdhsa_kernel _ZN2at6native29vectorized_elementwise_kernelILi2EZZZNS0_19digamma_kernel_cudaERNS_18TensorIteratorBaseEENKUlvE_clEvENKUlvE0_clEvEUlfE_St5arrayIPcLm2EEEEviT0_T1_
		.amdhsa_group_segment_fixed_size 0
		.amdhsa_private_segment_fixed_size 0
		.amdhsa_kernarg_size 24
		.amdhsa_user_sgpr_count 6
		.amdhsa_user_sgpr_private_segment_buffer 1
		.amdhsa_user_sgpr_dispatch_ptr 0
		.amdhsa_user_sgpr_queue_ptr 0
		.amdhsa_user_sgpr_kernarg_segment_ptr 1
		.amdhsa_user_sgpr_dispatch_id 0
		.amdhsa_user_sgpr_flat_scratch_init 0
		.amdhsa_user_sgpr_private_segment_size 0
		.amdhsa_uses_dynamic_stack 0
		.amdhsa_system_sgpr_private_segment_wavefront_offset 0
		.amdhsa_system_sgpr_workgroup_id_x 1
		.amdhsa_system_sgpr_workgroup_id_y 0
		.amdhsa_system_sgpr_workgroup_id_z 0
		.amdhsa_system_sgpr_workgroup_info 0
		.amdhsa_system_vgpr_workitem_id 0
		.amdhsa_next_free_vgpr 41
		.amdhsa_next_free_sgpr 33
		.amdhsa_reserve_vcc 1
		.amdhsa_reserve_flat_scratch 0
		.amdhsa_float_round_mode_32 0
		.amdhsa_float_round_mode_16_64 0
		.amdhsa_float_denorm_mode_32 3
		.amdhsa_float_denorm_mode_16_64 3
		.amdhsa_dx10_clamp 1
		.amdhsa_ieee_mode 1
		.amdhsa_fp16_overflow 0
		.amdhsa_exception_fp_ieee_invalid_op 0
		.amdhsa_exception_fp_denorm_src 0
		.amdhsa_exception_fp_ieee_div_zero 0
		.amdhsa_exception_fp_ieee_overflow 0
		.amdhsa_exception_fp_ieee_underflow 0
		.amdhsa_exception_fp_ieee_inexact 0
		.amdhsa_exception_int_div_zero 0
	.end_amdhsa_kernel
	.section	.text._ZN2at6native29vectorized_elementwise_kernelILi2EZZZNS0_19digamma_kernel_cudaERNS_18TensorIteratorBaseEENKUlvE_clEvENKUlvE0_clEvEUlfE_St5arrayIPcLm2EEEEviT0_T1_,"axG",@progbits,_ZN2at6native29vectorized_elementwise_kernelILi2EZZZNS0_19digamma_kernel_cudaERNS_18TensorIteratorBaseEENKUlvE_clEvENKUlvE0_clEvEUlfE_St5arrayIPcLm2EEEEviT0_T1_,comdat
.Lfunc_end15:
	.size	_ZN2at6native29vectorized_elementwise_kernelILi2EZZZNS0_19digamma_kernel_cudaERNS_18TensorIteratorBaseEENKUlvE_clEvENKUlvE0_clEvEUlfE_St5arrayIPcLm2EEEEviT0_T1_, .Lfunc_end15-_ZN2at6native29vectorized_elementwise_kernelILi2EZZZNS0_19digamma_kernel_cudaERNS_18TensorIteratorBaseEENKUlvE_clEvENKUlvE0_clEvEUlfE_St5arrayIPcLm2EEEEviT0_T1_
                                        ; -- End function
	.set _ZN2at6native29vectorized_elementwise_kernelILi2EZZZNS0_19digamma_kernel_cudaERNS_18TensorIteratorBaseEENKUlvE_clEvENKUlvE0_clEvEUlfE_St5arrayIPcLm2EEEEviT0_T1_.num_vgpr, max(41, .L_ZN2at6native25elementwise_kernel_helperILb0EZZZNS0_19digamma_kernel_cudaERNS_18TensorIteratorBaseEENKUlvE_clEvENKUlvE0_clEvEUlfE_NS0_6memory8policies11unroll_baseILi256ESt5arrayIPcLm2EE23TrivialOffsetCalculatorILi1EjESE_NS7_15LoadWithoutCastENS7_16StoreWithoutCastELi4ELi1EEEEEvT0_T1_.num_vgpr)
	.set _ZN2at6native29vectorized_elementwise_kernelILi2EZZZNS0_19digamma_kernel_cudaERNS_18TensorIteratorBaseEENKUlvE_clEvENKUlvE0_clEvEUlfE_St5arrayIPcLm2EEEEviT0_T1_.num_agpr, max(0, .L_ZN2at6native25elementwise_kernel_helperILb0EZZZNS0_19digamma_kernel_cudaERNS_18TensorIteratorBaseEENKUlvE_clEvENKUlvE0_clEvEUlfE_NS0_6memory8policies11unroll_baseILi256ESt5arrayIPcLm2EE23TrivialOffsetCalculatorILi1EjESE_NS7_15LoadWithoutCastENS7_16StoreWithoutCastELi4ELi1EEEEEvT0_T1_.num_agpr)
	.set _ZN2at6native29vectorized_elementwise_kernelILi2EZZZNS0_19digamma_kernel_cudaERNS_18TensorIteratorBaseEENKUlvE_clEvENKUlvE0_clEvEUlfE_St5arrayIPcLm2EEEEviT0_T1_.numbered_sgpr, max(33, .L_ZN2at6native25elementwise_kernel_helperILb0EZZZNS0_19digamma_kernel_cudaERNS_18TensorIteratorBaseEENKUlvE_clEvENKUlvE0_clEvEUlfE_NS0_6memory8policies11unroll_baseILi256ESt5arrayIPcLm2EE23TrivialOffsetCalculatorILi1EjESE_NS7_15LoadWithoutCastENS7_16StoreWithoutCastELi4ELi1EEEEEvT0_T1_.numbered_sgpr)
	.set _ZN2at6native29vectorized_elementwise_kernelILi2EZZZNS0_19digamma_kernel_cudaERNS_18TensorIteratorBaseEENKUlvE_clEvENKUlvE0_clEvEUlfE_St5arrayIPcLm2EEEEviT0_T1_.num_named_barrier, max(0, .L_ZN2at6native25elementwise_kernel_helperILb0EZZZNS0_19digamma_kernel_cudaERNS_18TensorIteratorBaseEENKUlvE_clEvENKUlvE0_clEvEUlfE_NS0_6memory8policies11unroll_baseILi256ESt5arrayIPcLm2EE23TrivialOffsetCalculatorILi1EjESE_NS7_15LoadWithoutCastENS7_16StoreWithoutCastELi4ELi1EEEEEvT0_T1_.num_named_barrier)
	.set _ZN2at6native29vectorized_elementwise_kernelILi2EZZZNS0_19digamma_kernel_cudaERNS_18TensorIteratorBaseEENKUlvE_clEvENKUlvE0_clEvEUlfE_St5arrayIPcLm2EEEEviT0_T1_.private_seg_size, 0+max(.L_ZN2at6native25elementwise_kernel_helperILb0EZZZNS0_19digamma_kernel_cudaERNS_18TensorIteratorBaseEENKUlvE_clEvENKUlvE0_clEvEUlfE_NS0_6memory8policies11unroll_baseILi256ESt5arrayIPcLm2EE23TrivialOffsetCalculatorILi1EjESE_NS7_15LoadWithoutCastENS7_16StoreWithoutCastELi4ELi1EEEEEvT0_T1_.private_seg_size)
	.set _ZN2at6native29vectorized_elementwise_kernelILi2EZZZNS0_19digamma_kernel_cudaERNS_18TensorIteratorBaseEENKUlvE_clEvENKUlvE0_clEvEUlfE_St5arrayIPcLm2EEEEviT0_T1_.uses_vcc, or(1, .L_ZN2at6native25elementwise_kernel_helperILb0EZZZNS0_19digamma_kernel_cudaERNS_18TensorIteratorBaseEENKUlvE_clEvENKUlvE0_clEvEUlfE_NS0_6memory8policies11unroll_baseILi256ESt5arrayIPcLm2EE23TrivialOffsetCalculatorILi1EjESE_NS7_15LoadWithoutCastENS7_16StoreWithoutCastELi4ELi1EEEEEvT0_T1_.uses_vcc)
	.set _ZN2at6native29vectorized_elementwise_kernelILi2EZZZNS0_19digamma_kernel_cudaERNS_18TensorIteratorBaseEENKUlvE_clEvENKUlvE0_clEvEUlfE_St5arrayIPcLm2EEEEviT0_T1_.uses_flat_scratch, or(0, .L_ZN2at6native25elementwise_kernel_helperILb0EZZZNS0_19digamma_kernel_cudaERNS_18TensorIteratorBaseEENKUlvE_clEvENKUlvE0_clEvEUlfE_NS0_6memory8policies11unroll_baseILi256ESt5arrayIPcLm2EE23TrivialOffsetCalculatorILi1EjESE_NS7_15LoadWithoutCastENS7_16StoreWithoutCastELi4ELi1EEEEEvT0_T1_.uses_flat_scratch)
	.set _ZN2at6native29vectorized_elementwise_kernelILi2EZZZNS0_19digamma_kernel_cudaERNS_18TensorIteratorBaseEENKUlvE_clEvENKUlvE0_clEvEUlfE_St5arrayIPcLm2EEEEviT0_T1_.has_dyn_sized_stack, or(0, .L_ZN2at6native25elementwise_kernel_helperILb0EZZZNS0_19digamma_kernel_cudaERNS_18TensorIteratorBaseEENKUlvE_clEvENKUlvE0_clEvEUlfE_NS0_6memory8policies11unroll_baseILi256ESt5arrayIPcLm2EE23TrivialOffsetCalculatorILi1EjESE_NS7_15LoadWithoutCastENS7_16StoreWithoutCastELi4ELi1EEEEEvT0_T1_.has_dyn_sized_stack)
	.set _ZN2at6native29vectorized_elementwise_kernelILi2EZZZNS0_19digamma_kernel_cudaERNS_18TensorIteratorBaseEENKUlvE_clEvENKUlvE0_clEvEUlfE_St5arrayIPcLm2EEEEviT0_T1_.has_recursion, or(0, .L_ZN2at6native25elementwise_kernel_helperILb0EZZZNS0_19digamma_kernel_cudaERNS_18TensorIteratorBaseEENKUlvE_clEvENKUlvE0_clEvEUlfE_NS0_6memory8policies11unroll_baseILi256ESt5arrayIPcLm2EE23TrivialOffsetCalculatorILi1EjESE_NS7_15LoadWithoutCastENS7_16StoreWithoutCastELi4ELi1EEEEEvT0_T1_.has_recursion)
	.set _ZN2at6native29vectorized_elementwise_kernelILi2EZZZNS0_19digamma_kernel_cudaERNS_18TensorIteratorBaseEENKUlvE_clEvENKUlvE0_clEvEUlfE_St5arrayIPcLm2EEEEviT0_T1_.has_indirect_call, or(0, .L_ZN2at6native25elementwise_kernel_helperILb0EZZZNS0_19digamma_kernel_cudaERNS_18TensorIteratorBaseEENKUlvE_clEvENKUlvE0_clEvEUlfE_NS0_6memory8policies11unroll_baseILi256ESt5arrayIPcLm2EE23TrivialOffsetCalculatorILi1EjESE_NS7_15LoadWithoutCastENS7_16StoreWithoutCastELi4ELi1EEEEEvT0_T1_.has_indirect_call)
	.section	.AMDGPU.csdata,"",@progbits
; Kernel info:
; codeLenInByte = 9764
; TotalNumSgprs: 37
; NumVgprs: 41
; ScratchSize: 0
; MemoryBound: 0
; FloatMode: 240
; IeeeMode: 1
; LDSByteSize: 0 bytes/workgroup (compile time only)
; SGPRBlocks: 4
; VGPRBlocks: 10
; NumSGPRsForWavesPerEU: 37
; NumVGPRsForWavesPerEU: 41
; Occupancy: 5
; WaveLimiterHint : 1
; COMPUTE_PGM_RSRC2:SCRATCH_EN: 0
; COMPUTE_PGM_RSRC2:USER_SGPR: 6
; COMPUTE_PGM_RSRC2:TRAP_HANDLER: 0
; COMPUTE_PGM_RSRC2:TGID_X_EN: 1
; COMPUTE_PGM_RSRC2:TGID_Y_EN: 0
; COMPUTE_PGM_RSRC2:TGID_Z_EN: 0
; COMPUTE_PGM_RSRC2:TIDIG_COMP_CNT: 0
	.section	.text._ZN2at6native27unrolled_elementwise_kernelIZZZNS0_19digamma_kernel_cudaERNS_18TensorIteratorBaseEENKUlvE_clEvENKUlvE0_clEvEUlfE_St5arrayIPcLm2EELi4E23TrivialOffsetCalculatorILi1EjESB_NS0_6memory15LoadWithoutCastENSC_16StoreWithoutCastEEEviT_T0_T2_T3_T4_T5_,"axG",@progbits,_ZN2at6native27unrolled_elementwise_kernelIZZZNS0_19digamma_kernel_cudaERNS_18TensorIteratorBaseEENKUlvE_clEvENKUlvE0_clEvEUlfE_St5arrayIPcLm2EELi4E23TrivialOffsetCalculatorILi1EjESB_NS0_6memory15LoadWithoutCastENSC_16StoreWithoutCastEEEviT_T0_T2_T3_T4_T5_,comdat
	.globl	_ZN2at6native27unrolled_elementwise_kernelIZZZNS0_19digamma_kernel_cudaERNS_18TensorIteratorBaseEENKUlvE_clEvENKUlvE0_clEvEUlfE_St5arrayIPcLm2EELi4E23TrivialOffsetCalculatorILi1EjESB_NS0_6memory15LoadWithoutCastENSC_16StoreWithoutCastEEEviT_T0_T2_T3_T4_T5_ ; -- Begin function _ZN2at6native27unrolled_elementwise_kernelIZZZNS0_19digamma_kernel_cudaERNS_18TensorIteratorBaseEENKUlvE_clEvENKUlvE0_clEvEUlfE_St5arrayIPcLm2EELi4E23TrivialOffsetCalculatorILi1EjESB_NS0_6memory15LoadWithoutCastENSC_16StoreWithoutCastEEEviT_T0_T2_T3_T4_T5_
	.p2align	8
	.type	_ZN2at6native27unrolled_elementwise_kernelIZZZNS0_19digamma_kernel_cudaERNS_18TensorIteratorBaseEENKUlvE_clEvENKUlvE0_clEvEUlfE_St5arrayIPcLm2EELi4E23TrivialOffsetCalculatorILi1EjESB_NS0_6memory15LoadWithoutCastENSC_16StoreWithoutCastEEEviT_T0_T2_T3_T4_T5_,@function
_ZN2at6native27unrolled_elementwise_kernelIZZZNS0_19digamma_kernel_cudaERNS_18TensorIteratorBaseEENKUlvE_clEvENKUlvE0_clEvEUlfE_St5arrayIPcLm2EELi4E23TrivialOffsetCalculatorILi1EjESB_NS0_6memory15LoadWithoutCastENSC_16StoreWithoutCastEEEviT_T0_T2_T3_T4_T5_: ; @_ZN2at6native27unrolled_elementwise_kernelIZZZNS0_19digamma_kernel_cudaERNS_18TensorIteratorBaseEENKUlvE_clEvENKUlvE0_clEvEUlfE_St5arrayIPcLm2EELi4E23TrivialOffsetCalculatorILi1EjESB_NS0_6memory15LoadWithoutCastENSC_16StoreWithoutCastEEEviT_T0_T2_T3_T4_T5_
; %bb.0:
	s_add_u32 s0, s0, s7
	s_load_dword s7, s[4:5], 0x0
	s_load_dwordx4 s[8:11], s[4:5], 0x8
	s_addc_u32 s1, s1, 0
	s_lshl_b32 s4, s6, 10
	s_mov_b32 s12, s6
	s_waitcnt lgkmcnt(0)
	s_sub_i32 s7, s7, s4
	s_getpc_b64 s[4:5]
	s_add_u32 s4, s4, _ZN2at6native25elementwise_kernel_helperILb0EZZZNS0_19digamma_kernel_cudaERNS_18TensorIteratorBaseEENKUlvE_clEvENKUlvE0_clEvEUlfE_NS0_6memory8policies11unroll_baseILi256ESt5arrayIPcLm2EE23TrivialOffsetCalculatorILi1EjESE_NS7_15LoadWithoutCastENS7_16StoreWithoutCastELi4ELi1EEEEEvT0_T1_@rel32@lo+4
	s_addc_u32 s5, s5, _ZN2at6native25elementwise_kernel_helperILb0EZZZNS0_19digamma_kernel_cudaERNS_18TensorIteratorBaseEENKUlvE_clEvENKUlvE0_clEvEUlfE_NS0_6memory8policies11unroll_baseILi256ESt5arrayIPcLm2EE23TrivialOffsetCalculatorILi1EjESE_NS7_15LoadWithoutCastENS7_16StoreWithoutCastELi4ELi1EEEEEvT0_T1_@rel32@hi+12
	v_mov_b32_e32 v31, v0
	v_mov_b32_e32 v0, s8
	;; [unrolled: 1-line block ×6, first 2 shown]
	s_mov_b32 s32, 0
	s_swappc_b64 s[30:31], s[4:5]
	s_endpgm
	.section	.rodata,"a",@progbits
	.p2align	6, 0x0
	.amdhsa_kernel _ZN2at6native27unrolled_elementwise_kernelIZZZNS0_19digamma_kernel_cudaERNS_18TensorIteratorBaseEENKUlvE_clEvENKUlvE0_clEvEUlfE_St5arrayIPcLm2EELi4E23TrivialOffsetCalculatorILi1EjESB_NS0_6memory15LoadWithoutCastENSC_16StoreWithoutCastEEEviT_T0_T2_T3_T4_T5_
		.amdhsa_group_segment_fixed_size 0
		.amdhsa_private_segment_fixed_size 0
		.amdhsa_kernarg_size 28
		.amdhsa_user_sgpr_count 6
		.amdhsa_user_sgpr_private_segment_buffer 1
		.amdhsa_user_sgpr_dispatch_ptr 0
		.amdhsa_user_sgpr_queue_ptr 0
		.amdhsa_user_sgpr_kernarg_segment_ptr 1
		.amdhsa_user_sgpr_dispatch_id 0
		.amdhsa_user_sgpr_flat_scratch_init 0
		.amdhsa_user_sgpr_private_segment_size 0
		.amdhsa_uses_dynamic_stack 0
		.amdhsa_system_sgpr_private_segment_wavefront_offset 0
		.amdhsa_system_sgpr_workgroup_id_x 1
		.amdhsa_system_sgpr_workgroup_id_y 0
		.amdhsa_system_sgpr_workgroup_id_z 0
		.amdhsa_system_sgpr_workgroup_info 0
		.amdhsa_system_vgpr_workitem_id 0
		.amdhsa_next_free_vgpr 37
		.amdhsa_next_free_sgpr 33
		.amdhsa_reserve_vcc 1
		.amdhsa_reserve_flat_scratch 0
		.amdhsa_float_round_mode_32 0
		.amdhsa_float_round_mode_16_64 0
		.amdhsa_float_denorm_mode_32 3
		.amdhsa_float_denorm_mode_16_64 3
		.amdhsa_dx10_clamp 1
		.amdhsa_ieee_mode 1
		.amdhsa_fp16_overflow 0
		.amdhsa_exception_fp_ieee_invalid_op 0
		.amdhsa_exception_fp_denorm_src 0
		.amdhsa_exception_fp_ieee_div_zero 0
		.amdhsa_exception_fp_ieee_overflow 0
		.amdhsa_exception_fp_ieee_underflow 0
		.amdhsa_exception_fp_ieee_inexact 0
		.amdhsa_exception_int_div_zero 0
	.end_amdhsa_kernel
	.section	.text._ZN2at6native27unrolled_elementwise_kernelIZZZNS0_19digamma_kernel_cudaERNS_18TensorIteratorBaseEENKUlvE_clEvENKUlvE0_clEvEUlfE_St5arrayIPcLm2EELi4E23TrivialOffsetCalculatorILi1EjESB_NS0_6memory15LoadWithoutCastENSC_16StoreWithoutCastEEEviT_T0_T2_T3_T4_T5_,"axG",@progbits,_ZN2at6native27unrolled_elementwise_kernelIZZZNS0_19digamma_kernel_cudaERNS_18TensorIteratorBaseEENKUlvE_clEvENKUlvE0_clEvEUlfE_St5arrayIPcLm2EELi4E23TrivialOffsetCalculatorILi1EjESB_NS0_6memory15LoadWithoutCastENSC_16StoreWithoutCastEEEviT_T0_T2_T3_T4_T5_,comdat
.Lfunc_end16:
	.size	_ZN2at6native27unrolled_elementwise_kernelIZZZNS0_19digamma_kernel_cudaERNS_18TensorIteratorBaseEENKUlvE_clEvENKUlvE0_clEvEUlfE_St5arrayIPcLm2EELi4E23TrivialOffsetCalculatorILi1EjESB_NS0_6memory15LoadWithoutCastENSC_16StoreWithoutCastEEEviT_T0_T2_T3_T4_T5_, .Lfunc_end16-_ZN2at6native27unrolled_elementwise_kernelIZZZNS0_19digamma_kernel_cudaERNS_18TensorIteratorBaseEENKUlvE_clEvENKUlvE0_clEvEUlfE_St5arrayIPcLm2EELi4E23TrivialOffsetCalculatorILi1EjESB_NS0_6memory15LoadWithoutCastENSC_16StoreWithoutCastEEEviT_T0_T2_T3_T4_T5_
                                        ; -- End function
	.set _ZN2at6native27unrolled_elementwise_kernelIZZZNS0_19digamma_kernel_cudaERNS_18TensorIteratorBaseEENKUlvE_clEvENKUlvE0_clEvEUlfE_St5arrayIPcLm2EELi4E23TrivialOffsetCalculatorILi1EjESB_NS0_6memory15LoadWithoutCastENSC_16StoreWithoutCastEEEviT_T0_T2_T3_T4_T5_.num_vgpr, max(32, .L_ZN2at6native25elementwise_kernel_helperILb0EZZZNS0_19digamma_kernel_cudaERNS_18TensorIteratorBaseEENKUlvE_clEvENKUlvE0_clEvEUlfE_NS0_6memory8policies11unroll_baseILi256ESt5arrayIPcLm2EE23TrivialOffsetCalculatorILi1EjESE_NS7_15LoadWithoutCastENS7_16StoreWithoutCastELi4ELi1EEEEEvT0_T1_.num_vgpr)
	.set _ZN2at6native27unrolled_elementwise_kernelIZZZNS0_19digamma_kernel_cudaERNS_18TensorIteratorBaseEENKUlvE_clEvENKUlvE0_clEvEUlfE_St5arrayIPcLm2EELi4E23TrivialOffsetCalculatorILi1EjESB_NS0_6memory15LoadWithoutCastENSC_16StoreWithoutCastEEEviT_T0_T2_T3_T4_T5_.num_agpr, max(0, .L_ZN2at6native25elementwise_kernel_helperILb0EZZZNS0_19digamma_kernel_cudaERNS_18TensorIteratorBaseEENKUlvE_clEvENKUlvE0_clEvEUlfE_NS0_6memory8policies11unroll_baseILi256ESt5arrayIPcLm2EE23TrivialOffsetCalculatorILi1EjESE_NS7_15LoadWithoutCastENS7_16StoreWithoutCastELi4ELi1EEEEEvT0_T1_.num_agpr)
	.set _ZN2at6native27unrolled_elementwise_kernelIZZZNS0_19digamma_kernel_cudaERNS_18TensorIteratorBaseEENKUlvE_clEvENKUlvE0_clEvEUlfE_St5arrayIPcLm2EELi4E23TrivialOffsetCalculatorILi1EjESB_NS0_6memory15LoadWithoutCastENSC_16StoreWithoutCastEEEviT_T0_T2_T3_T4_T5_.numbered_sgpr, max(33, .L_ZN2at6native25elementwise_kernel_helperILb0EZZZNS0_19digamma_kernel_cudaERNS_18TensorIteratorBaseEENKUlvE_clEvENKUlvE0_clEvEUlfE_NS0_6memory8policies11unroll_baseILi256ESt5arrayIPcLm2EE23TrivialOffsetCalculatorILi1EjESE_NS7_15LoadWithoutCastENS7_16StoreWithoutCastELi4ELi1EEEEEvT0_T1_.numbered_sgpr)
	.set _ZN2at6native27unrolled_elementwise_kernelIZZZNS0_19digamma_kernel_cudaERNS_18TensorIteratorBaseEENKUlvE_clEvENKUlvE0_clEvEUlfE_St5arrayIPcLm2EELi4E23TrivialOffsetCalculatorILi1EjESB_NS0_6memory15LoadWithoutCastENSC_16StoreWithoutCastEEEviT_T0_T2_T3_T4_T5_.num_named_barrier, max(0, .L_ZN2at6native25elementwise_kernel_helperILb0EZZZNS0_19digamma_kernel_cudaERNS_18TensorIteratorBaseEENKUlvE_clEvENKUlvE0_clEvEUlfE_NS0_6memory8policies11unroll_baseILi256ESt5arrayIPcLm2EE23TrivialOffsetCalculatorILi1EjESE_NS7_15LoadWithoutCastENS7_16StoreWithoutCastELi4ELi1EEEEEvT0_T1_.num_named_barrier)
	.set _ZN2at6native27unrolled_elementwise_kernelIZZZNS0_19digamma_kernel_cudaERNS_18TensorIteratorBaseEENKUlvE_clEvENKUlvE0_clEvEUlfE_St5arrayIPcLm2EELi4E23TrivialOffsetCalculatorILi1EjESB_NS0_6memory15LoadWithoutCastENSC_16StoreWithoutCastEEEviT_T0_T2_T3_T4_T5_.private_seg_size, 0+max(.L_ZN2at6native25elementwise_kernel_helperILb0EZZZNS0_19digamma_kernel_cudaERNS_18TensorIteratorBaseEENKUlvE_clEvENKUlvE0_clEvEUlfE_NS0_6memory8policies11unroll_baseILi256ESt5arrayIPcLm2EE23TrivialOffsetCalculatorILi1EjESE_NS7_15LoadWithoutCastENS7_16StoreWithoutCastELi4ELi1EEEEEvT0_T1_.private_seg_size)
	.set _ZN2at6native27unrolled_elementwise_kernelIZZZNS0_19digamma_kernel_cudaERNS_18TensorIteratorBaseEENKUlvE_clEvENKUlvE0_clEvEUlfE_St5arrayIPcLm2EELi4E23TrivialOffsetCalculatorILi1EjESB_NS0_6memory15LoadWithoutCastENSC_16StoreWithoutCastEEEviT_T0_T2_T3_T4_T5_.uses_vcc, or(1, .L_ZN2at6native25elementwise_kernel_helperILb0EZZZNS0_19digamma_kernel_cudaERNS_18TensorIteratorBaseEENKUlvE_clEvENKUlvE0_clEvEUlfE_NS0_6memory8policies11unroll_baseILi256ESt5arrayIPcLm2EE23TrivialOffsetCalculatorILi1EjESE_NS7_15LoadWithoutCastENS7_16StoreWithoutCastELi4ELi1EEEEEvT0_T1_.uses_vcc)
	.set _ZN2at6native27unrolled_elementwise_kernelIZZZNS0_19digamma_kernel_cudaERNS_18TensorIteratorBaseEENKUlvE_clEvENKUlvE0_clEvEUlfE_St5arrayIPcLm2EELi4E23TrivialOffsetCalculatorILi1EjESB_NS0_6memory15LoadWithoutCastENSC_16StoreWithoutCastEEEviT_T0_T2_T3_T4_T5_.uses_flat_scratch, or(0, .L_ZN2at6native25elementwise_kernel_helperILb0EZZZNS0_19digamma_kernel_cudaERNS_18TensorIteratorBaseEENKUlvE_clEvENKUlvE0_clEvEUlfE_NS0_6memory8policies11unroll_baseILi256ESt5arrayIPcLm2EE23TrivialOffsetCalculatorILi1EjESE_NS7_15LoadWithoutCastENS7_16StoreWithoutCastELi4ELi1EEEEEvT0_T1_.uses_flat_scratch)
	.set _ZN2at6native27unrolled_elementwise_kernelIZZZNS0_19digamma_kernel_cudaERNS_18TensorIteratorBaseEENKUlvE_clEvENKUlvE0_clEvEUlfE_St5arrayIPcLm2EELi4E23TrivialOffsetCalculatorILi1EjESB_NS0_6memory15LoadWithoutCastENSC_16StoreWithoutCastEEEviT_T0_T2_T3_T4_T5_.has_dyn_sized_stack, or(0, .L_ZN2at6native25elementwise_kernel_helperILb0EZZZNS0_19digamma_kernel_cudaERNS_18TensorIteratorBaseEENKUlvE_clEvENKUlvE0_clEvEUlfE_NS0_6memory8policies11unroll_baseILi256ESt5arrayIPcLm2EE23TrivialOffsetCalculatorILi1EjESE_NS7_15LoadWithoutCastENS7_16StoreWithoutCastELi4ELi1EEEEEvT0_T1_.has_dyn_sized_stack)
	.set _ZN2at6native27unrolled_elementwise_kernelIZZZNS0_19digamma_kernel_cudaERNS_18TensorIteratorBaseEENKUlvE_clEvENKUlvE0_clEvEUlfE_St5arrayIPcLm2EELi4E23TrivialOffsetCalculatorILi1EjESB_NS0_6memory15LoadWithoutCastENSC_16StoreWithoutCastEEEviT_T0_T2_T3_T4_T5_.has_recursion, or(0, .L_ZN2at6native25elementwise_kernel_helperILb0EZZZNS0_19digamma_kernel_cudaERNS_18TensorIteratorBaseEENKUlvE_clEvENKUlvE0_clEvEUlfE_NS0_6memory8policies11unroll_baseILi256ESt5arrayIPcLm2EE23TrivialOffsetCalculatorILi1EjESE_NS7_15LoadWithoutCastENS7_16StoreWithoutCastELi4ELi1EEEEEvT0_T1_.has_recursion)
	.set _ZN2at6native27unrolled_elementwise_kernelIZZZNS0_19digamma_kernel_cudaERNS_18TensorIteratorBaseEENKUlvE_clEvENKUlvE0_clEvEUlfE_St5arrayIPcLm2EELi4E23TrivialOffsetCalculatorILi1EjESB_NS0_6memory15LoadWithoutCastENSC_16StoreWithoutCastEEEviT_T0_T2_T3_T4_T5_.has_indirect_call, or(0, .L_ZN2at6native25elementwise_kernel_helperILb0EZZZNS0_19digamma_kernel_cudaERNS_18TensorIteratorBaseEENKUlvE_clEvENKUlvE0_clEvEUlfE_NS0_6memory8policies11unroll_baseILi256ESt5arrayIPcLm2EE23TrivialOffsetCalculatorILi1EjESE_NS7_15LoadWithoutCastENS7_16StoreWithoutCastELi4ELi1EEEEEvT0_T1_.has_indirect_call)
	.section	.AMDGPU.csdata,"",@progbits
; Kernel info:
; codeLenInByte = 96
; TotalNumSgprs: 37
; NumVgprs: 37
; ScratchSize: 0
; MemoryBound: 0
; FloatMode: 240
; IeeeMode: 1
; LDSByteSize: 0 bytes/workgroup (compile time only)
; SGPRBlocks: 4
; VGPRBlocks: 9
; NumSGPRsForWavesPerEU: 37
; NumVGPRsForWavesPerEU: 37
; Occupancy: 6
; WaveLimiterHint : 0
; COMPUTE_PGM_RSRC2:SCRATCH_EN: 0
; COMPUTE_PGM_RSRC2:USER_SGPR: 6
; COMPUTE_PGM_RSRC2:TRAP_HANDLER: 0
; COMPUTE_PGM_RSRC2:TGID_X_EN: 1
; COMPUTE_PGM_RSRC2:TGID_Y_EN: 0
; COMPUTE_PGM_RSRC2:TGID_Z_EN: 0
; COMPUTE_PGM_RSRC2:TIDIG_COMP_CNT: 0
	.section	.text._ZN2at6native32elementwise_kernel_manual_unrollILi128ELi4EZNS0_22gpu_kernel_impl_nocastIZZZNS0_19digamma_kernel_cudaERNS_18TensorIteratorBaseEENKUlvE_clEvENKUlvE0_clEvEUlfE_EEvS4_RKT_EUlibE_EEviT1_,"axG",@progbits,_ZN2at6native32elementwise_kernel_manual_unrollILi128ELi4EZNS0_22gpu_kernel_impl_nocastIZZZNS0_19digamma_kernel_cudaERNS_18TensorIteratorBaseEENKUlvE_clEvENKUlvE0_clEvEUlfE_EEvS4_RKT_EUlibE_EEviT1_,comdat
	.globl	_ZN2at6native32elementwise_kernel_manual_unrollILi128ELi4EZNS0_22gpu_kernel_impl_nocastIZZZNS0_19digamma_kernel_cudaERNS_18TensorIteratorBaseEENKUlvE_clEvENKUlvE0_clEvEUlfE_EEvS4_RKT_EUlibE_EEviT1_ ; -- Begin function _ZN2at6native32elementwise_kernel_manual_unrollILi128ELi4EZNS0_22gpu_kernel_impl_nocastIZZZNS0_19digamma_kernel_cudaERNS_18TensorIteratorBaseEENKUlvE_clEvENKUlvE0_clEvEUlfE_EEvS4_RKT_EUlibE_EEviT1_
	.p2align	8
	.type	_ZN2at6native32elementwise_kernel_manual_unrollILi128ELi4EZNS0_22gpu_kernel_impl_nocastIZZZNS0_19digamma_kernel_cudaERNS_18TensorIteratorBaseEENKUlvE_clEvENKUlvE0_clEvEUlfE_EEvS4_RKT_EUlibE_EEviT1_,@function
_ZN2at6native32elementwise_kernel_manual_unrollILi128ELi4EZNS0_22gpu_kernel_impl_nocastIZZZNS0_19digamma_kernel_cudaERNS_18TensorIteratorBaseEENKUlvE_clEvENKUlvE0_clEvEUlfE_EEvS4_RKT_EUlibE_EEviT1_: ; @_ZN2at6native32elementwise_kernel_manual_unrollILi128ELi4EZNS0_22gpu_kernel_impl_nocastIZZZNS0_19digamma_kernel_cudaERNS_18TensorIteratorBaseEENKUlvE_clEvENKUlvE0_clEvEUlfE_EEvS4_RKT_EUlibE_EEviT1_
; %bb.0:
	s_load_dword s55, s[4:5], 0x0
	s_load_dword s33, s[4:5], 0x8
	s_add_u32 s34, s4, 8
	s_addc_u32 s35, s5, 0
	v_lshl_or_b32 v7, s6, 9, v0
	v_or_b32_e32 v13, 0x180, v7
	s_waitcnt lgkmcnt(0)
	s_add_i32 s54, s33, -1
	s_cmp_gt_u32 s54, 1
	v_cmp_le_i32_e32 vcc, s55, v13
	s_cselect_b64 s[36:37], -1, 0
	s_and_saveexec_b64 s[0:1], vcc
	s_xor_b64 s[38:39], exec, s[0:1]
	s_cbranch_execz .LBB17_7
; %bb.1:
	s_load_dwordx4 s[24:27], s[34:35], 0x4
	s_load_dwordx2 s[40:41], s[34:35], 0x14
	s_load_dwordx4 s[20:23], s[34:35], 0xc4
	s_load_dwordx4 s[16:19], s[34:35], 0x148
	s_cmp_lg_u32 s33, 0
	s_cselect_b64 s[46:47], -1, 0
	s_add_u32 s44, s34, 0xc4
	s_addc_u32 s45, s35, 0
	s_min_u32 s56, s54, 15
	s_cmp_gt_u32 s33, 1
	s_cselect_b64 s[42:43], -1, 0
	v_cmp_gt_i32_e32 vcc, s55, v7
	s_and_saveexec_b64 s[48:49], vcc
	s_cbranch_execz .LBB17_14
; %bb.2:
	s_andn2_b64 vcc, exec, s[36:37]
	s_cbranch_vccnz .LBB17_21
; %bb.3:
	s_andn2_b64 vcc, exec, s[46:47]
	s_cbranch_vccnz .LBB17_169
; %bb.4:
	s_add_i32 s58, s56, 1
	s_cmp_eq_u32 s54, 2
	s_cbranch_scc1 .LBB17_171
; %bb.5:
	s_and_b32 s57, s58, 28
	v_mov_b32_e32 v2, 0
	s_mov_b32 s59, 0
	s_mov_b64 s[50:51], s[34:35]
	s_mov_b64 s[52:53], s[44:45]
	v_mov_b32_e32 v0, 0
	v_mov_b32_e32 v1, v7
.LBB17_6:                               ; =>This Inner Loop Header: Depth=1
	s_load_dwordx8 s[8:15], s[50:51], 0x4
	s_load_dwordx4 s[28:31], s[50:51], 0x24
	s_load_dwordx8 s[0:7], s[52:53], 0x0
	s_add_u32 s50, s50, 48
	s_addc_u32 s51, s51, 0
	s_waitcnt lgkmcnt(0)
	v_mul_hi_u32 v3, s9, v1
	s_add_i32 s59, s59, 4
	s_add_u32 s52, s52, 32
	s_addc_u32 s53, s53, 0
	v_add_u32_e32 v3, v1, v3
	v_lshrrev_b32_e32 v3, s10, v3
	v_mul_lo_u32 v4, v3, s8
	v_mul_hi_u32 v5, s12, v3
	s_cmp_lg_u32 s57, s59
	v_sub_u32_e32 v1, v1, v4
	v_add_u32_e32 v4, v3, v5
	v_mul_lo_u32 v5, v1, s0
	v_mul_lo_u32 v6, v1, s1
	v_lshrrev_b32_e32 v1, s13, v4
	v_mul_lo_u32 v4, v1, s11
	v_mul_hi_u32 v8, s15, v1
	v_sub_u32_e32 v3, v3, v4
	v_add_u32_e32 v4, v1, v8
	v_lshrrev_b32_e32 v4, s28, v4
	v_mul_hi_u32 v9, s30, v4
	v_mul_lo_u32 v10, v4, s14
	v_mul_lo_u32 v8, v3, s2
	;; [unrolled: 1-line block ×3, first 2 shown]
	v_sub_u32_e32 v10, v1, v10
	v_add_u32_e32 v1, v4, v9
	v_lshrrev_b32_e32 v1, s31, v1
	v_mul_lo_u32 v9, v1, s29
	v_mul_lo_u32 v11, v10, s4
	;; [unrolled: 1-line block ×3, first 2 shown]
	v_add3_u32 v0, v5, v0, v8
	v_sub_u32_e32 v4, v4, v9
	v_mul_lo_u32 v9, v4, s6
	v_mul_lo_u32 v4, v4, s7
	v_add3_u32 v2, v6, v2, v3
	v_add3_u32 v0, v11, v0, v9
	;; [unrolled: 1-line block ×3, first 2 shown]
	s_cbranch_scc1 .LBB17_6
	s_branch .LBB17_172
.LBB17_7:
	s_andn2_saveexec_b64 s[0:1], s[38:39]
	s_cbranch_execz .LBB17_245
.LBB17_8:
	v_cndmask_b32_e64 v0, 0, 1, s[36:37]
	v_cmp_ne_u32_e64 s[0:1], 1, v0
	s_andn2_b64 vcc, exec, s[36:37]
	s_cbranch_vccnz .LBB17_20
; %bb.9:
	s_cmp_lg_u32 s33, 0
	s_waitcnt lgkmcnt(0)
	s_mov_b32 s26, 0
	s_cbranch_scc0 .LBB17_23
; %bb.10:
	s_min_u32 s27, s54, 15
	s_add_i32 s27, s27, 1
	s_cmp_eq_u32 s54, 2
	s_cbranch_scc1 .LBB17_24
; %bb.11:
	s_and_b32 s26, s27, 28
	s_add_u32 s2, s34, 0xc4
	s_addc_u32 s3, s35, 0
	v_mov_b32_e32 v11, 0
	s_mov_b32 s28, 0
	s_mov_b64 s[24:25], s[34:35]
	v_mov_b32_e32 v0, 0
	v_mov_b32_e32 v1, v7
.LBB17_12:                              ; =>This Inner Loop Header: Depth=1
	s_load_dwordx8 s[12:19], s[24:25], 0x4
	s_load_dwordx4 s[20:23], s[24:25], 0x24
	s_load_dwordx8 s[4:11], s[2:3], 0x0
	s_add_u32 s24, s24, 48
	s_addc_u32 s25, s25, 0
	s_waitcnt lgkmcnt(0)
	v_mul_hi_u32 v2, s13, v1
	s_add_i32 s28, s28, 4
	s_add_u32 s2, s2, 32
	s_addc_u32 s3, s3, 0
	v_add_u32_e32 v2, v1, v2
	v_lshrrev_b32_e32 v2, s14, v2
	v_mul_lo_u32 v3, v2, s12
	v_mul_hi_u32 v4, s16, v2
	s_cmp_lg_u32 s26, s28
	v_sub_u32_e32 v1, v1, v3
	v_add_u32_e32 v3, v2, v4
	v_mul_lo_u32 v4, v1, s4
	v_mul_lo_u32 v5, v1, s5
	v_lshrrev_b32_e32 v1, s17, v3
	v_mul_lo_u32 v3, v1, s15
	v_mul_hi_u32 v6, s19, v1
	v_sub_u32_e32 v2, v2, v3
	v_add_u32_e32 v3, v1, v6
	v_lshrrev_b32_e32 v3, s20, v3
	v_mul_hi_u32 v8, s22, v3
	v_mul_lo_u32 v9, v3, s18
	v_mul_lo_u32 v6, v2, s6
	v_mul_lo_u32 v2, v2, s7
	v_sub_u32_e32 v9, v1, v9
	v_add_u32_e32 v1, v3, v8
	v_lshrrev_b32_e32 v1, s23, v1
	v_mul_lo_u32 v8, v1, s21
	v_mul_lo_u32 v10, v9, s8
	;; [unrolled: 1-line block ×3, first 2 shown]
	v_add3_u32 v0, v4, v0, v6
	v_sub_u32_e32 v3, v3, v8
	v_mul_lo_u32 v8, v3, s10
	v_mul_lo_u32 v3, v3, s11
	v_add3_u32 v2, v5, v11, v2
	v_add3_u32 v0, v10, v0, v8
	;; [unrolled: 1-line block ×3, first 2 shown]
	s_cbranch_scc1 .LBB17_12
; %bb.13:
	s_and_b32 s6, s27, 3
	s_cmp_eq_u32 s6, 0
	s_cbranch_scc0 .LBB17_25
	s_branch .LBB17_27
.LBB17_14:
	s_or_b64 exec, exec, s[48:49]
	v_cmp_gt_i32_e32 vcc, s55, v7
	s_and_saveexec_b64 s[48:49], vcc
	s_cbranch_execz .LBB17_203
.LBB17_15:
	s_andn2_b64 vcc, exec, s[36:37]
	s_cbranch_vccnz .LBB17_22
; %bb.16:
	s_andn2_b64 vcc, exec, s[46:47]
	s_cbranch_vccnz .LBB17_170
; %bb.17:
	s_add_i32 s58, s56, 1
	s_cmp_eq_u32 s54, 2
	s_cbranch_scc1 .LBB17_211
; %bb.18:
	s_and_b32 s57, s58, 28
	v_mov_b32_e32 v2, 0
	s_mov_b32 s59, 0
	s_mov_b64 s[50:51], s[34:35]
	s_mov_b64 s[52:53], s[44:45]
	v_mov_b32_e32 v0, 0
	v_mov_b32_e32 v1, v7
.LBB17_19:                              ; =>This Inner Loop Header: Depth=1
	s_load_dwordx8 s[8:15], s[50:51], 0x4
	s_load_dwordx4 s[28:31], s[50:51], 0x24
	s_load_dwordx8 s[0:7], s[52:53], 0x0
	s_add_u32 s50, s50, 48
	s_addc_u32 s51, s51, 0
	s_waitcnt lgkmcnt(0)
	v_mul_hi_u32 v3, s9, v1
	s_add_i32 s59, s59, 4
	s_add_u32 s52, s52, 32
	s_addc_u32 s53, s53, 0
	v_add_u32_e32 v3, v1, v3
	v_lshrrev_b32_e32 v3, s10, v3
	v_mul_lo_u32 v4, v3, s8
	v_mul_hi_u32 v5, s12, v3
	s_cmp_eq_u32 s57, s59
	v_sub_u32_e32 v1, v1, v4
	v_add_u32_e32 v4, v3, v5
	v_mul_lo_u32 v5, v1, s0
	v_mul_lo_u32 v6, v1, s1
	v_lshrrev_b32_e32 v1, s13, v4
	v_mul_lo_u32 v4, v1, s11
	v_mul_hi_u32 v8, s15, v1
	v_sub_u32_e32 v3, v3, v4
	v_add_u32_e32 v4, v1, v8
	v_lshrrev_b32_e32 v4, s28, v4
	v_mul_hi_u32 v9, s30, v4
	v_mul_lo_u32 v10, v4, s14
	v_mul_lo_u32 v8, v3, s2
	;; [unrolled: 1-line block ×3, first 2 shown]
	v_sub_u32_e32 v10, v1, v10
	v_add_u32_e32 v1, v4, v9
	v_lshrrev_b32_e32 v1, s31, v1
	v_mul_lo_u32 v9, v1, s29
	v_mul_lo_u32 v11, v10, s4
	v_mul_lo_u32 v10, v10, s5
	v_add3_u32 v0, v5, v0, v8
	v_sub_u32_e32 v4, v4, v9
	v_mul_lo_u32 v9, v4, s6
	v_mul_lo_u32 v4, v4, s7
	v_add3_u32 v2, v6, v2, v3
	v_add3_u32 v0, v11, v0, v9
	;; [unrolled: 1-line block ×3, first 2 shown]
	s_cbranch_scc0 .LBB17_19
	s_branch .LBB17_212
.LBB17_20:
                                        ; implicit-def: $vgpr0
                                        ; implicit-def: $vgpr11
	s_branch .LBB17_28
.LBB17_21:
                                        ; implicit-def: $vgpr0
                                        ; implicit-def: $vgpr2
	s_branch .LBB17_176
.LBB17_22:
                                        ; implicit-def: $vgpr0
                                        ; implicit-def: $vgpr2
	s_branch .LBB17_216
.LBB17_23:
	v_mov_b32_e32 v0, 0
	v_mov_b32_e32 v11, 0
	s_branch .LBB17_27
.LBB17_24:
	v_mov_b32_e32 v0, 0
	v_mov_b32_e32 v11, 0
	;; [unrolled: 1-line block ×3, first 2 shown]
	s_and_b32 s6, s27, 3
	s_cmp_eq_u32 s6, 0
	s_cbranch_scc1 .LBB17_27
.LBB17_25:
	s_lshl_b32 s2, s26, 3
	s_add_u32 s2, s34, s2
	s_addc_u32 s3, s35, 0
	s_add_u32 s2, s2, 0xc4
	s_addc_u32 s3, s3, 0
	s_mul_i32 s4, s26, 12
	s_add_u32 s4, s34, s4
	s_addc_u32 s5, s35, 0
.LBB17_26:                              ; =>This Inner Loop Header: Depth=1
	s_load_dwordx2 s[8:9], s[4:5], 0x4
	s_load_dword s7, s[4:5], 0xc
	s_load_dwordx2 s[10:11], s[2:3], 0x0
	s_add_u32 s4, s4, 12
	s_addc_u32 s5, s5, 0
	s_waitcnt lgkmcnt(0)
	v_mul_hi_u32 v2, s9, v1
	s_add_u32 s2, s2, 8
	s_addc_u32 s3, s3, 0
	s_add_i32 s6, s6, -1
	v_add_u32_e32 v2, v1, v2
	v_lshrrev_b32_e32 v2, s7, v2
	v_mul_lo_u32 v3, v2, s8
	s_cmp_lg_u32 s6, 0
	v_sub_u32_e32 v3, v1, v3
	v_mad_u64_u32 v[0:1], s[8:9], v3, s10, v[0:1]
	v_mad_u64_u32 v[11:12], s[8:9], v3, s11, v[11:12]
	v_mov_b32_e32 v1, v2
	s_cbranch_scc1 .LBB17_26
.LBB17_27:
	s_cbranch_execnz .LBB17_30
.LBB17_28:
	s_load_dwordx4 s[4:7], s[34:35], 0x4
	s_load_dwordx2 s[2:3], s[34:35], 0xc4
	s_cmp_lt_u32 s33, 2
	s_waitcnt lgkmcnt(0)
	v_mul_hi_u32 v0, s5, v7
	v_add_u32_e32 v0, v7, v0
	v_lshrrev_b32_e32 v1, s6, v0
	v_mul_lo_u32 v0, v1, s4
	v_sub_u32_e32 v2, v7, v0
	v_mul_lo_u32 v0, v2, s2
	v_mul_lo_u32 v11, v2, s3
	s_cbranch_scc1 .LBB17_30
; %bb.29:
	s_load_dwordx4 s[4:7], s[34:35], 0x10
	s_load_dwordx2 s[2:3], s[34:35], 0xcc
	s_waitcnt lgkmcnt(0)
	v_mul_hi_u32 v2, s5, v1
	v_add_u32_e32 v2, v1, v2
	v_lshrrev_b32_e32 v2, s6, v2
	v_mul_lo_u32 v2, v2, s4
	v_sub_u32_e32 v2, v1, v2
	v_mad_u64_u32 v[0:1], s[4:5], v2, s2, v[0:1]
	v_mad_u64_u32 v[11:12], s[2:3], v2, s3, v[11:12]
.LBB17_30:
	s_and_b64 vcc, exec, s[0:1]
	v_add_u32_e32 v3, 0x80, v7
	s_cbranch_vccnz .LBB17_36
; %bb.31:
	s_cmp_lg_u32 s33, 0
	s_waitcnt lgkmcnt(0)
	s_mov_b32 s26, 0
	s_cbranch_scc0 .LBB17_37
; %bb.32:
	s_min_u32 s27, s54, 15
	s_add_i32 s27, s27, 1
	s_cmp_eq_u32 s54, 2
	s_cbranch_scc1 .LBB17_38
; %bb.33:
	s_and_b32 s26, s27, 28
	s_add_u32 s2, s34, 0xc4
	s_addc_u32 s3, s35, 0
	v_mov_b32_e32 v9, 0
	s_mov_b32 s28, 0
	s_mov_b64 s[24:25], s[34:35]
	v_mov_b32_e32 v1, 0
	v_mov_b32_e32 v2, v3
.LBB17_34:                              ; =>This Inner Loop Header: Depth=1
	s_load_dwordx8 s[12:19], s[24:25], 0x4
	s_load_dwordx4 s[20:23], s[24:25], 0x24
	s_load_dwordx8 s[4:11], s[2:3], 0x0
	s_add_u32 s24, s24, 48
	s_addc_u32 s25, s25, 0
	s_waitcnt lgkmcnt(0)
	v_mul_hi_u32 v4, s13, v2
	s_add_i32 s28, s28, 4
	s_add_u32 s2, s2, 32
	s_addc_u32 s3, s3, 0
	v_add_u32_e32 v4, v2, v4
	v_lshrrev_b32_e32 v4, s14, v4
	v_mul_lo_u32 v5, v4, s12
	v_mul_hi_u32 v6, s16, v4
	s_cmp_lg_u32 s26, s28
	v_sub_u32_e32 v2, v2, v5
	v_add_u32_e32 v5, v4, v6
	v_mul_lo_u32 v6, v2, s4
	v_mul_lo_u32 v8, v2, s5
	v_lshrrev_b32_e32 v2, s17, v5
	v_mul_lo_u32 v5, v2, s15
	v_mul_hi_u32 v10, s19, v2
	v_sub_u32_e32 v4, v4, v5
	v_add_u32_e32 v5, v2, v10
	v_lshrrev_b32_e32 v5, s20, v5
	v_mul_hi_u32 v12, s22, v5
	v_mul_lo_u32 v14, v5, s18
	v_mul_lo_u32 v10, v4, s6
	;; [unrolled: 1-line block ×3, first 2 shown]
	v_sub_u32_e32 v14, v2, v14
	v_add_u32_e32 v2, v5, v12
	v_lshrrev_b32_e32 v2, s23, v2
	v_mul_lo_u32 v12, v2, s21
	v_mul_lo_u32 v15, v14, s8
	;; [unrolled: 1-line block ×3, first 2 shown]
	v_add3_u32 v1, v6, v1, v10
	v_sub_u32_e32 v5, v5, v12
	v_mul_lo_u32 v12, v5, s10
	v_mul_lo_u32 v5, v5, s11
	v_add3_u32 v4, v8, v9, v4
	v_add3_u32 v1, v15, v1, v12
	v_add3_u32 v9, v14, v4, v5
	s_cbranch_scc1 .LBB17_34
; %bb.35:
	s_and_b32 s6, s27, 3
	s_cmp_eq_u32 s6, 0
	s_cbranch_scc0 .LBB17_39
	s_branch .LBB17_41
.LBB17_36:
                                        ; implicit-def: $vgpr1
                                        ; implicit-def: $vgpr9
	s_branch .LBB17_42
.LBB17_37:
	v_mov_b32_e32 v1, 0
	v_mov_b32_e32 v9, 0
	s_branch .LBB17_41
.LBB17_38:
	v_mov_b32_e32 v1, 0
	v_mov_b32_e32 v9, 0
	v_mov_b32_e32 v2, v3
	s_and_b32 s6, s27, 3
	s_cmp_eq_u32 s6, 0
	s_cbranch_scc1 .LBB17_41
.LBB17_39:
	s_lshl_b32 s2, s26, 3
	s_add_u32 s2, s34, s2
	s_addc_u32 s3, s35, 0
	s_add_u32 s2, s2, 0xc4
	s_addc_u32 s3, s3, 0
	s_mul_i32 s4, s26, 12
	s_add_u32 s4, s34, s4
	s_addc_u32 s5, s35, 0
.LBB17_40:                              ; =>This Inner Loop Header: Depth=1
	s_load_dwordx2 s[8:9], s[4:5], 0x4
	s_load_dword s7, s[4:5], 0xc
	s_load_dwordx2 s[10:11], s[2:3], 0x0
	s_add_u32 s4, s4, 12
	s_addc_u32 s5, s5, 0
	s_waitcnt lgkmcnt(0)
	v_mul_hi_u32 v4, s9, v2
	s_add_u32 s2, s2, 8
	s_addc_u32 s3, s3, 0
	s_add_i32 s6, s6, -1
	v_add_u32_e32 v4, v2, v4
	v_lshrrev_b32_e32 v4, s7, v4
	v_mul_lo_u32 v5, v4, s8
	s_cmp_lg_u32 s6, 0
	v_sub_u32_e32 v5, v2, v5
	v_mad_u64_u32 v[1:2], s[8:9], v5, s10, v[1:2]
	v_mad_u64_u32 v[9:10], s[8:9], v5, s11, v[9:10]
	v_mov_b32_e32 v2, v4
	s_cbranch_scc1 .LBB17_40
.LBB17_41:
	s_cbranch_execnz .LBB17_44
.LBB17_42:
	s_load_dwordx4 s[4:7], s[34:35], 0x4
	s_load_dwordx2 s[2:3], s[34:35], 0xc4
	s_cmp_lt_u32 s33, 2
	s_waitcnt lgkmcnt(0)
	v_mul_hi_u32 v1, s5, v3
	v_add_u32_e32 v1, v3, v1
	v_lshrrev_b32_e32 v2, s6, v1
	v_mul_lo_u32 v1, v2, s4
	v_sub_u32_e32 v3, v3, v1
	v_mul_lo_u32 v1, v3, s2
	v_mul_lo_u32 v9, v3, s3
	s_cbranch_scc1 .LBB17_44
; %bb.43:
	s_load_dwordx4 s[4:7], s[34:35], 0x10
	s_load_dwordx2 s[2:3], s[34:35], 0xcc
	s_waitcnt lgkmcnt(0)
	v_mul_hi_u32 v3, s5, v2
	v_add_u32_e32 v3, v2, v3
	v_lshrrev_b32_e32 v3, s6, v3
	v_mul_lo_u32 v3, v3, s4
	v_sub_u32_e32 v3, v2, v3
	v_mad_u64_u32 v[1:2], s[4:5], v3, s2, v[1:2]
	v_mad_u64_u32 v[9:10], s[2:3], v3, s3, v[9:10]
.LBB17_44:
	s_and_b64 vcc, exec, s[0:1]
	v_add_u32_e32 v4, 0x100, v7
	s_cbranch_vccnz .LBB17_50
; %bb.45:
	s_cmp_lg_u32 s33, 0
	s_waitcnt lgkmcnt(0)
	s_mov_b32 s26, 0
	s_cbranch_scc0 .LBB17_51
; %bb.46:
	s_min_u32 s27, s54, 15
	s_add_i32 s27, s27, 1
	s_cmp_eq_u32 s54, 2
	s_cbranch_scc1 .LBB17_52
; %bb.47:
	s_and_b32 s26, s27, 28
	s_add_u32 s2, s34, 0xc4
	s_addc_u32 s3, s35, 0
	v_mov_b32_e32 v7, 0
	s_mov_b32 s28, 0
	s_mov_b64 s[24:25], s[34:35]
	v_mov_b32_e32 v2, 0
	v_mov_b32_e32 v3, v4
.LBB17_48:                              ; =>This Inner Loop Header: Depth=1
	s_load_dwordx8 s[12:19], s[24:25], 0x4
	s_load_dwordx4 s[20:23], s[24:25], 0x24
	s_load_dwordx8 s[4:11], s[2:3], 0x0
	s_add_u32 s24, s24, 48
	s_addc_u32 s25, s25, 0
	s_waitcnt lgkmcnt(0)
	v_mul_hi_u32 v5, s13, v3
	s_add_i32 s28, s28, 4
	s_add_u32 s2, s2, 32
	s_addc_u32 s3, s3, 0
	v_add_u32_e32 v5, v3, v5
	v_lshrrev_b32_e32 v5, s14, v5
	v_mul_lo_u32 v6, v5, s12
	v_mul_hi_u32 v8, s16, v5
	s_cmp_lg_u32 s26, s28
	v_sub_u32_e32 v3, v3, v6
	v_add_u32_e32 v6, v5, v8
	v_mul_lo_u32 v8, v3, s4
	v_mul_lo_u32 v10, v3, s5
	v_lshrrev_b32_e32 v3, s17, v6
	v_mul_lo_u32 v6, v3, s15
	v_mul_hi_u32 v12, s19, v3
	v_sub_u32_e32 v5, v5, v6
	v_add_u32_e32 v6, v3, v12
	v_lshrrev_b32_e32 v6, s20, v6
	v_mul_hi_u32 v14, s22, v6
	v_mul_lo_u32 v15, v6, s18
	v_mul_lo_u32 v12, v5, s6
	;; [unrolled: 1-line block ×3, first 2 shown]
	v_sub_u32_e32 v15, v3, v15
	v_add_u32_e32 v3, v6, v14
	v_lshrrev_b32_e32 v3, s23, v3
	v_mul_lo_u32 v14, v3, s21
	v_mul_lo_u32 v16, v15, s8
	;; [unrolled: 1-line block ×3, first 2 shown]
	v_add3_u32 v2, v8, v2, v12
	v_sub_u32_e32 v6, v6, v14
	v_mul_lo_u32 v14, v6, s10
	v_mul_lo_u32 v6, v6, s11
	v_add3_u32 v5, v10, v7, v5
	v_add3_u32 v2, v16, v2, v14
	;; [unrolled: 1-line block ×3, first 2 shown]
	s_cbranch_scc1 .LBB17_48
; %bb.49:
	s_and_b32 s6, s27, 3
	s_cmp_eq_u32 s6, 0
	s_cbranch_scc0 .LBB17_53
	s_branch .LBB17_55
.LBB17_50:
                                        ; implicit-def: $vgpr2
                                        ; implicit-def: $vgpr7
	s_branch .LBB17_56
.LBB17_51:
	v_mov_b32_e32 v2, 0
	v_mov_b32_e32 v7, 0
	s_branch .LBB17_55
.LBB17_52:
	v_mov_b32_e32 v2, 0
	v_mov_b32_e32 v7, 0
	;; [unrolled: 1-line block ×3, first 2 shown]
	s_and_b32 s6, s27, 3
	s_cmp_eq_u32 s6, 0
	s_cbranch_scc1 .LBB17_55
.LBB17_53:
	s_lshl_b32 s2, s26, 3
	s_add_u32 s2, s34, s2
	s_addc_u32 s3, s35, 0
	s_add_u32 s2, s2, 0xc4
	s_addc_u32 s3, s3, 0
	s_mul_i32 s4, s26, 12
	s_add_u32 s4, s34, s4
	s_addc_u32 s5, s35, 0
.LBB17_54:                              ; =>This Inner Loop Header: Depth=1
	s_load_dwordx2 s[8:9], s[4:5], 0x4
	s_load_dword s7, s[4:5], 0xc
	s_load_dwordx2 s[10:11], s[2:3], 0x0
	s_add_u32 s4, s4, 12
	s_addc_u32 s5, s5, 0
	s_waitcnt lgkmcnt(0)
	v_mul_hi_u32 v5, s9, v3
	s_add_u32 s2, s2, 8
	s_addc_u32 s3, s3, 0
	s_add_i32 s6, s6, -1
	v_add_u32_e32 v5, v3, v5
	v_lshrrev_b32_e32 v5, s7, v5
	v_mul_lo_u32 v6, v5, s8
	s_cmp_lg_u32 s6, 0
	v_sub_u32_e32 v6, v3, v6
	v_mad_u64_u32 v[2:3], s[8:9], v6, s10, v[2:3]
	v_mad_u64_u32 v[7:8], s[8:9], v6, s11, v[7:8]
	v_mov_b32_e32 v3, v5
	s_cbranch_scc1 .LBB17_54
.LBB17_55:
	s_cbranch_execnz .LBB17_58
.LBB17_56:
	s_load_dwordx4 s[4:7], s[34:35], 0x4
	s_load_dwordx2 s[2:3], s[34:35], 0xc4
	s_cmp_lt_u32 s33, 2
	s_waitcnt lgkmcnt(0)
	v_mul_hi_u32 v2, s5, v4
	v_add_u32_e32 v2, v4, v2
	v_lshrrev_b32_e32 v3, s6, v2
	v_mul_lo_u32 v2, v3, s4
	v_sub_u32_e32 v4, v4, v2
	v_mul_lo_u32 v2, v4, s2
	v_mul_lo_u32 v7, v4, s3
	s_cbranch_scc1 .LBB17_58
; %bb.57:
	s_load_dwordx4 s[4:7], s[34:35], 0x10
	s_load_dwordx2 s[2:3], s[34:35], 0xcc
	s_waitcnt lgkmcnt(0)
	v_mul_hi_u32 v4, s5, v3
	v_add_u32_e32 v4, v3, v4
	v_lshrrev_b32_e32 v4, s6, v4
	v_mul_lo_u32 v4, v4, s4
	v_sub_u32_e32 v4, v3, v4
	v_mad_u64_u32 v[2:3], s[4:5], v4, s2, v[2:3]
	v_mad_u64_u32 v[7:8], s[2:3], v4, s3, v[7:8]
.LBB17_58:
	s_and_b64 vcc, exec, s[0:1]
	s_cbranch_vccnz .LBB17_64
; %bb.59:
	s_cmp_lg_u32 s33, 0
	s_waitcnt lgkmcnt(0)
	s_mov_b32 s24, 0
	s_cbranch_scc0 .LBB17_65
; %bb.60:
	s_min_u32 s25, s54, 15
	s_add_i32 s25, s25, 1
	s_cmp_eq_u32 s54, 2
	s_cbranch_scc1 .LBB17_66
; %bb.61:
	s_and_b32 s24, s25, 28
	s_add_u32 s20, s34, 0xc4
	s_addc_u32 s21, s35, 0
	v_mov_b32_e32 v5, 0
	s_mov_b32 s26, 0
	s_mov_b64 s[22:23], s[34:35]
	v_mov_b32_e32 v3, 0
	v_mov_b32_e32 v4, v13
.LBB17_62:                              ; =>This Inner Loop Header: Depth=1
	s_load_dwordx8 s[8:15], s[22:23], 0x4
	s_load_dwordx4 s[16:19], s[22:23], 0x24
	s_load_dwordx8 s[0:7], s[20:21], 0x0
	s_add_u32 s22, s22, 48
	s_addc_u32 s23, s23, 0
	s_waitcnt lgkmcnt(0)
	v_mul_hi_u32 v6, s9, v4
	s_add_i32 s26, s26, 4
	s_add_u32 s20, s20, 32
	s_addc_u32 s21, s21, 0
	v_add_u32_e32 v6, v4, v6
	v_lshrrev_b32_e32 v6, s10, v6
	v_mul_lo_u32 v8, v6, s8
	v_mul_hi_u32 v10, s12, v6
	s_cmp_lg_u32 s24, s26
	v_sub_u32_e32 v4, v4, v8
	v_add_u32_e32 v8, v6, v10
	v_mul_lo_u32 v10, v4, s0
	v_mul_lo_u32 v12, v4, s1
	v_lshrrev_b32_e32 v4, s13, v8
	v_mul_lo_u32 v8, v4, s11
	v_mul_hi_u32 v14, s15, v4
	v_sub_u32_e32 v6, v6, v8
	v_add_u32_e32 v8, v4, v14
	v_lshrrev_b32_e32 v8, s16, v8
	v_mul_hi_u32 v15, s18, v8
	v_mul_lo_u32 v16, v8, s14
	v_mul_lo_u32 v14, v6, s2
	v_mul_lo_u32 v6, v6, s3
	v_sub_u32_e32 v16, v4, v16
	v_add_u32_e32 v4, v8, v15
	v_lshrrev_b32_e32 v4, s19, v4
	v_mul_lo_u32 v15, v4, s17
	v_mul_lo_u32 v17, v16, s4
	v_mul_lo_u32 v16, v16, s5
	v_add3_u32 v3, v10, v3, v14
	v_sub_u32_e32 v8, v8, v15
	v_mul_lo_u32 v15, v8, s6
	v_mul_lo_u32 v8, v8, s7
	v_add3_u32 v5, v12, v5, v6
	v_add3_u32 v3, v17, v3, v15
	;; [unrolled: 1-line block ×3, first 2 shown]
	s_cbranch_scc1 .LBB17_62
; %bb.63:
	s_and_b32 s4, s25, 3
	s_cmp_eq_u32 s4, 0
	s_cbranch_scc0 .LBB17_67
	s_branch .LBB17_69
.LBB17_64:
                                        ; implicit-def: $vgpr3
                                        ; implicit-def: $vgpr5
	s_branch .LBB17_70
.LBB17_65:
	v_mov_b32_e32 v3, 0
	v_mov_b32_e32 v5, 0
	s_branch .LBB17_69
.LBB17_66:
	v_mov_b32_e32 v3, 0
	v_mov_b32_e32 v5, 0
	;; [unrolled: 1-line block ×3, first 2 shown]
	s_and_b32 s4, s25, 3
	s_cmp_eq_u32 s4, 0
	s_cbranch_scc1 .LBB17_69
.LBB17_67:
	s_lshl_b32 s0, s24, 3
	s_add_u32 s0, s34, s0
	s_addc_u32 s1, s35, 0
	s_add_u32 s0, s0, 0xc4
	s_addc_u32 s1, s1, 0
	s_mul_i32 s2, s24, 12
	s_add_u32 s2, s34, s2
	s_addc_u32 s3, s35, 0
.LBB17_68:                              ; =>This Inner Loop Header: Depth=1
	s_load_dwordx2 s[6:7], s[2:3], 0x4
	s_load_dword s5, s[2:3], 0xc
	s_load_dwordx2 s[8:9], s[0:1], 0x0
	s_add_u32 s2, s2, 12
	s_addc_u32 s3, s3, 0
	s_waitcnt lgkmcnt(0)
	v_mul_hi_u32 v6, s7, v4
	s_add_u32 s0, s0, 8
	s_addc_u32 s1, s1, 0
	s_add_i32 s4, s4, -1
	v_add_u32_e32 v6, v4, v6
	v_lshrrev_b32_e32 v8, s5, v6
	v_mul_lo_u32 v6, v8, s6
	s_cmp_lg_u32 s4, 0
	v_sub_u32_e32 v6, v4, v6
	v_mad_u64_u32 v[3:4], s[6:7], v6, s8, v[3:4]
	v_mad_u64_u32 v[5:6], s[6:7], v6, s9, v[5:6]
	v_mov_b32_e32 v4, v8
	s_cbranch_scc1 .LBB17_68
.LBB17_69:
	s_cbranch_execnz .LBB17_72
.LBB17_70:
	s_load_dwordx4 s[0:3], s[34:35], 0x4
	s_load_dwordx2 s[4:5], s[34:35], 0xc4
	s_cmp_lt_u32 s33, 2
	s_waitcnt lgkmcnt(0)
	v_mul_hi_u32 v3, s1, v13
	v_add_u32_e32 v3, v13, v3
	v_lshrrev_b32_e32 v4, s2, v3
	v_mul_lo_u32 v3, v4, s0
	v_sub_u32_e32 v5, v13, v3
	v_mul_lo_u32 v3, v5, s4
	v_mul_lo_u32 v5, v5, s5
	s_cbranch_scc1 .LBB17_72
; %bb.71:
	s_load_dwordx4 s[0:3], s[34:35], 0x10
	s_load_dwordx2 s[4:5], s[34:35], 0xcc
	s_waitcnt lgkmcnt(0)
	v_mul_hi_u32 v6, s1, v4
	v_add_u32_e32 v6, v4, v6
	v_lshrrev_b32_e32 v6, s2, v6
	v_mul_lo_u32 v6, v6, s0
	v_sub_u32_e32 v6, v4, v6
	v_mad_u64_u32 v[3:4], s[0:1], v6, s4, v[3:4]
	v_mad_u64_u32 v[5:6], s[0:1], v6, s5, v[5:6]
.LBB17_72:
	s_load_dwordx4 s[4:7], s[34:35], 0x148
                                        ; implicit-def: $vgpr14
	s_waitcnt lgkmcnt(0)
	global_load_dword v4, v11, s[6:7]
	s_waitcnt vmcnt(0)
	v_cmp_neq_f32_e32 vcc, 0, v4
	s_and_saveexec_b64 s[0:1], vcc
	s_xor_b64 s[2:3], exec, s[0:1]
	s_cbranch_execz .LBB17_94
; %bb.73:
	v_mov_b32_e32 v6, 0
	v_cmp_gt_f32_e32 vcc, 0, v4
	s_mov_b64 s[0:1], -1
	s_and_saveexec_b64 s[8:9], vcc
	s_cbranch_execz .LBB17_81
; %bb.74:
	v_trunc_f32_e32 v6, v4
	v_cmp_neq_f32_e32 vcc, v4, v6
	s_mov_b64 s[12:13], 0
	v_mov_b32_e32 v6, 0
	s_and_saveexec_b64 s[10:11], vcc
	s_cbranch_execz .LBB17_80
; %bb.75:
	v_cvt_f64_f32_e32 v[10:11], v4
	s_mov_b32 s0, 0
	s_mov_b32 s13, 0xc00921fb
	;; [unrolled: 1-line block ×3, first 2 shown]
	v_trunc_f64_e32 v[12:13], v[10:11]
	s_mov_b32 s1, 0x7ff00000
	v_cmp_neq_f64_e64 vcc, |v[10:11]|, s[0:1]
	v_bfrev_b32_e32 v6, 1
	s_mov_b32 s14, 0
	s_mov_b32 s15, 0x41d00000
                                        ; implicit-def: $vgpr14_vgpr15
	v_add_f64 v[12:13], v[10:11], -v[12:13]
	v_mul_f64 v[12:13], |v[12:13]|, s[12:13]
	v_cndmask_b32_e32 v11, v6, v13, vcc
	v_cndmask_b32_e32 v10, 0, v12, vcc
	v_cmp_nlt_f64_e64 s[14:15], |v[10:11]|, s[14:15]
                                        ; implicit-def: $vgpr6
                                        ; implicit-def: $vgpr12_vgpr13
	s_and_saveexec_b64 s[16:17], s[14:15]
	s_xor_b64 s[14:15], exec, s[16:17]
	s_cbranch_execz .LBB17_77
; %bb.76:
	v_trig_preop_f64 v[12:13], |v[10:11]|, 0
	s_mov_b32 s16, 0
	s_mov_b32 s17, 0x7b000000
	s_movk_i32 s13, 0xff80
	v_ldexp_f64 v[16:17], |v[10:11]|, s13
	v_cmp_ge_f64_e64 vcc, |v[10:11]|, s[16:17]
	v_trig_preop_f64 v[14:15], |v[10:11]|, 1
	v_and_b32_e32 v6, 0x7fffffff, v11
	v_trig_preop_f64 v[24:25], |v[10:11]|, 2
	v_mov_b32_e32 v34, 0
	v_mov_b32_e32 v8, 0x3ff00000
	s_mov_b32 s13, 0x3ff921fb
	v_cndmask_b32_e32 v17, v6, v17, vcc
	v_cndmask_b32_e32 v16, v10, v16, vcc
	v_mov_b32_e32 v6, 0x40100000
	v_mul_f64 v[18:19], v[12:13], v[16:17]
	v_mul_f64 v[20:21], v[14:15], v[16:17]
	;; [unrolled: 1-line block ×3, first 2 shown]
	v_fma_f64 v[12:13], v[12:13], v[16:17], -v[18:19]
	v_fma_f64 v[14:15], v[14:15], v[16:17], -v[20:21]
	v_fma_f64 v[16:17], v[24:25], v[16:17], -v[30:31]
	v_add_f64 v[22:23], v[20:21], v[12:13]
	v_add_f64 v[26:27], v[22:23], -v[20:21]
	v_add_f64 v[32:33], v[18:19], v[22:23]
	v_add_f64 v[28:29], v[22:23], -v[26:27]
	v_add_f64 v[12:13], v[12:13], -v[26:27]
	v_add_f64 v[26:27], v[30:31], v[14:15]
	v_add_f64 v[18:19], v[32:33], -v[18:19]
	v_add_f64 v[20:21], v[20:21], -v[28:29]
	v_ldexp_f64 v[28:29], v[32:33], -2
	v_add_f64 v[36:37], v[26:27], -v[30:31]
	v_add_f64 v[18:19], v[22:23], -v[18:19]
	v_add_f64 v[12:13], v[12:13], v[20:21]
	v_fract_f64_e32 v[20:21], v[28:29]
	v_cmp_neq_f64_e64 vcc, |v[28:29]|, s[0:1]
	v_add_f64 v[14:15], v[14:15], -v[36:37]
	v_add_f64 v[22:23], v[26:27], v[12:13]
	v_ldexp_f64 v[20:21], v[20:21], 2
	v_add_f64 v[28:29], v[18:19], v[22:23]
	v_cndmask_b32_e32 v21, 0, v21, vcc
	v_cndmask_b32_e32 v20, 0, v20, vcc
	v_add_f64 v[38:39], v[22:23], -v[26:27]
	v_add_f64 v[32:33], v[28:29], v[20:21]
	v_add_f64 v[18:19], v[28:29], -v[18:19]
	v_add_f64 v[40:41], v[22:23], -v[38:39]
	;; [unrolled: 1-line block ×3, first 2 shown]
	v_cmp_gt_f64_e32 vcc, 0, v[32:33]
	v_add_f64 v[32:33], v[26:27], -v[36:37]
	v_add_f64 v[18:19], v[22:23], -v[18:19]
	;; [unrolled: 1-line block ×3, first 2 shown]
	v_cndmask_b32_e32 v35, 0, v6, vcc
	v_add_f64 v[20:21], v[20:21], v[34:35]
	v_add_f64 v[32:33], v[30:31], -v[32:33]
	v_add_f64 v[12:13], v[12:13], v[26:27]
	v_add_f64 v[42:43], v[28:29], v[20:21]
	v_add_f64 v[14:15], v[14:15], v[32:33]
	v_cvt_i32_f64_e32 v6, v[42:43]
	v_add_f64 v[12:13], v[14:15], v[12:13]
	v_cvt_f64_i32_e32 v[35:36], v6
	v_add_f64 v[20:21], v[20:21], -v[35:36]
	v_add_f64 v[12:13], v[16:17], v[12:13]
	v_add_f64 v[14:15], v[28:29], v[20:21]
	;; [unrolled: 1-line block ×3, first 2 shown]
	v_add_f64 v[16:17], v[14:15], -v[20:21]
	v_cmp_le_f64_e32 vcc, 0.5, v[14:15]
	v_add_f64 v[16:17], v[28:29], -v[16:17]
	v_cndmask_b32_e32 v35, 0, v8, vcc
	v_add_f64 v[14:15], v[14:15], -v[34:35]
	v_addc_co_u32_e64 v6, s[0:1], 0, v6, vcc
	s_mov_b32 s0, 0x33145c07
	s_mov_b32 s1, 0x3c91a626
	v_add_f64 v[12:13], v[12:13], v[16:17]
	v_add_f64 v[16:17], v[14:15], v[12:13]
	v_mul_f64 v[18:19], v[16:17], s[12:13]
	v_add_f64 v[14:15], v[16:17], -v[14:15]
	v_fma_f64 v[20:21], v[16:17], s[12:13], -v[18:19]
	v_add_f64 v[12:13], v[12:13], -v[14:15]
	v_fma_f64 v[14:15], v[16:17], s[0:1], v[20:21]
	v_fma_f64 v[14:15], v[12:13], s[12:13], v[14:15]
	v_add_f64 v[12:13], v[18:19], v[14:15]
	v_add_f64 v[16:17], v[12:13], -v[18:19]
	v_add_f64 v[14:15], v[14:15], -v[16:17]
.LBB17_77:
	s_andn2_saveexec_b64 s[0:1], s[14:15]
	s_cbranch_execz .LBB17_79
; %bb.78:
	s_mov_b32 s12, 0x6dc9c883
	s_mov_b32 s13, 0x3fe45f30
	v_mul_f64 v[12:13], |v[10:11]|, s[12:13]
	s_mov_b32 s12, 0x54442d18
	s_mov_b32 s13, 0xbff921fb
	;; [unrolled: 1-line block ×4, first 2 shown]
	v_rndne_f64_e32 v[16:17], v[12:13]
	v_fma_f64 v[12:13], v[16:17], s[12:13], |v[10:11]|
	v_mul_f64 v[14:15], v[16:17], s[14:15]
	s_mov_b32 s12, 0x252049c0
	s_mov_b32 s13, 0xb97b839a
	v_cvt_i32_f64_e32 v6, v[16:17]
	v_fma_f64 v[22:23], v[16:17], s[14:15], v[12:13]
	v_add_f64 v[18:19], v[12:13], v[14:15]
	s_mov_b32 s15, 0x3c91a626
	v_add_f64 v[20:21], v[12:13], -v[18:19]
	v_add_f64 v[18:19], v[18:19], -v[22:23]
	v_add_f64 v[12:13], v[20:21], v[14:15]
	v_fma_f64 v[14:15], v[16:17], s[14:15], v[14:15]
	v_add_f64 v[12:13], v[18:19], v[12:13]
	v_add_f64 v[12:13], v[12:13], -v[14:15]
	v_fma_f64 v[14:15], v[16:17], s[12:13], v[12:13]
	v_add_f64 v[12:13], v[22:23], v[14:15]
	v_add_f64 v[18:19], v[12:13], -v[22:23]
	v_add_f64 v[14:15], v[14:15], -v[18:19]
.LBB17_79:
	s_or_b64 exec, exec, s[0:1]
	v_mul_f64 v[16:17], v[12:13], v[12:13]
	v_add_f64 v[18:19], v[14:15], v[14:15]
	s_mov_b32 s0, 0xc751c08c
	s_mov_b32 s1, 0x3ef5e089
	v_and_b32_e32 v6, 1, v6
	v_cmp_eq_u32_e32 vcc, 0, v6
	v_and_b32_e32 v8, 0x80000000, v11
	s_mov_b32 s14, 0x54442d18
	v_fma_f64 v[20:21], v[12:13], v[12:13], -v[16:17]
	s_mov_b32 s15, 0xc00921fb
	s_mov_b64 s[12:13], exec
	v_sub_f32_e32 v4, 1.0, v4
	v_fma_f64 v[18:19], v[12:13], v[18:19], v[20:21]
	v_add_f64 v[16:17], v[16:17], v[18:19]
	v_mov_b32_e32 v18, 0xa9a29f71
	v_mov_b32_e32 v19, 0xbf078809
	v_fma_f64 v[18:19], v[16:17], s[0:1], v[18:19]
	s_mov_b32 s0, 0x90a8aae0
	s_mov_b32 s1, 0x3f17746f
	v_fma_f64 v[18:19], v[16:17], v[18:19], s[0:1]
	s_mov_b32 s0, 0xa6fbf144
	s_mov_b32 s1, 0xbefbb44d
	v_fma_f64 v[18:19], v[16:17], v[18:19], s[0:1]
	s_mov_b32 s0, 0xa7943acf
	s_mov_b32 s1, 0x3f21e634
	v_fma_f64 v[18:19], v[16:17], v[18:19], s[0:1]
	s_mov_b32 s0, 0xdeb68feb
	s_mov_b32 s1, 0x3f2d250f
	v_fma_f64 v[18:19], v[16:17], v[18:19], s[0:1]
	s_mov_b32 s0, 0xb58c4d95
	s_mov_b32 s1, 0x3f437fd9
	v_fma_f64 v[18:19], v[16:17], v[18:19], s[0:1]
	s_mov_b32 s0, 0x15120e2c
	s_mov_b32 s1, 0x3f57d5af
	v_fma_f64 v[18:19], v[16:17], v[18:19], s[0:1]
	s_mov_b32 s0, 0xe09491df
	s_mov_b32 s1, 0x3f6d6d93
	v_fma_f64 v[18:19], v[16:17], v[18:19], s[0:1]
	s_mov_b32 s0, 0x2033784d
	s_mov_b32 s1, 0x3f8226e1
	v_fma_f64 v[18:19], v[16:17], v[18:19], s[0:1]
	s_mov_b32 s0, 0x9ac36ae2
	s_mov_b32 s1, 0x3f9664f4
	v_fma_f64 v[18:19], v[16:17], v[18:19], s[0:1]
	s_mov_b32 s0, 0x1b451c21
	s_mov_b32 s1, 0x3faba1ba
	v_fma_f64 v[18:19], v[16:17], v[18:19], s[0:1]
	s_mov_b32 s0, 0x111185b7
	s_mov_b32 s1, 0x3fc11111
	v_fma_f64 v[18:19], v[16:17], v[18:19], s[0:1]
	s_mov_b32 s0, 0x555554ee
	s_mov_b32 s1, 0x3fd55555
	v_fma_f64 v[18:19], v[16:17], v[18:19], s[0:1]
	s_movk_i32 s0, 0x1f8
	v_cmp_class_f64_e64 s[0:1], v[10:11], s0
	v_mov_b32_e32 v11, 0x7ff80000
	v_mul_f64 v[16:17], v[16:17], v[18:19]
	v_mul_f64 v[18:19], v[12:13], v[16:17]
	v_add_f64 v[20:21], v[12:13], v[18:19]
	v_fma_f64 v[16:17], v[12:13], v[16:17], -v[18:19]
	v_add_f64 v[12:13], v[20:21], -v[12:13]
	v_add_f64 v[14:15], v[14:15], v[16:17]
	v_add_f64 v[12:13], v[18:19], -v[12:13]
	v_add_f64 v[12:13], v[14:15], v[12:13]
	v_add_f64 v[14:15], v[20:21], v[12:13]
	v_rcp_f64_e32 v[16:17], v[14:15]
	v_fma_f64 v[18:19], -v[14:15], v[16:17], 1.0
	v_fma_f64 v[16:17], v[18:19], v[16:17], v[16:17]
	v_fma_f64 v[18:19], -v[14:15], v[16:17], 1.0
	v_fma_f64 v[16:17], v[18:19], v[16:17], v[16:17]
	v_add_f64 v[18:19], v[14:15], -v[20:21]
	v_mul_f64 v[20:21], v[14:15], v[16:17]
	v_add_f64 v[12:13], v[12:13], -v[18:19]
	v_fma_f64 v[18:19], v[16:17], v[14:15], -v[20:21]
	v_fma_f64 v[12:13], v[16:17], v[12:13], v[18:19]
	v_add_f64 v[18:19], v[20:21], v[12:13]
	v_add_f64 v[22:23], -v[18:19], 1.0
	v_add_f64 v[20:21], v[18:19], -v[20:21]
	v_add_f64 v[24:25], -v[22:23], 1.0
	v_add_f64 v[12:13], v[20:21], -v[12:13]
	v_add_f64 v[18:19], v[24:25], -v[18:19]
	v_add_f64 v[12:13], v[12:13], v[18:19]
	v_add_f64 v[12:13], v[22:23], v[12:13]
	v_mul_f64 v[12:13], v[16:17], v[12:13]
	v_add_f64 v[12:13], v[16:17], v[12:13]
	v_xor_b32_e32 v10, 0x80000000, v13
	v_cndmask_b32_e32 v6, v12, v14, vcc
	v_cndmask_b32_e32 v12, v10, v15, vcc
	v_cndmask_b32_e64 v10, 0, v6, s[0:1]
	v_xor_b32_e32 v6, v12, v8
	v_cndmask_b32_e64 v11, v11, v6, s[0:1]
	v_div_scale_f64 v[12:13], s[0:1], v[10:11], v[10:11], s[14:15]
	v_div_scale_f64 v[18:19], vcc, s[14:15], v[10:11], s[14:15]
	v_rcp_f64_e32 v[14:15], v[12:13]
	v_fma_f64 v[16:17], -v[12:13], v[14:15], 1.0
	v_fma_f64 v[14:15], v[14:15], v[16:17], v[14:15]
	v_fma_f64 v[16:17], -v[12:13], v[14:15], 1.0
	v_fma_f64 v[14:15], v[14:15], v[16:17], v[14:15]
	v_mul_f64 v[16:17], v[18:19], v[14:15]
	v_fma_f64 v[12:13], -v[12:13], v[16:17], v[18:19]
	v_div_fmas_f64 v[12:13], v[12:13], v[14:15], v[16:17]
	v_div_fixup_f64 v[10:11], v[12:13], v[10:11], s[14:15]
	v_cvt_f32_f64_e32 v6, v[10:11]
.LBB17_80:
	s_or_b64 exec, exec, s[10:11]
	s_orn2_b64 s[0:1], s[12:13], exec
.LBB17_81:
	s_or_b64 exec, exec, s[8:9]
	v_mov_b32_e32 v14, 0x7fc00000
	s_and_saveexec_b64 s[8:9], s[0:1]
	s_cbranch_execz .LBB17_93
; %bb.82:
	s_mov_b32 s12, 0x41200000
	v_cmp_gt_f32_e32 vcc, s12, v4
	s_and_saveexec_b64 s[0:1], vcc
	s_cbranch_execz .LBB17_86
; %bb.83:
	s_mov_b64 s[10:11], 0
.LBB17_84:                              ; =>This Inner Loop Header: Depth=1
	v_div_scale_f32 v8, s[14:15], v4, v4, 1.0
	v_div_scale_f32 v10, vcc, 1.0, v4, 1.0
	v_rcp_f32_e32 v11, v8
	v_fma_f32 v12, -v8, v11, 1.0
	v_fmac_f32_e32 v11, v12, v11
	v_mul_f32_e32 v12, v10, v11
	v_fma_f32 v13, -v8, v12, v10
	v_fmac_f32_e32 v12, v13, v11
	v_fma_f32 v8, -v8, v12, v10
	v_div_fmas_f32 v8, v8, v11, v12
	v_div_fixup_f32 v8, v8, v4, 1.0
	v_add_f32_e32 v4, 1.0, v4
	v_cmp_ngt_f32_e32 vcc, s12, v4
	s_or_b64 s[10:11], vcc, s[10:11]
	v_sub_f32_e32 v6, v6, v8
	s_andn2_b64 exec, exec, s[10:11]
	s_cbranch_execnz .LBB17_84
; %bb.85:
	s_or_b64 exec, exec, s[10:11]
.LBB17_86:
	s_or_b64 exec, exec, s[0:1]
	s_mov_b32 s0, 0x41200000
	v_cmp_neq_f32_e32 vcc, s0, v4
                                        ; implicit-def: $vgpr14
	s_and_saveexec_b64 s[0:1], vcc
	s_xor_b64 s[10:11], exec, s[0:1]
	s_cbranch_execz .LBB17_90
; %bb.87:
	v_cvt_f64_f32_e32 v[10:11], v4
	s_mov_b32 s0, 0x85d8a000
	s_mov_b32 s1, 0x43763457
	v_mov_b32_e32 v8, 0
	v_cmp_gt_f64_e32 vcc, s[0:1], v[10:11]
	s_and_saveexec_b64 s[0:1], vcc
	s_cbranch_execz .LBB17_89
; %bb.88:
	v_mul_f32_e32 v8, v4, v4
	v_div_scale_f32 v10, s[12:13], v8, v8, 1.0
	v_div_scale_f32 v11, vcc, 1.0, v8, 1.0
	v_mov_b32_e32 v15, 0x3b820821
	v_rcp_f32_e32 v12, v10
	v_fma_f32 v13, -v10, v12, 1.0
	v_fmac_f32_e32 v12, v13, v12
	v_mul_f32_e32 v13, v11, v12
	v_fma_f32 v14, -v10, v13, v11
	v_fmac_f32_e32 v13, v14, v12
	v_fma_f32 v10, -v10, v13, v11
	v_div_fmas_f32 v10, v10, v12, v13
	v_mov_b32_e32 v11, 0x3daaaaab
	v_mov_b32_e32 v12, 0xbcaccacd
	;; [unrolled: 1-line block ×4, first 2 shown]
	v_div_fixup_f32 v8, v10, v8, 1.0
	v_fma_f32 v10, 0, v8, v11
	v_fmac_f32_e32 v12, v8, v10
	v_fmac_f32_e32 v13, v8, v12
	;; [unrolled: 1-line block ×4, first 2 shown]
	v_mov_b32_e32 v10, 0xbc088889
	v_fmac_f32_e32 v10, v8, v15
	v_fmac_f32_e32 v11, v8, v10
	v_mul_f32_e32 v8, v8, v11
.LBB17_89:
	s_or_b64 exec, exec, s[0:1]
	v_div_scale_f32 v10, s[0:1], v4, v4, -0.5
	v_div_scale_f32 v11, vcc, -0.5, v4, -0.5
	s_mov_b32 s0, 0x800000
	v_cmp_gt_f32_e64 s[0:1], s0, v4
	v_cndmask_b32_e64 v13, 0, 32, s[0:1]
	s_mov_b32 s12, 0x3f317217
	v_rcp_f32_e32 v12, v10
	v_fma_f32 v14, -v10, v12, 1.0
	v_fmac_f32_e32 v12, v14, v12
	v_mul_f32_e32 v14, v11, v12
	v_fma_f32 v15, -v10, v14, v11
	v_fmac_f32_e32 v14, v15, v12
	v_fma_f32 v10, -v10, v14, v11
	v_div_fmas_f32 v10, v10, v12, v14
	v_ldexp_f32 v11, v4, v13
	v_log_f32_e32 v11, v11
	v_mul_f32_e32 v12, 0x3f317217, v11
	v_fma_f32 v12, v11, s12, -v12
	v_fmac_f32_e32 v12, 0x3377d1cf, v11
	s_mov_b32 s12, 0x7f800000
	v_fmac_f32_e32 v12, 0x3f317217, v11
	v_cmp_lt_f32_e64 vcc, |v11|, s12
	v_cndmask_b32_e32 v11, v11, v12, vcc
	v_mov_b32_e32 v12, 0x41b17218
	v_cndmask_b32_e64 v12, 0, v12, s[0:1]
	v_sub_f32_e32 v11, v11, v12
	v_div_fixup_f32 v4, v10, v4, -0.5
	v_add_f32_e32 v4, v11, v4
	v_sub_f32_e32 v4, v4, v8
	v_add_f32_e32 v14, v6, v4
                                        ; implicit-def: $vgpr6
.LBB17_90:
	s_andn2_saveexec_b64 s[0:1], s[10:11]
; %bb.91:
	v_add_f32_e32 v14, 0x40101cb7, v6
; %bb.92:
	s_or_b64 exec, exec, s[0:1]
.LBB17_93:
	s_or_b64 exec, exec, s[8:9]
                                        ; implicit-def: $vgpr4
.LBB17_94:
	s_andn2_saveexec_b64 s[0:1], s[2:3]
; %bb.95:
	v_xor_b32_e32 v4, 0x80000000, v4
	s_brev_b32 s2, -2
	v_mov_b32_e32 v6, 0x7f800000
	v_bfi_b32 v14, s2, v6, v4
; %bb.96:
	s_or_b64 exec, exec, s[0:1]
	global_load_dword v4, v9, s[6:7]
                                        ; implicit-def: $vgpr12
	s_waitcnt vmcnt(0)
	v_cmp_neq_f32_e32 vcc, 0, v4
	s_and_saveexec_b64 s[0:1], vcc
	s_xor_b64 s[2:3], exec, s[0:1]
	s_cbranch_execz .LBB17_118
; %bb.97:
	v_mov_b32_e32 v6, 0
	v_cmp_gt_f32_e32 vcc, 0, v4
	s_mov_b64 s[0:1], -1
	s_and_saveexec_b64 s[8:9], vcc
	s_cbranch_execz .LBB17_105
; %bb.98:
	v_trunc_f32_e32 v6, v4
	v_cmp_neq_f32_e32 vcc, v4, v6
	s_mov_b64 s[12:13], 0
	v_mov_b32_e32 v6, 0
	s_and_saveexec_b64 s[10:11], vcc
	s_cbranch_execz .LBB17_104
; %bb.99:
	v_cvt_f64_f32_e32 v[8:9], v4
	s_mov_b32 s0, 0
	s_mov_b32 s13, 0xc00921fb
	;; [unrolled: 1-line block ×3, first 2 shown]
	v_trunc_f64_e32 v[10:11], v[8:9]
	s_mov_b32 s1, 0x7ff00000
	v_cmp_neq_f64_e64 vcc, |v[8:9]|, s[0:1]
	v_bfrev_b32_e32 v6, 1
	s_mov_b32 s14, 0
	s_mov_b32 s15, 0x41d00000
                                        ; implicit-def: $vgpr12_vgpr13
	v_add_f64 v[10:11], v[8:9], -v[10:11]
	v_mul_f64 v[10:11], |v[10:11]|, s[12:13]
	v_cndmask_b32_e32 v9, v6, v11, vcc
	v_cndmask_b32_e32 v8, 0, v10, vcc
	v_cmp_nlt_f64_e64 s[14:15], |v[8:9]|, s[14:15]
                                        ; implicit-def: $vgpr6
                                        ; implicit-def: $vgpr10_vgpr11
	s_and_saveexec_b64 s[16:17], s[14:15]
	s_xor_b64 s[14:15], exec, s[16:17]
	s_cbranch_execz .LBB17_101
; %bb.100:
	v_trig_preop_f64 v[10:11], |v[8:9]|, 0
	s_mov_b32 s16, 0
	s_mov_b32 s17, 0x7b000000
	s_movk_i32 s13, 0xff80
	v_ldexp_f64 v[15:16], |v[8:9]|, s13
	v_cmp_ge_f64_e64 vcc, |v[8:9]|, s[16:17]
	v_trig_preop_f64 v[12:13], |v[8:9]|, 1
	v_and_b32_e32 v6, 0x7fffffff, v9
	v_trig_preop_f64 v[23:24], |v[8:9]|, 2
	v_mov_b32_e32 v33, 0
	s_mov_b32 s13, 0x3ff921fb
	v_cndmask_b32_e32 v16, v6, v16, vcc
	v_cndmask_b32_e32 v15, v8, v15, vcc
	v_mov_b32_e32 v6, 0x40100000
	v_mul_f64 v[17:18], v[10:11], v[15:16]
	v_mul_f64 v[19:20], v[12:13], v[15:16]
	v_mul_f64 v[29:30], v[23:24], v[15:16]
	v_fma_f64 v[10:11], v[10:11], v[15:16], -v[17:18]
	v_fma_f64 v[12:13], v[12:13], v[15:16], -v[19:20]
	v_fma_f64 v[15:16], v[23:24], v[15:16], -v[29:30]
	v_add_f64 v[21:22], v[19:20], v[10:11]
	v_add_f64 v[25:26], v[21:22], -v[19:20]
	v_add_f64 v[31:32], v[17:18], v[21:22]
	v_add_f64 v[27:28], v[21:22], -v[25:26]
	v_add_f64 v[10:11], v[10:11], -v[25:26]
	v_add_f64 v[25:26], v[29:30], v[12:13]
	v_add_f64 v[17:18], v[31:32], -v[17:18]
	v_add_f64 v[19:20], v[19:20], -v[27:28]
	v_ldexp_f64 v[27:28], v[31:32], -2
	v_add_f64 v[35:36], v[25:26], -v[29:30]
	v_add_f64 v[17:18], v[21:22], -v[17:18]
	v_add_f64 v[10:11], v[10:11], v[19:20]
	v_fract_f64_e32 v[19:20], v[27:28]
	v_cmp_neq_f64_e64 vcc, |v[27:28]|, s[0:1]
	v_add_f64 v[12:13], v[12:13], -v[35:36]
	v_add_f64 v[21:22], v[25:26], v[10:11]
	v_ldexp_f64 v[19:20], v[19:20], 2
	v_add_f64 v[27:28], v[17:18], v[21:22]
	v_cndmask_b32_e32 v20, 0, v20, vcc
	v_cndmask_b32_e32 v19, 0, v19, vcc
	v_add_f64 v[37:38], v[21:22], -v[25:26]
	v_add_f64 v[31:32], v[27:28], v[19:20]
	v_add_f64 v[17:18], v[27:28], -v[17:18]
	v_add_f64 v[39:40], v[21:22], -v[37:38]
	;; [unrolled: 1-line block ×3, first 2 shown]
	v_cmp_gt_f64_e32 vcc, 0, v[31:32]
	v_add_f64 v[31:32], v[25:26], -v[35:36]
	v_add_f64 v[17:18], v[21:22], -v[17:18]
	v_add_f64 v[25:26], v[25:26], -v[39:40]
	v_cndmask_b32_e32 v34, 0, v6, vcc
	v_add_f64 v[19:20], v[19:20], v[33:34]
	v_add_f64 v[31:32], v[29:30], -v[31:32]
	v_add_f64 v[10:11], v[10:11], v[25:26]
	v_add_f64 v[41:42], v[27:28], v[19:20]
	;; [unrolled: 1-line block ×3, first 2 shown]
	v_cvt_i32_f64_e32 v6, v[41:42]
	v_add_f64 v[10:11], v[12:13], v[10:11]
	v_cvt_f64_i32_e32 v[34:35], v6
	v_add_f64 v[19:20], v[19:20], -v[34:35]
	v_add_f64 v[10:11], v[15:16], v[10:11]
	v_add_f64 v[12:13], v[27:28], v[19:20]
	;; [unrolled: 1-line block ×3, first 2 shown]
	v_mov_b32_e32 v17, 0x3ff00000
	v_add_f64 v[15:16], v[12:13], -v[19:20]
	v_cmp_le_f64_e32 vcc, 0.5, v[12:13]
	v_add_f64 v[15:16], v[27:28], -v[15:16]
	v_cndmask_b32_e32 v34, 0, v17, vcc
	v_add_f64 v[12:13], v[12:13], -v[33:34]
	v_addc_co_u32_e64 v6, s[0:1], 0, v6, vcc
	s_mov_b32 s0, 0x33145c07
	s_mov_b32 s1, 0x3c91a626
	v_add_f64 v[10:11], v[10:11], v[15:16]
	v_add_f64 v[15:16], v[12:13], v[10:11]
	v_mul_f64 v[17:18], v[15:16], s[12:13]
	v_add_f64 v[12:13], v[15:16], -v[12:13]
	v_fma_f64 v[19:20], v[15:16], s[12:13], -v[17:18]
	v_add_f64 v[10:11], v[10:11], -v[12:13]
	v_fma_f64 v[12:13], v[15:16], s[0:1], v[19:20]
	v_fma_f64 v[12:13], v[10:11], s[12:13], v[12:13]
	v_add_f64 v[10:11], v[17:18], v[12:13]
	v_add_f64 v[15:16], v[10:11], -v[17:18]
	v_add_f64 v[12:13], v[12:13], -v[15:16]
.LBB17_101:
	s_andn2_saveexec_b64 s[0:1], s[14:15]
	s_cbranch_execz .LBB17_103
; %bb.102:
	s_mov_b32 s12, 0x6dc9c883
	s_mov_b32 s13, 0x3fe45f30
	v_mul_f64 v[10:11], |v[8:9]|, s[12:13]
	s_mov_b32 s12, 0x54442d18
	s_mov_b32 s13, 0xbff921fb
	;; [unrolled: 1-line block ×4, first 2 shown]
	v_rndne_f64_e32 v[15:16], v[10:11]
	v_fma_f64 v[10:11], v[15:16], s[12:13], |v[8:9]|
	v_mul_f64 v[12:13], v[15:16], s[14:15]
	s_mov_b32 s12, 0x252049c0
	s_mov_b32 s13, 0xb97b839a
	v_cvt_i32_f64_e32 v6, v[15:16]
	v_fma_f64 v[21:22], v[15:16], s[14:15], v[10:11]
	v_add_f64 v[17:18], v[10:11], v[12:13]
	s_mov_b32 s15, 0x3c91a626
	v_add_f64 v[19:20], v[10:11], -v[17:18]
	v_add_f64 v[17:18], v[17:18], -v[21:22]
	v_add_f64 v[10:11], v[19:20], v[12:13]
	v_fma_f64 v[12:13], v[15:16], s[14:15], v[12:13]
	v_add_f64 v[10:11], v[17:18], v[10:11]
	v_add_f64 v[10:11], v[10:11], -v[12:13]
	v_fma_f64 v[12:13], v[15:16], s[12:13], v[10:11]
	v_add_f64 v[10:11], v[21:22], v[12:13]
	v_add_f64 v[17:18], v[10:11], -v[21:22]
	v_add_f64 v[12:13], v[12:13], -v[17:18]
.LBB17_103:
	s_or_b64 exec, exec, s[0:1]
	v_mul_f64 v[15:16], v[10:11], v[10:11]
	v_add_f64 v[17:18], v[12:13], v[12:13]
	s_mov_b32 s0, 0xc751c08c
	s_mov_b32 s1, 0x3ef5e089
	v_and_b32_e32 v6, 1, v6
	v_cmp_eq_u32_e32 vcc, 0, v6
	s_mov_b32 s14, 0x54442d18
	s_mov_b32 s15, 0xc00921fb
	v_fma_f64 v[19:20], v[10:11], v[10:11], -v[15:16]
	s_mov_b64 s[12:13], exec
	v_sub_f32_e32 v4, 1.0, v4
	v_fma_f64 v[17:18], v[10:11], v[17:18], v[19:20]
	v_add_f64 v[15:16], v[15:16], v[17:18]
	v_mov_b32_e32 v17, 0xa9a29f71
	v_mov_b32_e32 v18, 0xbf078809
	v_fma_f64 v[17:18], v[15:16], s[0:1], v[17:18]
	s_mov_b32 s0, 0x90a8aae0
	s_mov_b32 s1, 0x3f17746f
	v_fma_f64 v[17:18], v[15:16], v[17:18], s[0:1]
	s_mov_b32 s0, 0xa6fbf144
	s_mov_b32 s1, 0xbefbb44d
	;; [unrolled: 3-line block ×12, first 2 shown]
	v_fma_f64 v[17:18], v[15:16], v[17:18], s[0:1]
	s_movk_i32 s0, 0x1f8
	v_cmp_class_f64_e64 s[0:1], v[8:9], s0
	v_mul_f64 v[15:16], v[15:16], v[17:18]
	v_mul_f64 v[17:18], v[10:11], v[15:16]
	v_add_f64 v[19:20], v[10:11], v[17:18]
	v_fma_f64 v[15:16], v[10:11], v[15:16], -v[17:18]
	v_add_f64 v[10:11], v[19:20], -v[10:11]
	v_add_f64 v[12:13], v[12:13], v[15:16]
	v_add_f64 v[10:11], v[17:18], -v[10:11]
	v_add_f64 v[10:11], v[12:13], v[10:11]
	v_add_f64 v[12:13], v[19:20], v[10:11]
	v_rcp_f64_e32 v[15:16], v[12:13]
	v_fma_f64 v[17:18], -v[12:13], v[15:16], 1.0
	v_fma_f64 v[15:16], v[17:18], v[15:16], v[15:16]
	v_fma_f64 v[17:18], -v[12:13], v[15:16], 1.0
	v_fma_f64 v[15:16], v[17:18], v[15:16], v[15:16]
	v_add_f64 v[17:18], v[12:13], -v[19:20]
	v_mul_f64 v[19:20], v[12:13], v[15:16]
	v_add_f64 v[10:11], v[10:11], -v[17:18]
	v_fma_f64 v[17:18], v[15:16], v[12:13], -v[19:20]
	v_fma_f64 v[10:11], v[15:16], v[10:11], v[17:18]
	v_add_f64 v[17:18], v[19:20], v[10:11]
	v_add_f64 v[21:22], -v[17:18], 1.0
	v_add_f64 v[19:20], v[17:18], -v[19:20]
	v_add_f64 v[23:24], -v[21:22], 1.0
	v_add_f64 v[10:11], v[19:20], -v[10:11]
	v_add_f64 v[17:18], v[23:24], -v[17:18]
	v_add_f64 v[10:11], v[10:11], v[17:18]
	v_add_f64 v[10:11], v[21:22], v[10:11]
	v_mul_f64 v[10:11], v[15:16], v[10:11]
	v_add_f64 v[10:11], v[15:16], v[10:11]
	v_and_b32_e32 v15, 0x80000000, v9
	v_mov_b32_e32 v9, 0x7ff80000
	v_xor_b32_e32 v8, 0x80000000, v11
	v_cndmask_b32_e32 v6, v10, v12, vcc
	v_cndmask_b32_e32 v10, v8, v13, vcc
	v_cndmask_b32_e64 v8, 0, v6, s[0:1]
	v_xor_b32_e32 v6, v10, v15
	v_cndmask_b32_e64 v9, v9, v6, s[0:1]
	v_div_scale_f64 v[10:11], s[0:1], v[8:9], v[8:9], s[14:15]
	v_div_scale_f64 v[17:18], vcc, s[14:15], v[8:9], s[14:15]
	v_rcp_f64_e32 v[12:13], v[10:11]
	v_fma_f64 v[15:16], -v[10:11], v[12:13], 1.0
	v_fma_f64 v[12:13], v[12:13], v[15:16], v[12:13]
	v_fma_f64 v[15:16], -v[10:11], v[12:13], 1.0
	v_fma_f64 v[12:13], v[12:13], v[15:16], v[12:13]
	v_mul_f64 v[15:16], v[17:18], v[12:13]
	v_fma_f64 v[10:11], -v[10:11], v[15:16], v[17:18]
	v_div_fmas_f64 v[10:11], v[10:11], v[12:13], v[15:16]
	v_div_fixup_f64 v[8:9], v[10:11], v[8:9], s[14:15]
	v_cvt_f32_f64_e32 v6, v[8:9]
.LBB17_104:
	s_or_b64 exec, exec, s[10:11]
	s_orn2_b64 s[0:1], s[12:13], exec
.LBB17_105:
	s_or_b64 exec, exec, s[8:9]
	v_mov_b32_e32 v12, 0x7fc00000
	s_and_saveexec_b64 s[8:9], s[0:1]
	s_cbranch_execz .LBB17_117
; %bb.106:
	s_mov_b32 s12, 0x41200000
	v_cmp_gt_f32_e32 vcc, s12, v4
	s_and_saveexec_b64 s[0:1], vcc
	s_cbranch_execz .LBB17_110
; %bb.107:
	s_mov_b64 s[10:11], 0
.LBB17_108:                             ; =>This Inner Loop Header: Depth=1
	v_div_scale_f32 v8, s[14:15], v4, v4, 1.0
	v_div_scale_f32 v9, vcc, 1.0, v4, 1.0
	v_rcp_f32_e32 v10, v8
	v_fma_f32 v11, -v8, v10, 1.0
	v_fmac_f32_e32 v10, v11, v10
	v_mul_f32_e32 v11, v9, v10
	v_fma_f32 v12, -v8, v11, v9
	v_fmac_f32_e32 v11, v12, v10
	v_fma_f32 v8, -v8, v11, v9
	v_div_fmas_f32 v8, v8, v10, v11
	v_div_fixup_f32 v8, v8, v4, 1.0
	v_add_f32_e32 v4, 1.0, v4
	v_cmp_ngt_f32_e32 vcc, s12, v4
	s_or_b64 s[10:11], vcc, s[10:11]
	v_sub_f32_e32 v6, v6, v8
	s_andn2_b64 exec, exec, s[10:11]
	s_cbranch_execnz .LBB17_108
; %bb.109:
	s_or_b64 exec, exec, s[10:11]
.LBB17_110:
	s_or_b64 exec, exec, s[0:1]
	s_mov_b32 s0, 0x41200000
	v_cmp_neq_f32_e32 vcc, s0, v4
                                        ; implicit-def: $vgpr12
	s_and_saveexec_b64 s[0:1], vcc
	s_xor_b64 s[10:11], exec, s[0:1]
	s_cbranch_execz .LBB17_114
; %bb.111:
	v_cvt_f64_f32_e32 v[8:9], v4
	s_mov_b32 s0, 0x85d8a000
	s_mov_b32 s1, 0x43763457
	v_cmp_gt_f64_e32 vcc, s[0:1], v[8:9]
	v_mov_b32_e32 v8, 0
	s_and_saveexec_b64 s[0:1], vcc
	s_cbranch_execz .LBB17_113
; %bb.112:
	v_mul_f32_e32 v8, v4, v4
	v_div_scale_f32 v9, s[12:13], v8, v8, 1.0
	v_div_scale_f32 v10, vcc, 1.0, v8, 1.0
	v_mov_b32_e32 v15, 0x3b820821
	v_rcp_f32_e32 v11, v9
	v_fma_f32 v12, -v9, v11, 1.0
	v_fmac_f32_e32 v11, v12, v11
	v_mul_f32_e32 v12, v10, v11
	v_fma_f32 v13, -v9, v12, v10
	v_fmac_f32_e32 v12, v13, v11
	v_fma_f32 v9, -v9, v12, v10
	v_div_fmas_f32 v9, v9, v11, v12
	v_mov_b32_e32 v10, 0x3daaaaab
	v_mov_b32_e32 v11, 0xbcaccacd
	;; [unrolled: 1-line block ×4, first 2 shown]
	v_div_fixup_f32 v8, v9, v8, 1.0
	v_fma_f32 v9, 0, v8, v10
	v_fmac_f32_e32 v11, v8, v9
	v_fmac_f32_e32 v12, v8, v11
	;; [unrolled: 1-line block ×4, first 2 shown]
	v_mov_b32_e32 v9, 0xbc088889
	v_fmac_f32_e32 v9, v8, v15
	v_fmac_f32_e32 v10, v8, v9
	v_mul_f32_e32 v8, v8, v10
.LBB17_113:
	s_or_b64 exec, exec, s[0:1]
	v_div_scale_f32 v9, s[0:1], v4, v4, -0.5
	v_div_scale_f32 v10, vcc, -0.5, v4, -0.5
	s_mov_b32 s0, 0x800000
	v_cmp_gt_f32_e64 s[0:1], s0, v4
	v_cndmask_b32_e64 v12, 0, 32, s[0:1]
	s_mov_b32 s12, 0x3f317217
	v_rcp_f32_e32 v11, v9
	v_fma_f32 v13, -v9, v11, 1.0
	v_fmac_f32_e32 v11, v13, v11
	v_mul_f32_e32 v13, v10, v11
	v_fma_f32 v15, -v9, v13, v10
	v_fmac_f32_e32 v13, v15, v11
	v_fma_f32 v9, -v9, v13, v10
	v_div_fmas_f32 v9, v9, v11, v13
	v_ldexp_f32 v10, v4, v12
	v_log_f32_e32 v10, v10
	v_mul_f32_e32 v11, 0x3f317217, v10
	v_fma_f32 v11, v10, s12, -v11
	v_fmac_f32_e32 v11, 0x3377d1cf, v10
	s_mov_b32 s12, 0x7f800000
	v_fmac_f32_e32 v11, 0x3f317217, v10
	v_cmp_lt_f32_e64 vcc, |v10|, s12
	v_cndmask_b32_e32 v10, v10, v11, vcc
	v_mov_b32_e32 v11, 0x41b17218
	v_cndmask_b32_e64 v11, 0, v11, s[0:1]
	v_sub_f32_e32 v10, v10, v11
	v_div_fixup_f32 v4, v9, v4, -0.5
	v_add_f32_e32 v4, v10, v4
	v_sub_f32_e32 v4, v4, v8
	v_add_f32_e32 v12, v6, v4
                                        ; implicit-def: $vgpr6
.LBB17_114:
	s_andn2_saveexec_b64 s[0:1], s[10:11]
; %bb.115:
	v_add_f32_e32 v12, 0x40101cb7, v6
; %bb.116:
	s_or_b64 exec, exec, s[0:1]
.LBB17_117:
	s_or_b64 exec, exec, s[8:9]
                                        ; implicit-def: $vgpr4
.LBB17_118:
	s_andn2_saveexec_b64 s[0:1], s[2:3]
; %bb.119:
	v_xor_b32_e32 v4, 0x80000000, v4
	s_brev_b32 s2, -2
	v_mov_b32_e32 v6, 0x7f800000
	v_bfi_b32 v12, s2, v6, v4
; %bb.120:
	s_or_b64 exec, exec, s[0:1]
	global_load_dword v4, v7, s[6:7]
                                        ; implicit-def: $vgpr10
	s_waitcnt vmcnt(0)
	v_cmp_neq_f32_e32 vcc, 0, v4
	s_and_saveexec_b64 s[0:1], vcc
	s_xor_b64 s[2:3], exec, s[0:1]
	s_cbranch_execz .LBB17_142
; %bb.121:
	v_mov_b32_e32 v6, 0
	v_cmp_gt_f32_e32 vcc, 0, v4
	s_mov_b64 s[0:1], -1
	s_and_saveexec_b64 s[8:9], vcc
	s_cbranch_execz .LBB17_129
; %bb.122:
	v_trunc_f32_e32 v6, v4
	v_cmp_neq_f32_e32 vcc, v4, v6
	s_mov_b64 s[12:13], 0
	v_mov_b32_e32 v6, 0
	s_and_saveexec_b64 s[10:11], vcc
	s_cbranch_execz .LBB17_128
; %bb.123:
	v_cvt_f64_f32_e32 v[6:7], v4
	s_mov_b32 s14, 0
	s_mov_b32 s1, 0xc00921fb
	;; [unrolled: 1-line block ×3, first 2 shown]
	v_trunc_f64_e32 v[8:9], v[6:7]
	s_mov_b32 s15, 0x7ff00000
	v_cmp_neq_f64_e64 vcc, |v[6:7]|, s[14:15]
	v_bfrev_b32_e32 v10, 1
	s_mov_b32 s12, 0
	s_mov_b32 s13, 0x41d00000
                                        ; implicit-def: $vgpr13
	v_add_f64 v[8:9], v[6:7], -v[8:9]
	v_mul_f64 v[8:9], |v[8:9]|, s[0:1]
	v_cndmask_b32_e32 v7, v10, v9, vcc
	v_cndmask_b32_e32 v6, 0, v8, vcc
	v_cmp_nlt_f64_e64 s[12:13], |v[6:7]|, s[12:13]
                                        ; implicit-def: $vgpr8_vgpr9
                                        ; implicit-def: $vgpr10_vgpr11
	s_and_saveexec_b64 s[16:17], s[12:13]
	s_xor_b64 s[12:13], exec, s[16:17]
	s_cbranch_execz .LBB17_125
; %bb.124:
	v_trig_preop_f64 v[8:9], |v[6:7]|, 0
	s_mov_b32 s16, 0
	s_mov_b32 s17, 0x7b000000
	s_movk_i32 s1, 0xff80
	v_ldexp_f64 v[15:16], |v[6:7]|, s1
	v_cmp_ge_f64_e64 vcc, |v[6:7]|, s[16:17]
	v_trig_preop_f64 v[10:11], |v[6:7]|, 1
	v_and_b32_e32 v13, 0x7fffffff, v7
	v_trig_preop_f64 v[23:24], |v[6:7]|, 2
	v_mov_b32_e32 v33, 0
	s_mov_b32 s1, 0x3ff921fb
	v_cndmask_b32_e32 v16, v13, v16, vcc
	v_cndmask_b32_e32 v15, v6, v15, vcc
	v_mov_b32_e32 v13, 0x40100000
	v_mul_f64 v[17:18], v[8:9], v[15:16]
	v_mul_f64 v[19:20], v[10:11], v[15:16]
	;; [unrolled: 1-line block ×3, first 2 shown]
	v_fma_f64 v[8:9], v[8:9], v[15:16], -v[17:18]
	v_fma_f64 v[10:11], v[10:11], v[15:16], -v[19:20]
	;; [unrolled: 1-line block ×3, first 2 shown]
	v_add_f64 v[21:22], v[19:20], v[8:9]
	v_add_f64 v[25:26], v[21:22], -v[19:20]
	v_add_f64 v[31:32], v[17:18], v[21:22]
	v_add_f64 v[27:28], v[21:22], -v[25:26]
	v_add_f64 v[8:9], v[8:9], -v[25:26]
	v_add_f64 v[25:26], v[29:30], v[10:11]
	v_add_f64 v[17:18], v[31:32], -v[17:18]
	v_add_f64 v[19:20], v[19:20], -v[27:28]
	v_ldexp_f64 v[27:28], v[31:32], -2
	v_add_f64 v[35:36], v[25:26], -v[29:30]
	v_add_f64 v[17:18], v[21:22], -v[17:18]
	v_add_f64 v[8:9], v[8:9], v[19:20]
	v_fract_f64_e32 v[19:20], v[27:28]
	v_cmp_neq_f64_e64 vcc, |v[27:28]|, s[14:15]
	v_add_f64 v[10:11], v[10:11], -v[35:36]
	s_mov_b32 s14, 0x33145c07
	s_mov_b32 s15, 0x3c91a626
	v_add_f64 v[21:22], v[25:26], v[8:9]
	v_ldexp_f64 v[19:20], v[19:20], 2
	v_add_f64 v[27:28], v[17:18], v[21:22]
	v_cndmask_b32_e32 v20, 0, v20, vcc
	v_cndmask_b32_e32 v19, 0, v19, vcc
	v_add_f64 v[37:38], v[21:22], -v[25:26]
	v_add_f64 v[31:32], v[27:28], v[19:20]
	v_add_f64 v[17:18], v[27:28], -v[17:18]
	v_add_f64 v[39:40], v[21:22], -v[37:38]
	v_add_f64 v[8:9], v[8:9], -v[37:38]
	v_cmp_gt_f64_e32 vcc, 0, v[31:32]
	v_add_f64 v[31:32], v[25:26], -v[35:36]
	v_add_f64 v[17:18], v[21:22], -v[17:18]
	;; [unrolled: 1-line block ×3, first 2 shown]
	v_cndmask_b32_e32 v34, 0, v13, vcc
	v_add_f64 v[19:20], v[19:20], v[33:34]
	v_add_f64 v[31:32], v[29:30], -v[31:32]
	v_add_f64 v[8:9], v[8:9], v[25:26]
	v_add_f64 v[41:42], v[27:28], v[19:20]
	v_add_f64 v[10:11], v[10:11], v[31:32]
	v_cvt_i32_f64_e32 v13, v[41:42]
	v_add_f64 v[8:9], v[10:11], v[8:9]
	v_cvt_f64_i32_e32 v[34:35], v13
	v_add_f64 v[19:20], v[19:20], -v[34:35]
	v_add_f64 v[8:9], v[15:16], v[8:9]
	v_add_f64 v[10:11], v[27:28], v[19:20]
	;; [unrolled: 1-line block ×3, first 2 shown]
	v_mov_b32_e32 v17, 0x3ff00000
	v_add_f64 v[15:16], v[10:11], -v[19:20]
	v_cmp_le_f64_e32 vcc, 0.5, v[10:11]
	v_add_f64 v[15:16], v[27:28], -v[15:16]
	v_cndmask_b32_e32 v34, 0, v17, vcc
	v_add_f64 v[10:11], v[10:11], -v[33:34]
	v_addc_co_u32_e32 v13, vcc, 0, v13, vcc
	v_add_f64 v[8:9], v[8:9], v[15:16]
	v_add_f64 v[15:16], v[10:11], v[8:9]
	v_mul_f64 v[17:18], v[15:16], s[0:1]
	v_add_f64 v[10:11], v[15:16], -v[10:11]
	v_fma_f64 v[19:20], v[15:16], s[0:1], -v[17:18]
	v_add_f64 v[8:9], v[8:9], -v[10:11]
	v_fma_f64 v[10:11], v[15:16], s[14:15], v[19:20]
	v_fma_f64 v[10:11], v[8:9], s[0:1], v[10:11]
	v_add_f64 v[8:9], v[17:18], v[10:11]
	v_add_f64 v[15:16], v[8:9], -v[17:18]
	v_add_f64 v[10:11], v[10:11], -v[15:16]
.LBB17_125:
	s_andn2_saveexec_b64 s[0:1], s[12:13]
	s_cbranch_execz .LBB17_127
; %bb.126:
	s_mov_b32 s12, 0x6dc9c883
	s_mov_b32 s13, 0x3fe45f30
	v_mul_f64 v[8:9], |v[6:7]|, s[12:13]
	s_mov_b32 s12, 0x54442d18
	s_mov_b32 s13, 0xbff921fb
	;; [unrolled: 1-line block ×4, first 2 shown]
	v_rndne_f64_e32 v[15:16], v[8:9]
	v_fma_f64 v[8:9], v[15:16], s[12:13], |v[6:7]|
	v_mul_f64 v[10:11], v[15:16], s[14:15]
	s_mov_b32 s12, 0x252049c0
	s_mov_b32 s13, 0xb97b839a
	v_cvt_i32_f64_e32 v13, v[15:16]
	v_fma_f64 v[21:22], v[15:16], s[14:15], v[8:9]
	v_add_f64 v[17:18], v[8:9], v[10:11]
	s_mov_b32 s15, 0x3c91a626
	v_add_f64 v[19:20], v[8:9], -v[17:18]
	v_add_f64 v[17:18], v[17:18], -v[21:22]
	v_add_f64 v[8:9], v[19:20], v[10:11]
	v_fma_f64 v[10:11], v[15:16], s[14:15], v[10:11]
	v_add_f64 v[8:9], v[17:18], v[8:9]
	v_add_f64 v[8:9], v[8:9], -v[10:11]
	v_fma_f64 v[10:11], v[15:16], s[12:13], v[8:9]
	v_add_f64 v[8:9], v[21:22], v[10:11]
	v_add_f64 v[17:18], v[8:9], -v[21:22]
	v_add_f64 v[10:11], v[10:11], -v[17:18]
.LBB17_127:
	s_or_b64 exec, exec, s[0:1]
	v_mul_f64 v[15:16], v[8:9], v[8:9]
	v_add_f64 v[17:18], v[10:11], v[10:11]
	s_mov_b32 s0, 0xc751c08c
	s_mov_b32 s1, 0x3ef5e089
	v_and_b32_e32 v13, 1, v13
	v_cmp_eq_u32_e32 vcc, 0, v13
	s_mov_b32 s14, 0x54442d18
	s_mov_b32 s15, 0xc00921fb
	v_fma_f64 v[19:20], v[8:9], v[8:9], -v[15:16]
	s_mov_b64 s[12:13], exec
	v_sub_f32_e32 v4, 1.0, v4
	v_fma_f64 v[17:18], v[8:9], v[17:18], v[19:20]
	v_add_f64 v[15:16], v[15:16], v[17:18]
	v_mov_b32_e32 v17, 0xa9a29f71
	v_mov_b32_e32 v18, 0xbf078809
	v_fma_f64 v[17:18], v[15:16], s[0:1], v[17:18]
	s_mov_b32 s0, 0x90a8aae0
	s_mov_b32 s1, 0x3f17746f
	v_fma_f64 v[17:18], v[15:16], v[17:18], s[0:1]
	s_mov_b32 s0, 0xa6fbf144
	s_mov_b32 s1, 0xbefbb44d
	;; [unrolled: 3-line block ×12, first 2 shown]
	v_fma_f64 v[17:18], v[15:16], v[17:18], s[0:1]
	s_movk_i32 s0, 0x1f8
	v_cmp_class_f64_e64 s[0:1], v[6:7], s0
	v_mul_f64 v[15:16], v[15:16], v[17:18]
	v_mul_f64 v[17:18], v[8:9], v[15:16]
	v_add_f64 v[19:20], v[8:9], v[17:18]
	v_fma_f64 v[15:16], v[8:9], v[15:16], -v[17:18]
	v_add_f64 v[8:9], v[19:20], -v[8:9]
	v_add_f64 v[10:11], v[10:11], v[15:16]
	v_add_f64 v[8:9], v[17:18], -v[8:9]
	v_add_f64 v[8:9], v[10:11], v[8:9]
	v_add_f64 v[10:11], v[19:20], v[8:9]
	v_rcp_f64_e32 v[15:16], v[10:11]
	v_fma_f64 v[17:18], -v[10:11], v[15:16], 1.0
	v_fma_f64 v[15:16], v[17:18], v[15:16], v[15:16]
	v_fma_f64 v[17:18], -v[10:11], v[15:16], 1.0
	v_fma_f64 v[15:16], v[17:18], v[15:16], v[15:16]
	v_add_f64 v[17:18], v[10:11], -v[19:20]
	v_mul_f64 v[19:20], v[10:11], v[15:16]
	v_add_f64 v[8:9], v[8:9], -v[17:18]
	v_fma_f64 v[17:18], v[15:16], v[10:11], -v[19:20]
	v_fma_f64 v[8:9], v[15:16], v[8:9], v[17:18]
	v_add_f64 v[17:18], v[19:20], v[8:9]
	v_add_f64 v[21:22], -v[17:18], 1.0
	v_add_f64 v[19:20], v[17:18], -v[19:20]
	v_add_f64 v[23:24], -v[21:22], 1.0
	v_add_f64 v[8:9], v[19:20], -v[8:9]
	v_add_f64 v[17:18], v[23:24], -v[17:18]
	v_add_f64 v[8:9], v[8:9], v[17:18]
	v_add_f64 v[8:9], v[21:22], v[8:9]
	v_mul_f64 v[8:9], v[15:16], v[8:9]
	v_add_f64 v[8:9], v[15:16], v[8:9]
	v_and_b32_e32 v15, 0x80000000, v7
	v_mov_b32_e32 v7, 0x7ff80000
	v_xor_b32_e32 v6, 0x80000000, v9
	v_cndmask_b32_e32 v8, v8, v10, vcc
	v_cndmask_b32_e32 v9, v6, v11, vcc
	v_cndmask_b32_e64 v6, 0, v8, s[0:1]
	v_xor_b32_e32 v8, v9, v15
	v_cndmask_b32_e64 v7, v7, v8, s[0:1]
	v_div_scale_f64 v[8:9], s[0:1], v[6:7], v[6:7], s[14:15]
	v_div_scale_f64 v[17:18], vcc, s[14:15], v[6:7], s[14:15]
	v_rcp_f64_e32 v[10:11], v[8:9]
	v_fma_f64 v[15:16], -v[8:9], v[10:11], 1.0
	v_fma_f64 v[10:11], v[10:11], v[15:16], v[10:11]
	v_fma_f64 v[15:16], -v[8:9], v[10:11], 1.0
	v_fma_f64 v[10:11], v[10:11], v[15:16], v[10:11]
	v_mul_f64 v[15:16], v[17:18], v[10:11]
	v_fma_f64 v[8:9], -v[8:9], v[15:16], v[17:18]
	v_div_fmas_f64 v[8:9], v[8:9], v[10:11], v[15:16]
	v_div_fixup_f64 v[6:7], v[8:9], v[6:7], s[14:15]
	v_cvt_f32_f64_e32 v6, v[6:7]
.LBB17_128:
	s_or_b64 exec, exec, s[10:11]
	s_orn2_b64 s[0:1], s[12:13], exec
.LBB17_129:
	s_or_b64 exec, exec, s[8:9]
	v_mov_b32_e32 v10, 0x7fc00000
	s_and_saveexec_b64 s[8:9], s[0:1]
	s_cbranch_execz .LBB17_141
; %bb.130:
	s_mov_b32 s12, 0x41200000
	v_cmp_gt_f32_e32 vcc, s12, v4
	s_and_saveexec_b64 s[0:1], vcc
	s_cbranch_execz .LBB17_134
; %bb.131:
	s_mov_b64 s[10:11], 0
.LBB17_132:                             ; =>This Inner Loop Header: Depth=1
	v_div_scale_f32 v7, s[14:15], v4, v4, 1.0
	v_div_scale_f32 v8, vcc, 1.0, v4, 1.0
	v_rcp_f32_e32 v9, v7
	v_fma_f32 v10, -v7, v9, 1.0
	v_fmac_f32_e32 v9, v10, v9
	v_mul_f32_e32 v10, v8, v9
	v_fma_f32 v11, -v7, v10, v8
	v_fmac_f32_e32 v10, v11, v9
	v_fma_f32 v7, -v7, v10, v8
	v_div_fmas_f32 v7, v7, v9, v10
	v_div_fixup_f32 v7, v7, v4, 1.0
	v_add_f32_e32 v4, 1.0, v4
	v_cmp_ngt_f32_e32 vcc, s12, v4
	s_or_b64 s[10:11], vcc, s[10:11]
	v_sub_f32_e32 v6, v6, v7
	s_andn2_b64 exec, exec, s[10:11]
	s_cbranch_execnz .LBB17_132
; %bb.133:
	s_or_b64 exec, exec, s[10:11]
.LBB17_134:
	s_or_b64 exec, exec, s[0:1]
	s_mov_b32 s0, 0x41200000
	v_cmp_neq_f32_e32 vcc, s0, v4
                                        ; implicit-def: $vgpr10
	s_and_saveexec_b64 s[0:1], vcc
	s_xor_b64 s[10:11], exec, s[0:1]
	s_cbranch_execz .LBB17_138
; %bb.135:
	v_cvt_f64_f32_e32 v[7:8], v4
	s_mov_b32 s0, 0x85d8a000
	s_mov_b32 s1, 0x43763457
	v_cmp_gt_f64_e32 vcc, s[0:1], v[7:8]
	v_mov_b32_e32 v7, 0
	s_and_saveexec_b64 s[0:1], vcc
	s_cbranch_execz .LBB17_137
; %bb.136:
	v_mul_f32_e32 v7, v4, v4
	v_div_scale_f32 v8, s[12:13], v7, v7, 1.0
	v_div_scale_f32 v9, vcc, 1.0, v7, 1.0
	v_mov_b32_e32 v15, 0x3b820821
	v_rcp_f32_e32 v10, v8
	v_fma_f32 v11, -v8, v10, 1.0
	v_fmac_f32_e32 v10, v11, v10
	v_mul_f32_e32 v11, v9, v10
	v_fma_f32 v13, -v8, v11, v9
	v_fmac_f32_e32 v11, v13, v10
	v_fma_f32 v8, -v8, v11, v9
	v_div_fmas_f32 v8, v8, v10, v11
	v_mov_b32_e32 v9, 0x3daaaaab
	v_mov_b32_e32 v10, 0xbcaccacd
	;; [unrolled: 1-line block ×4, first 2 shown]
	v_div_fixup_f32 v7, v8, v7, 1.0
	v_fma_f32 v8, 0, v7, v9
	v_fmac_f32_e32 v10, v7, v8
	v_fmac_f32_e32 v11, v7, v10
	;; [unrolled: 1-line block ×4, first 2 shown]
	v_mov_b32_e32 v8, 0xbc088889
	v_fmac_f32_e32 v8, v7, v15
	v_fmac_f32_e32 v9, v7, v8
	v_mul_f32_e32 v7, v7, v9
.LBB17_137:
	s_or_b64 exec, exec, s[0:1]
	v_div_scale_f32 v8, s[0:1], v4, v4, -0.5
	v_div_scale_f32 v9, vcc, -0.5, v4, -0.5
	s_mov_b32 s0, 0x800000
	v_cmp_gt_f32_e64 s[0:1], s0, v4
	v_cndmask_b32_e64 v11, 0, 32, s[0:1]
	s_mov_b32 s12, 0x3f317217
	v_rcp_f32_e32 v10, v8
	v_fma_f32 v13, -v8, v10, 1.0
	v_fmac_f32_e32 v10, v13, v10
	v_mul_f32_e32 v13, v9, v10
	v_fma_f32 v15, -v8, v13, v9
	v_fmac_f32_e32 v13, v15, v10
	v_fma_f32 v8, -v8, v13, v9
	v_div_fmas_f32 v8, v8, v10, v13
	v_ldexp_f32 v9, v4, v11
	v_log_f32_e32 v9, v9
	v_mul_f32_e32 v10, 0x3f317217, v9
	v_fma_f32 v10, v9, s12, -v10
	v_fmac_f32_e32 v10, 0x3377d1cf, v9
	s_mov_b32 s12, 0x7f800000
	v_fmac_f32_e32 v10, 0x3f317217, v9
	v_cmp_lt_f32_e64 vcc, |v9|, s12
	v_cndmask_b32_e32 v9, v9, v10, vcc
	v_mov_b32_e32 v10, 0x41b17218
	v_cndmask_b32_e64 v10, 0, v10, s[0:1]
	v_sub_f32_e32 v9, v9, v10
	v_div_fixup_f32 v4, v8, v4, -0.5
	v_add_f32_e32 v4, v9, v4
	v_sub_f32_e32 v4, v4, v7
	v_add_f32_e32 v10, v6, v4
                                        ; implicit-def: $vgpr6
.LBB17_138:
	s_andn2_saveexec_b64 s[0:1], s[10:11]
; %bb.139:
	v_add_f32_e32 v10, 0x40101cb7, v6
; %bb.140:
	s_or_b64 exec, exec, s[0:1]
.LBB17_141:
	s_or_b64 exec, exec, s[8:9]
                                        ; implicit-def: $vgpr4
.LBB17_142:
	s_andn2_saveexec_b64 s[0:1], s[2:3]
; %bb.143:
	v_xor_b32_e32 v4, 0x80000000, v4
	s_brev_b32 s2, -2
	v_mov_b32_e32 v6, 0x7f800000
	v_bfi_b32 v10, s2, v6, v4
; %bb.144:
	s_or_b64 exec, exec, s[0:1]
	global_load_dword v11, v5, s[6:7]
                                        ; implicit-def: $vgpr5
	s_waitcnt vmcnt(0)
	v_cmp_neq_f32_e32 vcc, 0, v11
	s_and_saveexec_b64 s[0:1], vcc
	s_xor_b64 s[2:3], exec, s[0:1]
	s_cbranch_execz .LBB17_166
; %bb.145:
	v_mov_b32_e32 v4, 0
	v_cmp_gt_f32_e32 vcc, 0, v11
	s_mov_b64 s[0:1], -1
	s_and_saveexec_b64 s[6:7], vcc
	s_cbranch_execz .LBB17_153
; %bb.146:
	v_trunc_f32_e32 v4, v11
	v_cmp_neq_f32_e32 vcc, v11, v4
	s_mov_b64 s[10:11], 0
	v_mov_b32_e32 v4, 0
	s_and_saveexec_b64 s[8:9], vcc
	s_cbranch_execz .LBB17_152
; %bb.147:
	v_cvt_f64_f32_e32 v[4:5], v11
	s_mov_b32 s12, 0
	s_mov_b32 s1, 0xc00921fb
	;; [unrolled: 1-line block ×3, first 2 shown]
	v_trunc_f64_e32 v[6:7], v[4:5]
	s_mov_b32 s13, 0x7ff00000
	v_cmp_neq_f64_e64 vcc, |v[4:5]|, s[12:13]
	v_bfrev_b32_e32 v8, 1
	s_mov_b32 s10, 0
	s_mov_b32 s11, 0x41d00000
                                        ; implicit-def: $vgpr13
	v_add_f64 v[6:7], v[4:5], -v[6:7]
	v_mul_f64 v[6:7], |v[6:7]|, s[0:1]
	v_cndmask_b32_e32 v5, v8, v7, vcc
	v_cndmask_b32_e32 v4, 0, v6, vcc
	v_cmp_nlt_f64_e64 s[10:11], |v[4:5]|, s[10:11]
                                        ; implicit-def: $vgpr6_vgpr7
                                        ; implicit-def: $vgpr8_vgpr9
	s_and_saveexec_b64 s[14:15], s[10:11]
	s_xor_b64 s[10:11], exec, s[14:15]
	s_cbranch_execz .LBB17_149
; %bb.148:
	v_trig_preop_f64 v[6:7], |v[4:5]|, 0
	s_mov_b32 s14, 0
	s_mov_b32 s15, 0x7b000000
	s_movk_i32 s1, 0xff80
	v_ldexp_f64 v[15:16], |v[4:5]|, s1
	v_cmp_ge_f64_e64 vcc, |v[4:5]|, s[14:15]
	v_trig_preop_f64 v[8:9], |v[4:5]|, 1
	v_and_b32_e32 v13, 0x7fffffff, v5
	v_trig_preop_f64 v[23:24], |v[4:5]|, 2
	v_mov_b32_e32 v33, 0
	s_mov_b32 s1, 0x3ff921fb
	v_cndmask_b32_e32 v16, v13, v16, vcc
	v_cndmask_b32_e32 v15, v4, v15, vcc
	v_mov_b32_e32 v13, 0x40100000
	v_mul_f64 v[17:18], v[6:7], v[15:16]
	v_mul_f64 v[19:20], v[8:9], v[15:16]
	;; [unrolled: 1-line block ×3, first 2 shown]
	v_fma_f64 v[6:7], v[6:7], v[15:16], -v[17:18]
	v_fma_f64 v[8:9], v[8:9], v[15:16], -v[19:20]
	;; [unrolled: 1-line block ×3, first 2 shown]
	v_add_f64 v[21:22], v[19:20], v[6:7]
	v_add_f64 v[25:26], v[21:22], -v[19:20]
	v_add_f64 v[31:32], v[17:18], v[21:22]
	v_add_f64 v[27:28], v[21:22], -v[25:26]
	v_add_f64 v[6:7], v[6:7], -v[25:26]
	v_add_f64 v[25:26], v[29:30], v[8:9]
	v_add_f64 v[17:18], v[31:32], -v[17:18]
	v_add_f64 v[19:20], v[19:20], -v[27:28]
	v_ldexp_f64 v[27:28], v[31:32], -2
	v_add_f64 v[35:36], v[25:26], -v[29:30]
	v_add_f64 v[17:18], v[21:22], -v[17:18]
	v_add_f64 v[6:7], v[6:7], v[19:20]
	v_fract_f64_e32 v[19:20], v[27:28]
	v_cmp_neq_f64_e64 vcc, |v[27:28]|, s[12:13]
	v_add_f64 v[8:9], v[8:9], -v[35:36]
	s_mov_b32 s12, 0x33145c07
	s_mov_b32 s13, 0x3c91a626
	v_add_f64 v[21:22], v[25:26], v[6:7]
	v_ldexp_f64 v[19:20], v[19:20], 2
	v_add_f64 v[27:28], v[17:18], v[21:22]
	v_cndmask_b32_e32 v20, 0, v20, vcc
	v_cndmask_b32_e32 v19, 0, v19, vcc
	v_add_f64 v[37:38], v[21:22], -v[25:26]
	v_add_f64 v[31:32], v[27:28], v[19:20]
	v_add_f64 v[17:18], v[27:28], -v[17:18]
	v_add_f64 v[39:40], v[21:22], -v[37:38]
	;; [unrolled: 1-line block ×3, first 2 shown]
	v_cmp_gt_f64_e32 vcc, 0, v[31:32]
	v_add_f64 v[31:32], v[25:26], -v[35:36]
	v_add_f64 v[17:18], v[21:22], -v[17:18]
	;; [unrolled: 1-line block ×3, first 2 shown]
	v_cndmask_b32_e32 v34, 0, v13, vcc
	v_add_f64 v[19:20], v[19:20], v[33:34]
	v_add_f64 v[31:32], v[29:30], -v[31:32]
	v_add_f64 v[6:7], v[6:7], v[25:26]
	v_add_f64 v[41:42], v[27:28], v[19:20]
	;; [unrolled: 1-line block ×3, first 2 shown]
	v_cvt_i32_f64_e32 v13, v[41:42]
	v_add_f64 v[6:7], v[8:9], v[6:7]
	v_cvt_f64_i32_e32 v[34:35], v13
	v_add_f64 v[19:20], v[19:20], -v[34:35]
	v_add_f64 v[6:7], v[15:16], v[6:7]
	v_add_f64 v[8:9], v[27:28], v[19:20]
	;; [unrolled: 1-line block ×3, first 2 shown]
	v_mov_b32_e32 v17, 0x3ff00000
	v_add_f64 v[15:16], v[8:9], -v[19:20]
	v_cmp_le_f64_e32 vcc, 0.5, v[8:9]
	v_add_f64 v[15:16], v[27:28], -v[15:16]
	v_cndmask_b32_e32 v34, 0, v17, vcc
	v_add_f64 v[8:9], v[8:9], -v[33:34]
	v_addc_co_u32_e32 v13, vcc, 0, v13, vcc
	v_add_f64 v[6:7], v[6:7], v[15:16]
	v_add_f64 v[15:16], v[8:9], v[6:7]
	v_mul_f64 v[17:18], v[15:16], s[0:1]
	v_add_f64 v[8:9], v[15:16], -v[8:9]
	v_fma_f64 v[19:20], v[15:16], s[0:1], -v[17:18]
	v_add_f64 v[6:7], v[6:7], -v[8:9]
	v_fma_f64 v[8:9], v[15:16], s[12:13], v[19:20]
	v_fma_f64 v[8:9], v[6:7], s[0:1], v[8:9]
	v_add_f64 v[6:7], v[17:18], v[8:9]
	v_add_f64 v[15:16], v[6:7], -v[17:18]
	v_add_f64 v[8:9], v[8:9], -v[15:16]
.LBB17_149:
	s_andn2_saveexec_b64 s[0:1], s[10:11]
	s_cbranch_execz .LBB17_151
; %bb.150:
	s_mov_b32 s10, 0x6dc9c883
	s_mov_b32 s11, 0x3fe45f30
	v_mul_f64 v[6:7], |v[4:5]|, s[10:11]
	s_mov_b32 s10, 0x54442d18
	s_mov_b32 s11, 0xbff921fb
	;; [unrolled: 1-line block ×4, first 2 shown]
	v_rndne_f64_e32 v[15:16], v[6:7]
	v_fma_f64 v[6:7], v[15:16], s[10:11], |v[4:5]|
	v_mul_f64 v[8:9], v[15:16], s[12:13]
	s_mov_b32 s10, 0x252049c0
	s_mov_b32 s11, 0xb97b839a
	v_cvt_i32_f64_e32 v13, v[15:16]
	v_fma_f64 v[21:22], v[15:16], s[12:13], v[6:7]
	v_add_f64 v[17:18], v[6:7], v[8:9]
	s_mov_b32 s13, 0x3c91a626
	v_add_f64 v[19:20], v[6:7], -v[17:18]
	v_add_f64 v[17:18], v[17:18], -v[21:22]
	v_add_f64 v[6:7], v[19:20], v[8:9]
	v_fma_f64 v[8:9], v[15:16], s[12:13], v[8:9]
	v_add_f64 v[6:7], v[17:18], v[6:7]
	v_add_f64 v[6:7], v[6:7], -v[8:9]
	v_fma_f64 v[8:9], v[15:16], s[10:11], v[6:7]
	v_add_f64 v[6:7], v[21:22], v[8:9]
	v_add_f64 v[17:18], v[6:7], -v[21:22]
	v_add_f64 v[8:9], v[8:9], -v[17:18]
.LBB17_151:
	s_or_b64 exec, exec, s[0:1]
	v_mul_f64 v[15:16], v[6:7], v[6:7]
	v_add_f64 v[17:18], v[8:9], v[8:9]
	s_mov_b32 s0, 0xc751c08c
	s_mov_b32 s1, 0x3ef5e089
	v_and_b32_e32 v13, 1, v13
	v_cmp_eq_u32_e32 vcc, 0, v13
	s_mov_b32 s12, 0x54442d18
	s_mov_b32 s13, 0xc00921fb
	v_fma_f64 v[19:20], v[6:7], v[6:7], -v[15:16]
	s_mov_b64 s[10:11], exec
	v_sub_f32_e32 v11, 1.0, v11
	v_fma_f64 v[17:18], v[6:7], v[17:18], v[19:20]
	v_add_f64 v[15:16], v[15:16], v[17:18]
	v_mov_b32_e32 v17, 0xa9a29f71
	v_mov_b32_e32 v18, 0xbf078809
	v_fma_f64 v[17:18], v[15:16], s[0:1], v[17:18]
	s_mov_b32 s0, 0x90a8aae0
	s_mov_b32 s1, 0x3f17746f
	v_fma_f64 v[17:18], v[15:16], v[17:18], s[0:1]
	s_mov_b32 s0, 0xa6fbf144
	s_mov_b32 s1, 0xbefbb44d
	;; [unrolled: 3-line block ×12, first 2 shown]
	v_fma_f64 v[17:18], v[15:16], v[17:18], s[0:1]
	s_movk_i32 s0, 0x1f8
	v_cmp_class_f64_e64 s[0:1], v[4:5], s0
	v_mul_f64 v[15:16], v[15:16], v[17:18]
	v_mul_f64 v[17:18], v[6:7], v[15:16]
	v_add_f64 v[19:20], v[6:7], v[17:18]
	v_fma_f64 v[15:16], v[6:7], v[15:16], -v[17:18]
	v_add_f64 v[6:7], v[19:20], -v[6:7]
	v_add_f64 v[8:9], v[8:9], v[15:16]
	v_add_f64 v[6:7], v[17:18], -v[6:7]
	v_add_f64 v[6:7], v[8:9], v[6:7]
	v_add_f64 v[8:9], v[19:20], v[6:7]
	v_rcp_f64_e32 v[15:16], v[8:9]
	v_fma_f64 v[17:18], -v[8:9], v[15:16], 1.0
	v_fma_f64 v[15:16], v[17:18], v[15:16], v[15:16]
	v_fma_f64 v[17:18], -v[8:9], v[15:16], 1.0
	v_fma_f64 v[15:16], v[17:18], v[15:16], v[15:16]
	v_add_f64 v[17:18], v[8:9], -v[19:20]
	v_mul_f64 v[19:20], v[8:9], v[15:16]
	v_add_f64 v[6:7], v[6:7], -v[17:18]
	v_fma_f64 v[17:18], v[15:16], v[8:9], -v[19:20]
	v_fma_f64 v[6:7], v[15:16], v[6:7], v[17:18]
	v_add_f64 v[17:18], v[19:20], v[6:7]
	v_add_f64 v[21:22], -v[17:18], 1.0
	v_add_f64 v[19:20], v[17:18], -v[19:20]
	v_add_f64 v[23:24], -v[21:22], 1.0
	v_add_f64 v[6:7], v[19:20], -v[6:7]
	v_add_f64 v[17:18], v[23:24], -v[17:18]
	v_add_f64 v[6:7], v[6:7], v[17:18]
	v_add_f64 v[6:7], v[21:22], v[6:7]
	v_mul_f64 v[6:7], v[15:16], v[6:7]
	v_add_f64 v[6:7], v[15:16], v[6:7]
	v_and_b32_e32 v15, 0x80000000, v5
	v_mov_b32_e32 v5, 0x7ff80000
	v_xor_b32_e32 v4, 0x80000000, v7
	v_cndmask_b32_e32 v6, v6, v8, vcc
	v_cndmask_b32_e32 v7, v4, v9, vcc
	v_cndmask_b32_e64 v4, 0, v6, s[0:1]
	v_xor_b32_e32 v6, v7, v15
	v_cndmask_b32_e64 v5, v5, v6, s[0:1]
	v_div_scale_f64 v[6:7], s[0:1], v[4:5], v[4:5], s[12:13]
	v_div_scale_f64 v[17:18], vcc, s[12:13], v[4:5], s[12:13]
	v_rcp_f64_e32 v[8:9], v[6:7]
	v_fma_f64 v[15:16], -v[6:7], v[8:9], 1.0
	v_fma_f64 v[8:9], v[8:9], v[15:16], v[8:9]
	v_fma_f64 v[15:16], -v[6:7], v[8:9], 1.0
	v_fma_f64 v[8:9], v[8:9], v[15:16], v[8:9]
	v_mul_f64 v[15:16], v[17:18], v[8:9]
	v_fma_f64 v[6:7], -v[6:7], v[15:16], v[17:18]
	v_div_fmas_f64 v[6:7], v[6:7], v[8:9], v[15:16]
	v_div_fixup_f64 v[4:5], v[6:7], v[4:5], s[12:13]
	v_cvt_f32_f64_e32 v4, v[4:5]
.LBB17_152:
	s_or_b64 exec, exec, s[8:9]
	s_orn2_b64 s[0:1], s[10:11], exec
.LBB17_153:
	s_or_b64 exec, exec, s[6:7]
	v_mov_b32_e32 v5, 0x7fc00000
	s_and_saveexec_b64 s[6:7], s[0:1]
	s_cbranch_execz .LBB17_165
; %bb.154:
	s_mov_b32 s10, 0x41200000
	v_cmp_gt_f32_e32 vcc, s10, v11
	s_and_saveexec_b64 s[0:1], vcc
	s_cbranch_execz .LBB17_158
; %bb.155:
	s_mov_b64 s[8:9], 0
.LBB17_156:                             ; =>This Inner Loop Header: Depth=1
	v_div_scale_f32 v5, s[12:13], v11, v11, 1.0
	v_div_scale_f32 v6, vcc, 1.0, v11, 1.0
	v_rcp_f32_e32 v7, v5
	v_fma_f32 v8, -v5, v7, 1.0
	v_fmac_f32_e32 v7, v8, v7
	v_mul_f32_e32 v8, v6, v7
	v_fma_f32 v9, -v5, v8, v6
	v_fmac_f32_e32 v8, v9, v7
	v_fma_f32 v5, -v5, v8, v6
	v_div_fmas_f32 v5, v5, v7, v8
	v_div_fixup_f32 v5, v5, v11, 1.0
	v_add_f32_e32 v11, 1.0, v11
	v_cmp_ngt_f32_e32 vcc, s10, v11
	s_or_b64 s[8:9], vcc, s[8:9]
	v_sub_f32_e32 v4, v4, v5
	s_andn2_b64 exec, exec, s[8:9]
	s_cbranch_execnz .LBB17_156
; %bb.157:
	s_or_b64 exec, exec, s[8:9]
.LBB17_158:
	s_or_b64 exec, exec, s[0:1]
	s_mov_b32 s0, 0x41200000
	v_cmp_neq_f32_e32 vcc, s0, v11
                                        ; implicit-def: $vgpr5
	s_and_saveexec_b64 s[0:1], vcc
	s_xor_b64 s[8:9], exec, s[0:1]
	s_cbranch_execz .LBB17_162
; %bb.159:
	v_cvt_f64_f32_e32 v[5:6], v11
	s_mov_b32 s0, 0x85d8a000
	s_mov_b32 s1, 0x43763457
	v_cmp_gt_f64_e32 vcc, s[0:1], v[5:6]
	v_mov_b32_e32 v5, 0
	s_and_saveexec_b64 s[0:1], vcc
	s_cbranch_execz .LBB17_161
; %bb.160:
	v_mul_f32_e32 v5, v11, v11
	v_div_scale_f32 v6, s[10:11], v5, v5, 1.0
	v_div_scale_f32 v7, vcc, 1.0, v5, 1.0
	v_mov_b32_e32 v15, 0x3b820821
	v_rcp_f32_e32 v8, v6
	v_fma_f32 v9, -v6, v8, 1.0
	v_fmac_f32_e32 v8, v9, v8
	v_mul_f32_e32 v9, v7, v8
	v_fma_f32 v13, -v6, v9, v7
	v_fmac_f32_e32 v9, v13, v8
	v_fma_f32 v6, -v6, v9, v7
	v_div_fmas_f32 v6, v6, v8, v9
	v_mov_b32_e32 v7, 0x3daaaaab
	v_mov_b32_e32 v8, 0xbcaccacd
	;; [unrolled: 1-line block ×4, first 2 shown]
	v_div_fixup_f32 v5, v6, v5, 1.0
	v_fma_f32 v6, 0, v5, v7
	v_fmac_f32_e32 v8, v5, v6
	v_fmac_f32_e32 v9, v5, v8
	;; [unrolled: 1-line block ×4, first 2 shown]
	v_mov_b32_e32 v6, 0xbc088889
	v_fmac_f32_e32 v6, v5, v15
	v_fmac_f32_e32 v7, v5, v6
	v_mul_f32_e32 v5, v5, v7
.LBB17_161:
	s_or_b64 exec, exec, s[0:1]
	v_div_scale_f32 v6, s[0:1], v11, v11, -0.5
	v_div_scale_f32 v7, vcc, -0.5, v11, -0.5
	s_mov_b32 s0, 0x800000
	v_cmp_gt_f32_e64 s[0:1], s0, v11
	v_cndmask_b32_e64 v9, 0, 32, s[0:1]
	s_mov_b32 s10, 0x3f317217
	v_rcp_f32_e32 v8, v6
	v_fma_f32 v13, -v6, v8, 1.0
	v_fmac_f32_e32 v8, v13, v8
	v_mul_f32_e32 v13, v7, v8
	v_fma_f32 v15, -v6, v13, v7
	v_fmac_f32_e32 v13, v15, v8
	v_fma_f32 v6, -v6, v13, v7
	v_div_fmas_f32 v6, v6, v8, v13
	v_ldexp_f32 v7, v11, v9
	v_log_f32_e32 v7, v7
	v_mul_f32_e32 v8, 0x3f317217, v7
	v_fma_f32 v8, v7, s10, -v8
	v_fmac_f32_e32 v8, 0x3377d1cf, v7
	s_mov_b32 s10, 0x7f800000
	v_fmac_f32_e32 v8, 0x3f317217, v7
	v_cmp_lt_f32_e64 vcc, |v7|, s10
	v_cndmask_b32_e32 v7, v7, v8, vcc
	v_mov_b32_e32 v8, 0x41b17218
	v_cndmask_b32_e64 v8, 0, v8, s[0:1]
	v_sub_f32_e32 v7, v7, v8
	v_div_fixup_f32 v6, v6, v11, -0.5
	v_add_f32_e32 v6, v7, v6
	v_sub_f32_e32 v5, v6, v5
	v_add_f32_e32 v5, v4, v5
                                        ; implicit-def: $vgpr4
.LBB17_162:
	s_andn2_saveexec_b64 s[0:1], s[8:9]
; %bb.163:
	v_add_f32_e32 v5, 0x40101cb7, v4
; %bb.164:
	s_or_b64 exec, exec, s[0:1]
.LBB17_165:
	s_or_b64 exec, exec, s[6:7]
                                        ; implicit-def: $vgpr11
.LBB17_166:
	s_andn2_saveexec_b64 s[0:1], s[2:3]
; %bb.167:
	v_xor_b32_e32 v4, 0x80000000, v11
	s_brev_b32 s2, -2
	v_mov_b32_e32 v5, 0x7f800000
	v_bfi_b32 v5, s2, v5, v4
; %bb.168:
	s_or_b64 exec, exec, s[0:1]
	global_store_dword v0, v14, s[4:5]
	global_store_dword v1, v12, s[4:5]
	;; [unrolled: 1-line block ×4, first 2 shown]
	s_endpgm
.LBB17_169:
	v_mov_b32_e32 v0, 0
	v_mov_b32_e32 v2, 0
	s_branch .LBB17_175
.LBB17_170:
	v_mov_b32_e32 v0, 0
	v_mov_b32_e32 v2, 0
	s_branch .LBB17_215
.LBB17_171:
	s_mov_b32 s57, 0
	v_mov_b32_e32 v0, 0
	v_mov_b32_e32 v2, 0
	;; [unrolled: 1-line block ×3, first 2 shown]
.LBB17_172:
	s_and_b32 s4, s58, 3
	s_cmp_eq_u32 s4, 0
	s_cbranch_scc1 .LBB17_175
; %bb.173:
	s_lshl_b32 s0, s57, 3
	s_add_u32 s0, s34, s0
	s_addc_u32 s1, s35, 0
	s_add_u32 s0, s0, 0xc4
	s_addc_u32 s1, s1, 0
	s_mul_i32 s2, s57, 12
	s_add_u32 s2, s34, s2
	s_addc_u32 s3, s35, 0
.LBB17_174:                             ; =>This Inner Loop Header: Depth=1
	s_load_dwordx2 s[6:7], s[2:3], 0x4
	s_load_dword s5, s[2:3], 0xc
	s_load_dwordx2 s[8:9], s[0:1], 0x0
	s_add_u32 s2, s2, 12
	s_addc_u32 s3, s3, 0
	s_waitcnt lgkmcnt(0)
	v_mul_hi_u32 v3, s7, v1
	s_add_u32 s0, s0, 8
	s_addc_u32 s1, s1, 0
	s_add_i32 s4, s4, -1
	v_add_u32_e32 v3, v1, v3
	v_lshrrev_b32_e32 v4, s5, v3
	v_mul_lo_u32 v3, v4, s6
	s_cmp_lg_u32 s4, 0
	v_sub_u32_e32 v3, v1, v3
	v_mad_u64_u32 v[0:1], s[6:7], v3, s8, v[0:1]
	v_mad_u64_u32 v[2:3], s[6:7], v3, s9, v[2:3]
	v_mov_b32_e32 v1, v4
	s_cbranch_scc1 .LBB17_174
.LBB17_175:
	s_cbranch_execnz .LBB17_178
.LBB17_176:
	s_waitcnt lgkmcnt(0)
	v_mul_hi_u32 v0, s25, v7
	s_andn2_b64 vcc, exec, s[42:43]
	v_add_u32_e32 v0, v7, v0
	v_lshrrev_b32_e32 v1, s26, v0
	v_mul_lo_u32 v0, v1, s24
	v_sub_u32_e32 v2, v7, v0
	v_mul_lo_u32 v0, v2, s20
	v_mul_lo_u32 v2, v2, s21
	s_cbranch_vccnz .LBB17_178
; %bb.177:
	v_mul_hi_u32 v3, s40, v1
	v_add_u32_e32 v3, v1, v3
	v_lshrrev_b32_e32 v3, s41, v3
	v_mul_lo_u32 v3, v3, s27
	v_sub_u32_e32 v3, v1, v3
	v_mad_u64_u32 v[0:1], s[0:1], v3, s22, v[0:1]
	v_mad_u64_u32 v[2:3], s[0:1], v3, s23, v[2:3]
.LBB17_178:
	s_waitcnt lgkmcnt(0)
	global_load_dword v8, v2, s[18:19]
                                        ; implicit-def: $vgpr2
	s_waitcnt vmcnt(0)
	v_cmp_neq_f32_e32 vcc, 0, v8
	s_and_saveexec_b64 s[0:1], vcc
	s_xor_b64 s[2:3], exec, s[0:1]
	s_cbranch_execz .LBB17_200
; %bb.179:
	v_mov_b32_e32 v1, 0
	v_cmp_gt_f32_e32 vcc, 0, v8
	s_mov_b64 s[0:1], -1
	s_and_saveexec_b64 s[4:5], vcc
	s_cbranch_execz .LBB17_187
; %bb.180:
	v_trunc_f32_e32 v1, v8
	v_cmp_neq_f32_e32 vcc, v8, v1
	s_mov_b64 s[8:9], 0
	v_mov_b32_e32 v1, 0
	s_and_saveexec_b64 s[6:7], vcc
	s_cbranch_execz .LBB17_186
; %bb.181:
	v_cvt_f64_f32_e32 v[1:2], v8
	s_mov_b32 s0, 0
	s_mov_b32 s9, 0xc00921fb
	;; [unrolled: 1-line block ×3, first 2 shown]
	v_trunc_f64_e32 v[3:4], v[1:2]
	s_mov_b32 s1, 0x7ff00000
	v_cmp_neq_f64_e64 vcc, |v[1:2]|, s[0:1]
	v_bfrev_b32_e32 v5, 1
	s_mov_b32 s10, 0
	s_mov_b32 s11, 0x41d00000
                                        ; implicit-def: $vgpr9
	v_add_f64 v[3:4], v[1:2], -v[3:4]
	v_mul_f64 v[3:4], |v[3:4]|, s[8:9]
	v_cndmask_b32_e32 v2, v5, v4, vcc
	v_cndmask_b32_e32 v1, 0, v3, vcc
	v_cmp_nlt_f64_e64 s[10:11], |v[1:2]|, s[10:11]
                                        ; implicit-def: $vgpr3_vgpr4
                                        ; implicit-def: $vgpr5_vgpr6
	s_and_saveexec_b64 s[12:13], s[10:11]
	s_xor_b64 s[10:11], exec, s[12:13]
	s_cbranch_execz .LBB17_183
; %bb.182:
	v_trig_preop_f64 v[3:4], |v[1:2]|, 0
	s_mov_b32 s12, 0
	s_mov_b32 s13, 0x7b000000
	s_movk_i32 s9, 0xff80
	v_ldexp_f64 v[9:10], |v[1:2]|, s9
	v_cmp_ge_f64_e64 vcc, |v[1:2]|, s[12:13]
	v_trig_preop_f64 v[5:6], |v[1:2]|, 1
	v_and_b32_e32 v11, 0x7fffffff, v2
	v_trig_preop_f64 v[17:18], |v[1:2]|, 2
	v_mov_b32_e32 v28, 0x40100000
	v_mov_b32_e32 v27, 0
	s_mov_b32 s9, 0x3ff921fb
	v_cndmask_b32_e32 v10, v11, v10, vcc
	v_cndmask_b32_e32 v9, v1, v9, vcc
	v_mul_f64 v[11:12], v[3:4], v[9:10]
	v_mul_f64 v[13:14], v[5:6], v[9:10]
	;; [unrolled: 1-line block ×3, first 2 shown]
	v_fma_f64 v[3:4], v[3:4], v[9:10], -v[11:12]
	v_fma_f64 v[5:6], v[5:6], v[9:10], -v[13:14]
	;; [unrolled: 1-line block ×3, first 2 shown]
	v_add_f64 v[15:16], v[13:14], v[3:4]
	v_add_f64 v[19:20], v[15:16], -v[13:14]
	v_add_f64 v[25:26], v[11:12], v[15:16]
	v_add_f64 v[21:22], v[15:16], -v[19:20]
	v_add_f64 v[3:4], v[3:4], -v[19:20]
	v_add_f64 v[19:20], v[23:24], v[5:6]
	v_add_f64 v[11:12], v[25:26], -v[11:12]
	v_add_f64 v[13:14], v[13:14], -v[21:22]
	v_ldexp_f64 v[21:22], v[25:26], -2
	v_add_f64 v[29:30], v[19:20], -v[23:24]
	v_add_f64 v[11:12], v[15:16], -v[11:12]
	v_add_f64 v[3:4], v[3:4], v[13:14]
	v_fract_f64_e32 v[13:14], v[21:22]
	v_cmp_neq_f64_e64 vcc, |v[21:22]|, s[0:1]
	v_add_f64 v[5:6], v[5:6], -v[29:30]
	v_add_f64 v[15:16], v[19:20], v[3:4]
	v_ldexp_f64 v[13:14], v[13:14], 2
	v_add_f64 v[21:22], v[11:12], v[15:16]
	v_cndmask_b32_e32 v14, 0, v14, vcc
	v_cndmask_b32_e32 v13, 0, v13, vcc
	v_add_f64 v[31:32], v[15:16], -v[19:20]
	v_add_f64 v[25:26], v[21:22], v[13:14]
	v_add_f64 v[11:12], v[21:22], -v[11:12]
	v_add_f64 v[33:34], v[15:16], -v[31:32]
	;; [unrolled: 1-line block ×3, first 2 shown]
	v_cmp_gt_f64_e32 vcc, 0, v[25:26]
	v_add_f64 v[25:26], v[19:20], -v[29:30]
	v_add_f64 v[11:12], v[15:16], -v[11:12]
	;; [unrolled: 1-line block ×3, first 2 shown]
	v_cndmask_b32_e32 v28, 0, v28, vcc
	v_add_f64 v[13:14], v[13:14], v[27:28]
	v_add_f64 v[25:26], v[23:24], -v[25:26]
	v_add_f64 v[3:4], v[3:4], v[19:20]
	v_add_f64 v[35:36], v[21:22], v[13:14]
	;; [unrolled: 1-line block ×3, first 2 shown]
	v_cvt_i32_f64_e32 v30, v[35:36]
	v_add_f64 v[3:4], v[5:6], v[3:4]
	v_cvt_f64_i32_e32 v[28:29], v30
	v_add_f64 v[13:14], v[13:14], -v[28:29]
	v_add_f64 v[3:4], v[9:10], v[3:4]
	v_add_f64 v[5:6], v[21:22], v[13:14]
	;; [unrolled: 1-line block ×3, first 2 shown]
	v_mov_b32_e32 v12, 0x3ff00000
	v_add_f64 v[9:10], v[5:6], -v[13:14]
	v_cmp_le_f64_e32 vcc, 0.5, v[5:6]
	v_add_f64 v[10:11], v[21:22], -v[9:10]
	v_cndmask_b32_e32 v28, 0, v12, vcc
	v_add_f64 v[5:6], v[5:6], -v[27:28]
	v_addc_co_u32_e64 v9, s[0:1], 0, v30, vcc
	s_mov_b32 s0, 0x33145c07
	s_mov_b32 s1, 0x3c91a626
	v_add_f64 v[3:4], v[3:4], v[10:11]
	v_add_f64 v[10:11], v[5:6], v[3:4]
	v_mul_f64 v[12:13], v[10:11], s[8:9]
	v_add_f64 v[5:6], v[10:11], -v[5:6]
	v_fma_f64 v[14:15], v[10:11], s[8:9], -v[12:13]
	v_add_f64 v[3:4], v[3:4], -v[5:6]
	v_fma_f64 v[5:6], v[10:11], s[0:1], v[14:15]
	v_fma_f64 v[5:6], v[3:4], s[8:9], v[5:6]
	v_add_f64 v[3:4], v[12:13], v[5:6]
	v_add_f64 v[10:11], v[3:4], -v[12:13]
	v_add_f64 v[5:6], v[5:6], -v[10:11]
.LBB17_183:
	s_andn2_saveexec_b64 s[0:1], s[10:11]
	s_cbranch_execz .LBB17_185
; %bb.184:
	s_mov_b32 s8, 0x6dc9c883
	s_mov_b32 s9, 0x3fe45f30
	v_mul_f64 v[3:4], |v[1:2]|, s[8:9]
	s_mov_b32 s8, 0x54442d18
	s_mov_b32 s9, 0xbff921fb
	;; [unrolled: 1-line block ×4, first 2 shown]
	v_rndne_f64_e32 v[9:10], v[3:4]
	v_fma_f64 v[3:4], v[9:10], s[8:9], |v[1:2]|
	v_mul_f64 v[5:6], v[9:10], s[10:11]
	s_mov_b32 s8, 0x252049c0
	s_mov_b32 s9, 0xb97b839a
	v_fma_f64 v[15:16], v[9:10], s[10:11], v[3:4]
	v_add_f64 v[11:12], v[3:4], v[5:6]
	s_mov_b32 s11, 0x3c91a626
	v_add_f64 v[13:14], v[3:4], -v[11:12]
	v_add_f64 v[11:12], v[11:12], -v[15:16]
	v_add_f64 v[3:4], v[13:14], v[5:6]
	v_fma_f64 v[5:6], v[9:10], s[10:11], v[5:6]
	v_add_f64 v[3:4], v[11:12], v[3:4]
	v_add_f64 v[3:4], v[3:4], -v[5:6]
	v_fma_f64 v[5:6], v[9:10], s[8:9], v[3:4]
	v_cvt_i32_f64_e32 v9, v[9:10]
	v_add_f64 v[3:4], v[15:16], v[5:6]
	v_add_f64 v[11:12], v[3:4], -v[15:16]
	v_add_f64 v[5:6], v[5:6], -v[11:12]
.LBB17_185:
	s_or_b64 exec, exec, s[0:1]
	v_mul_f64 v[10:11], v[3:4], v[3:4]
	v_add_f64 v[12:13], v[5:6], v[5:6]
	s_mov_b32 s0, 0xc751c08c
	s_mov_b32 s1, 0x3ef5e089
	v_and_b32_e32 v9, 1, v9
	v_cmp_eq_u32_e32 vcc, 0, v9
	s_mov_b32 s10, 0x54442d18
	s_mov_b32 s11, 0xc00921fb
	v_fma_f64 v[14:15], v[3:4], v[3:4], -v[10:11]
	s_mov_b64 s[8:9], exec
	v_sub_f32_e32 v8, 1.0, v8
	v_fma_f64 v[12:13], v[3:4], v[12:13], v[14:15]
	v_add_f64 v[10:11], v[10:11], v[12:13]
	v_mov_b32_e32 v12, 0xa9a29f71
	v_mov_b32_e32 v13, 0xbf078809
	v_fma_f64 v[12:13], v[10:11], s[0:1], v[12:13]
	s_mov_b32 s0, 0x90a8aae0
	s_mov_b32 s1, 0x3f17746f
	v_fma_f64 v[12:13], v[10:11], v[12:13], s[0:1]
	s_mov_b32 s0, 0xa6fbf144
	s_mov_b32 s1, 0xbefbb44d
	;; [unrolled: 3-line block ×12, first 2 shown]
	v_fma_f64 v[12:13], v[10:11], v[12:13], s[0:1]
	s_movk_i32 s0, 0x1f8
	v_cmp_class_f64_e64 s[0:1], v[1:2], s0
	v_mul_f64 v[10:11], v[10:11], v[12:13]
	v_mul_f64 v[12:13], v[3:4], v[10:11]
	v_add_f64 v[14:15], v[3:4], v[12:13]
	v_fma_f64 v[10:11], v[3:4], v[10:11], -v[12:13]
	v_add_f64 v[3:4], v[14:15], -v[3:4]
	v_add_f64 v[5:6], v[5:6], v[10:11]
	v_add_f64 v[3:4], v[12:13], -v[3:4]
	v_add_f64 v[3:4], v[5:6], v[3:4]
	v_add_f64 v[5:6], v[14:15], v[3:4]
	v_rcp_f64_e32 v[10:11], v[5:6]
	v_fma_f64 v[12:13], -v[5:6], v[10:11], 1.0
	v_fma_f64 v[10:11], v[12:13], v[10:11], v[10:11]
	v_fma_f64 v[12:13], -v[5:6], v[10:11], 1.0
	v_fma_f64 v[10:11], v[12:13], v[10:11], v[10:11]
	v_add_f64 v[12:13], v[5:6], -v[14:15]
	v_mul_f64 v[14:15], v[5:6], v[10:11]
	v_add_f64 v[3:4], v[3:4], -v[12:13]
	v_fma_f64 v[12:13], v[10:11], v[5:6], -v[14:15]
	v_fma_f64 v[3:4], v[10:11], v[3:4], v[12:13]
	v_add_f64 v[12:13], v[14:15], v[3:4]
	v_add_f64 v[16:17], -v[12:13], 1.0
	v_add_f64 v[14:15], v[12:13], -v[14:15]
	v_add_f64 v[18:19], -v[16:17], 1.0
	v_add_f64 v[3:4], v[14:15], -v[3:4]
	v_add_f64 v[12:13], v[18:19], -v[12:13]
	v_add_f64 v[3:4], v[3:4], v[12:13]
	v_add_f64 v[3:4], v[16:17], v[3:4]
	v_mul_f64 v[3:4], v[10:11], v[3:4]
	v_add_f64 v[3:4], v[10:11], v[3:4]
	v_and_b32_e32 v10, 0x80000000, v2
	v_mov_b32_e32 v2, 0x7ff80000
	v_xor_b32_e32 v1, 0x80000000, v4
	v_cndmask_b32_e32 v3, v3, v5, vcc
	v_cndmask_b32_e32 v4, v1, v6, vcc
	v_cndmask_b32_e64 v1, 0, v3, s[0:1]
	v_xor_b32_e32 v3, v4, v10
	v_cndmask_b32_e64 v2, v2, v3, s[0:1]
	v_div_scale_f64 v[3:4], s[0:1], v[1:2], v[1:2], s[10:11]
	v_div_scale_f64 v[11:12], vcc, s[10:11], v[1:2], s[10:11]
	v_rcp_f64_e32 v[5:6], v[3:4]
	v_fma_f64 v[9:10], -v[3:4], v[5:6], 1.0
	v_fma_f64 v[5:6], v[5:6], v[9:10], v[5:6]
	v_fma_f64 v[9:10], -v[3:4], v[5:6], 1.0
	v_fma_f64 v[5:6], v[5:6], v[9:10], v[5:6]
	v_mul_f64 v[9:10], v[11:12], v[5:6]
	v_fma_f64 v[3:4], -v[3:4], v[9:10], v[11:12]
	v_div_fmas_f64 v[3:4], v[3:4], v[5:6], v[9:10]
	v_div_fixup_f64 v[1:2], v[3:4], v[1:2], s[10:11]
	v_cvt_f32_f64_e32 v1, v[1:2]
.LBB17_186:
	s_or_b64 exec, exec, s[6:7]
	s_orn2_b64 s[0:1], s[8:9], exec
.LBB17_187:
	s_or_b64 exec, exec, s[4:5]
	v_mov_b32_e32 v2, 0x7fc00000
	s_and_saveexec_b64 s[4:5], s[0:1]
	s_cbranch_execz .LBB17_199
; %bb.188:
	s_mov_b32 s8, 0x41200000
	v_cmp_gt_f32_e32 vcc, s8, v8
	s_and_saveexec_b64 s[0:1], vcc
	s_cbranch_execz .LBB17_192
; %bb.189:
	s_mov_b64 s[6:7], 0
.LBB17_190:                             ; =>This Inner Loop Header: Depth=1
	v_div_scale_f32 v2, s[10:11], v8, v8, 1.0
	v_div_scale_f32 v3, vcc, 1.0, v8, 1.0
	v_rcp_f32_e32 v4, v2
	v_fma_f32 v5, -v2, v4, 1.0
	v_fmac_f32_e32 v4, v5, v4
	v_mul_f32_e32 v5, v3, v4
	v_fma_f32 v6, -v2, v5, v3
	v_fmac_f32_e32 v5, v6, v4
	v_fma_f32 v2, -v2, v5, v3
	v_div_fmas_f32 v2, v2, v4, v5
	v_div_fixup_f32 v2, v2, v8, 1.0
	v_add_f32_e32 v8, 1.0, v8
	v_cmp_ngt_f32_e32 vcc, s8, v8
	s_or_b64 s[6:7], vcc, s[6:7]
	v_sub_f32_e32 v1, v1, v2
	s_andn2_b64 exec, exec, s[6:7]
	s_cbranch_execnz .LBB17_190
; %bb.191:
	s_or_b64 exec, exec, s[6:7]
.LBB17_192:
	s_or_b64 exec, exec, s[0:1]
	s_mov_b32 s0, 0x41200000
	v_cmp_neq_f32_e32 vcc, s0, v8
                                        ; implicit-def: $vgpr2
	s_and_saveexec_b64 s[0:1], vcc
	s_xor_b64 s[6:7], exec, s[0:1]
	s_cbranch_execz .LBB17_196
; %bb.193:
	v_cvt_f64_f32_e32 v[2:3], v8
	s_mov_b32 s0, 0x85d8a000
	s_mov_b32 s1, 0x43763457
	v_cmp_gt_f64_e32 vcc, s[0:1], v[2:3]
	v_mov_b32_e32 v2, 0
	s_and_saveexec_b64 s[0:1], vcc
	s_cbranch_execz .LBB17_195
; %bb.194:
	v_mul_f32_e32 v2, v8, v8
	v_div_scale_f32 v3, s[8:9], v2, v2, 1.0
	v_div_scale_f32 v4, vcc, 1.0, v2, 1.0
	v_mov_b32_e32 v10, 0x3b820821
	v_rcp_f32_e32 v5, v3
	v_fma_f32 v6, -v3, v5, 1.0
	v_fmac_f32_e32 v5, v6, v5
	v_mul_f32_e32 v6, v4, v5
	v_fma_f32 v9, -v3, v6, v4
	v_fmac_f32_e32 v6, v9, v5
	v_fma_f32 v3, -v3, v6, v4
	v_div_fmas_f32 v3, v3, v5, v6
	v_mov_b32_e32 v4, 0x3daaaaab
	v_mov_b32_e32 v5, 0xbcaccacd
	;; [unrolled: 1-line block ×4, first 2 shown]
	v_div_fixup_f32 v2, v3, v2, 1.0
	v_fma_f32 v3, 0, v2, v4
	v_fmac_f32_e32 v5, v2, v3
	v_fmac_f32_e32 v6, v2, v5
	;; [unrolled: 1-line block ×4, first 2 shown]
	v_mov_b32_e32 v3, 0xbc088889
	v_fmac_f32_e32 v3, v2, v10
	v_fmac_f32_e32 v4, v2, v3
	v_mul_f32_e32 v2, v2, v4
.LBB17_195:
	s_or_b64 exec, exec, s[0:1]
	v_div_scale_f32 v3, s[0:1], v8, v8, -0.5
	v_div_scale_f32 v4, vcc, -0.5, v8, -0.5
	s_mov_b32 s0, 0x800000
	v_cmp_gt_f32_e64 s[0:1], s0, v8
	v_cndmask_b32_e64 v6, 0, 32, s[0:1]
	s_mov_b32 s8, 0x3f317217
	v_rcp_f32_e32 v5, v3
	v_fma_f32 v9, -v3, v5, 1.0
	v_fmac_f32_e32 v5, v9, v5
	v_mul_f32_e32 v9, v4, v5
	v_fma_f32 v10, -v3, v9, v4
	v_fmac_f32_e32 v9, v10, v5
	v_fma_f32 v3, -v3, v9, v4
	v_div_fmas_f32 v3, v3, v5, v9
	v_ldexp_f32 v4, v8, v6
	v_log_f32_e32 v4, v4
	v_mul_f32_e32 v5, 0x3f317217, v4
	v_fma_f32 v5, v4, s8, -v5
	v_fmac_f32_e32 v5, 0x3377d1cf, v4
	s_mov_b32 s8, 0x7f800000
	v_fmac_f32_e32 v5, 0x3f317217, v4
	v_cmp_lt_f32_e64 vcc, |v4|, s8
	v_cndmask_b32_e32 v4, v4, v5, vcc
	v_mov_b32_e32 v5, 0x41b17218
	v_cndmask_b32_e64 v5, 0, v5, s[0:1]
	v_sub_f32_e32 v4, v4, v5
	v_div_fixup_f32 v3, v3, v8, -0.5
	v_add_f32_e32 v3, v4, v3
	v_sub_f32_e32 v2, v3, v2
	v_add_f32_e32 v2, v1, v2
                                        ; implicit-def: $vgpr1
.LBB17_196:
	s_andn2_saveexec_b64 s[0:1], s[6:7]
; %bb.197:
	v_add_f32_e32 v2, 0x40101cb7, v1
; %bb.198:
	s_or_b64 exec, exec, s[0:1]
.LBB17_199:
	s_or_b64 exec, exec, s[4:5]
                                        ; implicit-def: $vgpr8
.LBB17_200:
	s_andn2_saveexec_b64 s[0:1], s[2:3]
; %bb.201:
	v_xor_b32_e32 v1, 0x80000000, v8
	s_brev_b32 s2, -2
	v_mov_b32_e32 v2, 0x7f800000
	v_bfi_b32 v2, s2, v2, v1
; %bb.202:
	s_or_b64 exec, exec, s[0:1]
	v_add_u32_e32 v7, 0x80, v7
	global_store_dword v0, v2, s[16:17]
	s_or_b64 exec, exec, s[48:49]
	v_cmp_gt_i32_e32 vcc, s55, v7
	s_and_saveexec_b64 s[48:49], vcc
	s_cbranch_execnz .LBB17_15
.LBB17_203:
	s_or_b64 exec, exec, s[48:49]
	v_cmp_gt_i32_e32 vcc, s55, v7
	s_and_saveexec_b64 s[48:49], vcc
	s_cbranch_execz .LBB17_243
.LBB17_204:
	s_andn2_b64 vcc, exec, s[36:37]
	s_cbranch_vccnz .LBB17_209
; %bb.205:
	s_andn2_b64 vcc, exec, s[46:47]
	s_cbranch_vccnz .LBB17_210
; %bb.206:
	s_add_i32 s58, s56, 1
	s_cmp_eq_u32 s54, 2
	s_cbranch_scc1 .LBB17_246
; %bb.207:
	s_and_b32 s57, s58, 28
	v_mov_b32_e32 v2, 0
	s_mov_b32 s59, 0
	s_mov_b64 s[50:51], s[34:35]
	s_mov_b64 s[52:53], s[44:45]
	v_mov_b32_e32 v0, 0
	v_mov_b32_e32 v1, v7
.LBB17_208:                             ; =>This Inner Loop Header: Depth=1
	s_load_dwordx8 s[8:15], s[50:51], 0x4
	s_load_dwordx4 s[28:31], s[50:51], 0x24
	s_load_dwordx8 s[0:7], s[52:53], 0x0
	s_add_u32 s50, s50, 48
	s_addc_u32 s51, s51, 0
	s_waitcnt lgkmcnt(0)
	v_mul_hi_u32 v3, s9, v1
	s_add_i32 s59, s59, 4
	s_add_u32 s52, s52, 32
	s_addc_u32 s53, s53, 0
	v_add_u32_e32 v3, v1, v3
	v_lshrrev_b32_e32 v3, s10, v3
	v_mul_lo_u32 v4, v3, s8
	v_mul_hi_u32 v5, s12, v3
	s_cmp_eq_u32 s57, s59
	v_sub_u32_e32 v1, v1, v4
	v_add_u32_e32 v4, v3, v5
	v_mul_lo_u32 v5, v1, s0
	v_mul_lo_u32 v6, v1, s1
	v_lshrrev_b32_e32 v1, s13, v4
	v_mul_lo_u32 v4, v1, s11
	v_mul_hi_u32 v8, s15, v1
	v_sub_u32_e32 v3, v3, v4
	v_add_u32_e32 v4, v1, v8
	v_lshrrev_b32_e32 v4, s28, v4
	v_mul_hi_u32 v9, s30, v4
	v_mul_lo_u32 v10, v4, s14
	v_mul_lo_u32 v8, v3, s2
	v_mul_lo_u32 v3, v3, s3
	v_sub_u32_e32 v10, v1, v10
	v_add_u32_e32 v1, v4, v9
	v_lshrrev_b32_e32 v1, s31, v1
	v_mul_lo_u32 v9, v1, s29
	v_mul_lo_u32 v11, v10, s4
	;; [unrolled: 1-line block ×3, first 2 shown]
	v_add3_u32 v0, v5, v0, v8
	v_sub_u32_e32 v4, v4, v9
	v_mul_lo_u32 v9, v4, s6
	v_mul_lo_u32 v4, v4, s7
	v_add3_u32 v2, v6, v2, v3
	v_add3_u32 v0, v11, v0, v9
	;; [unrolled: 1-line block ×3, first 2 shown]
	s_cbranch_scc0 .LBB17_208
	s_branch .LBB17_247
.LBB17_209:
                                        ; implicit-def: $vgpr0
                                        ; implicit-def: $vgpr2
	s_branch .LBB17_251
.LBB17_210:
	v_mov_b32_e32 v0, 0
	v_mov_b32_e32 v2, 0
	s_branch .LBB17_250
.LBB17_211:
	s_mov_b32 s57, 0
	v_mov_b32_e32 v0, 0
	v_mov_b32_e32 v2, 0
	;; [unrolled: 1-line block ×3, first 2 shown]
.LBB17_212:
	s_and_b32 s4, s58, 3
	s_cmp_eq_u32 s4, 0
	s_cbranch_scc1 .LBB17_215
; %bb.213:
	s_lshl_b32 s0, s57, 3
	s_add_u32 s0, s34, s0
	s_addc_u32 s1, s35, 0
	s_add_u32 s0, s0, 0xc4
	s_addc_u32 s1, s1, 0
	s_mul_i32 s2, s57, 12
	s_add_u32 s2, s34, s2
	s_addc_u32 s3, s35, 0
.LBB17_214:                             ; =>This Inner Loop Header: Depth=1
	s_load_dwordx2 s[6:7], s[2:3], 0x4
	s_load_dword s5, s[2:3], 0xc
	s_load_dwordx2 s[8:9], s[0:1], 0x0
	s_add_u32 s2, s2, 12
	s_addc_u32 s3, s3, 0
	s_waitcnt lgkmcnt(0)
	v_mul_hi_u32 v3, s7, v1
	s_add_u32 s0, s0, 8
	s_addc_u32 s1, s1, 0
	s_add_i32 s4, s4, -1
	v_add_u32_e32 v3, v1, v3
	v_lshrrev_b32_e32 v4, s5, v3
	v_mul_lo_u32 v3, v4, s6
	s_cmp_lg_u32 s4, 0
	v_sub_u32_e32 v3, v1, v3
	v_mad_u64_u32 v[0:1], s[6:7], v3, s8, v[0:1]
	v_mad_u64_u32 v[2:3], s[6:7], v3, s9, v[2:3]
	v_mov_b32_e32 v1, v4
	s_cbranch_scc1 .LBB17_214
.LBB17_215:
	s_cbranch_execnz .LBB17_218
.LBB17_216:
	s_waitcnt lgkmcnt(0)
	v_mul_hi_u32 v0, s25, v7
	s_andn2_b64 vcc, exec, s[42:43]
	v_add_u32_e32 v0, v7, v0
	v_lshrrev_b32_e32 v1, s26, v0
	v_mul_lo_u32 v0, v1, s24
	v_sub_u32_e32 v2, v7, v0
	v_mul_lo_u32 v0, v2, s20
	v_mul_lo_u32 v2, v2, s21
	s_cbranch_vccnz .LBB17_218
; %bb.217:
	v_mul_hi_u32 v3, s40, v1
	v_add_u32_e32 v3, v1, v3
	v_lshrrev_b32_e32 v3, s41, v3
	v_mul_lo_u32 v3, v3, s27
	v_sub_u32_e32 v3, v1, v3
	v_mad_u64_u32 v[0:1], s[0:1], v3, s22, v[0:1]
	v_mad_u64_u32 v[2:3], s[0:1], v3, s23, v[2:3]
.LBB17_218:
	s_waitcnt lgkmcnt(0)
	global_load_dword v8, v2, s[18:19]
                                        ; implicit-def: $vgpr2
	s_waitcnt vmcnt(0)
	v_cmp_neq_f32_e32 vcc, 0, v8
	s_and_saveexec_b64 s[0:1], vcc
	s_xor_b64 s[2:3], exec, s[0:1]
	s_cbranch_execz .LBB17_240
; %bb.219:
	v_mov_b32_e32 v1, 0
	v_cmp_gt_f32_e32 vcc, 0, v8
	s_mov_b64 s[0:1], -1
	s_and_saveexec_b64 s[4:5], vcc
	s_cbranch_execz .LBB17_227
; %bb.220:
	v_trunc_f32_e32 v1, v8
	v_cmp_neq_f32_e32 vcc, v8, v1
	s_mov_b64 s[8:9], 0
	v_mov_b32_e32 v1, 0
	s_and_saveexec_b64 s[6:7], vcc
	s_cbranch_execz .LBB17_226
; %bb.221:
	v_cvt_f64_f32_e32 v[1:2], v8
	s_mov_b32 s0, 0
	s_mov_b32 s9, 0xc00921fb
	;; [unrolled: 1-line block ×3, first 2 shown]
	v_trunc_f64_e32 v[3:4], v[1:2]
	s_mov_b32 s1, 0x7ff00000
	v_cmp_neq_f64_e64 vcc, |v[1:2]|, s[0:1]
	v_bfrev_b32_e32 v5, 1
	s_mov_b32 s10, 0
	s_mov_b32 s11, 0x41d00000
                                        ; implicit-def: $vgpr9
	v_add_f64 v[3:4], v[1:2], -v[3:4]
	v_mul_f64 v[3:4], |v[3:4]|, s[8:9]
	v_cndmask_b32_e32 v2, v5, v4, vcc
	v_cndmask_b32_e32 v1, 0, v3, vcc
	v_cmp_nlt_f64_e64 s[10:11], |v[1:2]|, s[10:11]
                                        ; implicit-def: $vgpr3_vgpr4
                                        ; implicit-def: $vgpr5_vgpr6
	s_and_saveexec_b64 s[12:13], s[10:11]
	s_xor_b64 s[10:11], exec, s[12:13]
	s_cbranch_execz .LBB17_223
; %bb.222:
	v_trig_preop_f64 v[3:4], |v[1:2]|, 0
	s_mov_b32 s12, 0
	s_mov_b32 s13, 0x7b000000
	s_movk_i32 s9, 0xff80
	v_ldexp_f64 v[9:10], |v[1:2]|, s9
	v_cmp_ge_f64_e64 vcc, |v[1:2]|, s[12:13]
	v_trig_preop_f64 v[5:6], |v[1:2]|, 1
	v_and_b32_e32 v11, 0x7fffffff, v2
	v_trig_preop_f64 v[17:18], |v[1:2]|, 2
	v_mov_b32_e32 v28, 0x40100000
	v_mov_b32_e32 v27, 0
	s_mov_b32 s9, 0x3ff921fb
	v_cndmask_b32_e32 v10, v11, v10, vcc
	v_cndmask_b32_e32 v9, v1, v9, vcc
	v_mul_f64 v[11:12], v[3:4], v[9:10]
	v_mul_f64 v[13:14], v[5:6], v[9:10]
	v_mul_f64 v[23:24], v[17:18], v[9:10]
	v_fma_f64 v[3:4], v[3:4], v[9:10], -v[11:12]
	v_fma_f64 v[5:6], v[5:6], v[9:10], -v[13:14]
	;; [unrolled: 1-line block ×3, first 2 shown]
	v_add_f64 v[15:16], v[13:14], v[3:4]
	v_add_f64 v[19:20], v[15:16], -v[13:14]
	v_add_f64 v[25:26], v[11:12], v[15:16]
	v_add_f64 v[21:22], v[15:16], -v[19:20]
	v_add_f64 v[3:4], v[3:4], -v[19:20]
	v_add_f64 v[19:20], v[23:24], v[5:6]
	v_add_f64 v[11:12], v[25:26], -v[11:12]
	v_add_f64 v[13:14], v[13:14], -v[21:22]
	v_ldexp_f64 v[21:22], v[25:26], -2
	v_add_f64 v[29:30], v[19:20], -v[23:24]
	v_add_f64 v[11:12], v[15:16], -v[11:12]
	v_add_f64 v[3:4], v[3:4], v[13:14]
	v_fract_f64_e32 v[13:14], v[21:22]
	v_cmp_neq_f64_e64 vcc, |v[21:22]|, s[0:1]
	v_add_f64 v[5:6], v[5:6], -v[29:30]
	v_add_f64 v[15:16], v[19:20], v[3:4]
	v_ldexp_f64 v[13:14], v[13:14], 2
	v_add_f64 v[21:22], v[11:12], v[15:16]
	v_cndmask_b32_e32 v14, 0, v14, vcc
	v_cndmask_b32_e32 v13, 0, v13, vcc
	v_add_f64 v[31:32], v[15:16], -v[19:20]
	v_add_f64 v[25:26], v[21:22], v[13:14]
	v_add_f64 v[11:12], v[21:22], -v[11:12]
	v_add_f64 v[33:34], v[15:16], -v[31:32]
	;; [unrolled: 1-line block ×3, first 2 shown]
	v_cmp_gt_f64_e32 vcc, 0, v[25:26]
	v_add_f64 v[25:26], v[19:20], -v[29:30]
	v_add_f64 v[11:12], v[15:16], -v[11:12]
	;; [unrolled: 1-line block ×3, first 2 shown]
	v_cndmask_b32_e32 v28, 0, v28, vcc
	v_add_f64 v[13:14], v[13:14], v[27:28]
	v_add_f64 v[25:26], v[23:24], -v[25:26]
	v_add_f64 v[3:4], v[3:4], v[19:20]
	v_add_f64 v[35:36], v[21:22], v[13:14]
	;; [unrolled: 1-line block ×3, first 2 shown]
	v_cvt_i32_f64_e32 v30, v[35:36]
	v_add_f64 v[3:4], v[5:6], v[3:4]
	v_cvt_f64_i32_e32 v[28:29], v30
	v_add_f64 v[13:14], v[13:14], -v[28:29]
	v_add_f64 v[3:4], v[9:10], v[3:4]
	v_add_f64 v[5:6], v[21:22], v[13:14]
	;; [unrolled: 1-line block ×3, first 2 shown]
	v_mov_b32_e32 v12, 0x3ff00000
	v_add_f64 v[9:10], v[5:6], -v[13:14]
	v_cmp_le_f64_e32 vcc, 0.5, v[5:6]
	v_add_f64 v[10:11], v[21:22], -v[9:10]
	v_cndmask_b32_e32 v28, 0, v12, vcc
	v_add_f64 v[5:6], v[5:6], -v[27:28]
	v_addc_co_u32_e64 v9, s[0:1], 0, v30, vcc
	s_mov_b32 s0, 0x33145c07
	s_mov_b32 s1, 0x3c91a626
	v_add_f64 v[3:4], v[3:4], v[10:11]
	v_add_f64 v[10:11], v[5:6], v[3:4]
	v_mul_f64 v[12:13], v[10:11], s[8:9]
	v_add_f64 v[5:6], v[10:11], -v[5:6]
	v_fma_f64 v[14:15], v[10:11], s[8:9], -v[12:13]
	v_add_f64 v[3:4], v[3:4], -v[5:6]
	v_fma_f64 v[5:6], v[10:11], s[0:1], v[14:15]
	v_fma_f64 v[5:6], v[3:4], s[8:9], v[5:6]
	v_add_f64 v[3:4], v[12:13], v[5:6]
	v_add_f64 v[10:11], v[3:4], -v[12:13]
	v_add_f64 v[5:6], v[5:6], -v[10:11]
.LBB17_223:
	s_andn2_saveexec_b64 s[0:1], s[10:11]
	s_cbranch_execz .LBB17_225
; %bb.224:
	s_mov_b32 s8, 0x6dc9c883
	s_mov_b32 s9, 0x3fe45f30
	v_mul_f64 v[3:4], |v[1:2]|, s[8:9]
	s_mov_b32 s8, 0x54442d18
	s_mov_b32 s9, 0xbff921fb
	;; [unrolled: 1-line block ×4, first 2 shown]
	v_rndne_f64_e32 v[9:10], v[3:4]
	v_fma_f64 v[3:4], v[9:10], s[8:9], |v[1:2]|
	v_mul_f64 v[5:6], v[9:10], s[10:11]
	s_mov_b32 s8, 0x252049c0
	s_mov_b32 s9, 0xb97b839a
	v_fma_f64 v[15:16], v[9:10], s[10:11], v[3:4]
	v_add_f64 v[11:12], v[3:4], v[5:6]
	s_mov_b32 s11, 0x3c91a626
	v_add_f64 v[13:14], v[3:4], -v[11:12]
	v_add_f64 v[11:12], v[11:12], -v[15:16]
	v_add_f64 v[3:4], v[13:14], v[5:6]
	v_fma_f64 v[5:6], v[9:10], s[10:11], v[5:6]
	v_add_f64 v[3:4], v[11:12], v[3:4]
	v_add_f64 v[3:4], v[3:4], -v[5:6]
	v_fma_f64 v[5:6], v[9:10], s[8:9], v[3:4]
	v_cvt_i32_f64_e32 v9, v[9:10]
	v_add_f64 v[3:4], v[15:16], v[5:6]
	v_add_f64 v[11:12], v[3:4], -v[15:16]
	v_add_f64 v[5:6], v[5:6], -v[11:12]
.LBB17_225:
	s_or_b64 exec, exec, s[0:1]
	v_mul_f64 v[10:11], v[3:4], v[3:4]
	v_add_f64 v[12:13], v[5:6], v[5:6]
	s_mov_b32 s0, 0xc751c08c
	s_mov_b32 s1, 0x3ef5e089
	v_and_b32_e32 v9, 1, v9
	v_cmp_eq_u32_e32 vcc, 0, v9
	s_mov_b32 s10, 0x54442d18
	s_mov_b32 s11, 0xc00921fb
	v_fma_f64 v[14:15], v[3:4], v[3:4], -v[10:11]
	s_mov_b64 s[8:9], exec
	v_sub_f32_e32 v8, 1.0, v8
	v_fma_f64 v[12:13], v[3:4], v[12:13], v[14:15]
	v_add_f64 v[10:11], v[10:11], v[12:13]
	v_mov_b32_e32 v12, 0xa9a29f71
	v_mov_b32_e32 v13, 0xbf078809
	v_fma_f64 v[12:13], v[10:11], s[0:1], v[12:13]
	s_mov_b32 s0, 0x90a8aae0
	s_mov_b32 s1, 0x3f17746f
	v_fma_f64 v[12:13], v[10:11], v[12:13], s[0:1]
	s_mov_b32 s0, 0xa6fbf144
	s_mov_b32 s1, 0xbefbb44d
	;; [unrolled: 3-line block ×12, first 2 shown]
	v_fma_f64 v[12:13], v[10:11], v[12:13], s[0:1]
	s_movk_i32 s0, 0x1f8
	v_cmp_class_f64_e64 s[0:1], v[1:2], s0
	v_mul_f64 v[10:11], v[10:11], v[12:13]
	v_mul_f64 v[12:13], v[3:4], v[10:11]
	v_add_f64 v[14:15], v[3:4], v[12:13]
	v_fma_f64 v[10:11], v[3:4], v[10:11], -v[12:13]
	v_add_f64 v[3:4], v[14:15], -v[3:4]
	v_add_f64 v[5:6], v[5:6], v[10:11]
	v_add_f64 v[3:4], v[12:13], -v[3:4]
	v_add_f64 v[3:4], v[5:6], v[3:4]
	v_add_f64 v[5:6], v[14:15], v[3:4]
	v_rcp_f64_e32 v[10:11], v[5:6]
	v_fma_f64 v[12:13], -v[5:6], v[10:11], 1.0
	v_fma_f64 v[10:11], v[12:13], v[10:11], v[10:11]
	v_fma_f64 v[12:13], -v[5:6], v[10:11], 1.0
	v_fma_f64 v[10:11], v[12:13], v[10:11], v[10:11]
	v_add_f64 v[12:13], v[5:6], -v[14:15]
	v_mul_f64 v[14:15], v[5:6], v[10:11]
	v_add_f64 v[3:4], v[3:4], -v[12:13]
	v_fma_f64 v[12:13], v[10:11], v[5:6], -v[14:15]
	v_fma_f64 v[3:4], v[10:11], v[3:4], v[12:13]
	v_add_f64 v[12:13], v[14:15], v[3:4]
	v_add_f64 v[16:17], -v[12:13], 1.0
	v_add_f64 v[14:15], v[12:13], -v[14:15]
	v_add_f64 v[18:19], -v[16:17], 1.0
	v_add_f64 v[3:4], v[14:15], -v[3:4]
	v_add_f64 v[12:13], v[18:19], -v[12:13]
	v_add_f64 v[3:4], v[3:4], v[12:13]
	v_add_f64 v[3:4], v[16:17], v[3:4]
	v_mul_f64 v[3:4], v[10:11], v[3:4]
	v_add_f64 v[3:4], v[10:11], v[3:4]
	v_and_b32_e32 v10, 0x80000000, v2
	v_mov_b32_e32 v2, 0x7ff80000
	v_xor_b32_e32 v1, 0x80000000, v4
	v_cndmask_b32_e32 v3, v3, v5, vcc
	v_cndmask_b32_e32 v4, v1, v6, vcc
	v_cndmask_b32_e64 v1, 0, v3, s[0:1]
	v_xor_b32_e32 v3, v4, v10
	v_cndmask_b32_e64 v2, v2, v3, s[0:1]
	v_div_scale_f64 v[3:4], s[0:1], v[1:2], v[1:2], s[10:11]
	v_div_scale_f64 v[11:12], vcc, s[10:11], v[1:2], s[10:11]
	v_rcp_f64_e32 v[5:6], v[3:4]
	v_fma_f64 v[9:10], -v[3:4], v[5:6], 1.0
	v_fma_f64 v[5:6], v[5:6], v[9:10], v[5:6]
	v_fma_f64 v[9:10], -v[3:4], v[5:6], 1.0
	v_fma_f64 v[5:6], v[5:6], v[9:10], v[5:6]
	v_mul_f64 v[9:10], v[11:12], v[5:6]
	v_fma_f64 v[3:4], -v[3:4], v[9:10], v[11:12]
	v_div_fmas_f64 v[3:4], v[3:4], v[5:6], v[9:10]
	v_div_fixup_f64 v[1:2], v[3:4], v[1:2], s[10:11]
	v_cvt_f32_f64_e32 v1, v[1:2]
.LBB17_226:
	s_or_b64 exec, exec, s[6:7]
	s_orn2_b64 s[0:1], s[8:9], exec
.LBB17_227:
	s_or_b64 exec, exec, s[4:5]
	v_mov_b32_e32 v2, 0x7fc00000
	s_and_saveexec_b64 s[4:5], s[0:1]
	s_cbranch_execz .LBB17_239
; %bb.228:
	s_mov_b32 s8, 0x41200000
	v_cmp_gt_f32_e32 vcc, s8, v8
	s_and_saveexec_b64 s[0:1], vcc
	s_cbranch_execz .LBB17_232
; %bb.229:
	s_mov_b64 s[6:7], 0
.LBB17_230:                             ; =>This Inner Loop Header: Depth=1
	v_div_scale_f32 v2, s[10:11], v8, v8, 1.0
	v_div_scale_f32 v3, vcc, 1.0, v8, 1.0
	v_rcp_f32_e32 v4, v2
	v_fma_f32 v5, -v2, v4, 1.0
	v_fmac_f32_e32 v4, v5, v4
	v_mul_f32_e32 v5, v3, v4
	v_fma_f32 v6, -v2, v5, v3
	v_fmac_f32_e32 v5, v6, v4
	v_fma_f32 v2, -v2, v5, v3
	v_div_fmas_f32 v2, v2, v4, v5
	v_div_fixup_f32 v2, v2, v8, 1.0
	v_add_f32_e32 v8, 1.0, v8
	v_cmp_ngt_f32_e32 vcc, s8, v8
	s_or_b64 s[6:7], vcc, s[6:7]
	v_sub_f32_e32 v1, v1, v2
	s_andn2_b64 exec, exec, s[6:7]
	s_cbranch_execnz .LBB17_230
; %bb.231:
	s_or_b64 exec, exec, s[6:7]
.LBB17_232:
	s_or_b64 exec, exec, s[0:1]
	s_mov_b32 s0, 0x41200000
	v_cmp_neq_f32_e32 vcc, s0, v8
                                        ; implicit-def: $vgpr2
	s_and_saveexec_b64 s[0:1], vcc
	s_xor_b64 s[6:7], exec, s[0:1]
	s_cbranch_execz .LBB17_236
; %bb.233:
	v_cvt_f64_f32_e32 v[2:3], v8
	s_mov_b32 s0, 0x85d8a000
	s_mov_b32 s1, 0x43763457
	v_cmp_gt_f64_e32 vcc, s[0:1], v[2:3]
	v_mov_b32_e32 v2, 0
	s_and_saveexec_b64 s[0:1], vcc
	s_cbranch_execz .LBB17_235
; %bb.234:
	v_mul_f32_e32 v2, v8, v8
	v_div_scale_f32 v3, s[8:9], v2, v2, 1.0
	v_div_scale_f32 v4, vcc, 1.0, v2, 1.0
	v_mov_b32_e32 v10, 0x3b820821
	v_rcp_f32_e32 v5, v3
	v_fma_f32 v6, -v3, v5, 1.0
	v_fmac_f32_e32 v5, v6, v5
	v_mul_f32_e32 v6, v4, v5
	v_fma_f32 v9, -v3, v6, v4
	v_fmac_f32_e32 v6, v9, v5
	v_fma_f32 v3, -v3, v6, v4
	v_div_fmas_f32 v3, v3, v5, v6
	v_mov_b32_e32 v4, 0x3daaaaab
	v_mov_b32_e32 v5, 0xbcaccacd
	;; [unrolled: 1-line block ×4, first 2 shown]
	v_div_fixup_f32 v2, v3, v2, 1.0
	v_fma_f32 v3, 0, v2, v4
	v_fmac_f32_e32 v5, v2, v3
	v_fmac_f32_e32 v6, v2, v5
	;; [unrolled: 1-line block ×4, first 2 shown]
	v_mov_b32_e32 v3, 0xbc088889
	v_fmac_f32_e32 v3, v2, v10
	v_fmac_f32_e32 v4, v2, v3
	v_mul_f32_e32 v2, v2, v4
.LBB17_235:
	s_or_b64 exec, exec, s[0:1]
	v_div_scale_f32 v3, s[0:1], v8, v8, -0.5
	v_div_scale_f32 v4, vcc, -0.5, v8, -0.5
	s_mov_b32 s0, 0x800000
	v_cmp_gt_f32_e64 s[0:1], s0, v8
	v_cndmask_b32_e64 v6, 0, 32, s[0:1]
	s_mov_b32 s8, 0x3f317217
	v_rcp_f32_e32 v5, v3
	v_fma_f32 v9, -v3, v5, 1.0
	v_fmac_f32_e32 v5, v9, v5
	v_mul_f32_e32 v9, v4, v5
	v_fma_f32 v10, -v3, v9, v4
	v_fmac_f32_e32 v9, v10, v5
	v_fma_f32 v3, -v3, v9, v4
	v_div_fmas_f32 v3, v3, v5, v9
	v_ldexp_f32 v4, v8, v6
	v_log_f32_e32 v4, v4
	v_mul_f32_e32 v5, 0x3f317217, v4
	v_fma_f32 v5, v4, s8, -v5
	v_fmac_f32_e32 v5, 0x3377d1cf, v4
	s_mov_b32 s8, 0x7f800000
	v_fmac_f32_e32 v5, 0x3f317217, v4
	v_cmp_lt_f32_e64 vcc, |v4|, s8
	v_cndmask_b32_e32 v4, v4, v5, vcc
	v_mov_b32_e32 v5, 0x41b17218
	v_cndmask_b32_e64 v5, 0, v5, s[0:1]
	v_sub_f32_e32 v4, v4, v5
	v_div_fixup_f32 v3, v3, v8, -0.5
	v_add_f32_e32 v3, v4, v3
	v_sub_f32_e32 v2, v3, v2
	v_add_f32_e32 v2, v1, v2
                                        ; implicit-def: $vgpr1
.LBB17_236:
	s_andn2_saveexec_b64 s[0:1], s[6:7]
; %bb.237:
	v_add_f32_e32 v2, 0x40101cb7, v1
; %bb.238:
	s_or_b64 exec, exec, s[0:1]
.LBB17_239:
	s_or_b64 exec, exec, s[4:5]
                                        ; implicit-def: $vgpr8
.LBB17_240:
	s_andn2_saveexec_b64 s[0:1], s[2:3]
; %bb.241:
	v_xor_b32_e32 v1, 0x80000000, v8
	s_brev_b32 s2, -2
	v_mov_b32_e32 v2, 0x7f800000
	v_bfi_b32 v2, s2, v2, v1
; %bb.242:
	s_or_b64 exec, exec, s[0:1]
	v_add_u32_e32 v7, 0x80, v7
	global_store_dword v0, v2, s[16:17]
	s_or_b64 exec, exec, s[48:49]
	v_cmp_gt_i32_e32 vcc, s55, v7
	s_and_saveexec_b64 s[48:49], vcc
	s_cbranch_execnz .LBB17_204
.LBB17_243:
	s_or_b64 exec, exec, s[48:49]
	v_cmp_gt_i32_e32 vcc, s55, v7
	s_and_saveexec_b64 s[48:49], vcc
	s_cbranch_execnz .LBB17_278
.LBB17_244:
	s_or_b64 exec, exec, s[48:49]
                                        ; implicit-def: $vgpr13
                                        ; implicit-def: $vgpr7
	s_andn2_saveexec_b64 s[0:1], s[38:39]
	s_cbranch_execnz .LBB17_8
.LBB17_245:
	s_endpgm
.LBB17_246:
	s_mov_b32 s57, 0
	v_mov_b32_e32 v0, 0
	v_mov_b32_e32 v2, 0
	;; [unrolled: 1-line block ×3, first 2 shown]
.LBB17_247:
	s_and_b32 s4, s58, 3
	s_cmp_eq_u32 s4, 0
	s_cbranch_scc1 .LBB17_250
; %bb.248:
	s_lshl_b32 s0, s57, 3
	s_add_u32 s0, s34, s0
	s_addc_u32 s1, s35, 0
	s_add_u32 s0, s0, 0xc4
	s_addc_u32 s1, s1, 0
	s_mul_i32 s2, s57, 12
	s_add_u32 s2, s34, s2
	s_addc_u32 s3, s35, 0
.LBB17_249:                             ; =>This Inner Loop Header: Depth=1
	s_load_dwordx2 s[6:7], s[2:3], 0x4
	s_load_dword s5, s[2:3], 0xc
	s_load_dwordx2 s[8:9], s[0:1], 0x0
	s_add_u32 s2, s2, 12
	s_addc_u32 s3, s3, 0
	s_waitcnt lgkmcnt(0)
	v_mul_hi_u32 v3, s7, v1
	s_add_u32 s0, s0, 8
	s_addc_u32 s1, s1, 0
	s_add_i32 s4, s4, -1
	v_add_u32_e32 v3, v1, v3
	v_lshrrev_b32_e32 v4, s5, v3
	v_mul_lo_u32 v3, v4, s6
	s_cmp_lg_u32 s4, 0
	v_sub_u32_e32 v3, v1, v3
	v_mad_u64_u32 v[0:1], s[6:7], v3, s8, v[0:1]
	v_mad_u64_u32 v[2:3], s[6:7], v3, s9, v[2:3]
	v_mov_b32_e32 v1, v4
	s_cbranch_scc1 .LBB17_249
.LBB17_250:
	s_cbranch_execnz .LBB17_253
.LBB17_251:
	s_waitcnt lgkmcnt(0)
	v_mul_hi_u32 v0, s25, v7
	s_andn2_b64 vcc, exec, s[42:43]
	v_add_u32_e32 v0, v7, v0
	v_lshrrev_b32_e32 v1, s26, v0
	v_mul_lo_u32 v0, v1, s24
	v_sub_u32_e32 v2, v7, v0
	v_mul_lo_u32 v0, v2, s20
	v_mul_lo_u32 v2, v2, s21
	s_cbranch_vccnz .LBB17_253
; %bb.252:
	v_mul_hi_u32 v3, s40, v1
	v_add_u32_e32 v3, v1, v3
	v_lshrrev_b32_e32 v3, s41, v3
	v_mul_lo_u32 v3, v3, s27
	v_sub_u32_e32 v3, v1, v3
	v_mad_u64_u32 v[0:1], s[0:1], v3, s22, v[0:1]
	v_mad_u64_u32 v[2:3], s[0:1], v3, s23, v[2:3]
.LBB17_253:
	s_waitcnt lgkmcnt(0)
	global_load_dword v8, v2, s[18:19]
                                        ; implicit-def: $vgpr2
	s_waitcnt vmcnt(0)
	v_cmp_neq_f32_e32 vcc, 0, v8
	s_and_saveexec_b64 s[0:1], vcc
	s_xor_b64 s[2:3], exec, s[0:1]
	s_cbranch_execz .LBB17_275
; %bb.254:
	v_mov_b32_e32 v1, 0
	v_cmp_gt_f32_e32 vcc, 0, v8
	s_mov_b64 s[0:1], -1
	s_and_saveexec_b64 s[4:5], vcc
	s_cbranch_execz .LBB17_262
; %bb.255:
	v_trunc_f32_e32 v1, v8
	v_cmp_neq_f32_e32 vcc, v8, v1
	s_mov_b64 s[8:9], 0
	v_mov_b32_e32 v1, 0
	s_and_saveexec_b64 s[6:7], vcc
	s_cbranch_execz .LBB17_261
; %bb.256:
	v_cvt_f64_f32_e32 v[1:2], v8
	s_mov_b32 s0, 0
	s_mov_b32 s9, 0xc00921fb
	;; [unrolled: 1-line block ×3, first 2 shown]
	v_trunc_f64_e32 v[3:4], v[1:2]
	s_mov_b32 s1, 0x7ff00000
	v_cmp_neq_f64_e64 vcc, |v[1:2]|, s[0:1]
	v_bfrev_b32_e32 v5, 1
	s_mov_b32 s10, 0
	s_mov_b32 s11, 0x41d00000
                                        ; implicit-def: $vgpr9
	v_add_f64 v[3:4], v[1:2], -v[3:4]
	v_mul_f64 v[3:4], |v[3:4]|, s[8:9]
	v_cndmask_b32_e32 v2, v5, v4, vcc
	v_cndmask_b32_e32 v1, 0, v3, vcc
	v_cmp_nlt_f64_e64 s[10:11], |v[1:2]|, s[10:11]
                                        ; implicit-def: $vgpr3_vgpr4
                                        ; implicit-def: $vgpr5_vgpr6
	s_and_saveexec_b64 s[12:13], s[10:11]
	s_xor_b64 s[10:11], exec, s[12:13]
	s_cbranch_execz .LBB17_258
; %bb.257:
	v_trig_preop_f64 v[3:4], |v[1:2]|, 0
	s_mov_b32 s12, 0
	s_mov_b32 s13, 0x7b000000
	s_movk_i32 s9, 0xff80
	v_ldexp_f64 v[9:10], |v[1:2]|, s9
	v_cmp_ge_f64_e64 vcc, |v[1:2]|, s[12:13]
	v_trig_preop_f64 v[5:6], |v[1:2]|, 1
	v_and_b32_e32 v11, 0x7fffffff, v2
	v_trig_preop_f64 v[17:18], |v[1:2]|, 2
	v_mov_b32_e32 v28, 0x40100000
	v_mov_b32_e32 v27, 0
	s_mov_b32 s9, 0x3ff921fb
	v_cndmask_b32_e32 v10, v11, v10, vcc
	v_cndmask_b32_e32 v9, v1, v9, vcc
	v_mul_f64 v[11:12], v[3:4], v[9:10]
	v_mul_f64 v[13:14], v[5:6], v[9:10]
	v_mul_f64 v[23:24], v[17:18], v[9:10]
	v_fma_f64 v[3:4], v[3:4], v[9:10], -v[11:12]
	v_fma_f64 v[5:6], v[5:6], v[9:10], -v[13:14]
	;; [unrolled: 1-line block ×3, first 2 shown]
	v_add_f64 v[15:16], v[13:14], v[3:4]
	v_add_f64 v[19:20], v[15:16], -v[13:14]
	v_add_f64 v[25:26], v[11:12], v[15:16]
	v_add_f64 v[21:22], v[15:16], -v[19:20]
	v_add_f64 v[3:4], v[3:4], -v[19:20]
	v_add_f64 v[19:20], v[23:24], v[5:6]
	v_add_f64 v[11:12], v[25:26], -v[11:12]
	v_add_f64 v[13:14], v[13:14], -v[21:22]
	v_ldexp_f64 v[21:22], v[25:26], -2
	v_add_f64 v[29:30], v[19:20], -v[23:24]
	v_add_f64 v[11:12], v[15:16], -v[11:12]
	v_add_f64 v[3:4], v[3:4], v[13:14]
	v_fract_f64_e32 v[13:14], v[21:22]
	v_cmp_neq_f64_e64 vcc, |v[21:22]|, s[0:1]
	v_add_f64 v[5:6], v[5:6], -v[29:30]
	v_add_f64 v[15:16], v[19:20], v[3:4]
	v_ldexp_f64 v[13:14], v[13:14], 2
	v_add_f64 v[21:22], v[11:12], v[15:16]
	v_cndmask_b32_e32 v14, 0, v14, vcc
	v_cndmask_b32_e32 v13, 0, v13, vcc
	v_add_f64 v[31:32], v[15:16], -v[19:20]
	v_add_f64 v[25:26], v[21:22], v[13:14]
	v_add_f64 v[11:12], v[21:22], -v[11:12]
	v_add_f64 v[33:34], v[15:16], -v[31:32]
	;; [unrolled: 1-line block ×3, first 2 shown]
	v_cmp_gt_f64_e32 vcc, 0, v[25:26]
	v_add_f64 v[25:26], v[19:20], -v[29:30]
	v_add_f64 v[11:12], v[15:16], -v[11:12]
	;; [unrolled: 1-line block ×3, first 2 shown]
	v_cndmask_b32_e32 v28, 0, v28, vcc
	v_add_f64 v[13:14], v[13:14], v[27:28]
	v_add_f64 v[25:26], v[23:24], -v[25:26]
	v_add_f64 v[3:4], v[3:4], v[19:20]
	v_add_f64 v[35:36], v[21:22], v[13:14]
	;; [unrolled: 1-line block ×3, first 2 shown]
	v_cvt_i32_f64_e32 v30, v[35:36]
	v_add_f64 v[3:4], v[5:6], v[3:4]
	v_cvt_f64_i32_e32 v[28:29], v30
	v_add_f64 v[13:14], v[13:14], -v[28:29]
	v_add_f64 v[3:4], v[9:10], v[3:4]
	v_add_f64 v[5:6], v[21:22], v[13:14]
	;; [unrolled: 1-line block ×3, first 2 shown]
	v_mov_b32_e32 v12, 0x3ff00000
	v_add_f64 v[9:10], v[5:6], -v[13:14]
	v_cmp_le_f64_e32 vcc, 0.5, v[5:6]
	v_add_f64 v[10:11], v[21:22], -v[9:10]
	v_cndmask_b32_e32 v28, 0, v12, vcc
	v_add_f64 v[5:6], v[5:6], -v[27:28]
	v_addc_co_u32_e64 v9, s[0:1], 0, v30, vcc
	s_mov_b32 s0, 0x33145c07
	s_mov_b32 s1, 0x3c91a626
	v_add_f64 v[3:4], v[3:4], v[10:11]
	v_add_f64 v[10:11], v[5:6], v[3:4]
	v_mul_f64 v[12:13], v[10:11], s[8:9]
	v_add_f64 v[5:6], v[10:11], -v[5:6]
	v_fma_f64 v[14:15], v[10:11], s[8:9], -v[12:13]
	v_add_f64 v[3:4], v[3:4], -v[5:6]
	v_fma_f64 v[5:6], v[10:11], s[0:1], v[14:15]
	v_fma_f64 v[5:6], v[3:4], s[8:9], v[5:6]
	v_add_f64 v[3:4], v[12:13], v[5:6]
	v_add_f64 v[10:11], v[3:4], -v[12:13]
	v_add_f64 v[5:6], v[5:6], -v[10:11]
.LBB17_258:
	s_andn2_saveexec_b64 s[0:1], s[10:11]
	s_cbranch_execz .LBB17_260
; %bb.259:
	s_mov_b32 s8, 0x6dc9c883
	s_mov_b32 s9, 0x3fe45f30
	v_mul_f64 v[3:4], |v[1:2]|, s[8:9]
	s_mov_b32 s8, 0x54442d18
	s_mov_b32 s9, 0xbff921fb
	;; [unrolled: 1-line block ×4, first 2 shown]
	v_rndne_f64_e32 v[9:10], v[3:4]
	v_fma_f64 v[3:4], v[9:10], s[8:9], |v[1:2]|
	v_mul_f64 v[5:6], v[9:10], s[10:11]
	s_mov_b32 s8, 0x252049c0
	s_mov_b32 s9, 0xb97b839a
	v_fma_f64 v[15:16], v[9:10], s[10:11], v[3:4]
	v_add_f64 v[11:12], v[3:4], v[5:6]
	s_mov_b32 s11, 0x3c91a626
	v_add_f64 v[13:14], v[3:4], -v[11:12]
	v_add_f64 v[11:12], v[11:12], -v[15:16]
	v_add_f64 v[3:4], v[13:14], v[5:6]
	v_fma_f64 v[5:6], v[9:10], s[10:11], v[5:6]
	v_add_f64 v[3:4], v[11:12], v[3:4]
	v_add_f64 v[3:4], v[3:4], -v[5:6]
	v_fma_f64 v[5:6], v[9:10], s[8:9], v[3:4]
	v_cvt_i32_f64_e32 v9, v[9:10]
	v_add_f64 v[3:4], v[15:16], v[5:6]
	v_add_f64 v[11:12], v[3:4], -v[15:16]
	v_add_f64 v[5:6], v[5:6], -v[11:12]
.LBB17_260:
	s_or_b64 exec, exec, s[0:1]
	v_mul_f64 v[10:11], v[3:4], v[3:4]
	v_add_f64 v[12:13], v[5:6], v[5:6]
	s_mov_b32 s0, 0xc751c08c
	s_mov_b32 s1, 0x3ef5e089
	v_and_b32_e32 v9, 1, v9
	v_cmp_eq_u32_e32 vcc, 0, v9
	s_mov_b32 s10, 0x54442d18
	s_mov_b32 s11, 0xc00921fb
	v_fma_f64 v[14:15], v[3:4], v[3:4], -v[10:11]
	s_mov_b64 s[8:9], exec
	v_sub_f32_e32 v8, 1.0, v8
	v_fma_f64 v[12:13], v[3:4], v[12:13], v[14:15]
	v_add_f64 v[10:11], v[10:11], v[12:13]
	v_mov_b32_e32 v12, 0xa9a29f71
	v_mov_b32_e32 v13, 0xbf078809
	v_fma_f64 v[12:13], v[10:11], s[0:1], v[12:13]
	s_mov_b32 s0, 0x90a8aae0
	s_mov_b32 s1, 0x3f17746f
	v_fma_f64 v[12:13], v[10:11], v[12:13], s[0:1]
	s_mov_b32 s0, 0xa6fbf144
	s_mov_b32 s1, 0xbefbb44d
	;; [unrolled: 3-line block ×12, first 2 shown]
	v_fma_f64 v[12:13], v[10:11], v[12:13], s[0:1]
	s_movk_i32 s0, 0x1f8
	v_cmp_class_f64_e64 s[0:1], v[1:2], s0
	v_mul_f64 v[10:11], v[10:11], v[12:13]
	v_mul_f64 v[12:13], v[3:4], v[10:11]
	v_add_f64 v[14:15], v[3:4], v[12:13]
	v_fma_f64 v[10:11], v[3:4], v[10:11], -v[12:13]
	v_add_f64 v[3:4], v[14:15], -v[3:4]
	v_add_f64 v[5:6], v[5:6], v[10:11]
	v_add_f64 v[3:4], v[12:13], -v[3:4]
	v_add_f64 v[3:4], v[5:6], v[3:4]
	v_add_f64 v[5:6], v[14:15], v[3:4]
	v_rcp_f64_e32 v[10:11], v[5:6]
	v_fma_f64 v[12:13], -v[5:6], v[10:11], 1.0
	v_fma_f64 v[10:11], v[12:13], v[10:11], v[10:11]
	v_fma_f64 v[12:13], -v[5:6], v[10:11], 1.0
	v_fma_f64 v[10:11], v[12:13], v[10:11], v[10:11]
	v_add_f64 v[12:13], v[5:6], -v[14:15]
	v_mul_f64 v[14:15], v[5:6], v[10:11]
	v_add_f64 v[3:4], v[3:4], -v[12:13]
	v_fma_f64 v[12:13], v[10:11], v[5:6], -v[14:15]
	v_fma_f64 v[3:4], v[10:11], v[3:4], v[12:13]
	v_add_f64 v[12:13], v[14:15], v[3:4]
	v_add_f64 v[16:17], -v[12:13], 1.0
	v_add_f64 v[14:15], v[12:13], -v[14:15]
	v_add_f64 v[18:19], -v[16:17], 1.0
	v_add_f64 v[3:4], v[14:15], -v[3:4]
	v_add_f64 v[12:13], v[18:19], -v[12:13]
	v_add_f64 v[3:4], v[3:4], v[12:13]
	v_add_f64 v[3:4], v[16:17], v[3:4]
	v_mul_f64 v[3:4], v[10:11], v[3:4]
	v_add_f64 v[3:4], v[10:11], v[3:4]
	v_and_b32_e32 v10, 0x80000000, v2
	v_mov_b32_e32 v2, 0x7ff80000
	v_xor_b32_e32 v1, 0x80000000, v4
	v_cndmask_b32_e32 v3, v3, v5, vcc
	v_cndmask_b32_e32 v4, v1, v6, vcc
	v_cndmask_b32_e64 v1, 0, v3, s[0:1]
	v_xor_b32_e32 v3, v4, v10
	v_cndmask_b32_e64 v2, v2, v3, s[0:1]
	v_div_scale_f64 v[3:4], s[0:1], v[1:2], v[1:2], s[10:11]
	v_div_scale_f64 v[11:12], vcc, s[10:11], v[1:2], s[10:11]
	v_rcp_f64_e32 v[5:6], v[3:4]
	v_fma_f64 v[9:10], -v[3:4], v[5:6], 1.0
	v_fma_f64 v[5:6], v[5:6], v[9:10], v[5:6]
	v_fma_f64 v[9:10], -v[3:4], v[5:6], 1.0
	v_fma_f64 v[5:6], v[5:6], v[9:10], v[5:6]
	v_mul_f64 v[9:10], v[11:12], v[5:6]
	v_fma_f64 v[3:4], -v[3:4], v[9:10], v[11:12]
	v_div_fmas_f64 v[3:4], v[3:4], v[5:6], v[9:10]
	v_div_fixup_f64 v[1:2], v[3:4], v[1:2], s[10:11]
	v_cvt_f32_f64_e32 v1, v[1:2]
.LBB17_261:
	s_or_b64 exec, exec, s[6:7]
	s_orn2_b64 s[0:1], s[8:9], exec
.LBB17_262:
	s_or_b64 exec, exec, s[4:5]
	v_mov_b32_e32 v2, 0x7fc00000
	s_and_saveexec_b64 s[4:5], s[0:1]
	s_cbranch_execz .LBB17_274
; %bb.263:
	s_mov_b32 s8, 0x41200000
	v_cmp_gt_f32_e32 vcc, s8, v8
	s_and_saveexec_b64 s[0:1], vcc
	s_cbranch_execz .LBB17_267
; %bb.264:
	s_mov_b64 s[6:7], 0
.LBB17_265:                             ; =>This Inner Loop Header: Depth=1
	v_div_scale_f32 v2, s[10:11], v8, v8, 1.0
	v_div_scale_f32 v3, vcc, 1.0, v8, 1.0
	v_rcp_f32_e32 v4, v2
	v_fma_f32 v5, -v2, v4, 1.0
	v_fmac_f32_e32 v4, v5, v4
	v_mul_f32_e32 v5, v3, v4
	v_fma_f32 v6, -v2, v5, v3
	v_fmac_f32_e32 v5, v6, v4
	v_fma_f32 v2, -v2, v5, v3
	v_div_fmas_f32 v2, v2, v4, v5
	v_div_fixup_f32 v2, v2, v8, 1.0
	v_add_f32_e32 v8, 1.0, v8
	v_cmp_ngt_f32_e32 vcc, s8, v8
	s_or_b64 s[6:7], vcc, s[6:7]
	v_sub_f32_e32 v1, v1, v2
	s_andn2_b64 exec, exec, s[6:7]
	s_cbranch_execnz .LBB17_265
; %bb.266:
	s_or_b64 exec, exec, s[6:7]
.LBB17_267:
	s_or_b64 exec, exec, s[0:1]
	s_mov_b32 s0, 0x41200000
	v_cmp_neq_f32_e32 vcc, s0, v8
                                        ; implicit-def: $vgpr2
	s_and_saveexec_b64 s[0:1], vcc
	s_xor_b64 s[6:7], exec, s[0:1]
	s_cbranch_execz .LBB17_271
; %bb.268:
	v_cvt_f64_f32_e32 v[2:3], v8
	s_mov_b32 s0, 0x85d8a000
	s_mov_b32 s1, 0x43763457
	v_cmp_gt_f64_e32 vcc, s[0:1], v[2:3]
	v_mov_b32_e32 v2, 0
	s_and_saveexec_b64 s[0:1], vcc
	s_cbranch_execz .LBB17_270
; %bb.269:
	v_mul_f32_e32 v2, v8, v8
	v_div_scale_f32 v3, s[8:9], v2, v2, 1.0
	v_div_scale_f32 v4, vcc, 1.0, v2, 1.0
	v_mov_b32_e32 v10, 0x3b820821
	v_rcp_f32_e32 v5, v3
	v_fma_f32 v6, -v3, v5, 1.0
	v_fmac_f32_e32 v5, v6, v5
	v_mul_f32_e32 v6, v4, v5
	v_fma_f32 v9, -v3, v6, v4
	v_fmac_f32_e32 v6, v9, v5
	v_fma_f32 v3, -v3, v6, v4
	v_div_fmas_f32 v3, v3, v5, v6
	v_mov_b32_e32 v4, 0x3daaaaab
	v_mov_b32_e32 v5, 0xbcaccacd
	;; [unrolled: 1-line block ×4, first 2 shown]
	v_div_fixup_f32 v2, v3, v2, 1.0
	v_fma_f32 v3, 0, v2, v4
	v_fmac_f32_e32 v5, v2, v3
	v_fmac_f32_e32 v6, v2, v5
	;; [unrolled: 1-line block ×4, first 2 shown]
	v_mov_b32_e32 v3, 0xbc088889
	v_fmac_f32_e32 v3, v2, v10
	v_fmac_f32_e32 v4, v2, v3
	v_mul_f32_e32 v2, v2, v4
.LBB17_270:
	s_or_b64 exec, exec, s[0:1]
	v_div_scale_f32 v3, s[0:1], v8, v8, -0.5
	v_div_scale_f32 v4, vcc, -0.5, v8, -0.5
	s_mov_b32 s0, 0x800000
	v_cmp_gt_f32_e64 s[0:1], s0, v8
	v_cndmask_b32_e64 v6, 0, 32, s[0:1]
	s_mov_b32 s8, 0x3f317217
	v_rcp_f32_e32 v5, v3
	v_fma_f32 v9, -v3, v5, 1.0
	v_fmac_f32_e32 v5, v9, v5
	v_mul_f32_e32 v9, v4, v5
	v_fma_f32 v10, -v3, v9, v4
	v_fmac_f32_e32 v9, v10, v5
	v_fma_f32 v3, -v3, v9, v4
	v_div_fmas_f32 v3, v3, v5, v9
	v_ldexp_f32 v4, v8, v6
	v_log_f32_e32 v4, v4
	v_mul_f32_e32 v5, 0x3f317217, v4
	v_fma_f32 v5, v4, s8, -v5
	v_fmac_f32_e32 v5, 0x3377d1cf, v4
	s_mov_b32 s8, 0x7f800000
	v_fmac_f32_e32 v5, 0x3f317217, v4
	v_cmp_lt_f32_e64 vcc, |v4|, s8
	v_cndmask_b32_e32 v4, v4, v5, vcc
	v_mov_b32_e32 v5, 0x41b17218
	v_cndmask_b32_e64 v5, 0, v5, s[0:1]
	v_sub_f32_e32 v4, v4, v5
	v_div_fixup_f32 v3, v3, v8, -0.5
	v_add_f32_e32 v3, v4, v3
	v_sub_f32_e32 v2, v3, v2
	v_add_f32_e32 v2, v1, v2
                                        ; implicit-def: $vgpr1
.LBB17_271:
	s_andn2_saveexec_b64 s[0:1], s[6:7]
; %bb.272:
	v_add_f32_e32 v2, 0x40101cb7, v1
; %bb.273:
	s_or_b64 exec, exec, s[0:1]
.LBB17_274:
	s_or_b64 exec, exec, s[4:5]
                                        ; implicit-def: $vgpr8
.LBB17_275:
	s_andn2_saveexec_b64 s[0:1], s[2:3]
; %bb.276:
	v_xor_b32_e32 v1, 0x80000000, v8
	s_brev_b32 s2, -2
	v_mov_b32_e32 v2, 0x7f800000
	v_bfi_b32 v2, s2, v2, v1
; %bb.277:
	s_or_b64 exec, exec, s[0:1]
	v_add_u32_e32 v7, 0x80, v7
	global_store_dword v0, v2, s[16:17]
	s_or_b64 exec, exec, s[48:49]
	v_cmp_gt_i32_e32 vcc, s55, v7
	s_and_saveexec_b64 s[48:49], vcc
	s_cbranch_execz .LBB17_244
.LBB17_278:
	s_andn2_b64 vcc, exec, s[36:37]
	s_cbranch_vccnz .LBB17_283
; %bb.279:
	s_andn2_b64 vcc, exec, s[46:47]
	s_cbranch_vccnz .LBB17_284
; %bb.280:
	s_add_i32 s56, s56, 1
	s_cmp_eq_u32 s54, 2
	s_cbranch_scc1 .LBB17_285
; %bb.281:
	s_and_b32 s50, s56, 28
	v_mov_b32_e32 v2, 0
	s_mov_b32 s51, 0
	s_mov_b64 s[46:47], s[34:35]
	v_mov_b32_e32 v0, 0
	v_mov_b32_e32 v1, v7
.LBB17_282:                             ; =>This Inner Loop Header: Depth=1
	s_load_dwordx8 s[8:15], s[46:47], 0x4
	s_load_dwordx4 s[28:31], s[46:47], 0x24
	s_load_dwordx8 s[0:7], s[44:45], 0x0
	s_add_u32 s46, s46, 48
	s_addc_u32 s47, s47, 0
	s_waitcnt lgkmcnt(0)
	v_mul_hi_u32 v3, s9, v1
	s_add_i32 s51, s51, 4
	s_add_u32 s44, s44, 32
	s_addc_u32 s45, s45, 0
	v_add_u32_e32 v3, v1, v3
	v_lshrrev_b32_e32 v3, s10, v3
	v_mul_lo_u32 v4, v3, s8
	v_mul_hi_u32 v5, s12, v3
	s_cmp_eq_u32 s50, s51
	v_sub_u32_e32 v1, v1, v4
	v_add_u32_e32 v4, v3, v5
	v_mul_lo_u32 v5, v1, s0
	v_mul_lo_u32 v6, v1, s1
	v_lshrrev_b32_e32 v1, s13, v4
	v_mul_lo_u32 v4, v1, s11
	v_mul_hi_u32 v8, s15, v1
	v_sub_u32_e32 v3, v3, v4
	v_add_u32_e32 v4, v1, v8
	v_lshrrev_b32_e32 v4, s28, v4
	v_mul_hi_u32 v9, s30, v4
	v_mul_lo_u32 v10, v4, s14
	v_mul_lo_u32 v8, v3, s2
	;; [unrolled: 1-line block ×3, first 2 shown]
	v_sub_u32_e32 v10, v1, v10
	v_add_u32_e32 v1, v4, v9
	v_lshrrev_b32_e32 v1, s31, v1
	v_mul_lo_u32 v9, v1, s29
	v_mul_lo_u32 v11, v10, s4
	;; [unrolled: 1-line block ×3, first 2 shown]
	v_add3_u32 v0, v5, v0, v8
	v_sub_u32_e32 v4, v4, v9
	v_mul_lo_u32 v9, v4, s6
	v_mul_lo_u32 v4, v4, s7
	v_add3_u32 v2, v6, v2, v3
	v_add3_u32 v0, v11, v0, v9
	;; [unrolled: 1-line block ×3, first 2 shown]
	s_cbranch_scc0 .LBB17_282
	s_branch .LBB17_286
.LBB17_283:
                                        ; implicit-def: $vgpr0
                                        ; implicit-def: $vgpr2
	s_branch .LBB17_290
.LBB17_284:
	v_mov_b32_e32 v0, 0
	v_mov_b32_e32 v2, 0
	s_branch .LBB17_289
.LBB17_285:
	s_mov_b32 s50, 0
	v_mov_b32_e32 v0, 0
	v_mov_b32_e32 v2, 0
	;; [unrolled: 1-line block ×3, first 2 shown]
.LBB17_286:
	s_and_b32 s4, s56, 3
	s_cmp_eq_u32 s4, 0
	s_cbranch_scc1 .LBB17_289
; %bb.287:
	s_lshl_b32 s0, s50, 3
	s_add_u32 s0, s34, s0
	s_addc_u32 s1, s35, 0
	s_add_u32 s0, s0, 0xc4
	s_addc_u32 s1, s1, 0
	s_mul_i32 s2, s50, 12
	s_add_u32 s2, s34, s2
	s_addc_u32 s3, s35, 0
.LBB17_288:                             ; =>This Inner Loop Header: Depth=1
	s_load_dwordx2 s[6:7], s[2:3], 0x4
	s_load_dword s5, s[2:3], 0xc
	s_load_dwordx2 s[8:9], s[0:1], 0x0
	s_add_u32 s2, s2, 12
	s_addc_u32 s3, s3, 0
	s_waitcnt lgkmcnt(0)
	v_mul_hi_u32 v3, s7, v1
	s_add_u32 s0, s0, 8
	s_addc_u32 s1, s1, 0
	s_add_i32 s4, s4, -1
	v_add_u32_e32 v3, v1, v3
	v_lshrrev_b32_e32 v4, s5, v3
	v_mul_lo_u32 v3, v4, s6
	s_cmp_lg_u32 s4, 0
	v_sub_u32_e32 v3, v1, v3
	v_mad_u64_u32 v[0:1], s[6:7], v3, s8, v[0:1]
	v_mad_u64_u32 v[2:3], s[6:7], v3, s9, v[2:3]
	v_mov_b32_e32 v1, v4
	s_cbranch_scc1 .LBB17_288
.LBB17_289:
	s_cbranch_execnz .LBB17_292
.LBB17_290:
	s_waitcnt lgkmcnt(0)
	v_mul_hi_u32 v0, s25, v7
	s_andn2_b64 vcc, exec, s[42:43]
	v_add_u32_e32 v0, v7, v0
	v_lshrrev_b32_e32 v1, s26, v0
	v_mul_lo_u32 v0, v1, s24
	v_sub_u32_e32 v2, v7, v0
	v_mul_lo_u32 v0, v2, s20
	v_mul_lo_u32 v2, v2, s21
	s_cbranch_vccnz .LBB17_292
; %bb.291:
	v_mul_hi_u32 v3, s40, v1
	v_add_u32_e32 v3, v1, v3
	v_lshrrev_b32_e32 v3, s41, v3
	v_mul_lo_u32 v3, v3, s27
	v_sub_u32_e32 v3, v1, v3
	v_mad_u64_u32 v[0:1], s[0:1], v3, s22, v[0:1]
	v_mad_u64_u32 v[2:3], s[0:1], v3, s23, v[2:3]
.LBB17_292:
	s_waitcnt lgkmcnt(0)
	global_load_dword v7, v2, s[18:19]
                                        ; implicit-def: $vgpr2
	s_waitcnt vmcnt(0)
	v_cmp_neq_f32_e32 vcc, 0, v7
	s_and_saveexec_b64 s[0:1], vcc
	s_xor_b64 s[2:3], exec, s[0:1]
	s_cbranch_execz .LBB17_314
; %bb.293:
	v_mov_b32_e32 v1, 0
	v_cmp_gt_f32_e32 vcc, 0, v7
	s_mov_b64 s[0:1], -1
	s_and_saveexec_b64 s[4:5], vcc
	s_cbranch_execz .LBB17_301
; %bb.294:
	v_trunc_f32_e32 v1, v7
	v_cmp_neq_f32_e32 vcc, v7, v1
	s_mov_b64 s[8:9], 0
	v_mov_b32_e32 v1, 0
	s_and_saveexec_b64 s[6:7], vcc
	s_cbranch_execz .LBB17_300
; %bb.295:
	v_cvt_f64_f32_e32 v[1:2], v7
	s_mov_b32 s0, 0
	s_mov_b32 s9, 0xc00921fb
	;; [unrolled: 1-line block ×3, first 2 shown]
	v_trunc_f64_e32 v[3:4], v[1:2]
	s_mov_b32 s1, 0x7ff00000
	v_cmp_neq_f64_e64 vcc, |v[1:2]|, s[0:1]
	v_bfrev_b32_e32 v5, 1
	s_mov_b32 s10, 0
	s_mov_b32 s11, 0x41d00000
                                        ; implicit-def: $vgpr8
	v_add_f64 v[3:4], v[1:2], -v[3:4]
	v_mul_f64 v[3:4], |v[3:4]|, s[8:9]
	v_cndmask_b32_e32 v2, v5, v4, vcc
	v_cndmask_b32_e32 v1, 0, v3, vcc
	v_cmp_nlt_f64_e64 s[10:11], |v[1:2]|, s[10:11]
                                        ; implicit-def: $vgpr3_vgpr4
                                        ; implicit-def: $vgpr5_vgpr6
	s_and_saveexec_b64 s[12:13], s[10:11]
	s_xor_b64 s[10:11], exec, s[12:13]
	s_cbranch_execz .LBB17_297
; %bb.296:
	v_trig_preop_f64 v[3:4], |v[1:2]|, 0
	s_mov_b32 s12, 0
	s_mov_b32 s13, 0x7b000000
	s_movk_i32 s9, 0xff80
	v_ldexp_f64 v[8:9], |v[1:2]|, s9
	v_cmp_ge_f64_e64 vcc, |v[1:2]|, s[12:13]
	v_trig_preop_f64 v[5:6], |v[1:2]|, 1
	v_and_b32_e32 v10, 0x7fffffff, v2
	v_trig_preop_f64 v[16:17], |v[1:2]|, 2
	v_mov_b32_e32 v27, 0x40100000
	v_mov_b32_e32 v26, 0
	s_mov_b32 s9, 0x3ff921fb
	v_cndmask_b32_e32 v9, v10, v9, vcc
	v_cndmask_b32_e32 v8, v1, v8, vcc
	v_mul_f64 v[10:11], v[3:4], v[8:9]
	v_mul_f64 v[12:13], v[5:6], v[8:9]
	;; [unrolled: 1-line block ×3, first 2 shown]
	v_fma_f64 v[3:4], v[3:4], v[8:9], -v[10:11]
	v_fma_f64 v[5:6], v[5:6], v[8:9], -v[12:13]
	;; [unrolled: 1-line block ×3, first 2 shown]
	v_add_f64 v[14:15], v[12:13], v[3:4]
	v_add_f64 v[18:19], v[14:15], -v[12:13]
	v_add_f64 v[24:25], v[10:11], v[14:15]
	v_add_f64 v[20:21], v[14:15], -v[18:19]
	v_add_f64 v[3:4], v[3:4], -v[18:19]
	v_add_f64 v[18:19], v[22:23], v[5:6]
	v_add_f64 v[10:11], v[24:25], -v[10:11]
	v_add_f64 v[12:13], v[12:13], -v[20:21]
	v_ldexp_f64 v[20:21], v[24:25], -2
	v_add_f64 v[28:29], v[18:19], -v[22:23]
	v_add_f64 v[10:11], v[14:15], -v[10:11]
	v_add_f64 v[3:4], v[3:4], v[12:13]
	v_fract_f64_e32 v[12:13], v[20:21]
	v_cmp_neq_f64_e64 vcc, |v[20:21]|, s[0:1]
	v_add_f64 v[5:6], v[5:6], -v[28:29]
	v_add_f64 v[14:15], v[18:19], v[3:4]
	v_ldexp_f64 v[12:13], v[12:13], 2
	v_add_f64 v[20:21], v[10:11], v[14:15]
	v_cndmask_b32_e32 v13, 0, v13, vcc
	v_cndmask_b32_e32 v12, 0, v12, vcc
	v_add_f64 v[30:31], v[14:15], -v[18:19]
	v_add_f64 v[24:25], v[20:21], v[12:13]
	v_add_f64 v[10:11], v[20:21], -v[10:11]
	v_add_f64 v[32:33], v[14:15], -v[30:31]
	;; [unrolled: 1-line block ×3, first 2 shown]
	v_cmp_gt_f64_e32 vcc, 0, v[24:25]
	v_add_f64 v[24:25], v[18:19], -v[28:29]
	v_add_f64 v[10:11], v[14:15], -v[10:11]
	;; [unrolled: 1-line block ×3, first 2 shown]
	v_cndmask_b32_e32 v27, 0, v27, vcc
	v_add_f64 v[12:13], v[12:13], v[26:27]
	v_add_f64 v[24:25], v[22:23], -v[24:25]
	v_add_f64 v[3:4], v[3:4], v[18:19]
	v_add_f64 v[34:35], v[20:21], v[12:13]
	;; [unrolled: 1-line block ×3, first 2 shown]
	v_cvt_i32_f64_e32 v29, v[34:35]
	v_add_f64 v[3:4], v[5:6], v[3:4]
	v_cvt_f64_i32_e32 v[27:28], v29
	v_add_f64 v[12:13], v[12:13], -v[27:28]
	v_add_f64 v[3:4], v[8:9], v[3:4]
	v_add_f64 v[5:6], v[20:21], v[12:13]
	;; [unrolled: 1-line block ×3, first 2 shown]
	v_mov_b32_e32 v11, 0x3ff00000
	v_add_f64 v[8:9], v[5:6], -v[12:13]
	v_cmp_le_f64_e32 vcc, 0.5, v[5:6]
	v_add_f64 v[9:10], v[20:21], -v[8:9]
	v_cndmask_b32_e32 v27, 0, v11, vcc
	v_add_f64 v[5:6], v[5:6], -v[26:27]
	v_addc_co_u32_e64 v8, s[0:1], 0, v29, vcc
	s_mov_b32 s0, 0x33145c07
	s_mov_b32 s1, 0x3c91a626
	v_add_f64 v[3:4], v[3:4], v[9:10]
	v_add_f64 v[9:10], v[5:6], v[3:4]
	v_mul_f64 v[11:12], v[9:10], s[8:9]
	v_add_f64 v[5:6], v[9:10], -v[5:6]
	v_fma_f64 v[13:14], v[9:10], s[8:9], -v[11:12]
	v_add_f64 v[3:4], v[3:4], -v[5:6]
	v_fma_f64 v[5:6], v[9:10], s[0:1], v[13:14]
	v_fma_f64 v[5:6], v[3:4], s[8:9], v[5:6]
	v_add_f64 v[3:4], v[11:12], v[5:6]
	v_add_f64 v[9:10], v[3:4], -v[11:12]
	v_add_f64 v[5:6], v[5:6], -v[9:10]
.LBB17_297:
	s_andn2_saveexec_b64 s[0:1], s[10:11]
	s_cbranch_execz .LBB17_299
; %bb.298:
	s_mov_b32 s8, 0x6dc9c883
	s_mov_b32 s9, 0x3fe45f30
	v_mul_f64 v[3:4], |v[1:2]|, s[8:9]
	s_mov_b32 s8, 0x54442d18
	s_mov_b32 s9, 0xbff921fb
	s_mov_b32 s11, 0xbc91a626
	s_mov_b32 s10, 0x33145c00
	v_rndne_f64_e32 v[8:9], v[3:4]
	v_fma_f64 v[3:4], v[8:9], s[8:9], |v[1:2]|
	v_mul_f64 v[5:6], v[8:9], s[10:11]
	s_mov_b32 s8, 0x252049c0
	s_mov_b32 s9, 0xb97b839a
	v_fma_f64 v[14:15], v[8:9], s[10:11], v[3:4]
	v_add_f64 v[10:11], v[3:4], v[5:6]
	s_mov_b32 s11, 0x3c91a626
	v_add_f64 v[12:13], v[3:4], -v[10:11]
	v_add_f64 v[10:11], v[10:11], -v[14:15]
	v_add_f64 v[3:4], v[12:13], v[5:6]
	v_fma_f64 v[5:6], v[8:9], s[10:11], v[5:6]
	v_add_f64 v[3:4], v[10:11], v[3:4]
	v_add_f64 v[3:4], v[3:4], -v[5:6]
	v_fma_f64 v[5:6], v[8:9], s[8:9], v[3:4]
	v_cvt_i32_f64_e32 v8, v[8:9]
	v_add_f64 v[3:4], v[14:15], v[5:6]
	v_add_f64 v[10:11], v[3:4], -v[14:15]
	v_add_f64 v[5:6], v[5:6], -v[10:11]
.LBB17_299:
	s_or_b64 exec, exec, s[0:1]
	v_mul_f64 v[9:10], v[3:4], v[3:4]
	v_add_f64 v[11:12], v[5:6], v[5:6]
	s_mov_b32 s0, 0xc751c08c
	s_mov_b32 s1, 0x3ef5e089
	v_and_b32_e32 v8, 1, v8
	v_cmp_eq_u32_e32 vcc, 0, v8
	s_mov_b32 s10, 0x54442d18
	s_mov_b32 s11, 0xc00921fb
	v_fma_f64 v[13:14], v[3:4], v[3:4], -v[9:10]
	s_mov_b64 s[8:9], exec
	v_sub_f32_e32 v7, 1.0, v7
	v_fma_f64 v[11:12], v[3:4], v[11:12], v[13:14]
	v_add_f64 v[9:10], v[9:10], v[11:12]
	v_mov_b32_e32 v11, 0xa9a29f71
	v_mov_b32_e32 v12, 0xbf078809
	v_fma_f64 v[11:12], v[9:10], s[0:1], v[11:12]
	s_mov_b32 s0, 0x90a8aae0
	s_mov_b32 s1, 0x3f17746f
	v_fma_f64 v[11:12], v[9:10], v[11:12], s[0:1]
	s_mov_b32 s0, 0xa6fbf144
	s_mov_b32 s1, 0xbefbb44d
	;; [unrolled: 3-line block ×12, first 2 shown]
	v_fma_f64 v[11:12], v[9:10], v[11:12], s[0:1]
	s_movk_i32 s0, 0x1f8
	v_cmp_class_f64_e64 s[0:1], v[1:2], s0
	v_mul_f64 v[9:10], v[9:10], v[11:12]
	v_mul_f64 v[11:12], v[3:4], v[9:10]
	v_add_f64 v[13:14], v[3:4], v[11:12]
	v_fma_f64 v[9:10], v[3:4], v[9:10], -v[11:12]
	v_add_f64 v[3:4], v[13:14], -v[3:4]
	v_add_f64 v[5:6], v[5:6], v[9:10]
	v_add_f64 v[3:4], v[11:12], -v[3:4]
	v_add_f64 v[3:4], v[5:6], v[3:4]
	v_add_f64 v[5:6], v[13:14], v[3:4]
	v_rcp_f64_e32 v[9:10], v[5:6]
	v_fma_f64 v[11:12], -v[5:6], v[9:10], 1.0
	v_fma_f64 v[9:10], v[11:12], v[9:10], v[9:10]
	v_fma_f64 v[11:12], -v[5:6], v[9:10], 1.0
	v_fma_f64 v[9:10], v[11:12], v[9:10], v[9:10]
	v_add_f64 v[11:12], v[5:6], -v[13:14]
	v_mul_f64 v[13:14], v[5:6], v[9:10]
	v_add_f64 v[3:4], v[3:4], -v[11:12]
	v_fma_f64 v[11:12], v[9:10], v[5:6], -v[13:14]
	v_fma_f64 v[3:4], v[9:10], v[3:4], v[11:12]
	v_add_f64 v[11:12], v[13:14], v[3:4]
	v_add_f64 v[15:16], -v[11:12], 1.0
	v_add_f64 v[13:14], v[11:12], -v[13:14]
	v_add_f64 v[17:18], -v[15:16], 1.0
	v_add_f64 v[3:4], v[13:14], -v[3:4]
	v_add_f64 v[11:12], v[17:18], -v[11:12]
	v_add_f64 v[3:4], v[3:4], v[11:12]
	v_add_f64 v[3:4], v[15:16], v[3:4]
	v_mul_f64 v[3:4], v[9:10], v[3:4]
	v_add_f64 v[3:4], v[9:10], v[3:4]
	v_and_b32_e32 v9, 0x80000000, v2
	v_mov_b32_e32 v2, 0x7ff80000
	v_xor_b32_e32 v1, 0x80000000, v4
	v_cndmask_b32_e32 v3, v3, v5, vcc
	v_cndmask_b32_e32 v4, v1, v6, vcc
	v_cndmask_b32_e64 v1, 0, v3, s[0:1]
	v_xor_b32_e32 v3, v4, v9
	v_cndmask_b32_e64 v2, v2, v3, s[0:1]
	v_div_scale_f64 v[3:4], s[0:1], v[1:2], v[1:2], s[10:11]
	v_div_scale_f64 v[10:11], vcc, s[10:11], v[1:2], s[10:11]
	v_rcp_f64_e32 v[5:6], v[3:4]
	v_fma_f64 v[8:9], -v[3:4], v[5:6], 1.0
	v_fma_f64 v[5:6], v[5:6], v[8:9], v[5:6]
	v_fma_f64 v[8:9], -v[3:4], v[5:6], 1.0
	v_fma_f64 v[5:6], v[5:6], v[8:9], v[5:6]
	v_mul_f64 v[8:9], v[10:11], v[5:6]
	v_fma_f64 v[3:4], -v[3:4], v[8:9], v[10:11]
	v_div_fmas_f64 v[3:4], v[3:4], v[5:6], v[8:9]
	v_div_fixup_f64 v[1:2], v[3:4], v[1:2], s[10:11]
	v_cvt_f32_f64_e32 v1, v[1:2]
.LBB17_300:
	s_or_b64 exec, exec, s[6:7]
	s_orn2_b64 s[0:1], s[8:9], exec
.LBB17_301:
	s_or_b64 exec, exec, s[4:5]
	v_mov_b32_e32 v2, 0x7fc00000
	s_and_saveexec_b64 s[4:5], s[0:1]
	s_cbranch_execz .LBB17_313
; %bb.302:
	s_mov_b32 s8, 0x41200000
	v_cmp_gt_f32_e32 vcc, s8, v7
	s_and_saveexec_b64 s[0:1], vcc
	s_cbranch_execz .LBB17_306
; %bb.303:
	s_mov_b64 s[6:7], 0
.LBB17_304:                             ; =>This Inner Loop Header: Depth=1
	v_div_scale_f32 v2, s[10:11], v7, v7, 1.0
	v_div_scale_f32 v3, vcc, 1.0, v7, 1.0
	v_rcp_f32_e32 v4, v2
	v_fma_f32 v5, -v2, v4, 1.0
	v_fmac_f32_e32 v4, v5, v4
	v_mul_f32_e32 v5, v3, v4
	v_fma_f32 v6, -v2, v5, v3
	v_fmac_f32_e32 v5, v6, v4
	v_fma_f32 v2, -v2, v5, v3
	v_div_fmas_f32 v2, v2, v4, v5
	v_div_fixup_f32 v2, v2, v7, 1.0
	v_add_f32_e32 v7, 1.0, v7
	v_cmp_ngt_f32_e32 vcc, s8, v7
	s_or_b64 s[6:7], vcc, s[6:7]
	v_sub_f32_e32 v1, v1, v2
	s_andn2_b64 exec, exec, s[6:7]
	s_cbranch_execnz .LBB17_304
; %bb.305:
	s_or_b64 exec, exec, s[6:7]
.LBB17_306:
	s_or_b64 exec, exec, s[0:1]
	s_mov_b32 s0, 0x41200000
	v_cmp_neq_f32_e32 vcc, s0, v7
                                        ; implicit-def: $vgpr2
	s_and_saveexec_b64 s[0:1], vcc
	s_xor_b64 s[6:7], exec, s[0:1]
	s_cbranch_execz .LBB17_310
; %bb.307:
	v_cvt_f64_f32_e32 v[2:3], v7
	s_mov_b32 s0, 0x85d8a000
	s_mov_b32 s1, 0x43763457
	v_cmp_gt_f64_e32 vcc, s[0:1], v[2:3]
	v_mov_b32_e32 v2, 0
	s_and_saveexec_b64 s[0:1], vcc
	s_cbranch_execz .LBB17_309
; %bb.308:
	v_mul_f32_e32 v2, v7, v7
	v_div_scale_f32 v3, s[8:9], v2, v2, 1.0
	v_div_scale_f32 v4, vcc, 1.0, v2, 1.0
	v_mov_b32_e32 v9, 0x3b820821
	v_rcp_f32_e32 v5, v3
	v_fma_f32 v6, -v3, v5, 1.0
	v_fmac_f32_e32 v5, v6, v5
	v_mul_f32_e32 v6, v4, v5
	v_fma_f32 v8, -v3, v6, v4
	v_fmac_f32_e32 v6, v8, v5
	v_fma_f32 v3, -v3, v6, v4
	v_div_fmas_f32 v3, v3, v5, v6
	v_mov_b32_e32 v4, 0x3daaaaab
	v_mov_b32_e32 v5, 0xbcaccacd
	;; [unrolled: 1-line block ×4, first 2 shown]
	v_div_fixup_f32 v2, v3, v2, 1.0
	v_fma_f32 v3, 0, v2, v4
	v_fmac_f32_e32 v5, v2, v3
	v_fmac_f32_e32 v6, v2, v5
	v_fmac_f32_e32 v8, v2, v6
	v_fmac_f32_e32 v9, v2, v8
	v_mov_b32_e32 v3, 0xbc088889
	v_fmac_f32_e32 v3, v2, v9
	v_fmac_f32_e32 v4, v2, v3
	v_mul_f32_e32 v2, v2, v4
.LBB17_309:
	s_or_b64 exec, exec, s[0:1]
	v_div_scale_f32 v3, s[0:1], v7, v7, -0.5
	v_div_scale_f32 v4, vcc, -0.5, v7, -0.5
	s_mov_b32 s0, 0x800000
	v_cmp_gt_f32_e64 s[0:1], s0, v7
	v_cndmask_b32_e64 v6, 0, 32, s[0:1]
	s_mov_b32 s8, 0x3f317217
	v_rcp_f32_e32 v5, v3
	v_fma_f32 v8, -v3, v5, 1.0
	v_fmac_f32_e32 v5, v8, v5
	v_mul_f32_e32 v8, v4, v5
	v_fma_f32 v9, -v3, v8, v4
	v_fmac_f32_e32 v8, v9, v5
	v_fma_f32 v3, -v3, v8, v4
	v_div_fmas_f32 v3, v3, v5, v8
	v_ldexp_f32 v4, v7, v6
	v_log_f32_e32 v4, v4
	v_mul_f32_e32 v5, 0x3f317217, v4
	v_fma_f32 v5, v4, s8, -v5
	v_fmac_f32_e32 v5, 0x3377d1cf, v4
	s_mov_b32 s8, 0x7f800000
	v_fmac_f32_e32 v5, 0x3f317217, v4
	v_cmp_lt_f32_e64 vcc, |v4|, s8
	v_cndmask_b32_e32 v4, v4, v5, vcc
	v_mov_b32_e32 v5, 0x41b17218
	v_cndmask_b32_e64 v5, 0, v5, s[0:1]
	v_sub_f32_e32 v4, v4, v5
	v_div_fixup_f32 v3, v3, v7, -0.5
	v_add_f32_e32 v3, v4, v3
	v_sub_f32_e32 v2, v3, v2
	v_add_f32_e32 v2, v1, v2
                                        ; implicit-def: $vgpr1
.LBB17_310:
	s_andn2_saveexec_b64 s[0:1], s[6:7]
; %bb.311:
	v_add_f32_e32 v2, 0x40101cb7, v1
; %bb.312:
	s_or_b64 exec, exec, s[0:1]
.LBB17_313:
	s_or_b64 exec, exec, s[4:5]
                                        ; implicit-def: $vgpr7
.LBB17_314:
	s_andn2_saveexec_b64 s[0:1], s[2:3]
; %bb.315:
	v_xor_b32_e32 v1, 0x80000000, v7
	s_brev_b32 s2, -2
	v_mov_b32_e32 v2, 0x7f800000
	v_bfi_b32 v2, s2, v2, v1
; %bb.316:
	s_or_b64 exec, exec, s[0:1]
	global_store_dword v0, v2, s[16:17]
	s_or_b64 exec, exec, s[48:49]
                                        ; implicit-def: $vgpr13
                                        ; implicit-def: $vgpr7
	s_andn2_saveexec_b64 s[0:1], s[38:39]
	s_cbranch_execz .LBB17_245
	s_branch .LBB17_8
	.section	.rodata,"a",@progbits
	.p2align	6, 0x0
	.amdhsa_kernel _ZN2at6native32elementwise_kernel_manual_unrollILi128ELi4EZNS0_22gpu_kernel_impl_nocastIZZZNS0_19digamma_kernel_cudaERNS_18TensorIteratorBaseEENKUlvE_clEvENKUlvE0_clEvEUlfE_EEvS4_RKT_EUlibE_EEviT1_
		.amdhsa_group_segment_fixed_size 0
		.amdhsa_private_segment_fixed_size 0
		.amdhsa_kernarg_size 360
		.amdhsa_user_sgpr_count 6
		.amdhsa_user_sgpr_private_segment_buffer 1
		.amdhsa_user_sgpr_dispatch_ptr 0
		.amdhsa_user_sgpr_queue_ptr 0
		.amdhsa_user_sgpr_kernarg_segment_ptr 1
		.amdhsa_user_sgpr_dispatch_id 0
		.amdhsa_user_sgpr_flat_scratch_init 0
		.amdhsa_user_sgpr_private_segment_size 0
		.amdhsa_uses_dynamic_stack 0
		.amdhsa_system_sgpr_private_segment_wavefront_offset 0
		.amdhsa_system_sgpr_workgroup_id_x 1
		.amdhsa_system_sgpr_workgroup_id_y 0
		.amdhsa_system_sgpr_workgroup_id_z 0
		.amdhsa_system_sgpr_workgroup_info 0
		.amdhsa_system_vgpr_workitem_id 0
		.amdhsa_next_free_vgpr 44
		.amdhsa_next_free_sgpr 60
		.amdhsa_reserve_vcc 1
		.amdhsa_reserve_flat_scratch 0
		.amdhsa_float_round_mode_32 0
		.amdhsa_float_round_mode_16_64 0
		.amdhsa_float_denorm_mode_32 3
		.amdhsa_float_denorm_mode_16_64 3
		.amdhsa_dx10_clamp 1
		.amdhsa_ieee_mode 1
		.amdhsa_fp16_overflow 0
		.amdhsa_exception_fp_ieee_invalid_op 0
		.amdhsa_exception_fp_denorm_src 0
		.amdhsa_exception_fp_ieee_div_zero 0
		.amdhsa_exception_fp_ieee_overflow 0
		.amdhsa_exception_fp_ieee_underflow 0
		.amdhsa_exception_fp_ieee_inexact 0
		.amdhsa_exception_int_div_zero 0
	.end_amdhsa_kernel
	.section	.text._ZN2at6native32elementwise_kernel_manual_unrollILi128ELi4EZNS0_22gpu_kernel_impl_nocastIZZZNS0_19digamma_kernel_cudaERNS_18TensorIteratorBaseEENKUlvE_clEvENKUlvE0_clEvEUlfE_EEvS4_RKT_EUlibE_EEviT1_,"axG",@progbits,_ZN2at6native32elementwise_kernel_manual_unrollILi128ELi4EZNS0_22gpu_kernel_impl_nocastIZZZNS0_19digamma_kernel_cudaERNS_18TensorIteratorBaseEENKUlvE_clEvENKUlvE0_clEvEUlfE_EEvS4_RKT_EUlibE_EEviT1_,comdat
.Lfunc_end17:
	.size	_ZN2at6native32elementwise_kernel_manual_unrollILi128ELi4EZNS0_22gpu_kernel_impl_nocastIZZZNS0_19digamma_kernel_cudaERNS_18TensorIteratorBaseEENKUlvE_clEvENKUlvE0_clEvEUlfE_EEvS4_RKT_EUlibE_EEviT1_, .Lfunc_end17-_ZN2at6native32elementwise_kernel_manual_unrollILi128ELi4EZNS0_22gpu_kernel_impl_nocastIZZZNS0_19digamma_kernel_cudaERNS_18TensorIteratorBaseEENKUlvE_clEvENKUlvE0_clEvEUlfE_EEvS4_RKT_EUlibE_EEviT1_
                                        ; -- End function
	.set _ZN2at6native32elementwise_kernel_manual_unrollILi128ELi4EZNS0_22gpu_kernel_impl_nocastIZZZNS0_19digamma_kernel_cudaERNS_18TensorIteratorBaseEENKUlvE_clEvENKUlvE0_clEvEUlfE_EEvS4_RKT_EUlibE_EEviT1_.num_vgpr, 44
	.set _ZN2at6native32elementwise_kernel_manual_unrollILi128ELi4EZNS0_22gpu_kernel_impl_nocastIZZZNS0_19digamma_kernel_cudaERNS_18TensorIteratorBaseEENKUlvE_clEvENKUlvE0_clEvEUlfE_EEvS4_RKT_EUlibE_EEviT1_.num_agpr, 0
	.set _ZN2at6native32elementwise_kernel_manual_unrollILi128ELi4EZNS0_22gpu_kernel_impl_nocastIZZZNS0_19digamma_kernel_cudaERNS_18TensorIteratorBaseEENKUlvE_clEvENKUlvE0_clEvEUlfE_EEvS4_RKT_EUlibE_EEviT1_.numbered_sgpr, 60
	.set _ZN2at6native32elementwise_kernel_manual_unrollILi128ELi4EZNS0_22gpu_kernel_impl_nocastIZZZNS0_19digamma_kernel_cudaERNS_18TensorIteratorBaseEENKUlvE_clEvENKUlvE0_clEvEUlfE_EEvS4_RKT_EUlibE_EEviT1_.num_named_barrier, 0
	.set _ZN2at6native32elementwise_kernel_manual_unrollILi128ELi4EZNS0_22gpu_kernel_impl_nocastIZZZNS0_19digamma_kernel_cudaERNS_18TensorIteratorBaseEENKUlvE_clEvENKUlvE0_clEvEUlfE_EEvS4_RKT_EUlibE_EEviT1_.private_seg_size, 0
	.set _ZN2at6native32elementwise_kernel_manual_unrollILi128ELi4EZNS0_22gpu_kernel_impl_nocastIZZZNS0_19digamma_kernel_cudaERNS_18TensorIteratorBaseEENKUlvE_clEvENKUlvE0_clEvEUlfE_EEvS4_RKT_EUlibE_EEviT1_.uses_vcc, 1
	.set _ZN2at6native32elementwise_kernel_manual_unrollILi128ELi4EZNS0_22gpu_kernel_impl_nocastIZZZNS0_19digamma_kernel_cudaERNS_18TensorIteratorBaseEENKUlvE_clEvENKUlvE0_clEvEUlfE_EEvS4_RKT_EUlibE_EEviT1_.uses_flat_scratch, 0
	.set _ZN2at6native32elementwise_kernel_manual_unrollILi128ELi4EZNS0_22gpu_kernel_impl_nocastIZZZNS0_19digamma_kernel_cudaERNS_18TensorIteratorBaseEENKUlvE_clEvENKUlvE0_clEvEUlfE_EEvS4_RKT_EUlibE_EEviT1_.has_dyn_sized_stack, 0
	.set _ZN2at6native32elementwise_kernel_manual_unrollILi128ELi4EZNS0_22gpu_kernel_impl_nocastIZZZNS0_19digamma_kernel_cudaERNS_18TensorIteratorBaseEENKUlvE_clEvENKUlvE0_clEvEUlfE_EEvS4_RKT_EUlibE_EEviT1_.has_recursion, 0
	.set _ZN2at6native32elementwise_kernel_manual_unrollILi128ELi4EZNS0_22gpu_kernel_impl_nocastIZZZNS0_19digamma_kernel_cudaERNS_18TensorIteratorBaseEENKUlvE_clEvENKUlvE0_clEvEUlfE_EEvS4_RKT_EUlibE_EEviT1_.has_indirect_call, 0
	.section	.AMDGPU.csdata,"",@progbits
; Kernel info:
; codeLenInByte = 24808
; TotalNumSgprs: 64
; NumVgprs: 44
; ScratchSize: 0
; MemoryBound: 0
; FloatMode: 240
; IeeeMode: 1
; LDSByteSize: 0 bytes/workgroup (compile time only)
; SGPRBlocks: 7
; VGPRBlocks: 10
; NumSGPRsForWavesPerEU: 64
; NumVGPRsForWavesPerEU: 44
; Occupancy: 5
; WaveLimiterHint : 1
; COMPUTE_PGM_RSRC2:SCRATCH_EN: 0
; COMPUTE_PGM_RSRC2:USER_SGPR: 6
; COMPUTE_PGM_RSRC2:TRAP_HANDLER: 0
; COMPUTE_PGM_RSRC2:TGID_X_EN: 1
; COMPUTE_PGM_RSRC2:TGID_Y_EN: 0
; COMPUTE_PGM_RSRC2:TGID_Z_EN: 0
; COMPUTE_PGM_RSRC2:TIDIG_COMP_CNT: 0
	.section	.text._ZN2at6native32elementwise_kernel_manual_unrollILi128ELi4EZNS0_15gpu_kernel_implIZZZNS0_19digamma_kernel_cudaERNS_18TensorIteratorBaseEENKUlvE_clEvENKUlvE0_clEvEUlfE_EEvS4_RKT_EUlibE_EEviT1_,"axG",@progbits,_ZN2at6native32elementwise_kernel_manual_unrollILi128ELi4EZNS0_15gpu_kernel_implIZZZNS0_19digamma_kernel_cudaERNS_18TensorIteratorBaseEENKUlvE_clEvENKUlvE0_clEvEUlfE_EEvS4_RKT_EUlibE_EEviT1_,comdat
	.globl	_ZN2at6native32elementwise_kernel_manual_unrollILi128ELi4EZNS0_15gpu_kernel_implIZZZNS0_19digamma_kernel_cudaERNS_18TensorIteratorBaseEENKUlvE_clEvENKUlvE0_clEvEUlfE_EEvS4_RKT_EUlibE_EEviT1_ ; -- Begin function _ZN2at6native32elementwise_kernel_manual_unrollILi128ELi4EZNS0_15gpu_kernel_implIZZZNS0_19digamma_kernel_cudaERNS_18TensorIteratorBaseEENKUlvE_clEvENKUlvE0_clEvEUlfE_EEvS4_RKT_EUlibE_EEviT1_
	.p2align	8
	.type	_ZN2at6native32elementwise_kernel_manual_unrollILi128ELi4EZNS0_15gpu_kernel_implIZZZNS0_19digamma_kernel_cudaERNS_18TensorIteratorBaseEENKUlvE_clEvENKUlvE0_clEvEUlfE_EEvS4_RKT_EUlibE_EEviT1_,@function
_ZN2at6native32elementwise_kernel_manual_unrollILi128ELi4EZNS0_15gpu_kernel_implIZZZNS0_19digamma_kernel_cudaERNS_18TensorIteratorBaseEENKUlvE_clEvENKUlvE0_clEvEUlfE_EEvS4_RKT_EUlibE_EEviT1_: ; @_ZN2at6native32elementwise_kernel_manual_unrollILi128ELi4EZNS0_15gpu_kernel_implIZZZNS0_19digamma_kernel_cudaERNS_18TensorIteratorBaseEENKUlvE_clEvENKUlvE0_clEvEUlfE_EEvS4_RKT_EUlibE_EEviT1_
; %bb.0:
	v_mov_b32_e32 v1, 0
	global_load_ushort v1, v1, s[4:5] offset:33
	s_load_dwordx4 s[8:11], s[4:5], 0x8
	s_load_dwordx2 s[2:3], s[4:5], 0x18
	s_load_dword s40, s[4:5], 0x0
	v_lshl_or_b32 v11, s6, 9, v0
	v_or_b32_e32 v0, 0x180, v11
	s_mov_b64 s[12:13], 0
	s_mov_b64 s[6:7], 0
	s_waitcnt lgkmcnt(0)
	v_cmp_le_i32_e32 vcc, s40, v0
	s_waitcnt vmcnt(0)
	v_readfirstlane_b32 s33, v1
	s_and_b32 s0, 0xffff, s33
	s_lshr_b32 s42, s0, 8
	s_and_saveexec_b64 s[0:1], vcc
	s_xor_b64 s[4:5], exec, s[0:1]
	s_cbranch_execz .LBB18_1123
; %bb.1:
	v_cmp_gt_i32_e32 vcc, s40, v11
	s_mov_b64 s[18:19], -1
	s_mov_b64 s[20:21], 0
	s_mov_b64 s[14:15], 0
	s_and_saveexec_b64 s[16:17], vcc
	s_cbranch_execz .LBB18_276
; %bb.2:
	v_mul_lo_u32 v0, v11, s3
	v_mov_b32_e32 v1, s11
	s_and_b32 s22, 0xffff, s42
	s_cmp_lt_i32 s22, 11
	v_ashrrev_i32_e32 v2, 31, v0
	v_add_co_u32_e32 v0, vcc, s10, v0
	v_addc_co_u32_e32 v1, vcc, v1, v2, vcc
	s_cbranch_scc1 .LBB18_9
; %bb.3:
	s_cmp_gt_i32 s22, 25
	s_cbranch_scc0 .LBB18_42
; %bb.4:
	s_cmp_gt_i32 s22, 28
	s_cbranch_scc0 .LBB18_46
	;; [unrolled: 3-line block ×4, first 2 shown]
; %bb.7:
	s_cmp_eq_u32 s22, 46
	s_cbranch_scc0 .LBB18_52
; %bb.8:
	global_load_dword v2, v[0:1], off
	s_mov_b64 s[0:1], -1
	s_waitcnt vmcnt(0)
	v_lshlrev_b32_e32 v6, 16, v2
	s_branch .LBB18_54
.LBB18_9:
                                        ; implicit-def: $vgpr6
	s_mov_b64 s[0:1], 0
	s_cbranch_execnz .LBB18_227
.LBB18_10:
	s_andn2_b64 vcc, exec, s[0:1]
	s_cbranch_vccnz .LBB18_274
.LBB18_11:
	s_waitcnt vmcnt(0)
	v_cmp_neq_f32_e32 vcc, 0, v6
                                        ; implicit-def: $vgpr0
	s_and_saveexec_b64 s[0:1], vcc
	s_xor_b64 s[6:7], exec, s[0:1]
	s_cbranch_execz .LBB18_33
; %bb.12:
	v_mov_b32_e32 v1, 0
	v_cmp_gt_f32_e32 vcc, 0, v6
	s_mov_b64 s[0:1], -1
	s_and_saveexec_b64 s[18:19], vcc
	s_cbranch_execz .LBB18_20
; %bb.13:
	v_trunc_f32_e32 v0, v6
	v_cmp_neq_f32_e32 vcc, v6, v0
	s_mov_b64 s[24:25], 0
	v_mov_b32_e32 v1, 0
	s_and_saveexec_b64 s[22:23], vcc
	s_cbranch_execz .LBB18_19
; %bb.14:
	v_cvt_f64_f32_e32 v[0:1], v6
	s_mov_b32 s26, 0
	s_mov_b32 s1, 0xc00921fb
	;; [unrolled: 1-line block ×3, first 2 shown]
	v_trunc_f64_e32 v[2:3], v[0:1]
	s_mov_b32 s27, 0x7ff00000
	v_cmp_neq_f64_e64 vcc, |v[0:1]|, s[26:27]
	v_bfrev_b32_e32 v4, 1
	s_mov_b32 s24, 0
	s_mov_b32 s25, 0x41d00000
                                        ; implicit-def: $vgpr7
	v_add_f64 v[2:3], v[0:1], -v[2:3]
	v_mul_f64 v[2:3], |v[2:3]|, s[0:1]
	v_cndmask_b32_e32 v1, v4, v3, vcc
	v_cndmask_b32_e32 v0, 0, v2, vcc
	v_cmp_nlt_f64_e64 s[24:25], |v[0:1]|, s[24:25]
                                        ; implicit-def: $vgpr2_vgpr3
                                        ; implicit-def: $vgpr4_vgpr5
	s_and_saveexec_b64 s[28:29], s[24:25]
	s_xor_b64 s[24:25], exec, s[28:29]
	s_cbranch_execz .LBB18_16
; %bb.15:
	v_trig_preop_f64 v[4:5], |v[0:1]|, 0
	s_mov_b32 s28, 0
	s_mov_b32 s29, 0x7b000000
	s_movk_i32 s1, 0xff80
	v_ldexp_f64 v[2:3], |v[0:1]|, s1
	v_cmp_ge_f64_e64 vcc, |v[0:1]|, s[28:29]
	v_trig_preop_f64 v[7:8], |v[0:1]|, 1
	v_and_b32_e32 v9, 0x7fffffff, v1
	v_trig_preop_f64 v[16:17], |v[0:1]|, 2
	v_mov_b32_e32 v27, 0x40100000
	v_mov_b32_e32 v26, 0
	s_mov_b32 s1, 0x3ff921fb
	v_cndmask_b32_e32 v3, v9, v3, vcc
	v_cndmask_b32_e32 v2, v0, v2, vcc
	v_mul_f64 v[9:10], v[4:5], v[2:3]
	v_mul_f64 v[12:13], v[7:8], v[2:3]
	;; [unrolled: 1-line block ×3, first 2 shown]
	v_fma_f64 v[4:5], v[4:5], v[2:3], -v[9:10]
	v_fma_f64 v[7:8], v[7:8], v[2:3], -v[12:13]
	;; [unrolled: 1-line block ×3, first 2 shown]
	v_add_f64 v[14:15], v[12:13], v[4:5]
	v_add_f64 v[18:19], v[14:15], -v[12:13]
	v_add_f64 v[24:25], v[9:10], v[14:15]
	v_add_f64 v[20:21], v[14:15], -v[18:19]
	v_add_f64 v[4:5], v[4:5], -v[18:19]
	v_add_f64 v[18:19], v[22:23], v[7:8]
	v_add_f64 v[9:10], v[24:25], -v[9:10]
	v_add_f64 v[12:13], v[12:13], -v[20:21]
	v_ldexp_f64 v[20:21], v[24:25], -2
	v_add_f64 v[28:29], v[18:19], -v[22:23]
	v_add_f64 v[9:10], v[14:15], -v[9:10]
	v_add_f64 v[4:5], v[4:5], v[12:13]
	v_fract_f64_e32 v[12:13], v[20:21]
	v_cmp_neq_f64_e64 vcc, |v[20:21]|, s[26:27]
	v_add_f64 v[7:8], v[7:8], -v[28:29]
	s_mov_b32 s26, 0x33145c07
	s_mov_b32 s27, 0x3c91a626
	v_add_f64 v[14:15], v[18:19], v[4:5]
	v_ldexp_f64 v[12:13], v[12:13], 2
	v_add_f64 v[20:21], v[9:10], v[14:15]
	v_cndmask_b32_e32 v13, 0, v13, vcc
	v_cndmask_b32_e32 v12, 0, v12, vcc
	v_add_f64 v[30:31], v[14:15], -v[18:19]
	v_add_f64 v[24:25], v[20:21], v[12:13]
	v_add_f64 v[9:10], v[20:21], -v[9:10]
	v_add_f64 v[32:33], v[14:15], -v[30:31]
	;; [unrolled: 1-line block ×3, first 2 shown]
	v_cmp_gt_f64_e32 vcc, 0, v[24:25]
	v_add_f64 v[24:25], v[18:19], -v[28:29]
	v_add_f64 v[9:10], v[14:15], -v[9:10]
	;; [unrolled: 1-line block ×3, first 2 shown]
	v_cndmask_b32_e32 v27, 0, v27, vcc
	v_add_f64 v[12:13], v[12:13], v[26:27]
	v_add_f64 v[24:25], v[22:23], -v[24:25]
	v_add_f64 v[4:5], v[4:5], v[18:19]
	v_add_f64 v[34:35], v[20:21], v[12:13]
	;; [unrolled: 1-line block ×3, first 2 shown]
	v_cvt_i32_f64_e32 v29, v[34:35]
	v_add_f64 v[4:5], v[7:8], v[4:5]
	v_cvt_f64_i32_e32 v[27:28], v29
	v_add_f64 v[12:13], v[12:13], -v[27:28]
	v_add_f64 v[2:3], v[2:3], v[4:5]
	v_add_f64 v[7:8], v[20:21], v[12:13]
	;; [unrolled: 1-line block ×3, first 2 shown]
	v_mov_b32_e32 v9, 0x3ff00000
	v_add_f64 v[4:5], v[7:8], -v[12:13]
	v_cmp_le_f64_e32 vcc, 0.5, v[7:8]
	v_add_f64 v[4:5], v[20:21], -v[4:5]
	v_cndmask_b32_e32 v27, 0, v9, vcc
	v_add_f64 v[2:3], v[2:3], v[4:5]
	v_add_f64 v[4:5], v[7:8], -v[26:27]
	v_add_f64 v[7:8], v[4:5], v[2:3]
	v_mul_f64 v[9:10], v[7:8], s[0:1]
	v_add_f64 v[4:5], v[7:8], -v[4:5]
	v_fma_f64 v[12:13], v[7:8], s[0:1], -v[9:10]
	v_add_f64 v[2:3], v[2:3], -v[4:5]
	v_fma_f64 v[4:5], v[7:8], s[26:27], v[12:13]
	v_fma_f64 v[4:5], v[2:3], s[0:1], v[4:5]
	v_add_f64 v[2:3], v[9:10], v[4:5]
	v_add_f64 v[7:8], v[2:3], -v[9:10]
	v_add_f64 v[4:5], v[4:5], -v[7:8]
	v_addc_co_u32_e32 v7, vcc, 0, v29, vcc
.LBB18_16:
	s_andn2_saveexec_b64 s[0:1], s[24:25]
	s_cbranch_execz .LBB18_18
; %bb.17:
	s_mov_b32 s24, 0x6dc9c883
	s_mov_b32 s25, 0x3fe45f30
	v_mul_f64 v[2:3], |v[0:1]|, s[24:25]
	s_mov_b32 s24, 0x54442d18
	s_mov_b32 s25, 0xbff921fb
	s_mov_b32 s27, 0xbc91a626
	s_mov_b32 s26, 0x33145c00
	v_rndne_f64_e32 v[7:8], v[2:3]
	v_fma_f64 v[2:3], v[7:8], s[24:25], |v[0:1]|
	v_mul_f64 v[4:5], v[7:8], s[26:27]
	s_mov_b32 s24, 0x252049c0
	s_mov_b32 s25, 0xb97b839a
	v_fma_f64 v[14:15], v[7:8], s[26:27], v[2:3]
	v_add_f64 v[9:10], v[2:3], v[4:5]
	s_mov_b32 s27, 0x3c91a626
	v_add_f64 v[12:13], v[2:3], -v[9:10]
	v_add_f64 v[9:10], v[9:10], -v[14:15]
	v_add_f64 v[2:3], v[12:13], v[4:5]
	v_fma_f64 v[4:5], v[7:8], s[26:27], v[4:5]
	v_add_f64 v[2:3], v[9:10], v[2:3]
	v_add_f64 v[2:3], v[2:3], -v[4:5]
	v_fma_f64 v[4:5], v[7:8], s[24:25], v[2:3]
	v_cvt_i32_f64_e32 v7, v[7:8]
	v_add_f64 v[2:3], v[14:15], v[4:5]
	v_add_f64 v[9:10], v[2:3], -v[14:15]
	v_add_f64 v[4:5], v[4:5], -v[9:10]
.LBB18_18:
	s_or_b64 exec, exec, s[0:1]
	v_mul_f64 v[8:9], v[2:3], v[2:3]
	v_add_f64 v[12:13], v[4:5], v[4:5]
	s_mov_b32 s0, 0xc751c08c
	s_mov_b32 s1, 0x3ef5e089
	v_and_b32_e32 v7, 1, v7
	v_cmp_eq_u32_e32 vcc, 0, v7
	s_mov_b32 s26, 0x54442d18
	s_mov_b32 s27, 0xc00921fb
	v_fma_f64 v[14:15], v[2:3], v[2:3], -v[8:9]
	s_mov_b64 s[24:25], exec
	v_sub_f32_e32 v6, 1.0, v6
	v_fma_f64 v[12:13], v[2:3], v[12:13], v[14:15]
	v_add_f64 v[8:9], v[8:9], v[12:13]
	v_mov_b32_e32 v12, 0xa9a29f71
	v_mov_b32_e32 v13, 0xbf078809
	v_fma_f64 v[12:13], v[8:9], s[0:1], v[12:13]
	s_mov_b32 s0, 0x90a8aae0
	s_mov_b32 s1, 0x3f17746f
	v_fma_f64 v[12:13], v[8:9], v[12:13], s[0:1]
	s_mov_b32 s0, 0xa6fbf144
	s_mov_b32 s1, 0xbefbb44d
	;; [unrolled: 3-line block ×12, first 2 shown]
	v_fma_f64 v[12:13], v[8:9], v[12:13], s[0:1]
	s_movk_i32 s0, 0x1f8
	v_cmp_class_f64_e64 s[0:1], v[0:1], s0
	v_mul_f64 v[8:9], v[8:9], v[12:13]
	v_mul_f64 v[12:13], v[2:3], v[8:9]
	v_add_f64 v[14:15], v[2:3], v[12:13]
	v_fma_f64 v[8:9], v[2:3], v[8:9], -v[12:13]
	v_add_f64 v[2:3], v[14:15], -v[2:3]
	v_add_f64 v[4:5], v[4:5], v[8:9]
	v_add_f64 v[2:3], v[12:13], -v[2:3]
	v_add_f64 v[2:3], v[4:5], v[2:3]
	v_add_f64 v[4:5], v[14:15], v[2:3]
	v_rcp_f64_e32 v[8:9], v[4:5]
	v_fma_f64 v[12:13], -v[4:5], v[8:9], 1.0
	v_fma_f64 v[8:9], v[12:13], v[8:9], v[8:9]
	v_fma_f64 v[12:13], -v[4:5], v[8:9], 1.0
	v_fma_f64 v[8:9], v[12:13], v[8:9], v[8:9]
	v_add_f64 v[12:13], v[4:5], -v[14:15]
	v_mul_f64 v[14:15], v[4:5], v[8:9]
	v_add_f64 v[2:3], v[2:3], -v[12:13]
	v_fma_f64 v[12:13], v[8:9], v[4:5], -v[14:15]
	v_fma_f64 v[2:3], v[8:9], v[2:3], v[12:13]
	v_add_f64 v[12:13], v[14:15], v[2:3]
	v_add_f64 v[16:17], -v[12:13], 1.0
	v_add_f64 v[14:15], v[12:13], -v[14:15]
	v_add_f64 v[18:19], -v[16:17], 1.0
	v_add_f64 v[2:3], v[14:15], -v[2:3]
	v_add_f64 v[12:13], v[18:19], -v[12:13]
	v_add_f64 v[2:3], v[2:3], v[12:13]
	v_add_f64 v[2:3], v[16:17], v[2:3]
	v_mul_f64 v[2:3], v[8:9], v[2:3]
	v_add_f64 v[2:3], v[8:9], v[2:3]
	v_and_b32_e32 v8, 0x80000000, v1
	v_mov_b32_e32 v1, 0x7ff80000
	v_xor_b32_e32 v0, 0x80000000, v3
	v_cndmask_b32_e32 v2, v2, v4, vcc
	v_cndmask_b32_e32 v3, v0, v5, vcc
	v_cndmask_b32_e64 v0, 0, v2, s[0:1]
	v_xor_b32_e32 v2, v3, v8
	v_cndmask_b32_e64 v1, v1, v2, s[0:1]
	v_div_scale_f64 v[2:3], s[0:1], v[0:1], v[0:1], s[26:27]
	v_div_scale_f64 v[9:10], vcc, s[26:27], v[0:1], s[26:27]
	v_rcp_f64_e32 v[4:5], v[2:3]
	v_fma_f64 v[7:8], -v[2:3], v[4:5], 1.0
	v_fma_f64 v[4:5], v[4:5], v[7:8], v[4:5]
	v_fma_f64 v[7:8], -v[2:3], v[4:5], 1.0
	v_fma_f64 v[4:5], v[4:5], v[7:8], v[4:5]
	v_mul_f64 v[7:8], v[9:10], v[4:5]
	v_fma_f64 v[2:3], -v[2:3], v[7:8], v[9:10]
	v_div_fmas_f64 v[2:3], v[2:3], v[4:5], v[7:8]
	v_div_fixup_f64 v[0:1], v[2:3], v[0:1], s[26:27]
	v_cvt_f32_f64_e32 v1, v[0:1]
.LBB18_19:
	s_or_b64 exec, exec, s[22:23]
	s_orn2_b64 s[0:1], s[24:25], exec
.LBB18_20:
	s_or_b64 exec, exec, s[18:19]
	v_mov_b32_e32 v0, 0x7fc00000
	s_and_saveexec_b64 s[18:19], s[0:1]
	s_cbranch_execz .LBB18_32
; %bb.21:
	s_mov_b32 s24, 0x41200000
	v_cmp_gt_f32_e32 vcc, s24, v6
	s_and_saveexec_b64 s[0:1], vcc
	s_cbranch_execz .LBB18_25
; %bb.22:
	s_mov_b64 s[22:23], 0
.LBB18_23:                              ; =>This Inner Loop Header: Depth=1
	v_div_scale_f32 v0, s[26:27], v6, v6, 1.0
	v_div_scale_f32 v2, vcc, 1.0, v6, 1.0
	v_rcp_f32_e32 v3, v0
	v_fma_f32 v4, -v0, v3, 1.0
	v_fmac_f32_e32 v3, v4, v3
	v_mul_f32_e32 v4, v2, v3
	v_fma_f32 v5, -v0, v4, v2
	v_fmac_f32_e32 v4, v5, v3
	v_fma_f32 v0, -v0, v4, v2
	v_div_fmas_f32 v0, v0, v3, v4
	v_div_fixup_f32 v0, v0, v6, 1.0
	v_add_f32_e32 v6, 1.0, v6
	v_cmp_ngt_f32_e32 vcc, s24, v6
	s_or_b64 s[22:23], vcc, s[22:23]
	v_sub_f32_e32 v1, v1, v0
	s_andn2_b64 exec, exec, s[22:23]
	s_cbranch_execnz .LBB18_23
; %bb.24:
	s_or_b64 exec, exec, s[22:23]
.LBB18_25:
	s_or_b64 exec, exec, s[0:1]
	s_mov_b32 s0, 0x41200000
	v_cmp_neq_f32_e32 vcc, s0, v6
                                        ; implicit-def: $vgpr0
	s_and_saveexec_b64 s[0:1], vcc
	s_xor_b64 s[22:23], exec, s[0:1]
	s_cbranch_execz .LBB18_29
; %bb.26:
	v_cvt_f64_f32_e32 v[2:3], v6
	s_mov_b32 s0, 0x85d8a000
	s_mov_b32 s1, 0x43763457
	v_mov_b32_e32 v0, 0
	v_cmp_gt_f64_e32 vcc, s[0:1], v[2:3]
	s_and_saveexec_b64 s[0:1], vcc
	s_cbranch_execz .LBB18_28
; %bb.27:
	v_mul_f32_e32 v0, v6, v6
	v_div_scale_f32 v2, s[24:25], v0, v0, 1.0
	v_div_scale_f32 v3, vcc, 1.0, v0, 1.0
	v_mov_b32_e32 v8, 0x3b820821
	v_rcp_f32_e32 v4, v2
	v_fma_f32 v5, -v2, v4, 1.0
	v_fmac_f32_e32 v4, v5, v4
	v_mul_f32_e32 v5, v3, v4
	v_fma_f32 v7, -v2, v5, v3
	v_fmac_f32_e32 v5, v7, v4
	v_fma_f32 v2, -v2, v5, v3
	v_div_fmas_f32 v2, v2, v4, v5
	v_mov_b32_e32 v3, 0x3daaaaab
	v_mov_b32_e32 v4, 0xbcaccacd
	;; [unrolled: 1-line block ×4, first 2 shown]
	v_div_fixup_f32 v0, v2, v0, 1.0
	v_fma_f32 v2, 0, v0, v3
	v_fmac_f32_e32 v4, v0, v2
	v_fmac_f32_e32 v5, v0, v4
	v_fmac_f32_e32 v7, v0, v5
	v_fmac_f32_e32 v8, v0, v7
	v_mov_b32_e32 v2, 0xbc088889
	v_fmac_f32_e32 v2, v0, v8
	v_fmac_f32_e32 v3, v0, v2
	v_mul_f32_e32 v0, v0, v3
.LBB18_28:
	s_or_b64 exec, exec, s[0:1]
	v_div_scale_f32 v2, s[0:1], v6, v6, -0.5
	v_div_scale_f32 v3, vcc, -0.5, v6, -0.5
	s_mov_b32 s0, 0x800000
	v_cmp_gt_f32_e64 s[0:1], s0, v6
	v_cndmask_b32_e64 v5, 0, 32, s[0:1]
	s_mov_b32 s24, 0x3f317217
	v_rcp_f32_e32 v4, v2
	v_fma_f32 v7, -v2, v4, 1.0
	v_fmac_f32_e32 v4, v7, v4
	v_mul_f32_e32 v7, v3, v4
	v_fma_f32 v8, -v2, v7, v3
	v_fmac_f32_e32 v7, v8, v4
	v_fma_f32 v2, -v2, v7, v3
	v_div_fmas_f32 v2, v2, v4, v7
	v_ldexp_f32 v3, v6, v5
	v_log_f32_e32 v3, v3
	v_mul_f32_e32 v4, 0x3f317217, v3
	v_fma_f32 v4, v3, s24, -v4
	v_fmac_f32_e32 v4, 0x3377d1cf, v3
	s_mov_b32 s24, 0x7f800000
	v_fmac_f32_e32 v4, 0x3f317217, v3
	v_cmp_lt_f32_e64 vcc, |v3|, s24
	v_cndmask_b32_e32 v3, v3, v4, vcc
	v_mov_b32_e32 v4, 0x41b17218
	v_cndmask_b32_e64 v4, 0, v4, s[0:1]
	v_sub_f32_e32 v3, v3, v4
	v_div_fixup_f32 v2, v2, v6, -0.5
	v_add_f32_e32 v2, v3, v2
	v_sub_f32_e32 v0, v2, v0
	v_add_f32_e32 v0, v1, v0
                                        ; implicit-def: $vgpr1
.LBB18_29:
	s_andn2_saveexec_b64 s[0:1], s[22:23]
; %bb.30:
	v_add_f32_e32 v0, 0x40101cb7, v1
; %bb.31:
	s_or_b64 exec, exec, s[0:1]
.LBB18_32:
	s_or_b64 exec, exec, s[18:19]
                                        ; implicit-def: $vgpr6
.LBB18_33:
	s_andn2_saveexec_b64 s[0:1], s[6:7]
; %bb.34:
	v_xor_b32_e32 v0, 0x80000000, v6
	s_brev_b32 s6, -2
	v_mov_b32_e32 v1, 0x7f800000
	v_bfi_b32 v0, s6, v1, v0
; %bb.35:
	s_or_b64 exec, exec, s[0:1]
	v_mul_lo_u32 v1, v11, s2
	v_mov_b32_e32 v3, s9
	s_and_b32 s24, s33, 0xff
	s_cmp_lt_i32 s24, 11
	v_ashrrev_i32_e32 v4, 31, v1
	v_add_co_u32_e32 v2, vcc, s8, v1
	v_addc_co_u32_e32 v3, vcc, v3, v4, vcc
	s_cbranch_scc1 .LBB18_43
; %bb.36:
	s_and_b32 s25, 0xffff, s24
	s_cmp_gt_i32 s25, 25
	s_cbranch_scc0 .LBB18_47
; %bb.37:
	s_cmp_gt_i32 s25, 28
	s_cbranch_scc0 .LBB18_49
; %bb.38:
	;; [unrolled: 3-line block ×4, first 2 shown]
	s_mov_b64 s[18:19], 0
	s_mov_b64 s[0:1], -1
	s_cmp_eq_u32 s25, 46
	s_mov_b64 s[6:7], 0
	s_cbranch_scc0 .LBB18_58
; %bb.41:
	v_bfe_u32 v1, v0, 16, 1
	s_movk_i32 s0, 0x7fff
	v_add3_u32 v1, v0, v1, s0
	v_cmp_o_f32_e32 vcc, v0, v0
	v_mov_b32_e32 v4, 0x7fc0
	v_cndmask_b32_sdwa v1, v4, v1, vcc dst_sel:DWORD dst_unused:UNUSED_PAD src0_sel:DWORD src1_sel:WORD_1
	global_store_dword v[2:3], v1, off
	s_mov_b64 s[6:7], -1
	s_mov_b64 s[0:1], 0
	s_branch .LBB18_58
.LBB18_42:
	s_mov_b64 s[0:1], 0
                                        ; implicit-def: $vgpr6
	s_cbranch_execnz .LBB18_192
	s_branch .LBB18_226
.LBB18_43:
	s_mov_b64 s[0:1], 0
	s_mov_b64 s[6:7], 0
	s_cbranch_execnz .LBB18_127
.LBB18_44:
	s_andn2_b64 vcc, exec, s[6:7]
	s_cbranch_vccnz .LBB18_165
.LBB18_45:
	v_add_u32_e32 v11, 0x80, v11
	s_mov_b64 s[18:19], -1
	s_branch .LBB18_275
.LBB18_46:
	s_mov_b64 s[6:7], -1
	s_mov_b64 s[0:1], 0
                                        ; implicit-def: $vgpr6
	s_branch .LBB18_173
.LBB18_47:
	s_mov_b64 s[18:19], -1
	s_mov_b64 s[0:1], 0
	s_mov_b64 s[6:7], 0
	s_branch .LBB18_85
.LBB18_48:
	s_mov_b64 s[6:7], -1
	s_mov_b64 s[0:1], 0
                                        ; implicit-def: $vgpr6
	s_branch .LBB18_168
.LBB18_49:
	s_mov_b64 s[18:19], -1
	s_mov_b64 s[0:1], 0
	s_mov_b64 s[6:7], 0
	s_branch .LBB18_68
.LBB18_50:
	s_mov_b64 s[6:7], -1
	s_branch .LBB18_53
.LBB18_51:
	s_mov_b64 s[18:19], -1
	s_mov_b64 s[0:1], 0
	s_mov_b64 s[6:7], 0
	s_branch .LBB18_64
.LBB18_52:
	s_mov_b64 s[14:15], -1
.LBB18_53:
	s_mov_b64 s[0:1], 0
                                        ; implicit-def: $vgpr6
.LBB18_54:
	s_and_b64 vcc, exec, s[6:7]
	s_cbranch_vccz .LBB18_167
; %bb.55:
	s_cmp_eq_u32 s22, 44
	s_cbranch_scc0 .LBB18_166
; %bb.56:
	global_load_ubyte v2, v[0:1], off
	s_movk_i32 s6, 0xff
	v_mov_b32_e32 v3, 0x7f800001
	v_mov_b32_e32 v4, 0x400000
	s_mov_b64 s[0:1], -1
	s_mov_b64 s[14:15], 0
	s_waitcnt vmcnt(0)
	v_lshlrev_b32_e32 v5, 23, v2
	v_cmp_ne_u32_e32 vcc, s6, v2
	v_cndmask_b32_e32 v3, v3, v5, vcc
	v_cmp_ne_u32_e32 vcc, 0, v2
	v_cndmask_b32_e32 v6, v4, v3, vcc
	s_branch .LBB18_167
.LBB18_57:
	s_mov_b64 s[18:19], -1
	s_mov_b64 s[0:1], 0
	s_mov_b64 s[6:7], 0
.LBB18_58:
	s_and_b64 vcc, exec, s[18:19]
	s_cbranch_vccz .LBB18_63
; %bb.59:
	s_cmp_eq_u32 s25, 44
	s_mov_b64 s[0:1], -1
	s_cbranch_scc0 .LBB18_63
; %bb.60:
	v_bfe_u32 v1, v0, 23, 8
	s_movk_i32 s0, 0xff
	v_cmp_ne_u32_e32 vcc, s0, v1
	v_mov_b32_e32 v4, 0xff
	s_and_saveexec_b64 s[6:7], vcc
; %bb.61:
	s_mov_b32 s0, 0x3fffff
	v_and_b32_e32 v5, 0x400000, v0
	v_and_or_b32 v1, v0, s0, v1
	v_cmp_ne_u32_e32 vcc, 0, v5
	v_cmp_ne_u32_e64 s[0:1], 0, v1
	s_and_b64 s[0:1], vcc, s[0:1]
	v_lshrrev_b32_e32 v4, 23, v0
	v_cndmask_b32_e64 v1, 0, 1, s[0:1]
	v_add_u32_e32 v4, v4, v1
; %bb.62:
	s_or_b64 exec, exec, s[6:7]
	s_mov_b64 s[6:7], -1
	s_mov_b64 s[0:1], 0
	global_store_byte v[2:3], v4, off
.LBB18_63:
	s_mov_b64 s[18:19], 0
.LBB18_64:
	s_and_b64 vcc, exec, s[18:19]
	s_cbranch_vccz .LBB18_67
; %bb.65:
	s_cmp_eq_u32 s25, 29
	s_mov_b64 s[0:1], -1
	s_cbranch_scc0 .LBB18_67
; %bb.66:
	v_trunc_f32_e32 v1, v0
	v_mul_f32_e32 v4, 0x2f800000, v1
	v_floor_f32_e32 v4, v4
	v_fmac_f32_e32 v1, 0xcf800000, v4
	v_cvt_u32_f32_e32 v5, v4
	v_cvt_u32_f32_e32 v4, v1
	s_mov_b64 s[6:7], -1
	s_mov_b64 s[0:1], 0
	s_mov_b64 s[18:19], 0
	global_store_dwordx2 v[2:3], v[4:5], off
	s_branch .LBB18_68
.LBB18_67:
	s_mov_b64 s[18:19], 0
.LBB18_68:
	s_and_b64 vcc, exec, s[18:19]
	s_cbranch_vccz .LBB18_84
; %bb.69:
	s_cmp_lt_i32 s25, 27
	s_mov_b64 s[6:7], -1
	s_cbranch_scc1 .LBB18_75
; %bb.70:
	v_cvt_u32_f32_e32 v1, v0
	s_cmp_gt_i32 s25, 27
	s_cbranch_scc0 .LBB18_72
; %bb.71:
	s_mov_b64 s[6:7], 0
	global_store_dword v[2:3], v1, off
.LBB18_72:
	s_andn2_b64 vcc, exec, s[6:7]
	s_cbranch_vccnz .LBB18_74
; %bb.73:
	global_store_short v[2:3], v1, off
.LBB18_74:
	s_mov_b64 s[6:7], 0
.LBB18_75:
	s_andn2_b64 vcc, exec, s[6:7]
	s_cbranch_vccnz .LBB18_83
; %bb.76:
	v_and_b32_e32 v1, 0x7fffffff, v0
	s_mov_b32 s6, 0x43800000
	v_cmp_gt_u32_e32 vcc, s6, v1
	v_mov_b32_e32 v4, 0x80
	s_and_saveexec_b64 s[6:7], vcc
	s_cbranch_execz .LBB18_82
; %bb.77:
	s_mov_b32 s18, 0x3bffffff
	v_cmp_lt_u32_e32 vcc, s18, v1
	s_mov_b64 s[18:19], 0
                                        ; implicit-def: $vgpr1
	s_and_saveexec_b64 s[22:23], vcc
	s_xor_b64 s[22:23], exec, s[22:23]
	s_cbranch_execz .LBB18_327
; %bb.78:
	v_bfe_u32 v1, v0, 20, 1
	s_mov_b32 s26, 0x487ffff
	v_add3_u32 v1, v0, v1, s26
	s_mov_b64 s[18:19], exec
	v_lshrrev_b32_e32 v1, 20, v1
	s_andn2_saveexec_b64 s[22:23], s[22:23]
	s_cbranch_execnz .LBB18_328
.LBB18_79:
	s_or_b64 exec, exec, s[22:23]
	v_mov_b32_e32 v4, 0
	s_and_saveexec_b64 s[22:23], s[18:19]
.LBB18_80:
	v_lshrrev_b32_e32 v4, 24, v0
	s_movk_i32 s18, 0x80
	v_and_or_b32 v4, v4, s18, v1
.LBB18_81:
	s_or_b64 exec, exec, s[22:23]
.LBB18_82:
	s_or_b64 exec, exec, s[6:7]
	global_store_byte v[2:3], v4, off
.LBB18_83:
	s_mov_b64 s[6:7], -1
.LBB18_84:
	s_mov_b64 s[18:19], 0
.LBB18_85:
	s_and_b64 vcc, exec, s[18:19]
	s_cbranch_vccz .LBB18_126
; %bb.86:
	s_cmp_gt_i32 s25, 22
	s_mov_b64 s[18:19], -1
	s_cbranch_scc0 .LBB18_118
; %bb.87:
	s_cmp_lt_i32 s25, 24
	s_mov_b64 s[6:7], -1
	s_cbranch_scc1 .LBB18_107
; %bb.88:
	s_cmp_gt_i32 s25, 24
	s_cbranch_scc0 .LBB18_96
; %bb.89:
	v_and_b32_e32 v1, 0x7fffffff, v0
	s_mov_b32 s6, 0x47800000
	v_cmp_gt_u32_e32 vcc, s6, v1
	v_mov_b32_e32 v4, 0x80
	s_and_saveexec_b64 s[6:7], vcc
	s_cbranch_execz .LBB18_95
; %bb.90:
	s_mov_b32 s18, 0x37ffffff
	v_cmp_lt_u32_e32 vcc, s18, v1
	s_mov_b64 s[18:19], 0
                                        ; implicit-def: $vgpr1
	s_and_saveexec_b64 s[22:23], vcc
	s_xor_b64 s[22:23], exec, s[22:23]
	s_cbranch_execz .LBB18_331
; %bb.91:
	v_bfe_u32 v1, v0, 21, 1
	s_mov_b32 s26, 0x88fffff
	v_add3_u32 v1, v0, v1, s26
	s_mov_b64 s[18:19], exec
	v_lshrrev_b32_e32 v1, 21, v1
	s_andn2_saveexec_b64 s[22:23], s[22:23]
	s_cbranch_execnz .LBB18_332
.LBB18_92:
	s_or_b64 exec, exec, s[22:23]
	v_mov_b32_e32 v4, 0
	s_and_saveexec_b64 s[22:23], s[18:19]
.LBB18_93:
	v_lshrrev_b32_e32 v4, 24, v0
	s_movk_i32 s18, 0x80
	v_and_or_b32 v4, v4, s18, v1
.LBB18_94:
	s_or_b64 exec, exec, s[22:23]
.LBB18_95:
	s_or_b64 exec, exec, s[6:7]
	s_mov_b64 s[6:7], 0
	global_store_byte v[2:3], v4, off
.LBB18_96:
	s_and_b64 vcc, exec, s[6:7]
	s_cbranch_vccz .LBB18_106
; %bb.97:
	v_and_b32_e32 v4, 0x7fffffff, v0
	s_mov_b32 s6, 0x43f00000
	v_cmp_gt_u32_e32 vcc, s6, v4
                                        ; implicit-def: $vgpr1
	s_and_saveexec_b64 s[6:7], vcc
	s_xor_b64 s[6:7], exec, s[6:7]
	s_cbranch_execz .LBB18_103
; %bb.98:
	s_mov_b32 s18, 0x3c7fffff
	v_cmp_lt_u32_e32 vcc, s18, v4
                                        ; implicit-def: $vgpr1
	s_and_saveexec_b64 s[18:19], vcc
	s_xor_b64 s[18:19], exec, s[18:19]
; %bb.99:
	v_bfe_u32 v1, v0, 20, 1
	s_mov_b32 s22, 0x407ffff
	v_add3_u32 v1, v0, v1, s22
	v_lshrrev_b32_e32 v4, 20, v1
	v_and_b32_e32 v1, 0xff00000, v1
	s_mov_b32 s22, 0x7f00000
	v_mov_b32_e32 v5, 0x7e
	v_cmp_ne_u32_e32 vcc, s22, v1
	v_cndmask_b32_e32 v1, v5, v4, vcc
; %bb.100:
	s_andn2_saveexec_b64 s[18:19], s[18:19]
; %bb.101:
	s_mov_b32 s22, 0x46800000
	v_add_f32_e64 v1, |v0|, s22
; %bb.102:
	s_or_b64 exec, exec, s[18:19]
                                        ; implicit-def: $vgpr4
.LBB18_103:
	s_andn2_saveexec_b64 s[6:7], s[6:7]
; %bb.104:
	s_mov_b32 s18, 0x7f800000
	v_mov_b32_e32 v1, 0x7e
	v_mov_b32_e32 v5, 0x7f
	v_cmp_lt_u32_e32 vcc, s18, v4
	v_cndmask_b32_e32 v1, v1, v5, vcc
; %bb.105:
	s_or_b64 exec, exec, s[6:7]
	v_lshrrev_b32_e32 v4, 24, v0
	s_movk_i32 s6, 0x80
	v_and_or_b32 v1, v4, s6, v1
	global_store_byte v[2:3], v1, off
.LBB18_106:
	s_mov_b64 s[6:7], 0
.LBB18_107:
	s_andn2_b64 vcc, exec, s[6:7]
	s_cbranch_vccnz .LBB18_117
; %bb.108:
	v_and_b32_e32 v4, 0x7fffffff, v0
	s_mov_b32 s6, 0x47800000
	v_cmp_gt_u32_e32 vcc, s6, v4
                                        ; implicit-def: $vgpr1
	s_and_saveexec_b64 s[6:7], vcc
	s_xor_b64 s[6:7], exec, s[6:7]
	s_cbranch_execz .LBB18_114
; %bb.109:
	s_mov_b32 s18, 0x387fffff
	v_cmp_lt_u32_e32 vcc, s18, v4
                                        ; implicit-def: $vgpr1
	s_and_saveexec_b64 s[18:19], vcc
	s_xor_b64 s[18:19], exec, s[18:19]
; %bb.110:
	v_bfe_u32 v1, v0, 21, 1
	s_mov_b32 s22, 0x80fffff
	v_add3_u32 v1, v0, v1, s22
	v_lshrrev_b32_e32 v1, 21, v1
; %bb.111:
	s_andn2_saveexec_b64 s[18:19], s[18:19]
; %bb.112:
	s_mov_b32 s22, 0x43000000
	v_add_f32_e64 v1, |v0|, s22
; %bb.113:
	s_or_b64 exec, exec, s[18:19]
                                        ; implicit-def: $vgpr4
.LBB18_114:
	s_andn2_saveexec_b64 s[6:7], s[6:7]
; %bb.115:
	s_mov_b32 s18, 0x7f800000
	v_mov_b32_e32 v1, 0x7c
	v_mov_b32_e32 v5, 0x7f
	v_cmp_lt_u32_e32 vcc, s18, v4
	v_cndmask_b32_e32 v1, v1, v5, vcc
; %bb.116:
	s_or_b64 exec, exec, s[6:7]
	v_lshrrev_b32_e32 v4, 24, v0
	s_movk_i32 s6, 0x80
	v_and_or_b32 v1, v4, s6, v1
	global_store_byte v[2:3], v1, off
.LBB18_117:
	s_mov_b64 s[18:19], 0
	s_mov_b64 s[6:7], -1
.LBB18_118:
	s_andn2_b64 vcc, exec, s[18:19]
	s_cbranch_vccnz .LBB18_126
; %bb.119:
	s_cmp_gt_i32 s25, 14
	s_mov_b64 s[18:19], -1
	s_cbranch_scc0 .LBB18_123
; %bb.120:
	s_cmp_eq_u32 s25, 15
	s_mov_b64 s[0:1], -1
	s_cbranch_scc0 .LBB18_122
; %bb.121:
	v_bfe_u32 v1, v0, 16, 1
	s_movk_i32 s0, 0x7fff
	v_add3_u32 v1, v0, v1, s0
	v_cmp_o_f32_e32 vcc, v0, v0
	v_mov_b32_e32 v4, 0x7fc0
	v_cndmask_b32_sdwa v1, v4, v1, vcc dst_sel:DWORD dst_unused:UNUSED_PAD src0_sel:DWORD src1_sel:WORD_1
	global_store_short v[2:3], v1, off
	s_mov_b64 s[6:7], -1
	s_mov_b64 s[0:1], 0
.LBB18_122:
	s_mov_b64 s[18:19], 0
.LBB18_123:
	s_and_b64 vcc, exec, s[18:19]
	s_cbranch_vccz .LBB18_126
; %bb.124:
	s_cmp_eq_u32 s25, 11
	s_mov_b64 s[0:1], -1
	s_cbranch_scc0 .LBB18_126
; %bb.125:
	v_cmp_neq_f32_e32 vcc, 0, v0
	v_cndmask_b32_e64 v1, 0, 1, vcc
	s_mov_b64 s[6:7], -1
	s_mov_b64 s[0:1], 0
	global_store_byte v[2:3], v1, off
.LBB18_126:
	s_branch .LBB18_44
.LBB18_127:
	s_and_b32 s18, 0xffff, s24
	s_cmp_lt_i32 s18, 5
	s_mov_b64 s[6:7], -1
	s_cbranch_scc1 .LBB18_148
; %bb.128:
	s_cmp_lt_i32 s18, 8
	s_cbranch_scc1 .LBB18_138
; %bb.129:
	s_cmp_lt_i32 s18, 9
	s_cbranch_scc1 .LBB18_135
; %bb.130:
	s_cmp_gt_i32 s18, 9
	s_cbranch_scc0 .LBB18_132
; %bb.131:
	v_cvt_f64_f32_e32 v[4:5], v0
	v_mov_b32_e32 v6, 0
	v_mov_b32_e32 v7, v6
	s_mov_b64 s[6:7], 0
	global_store_dwordx4 v[2:3], v[4:7], off
.LBB18_132:
	s_andn2_b64 vcc, exec, s[6:7]
	s_cbranch_vccnz .LBB18_134
; %bb.133:
	v_mov_b32_e32 v1, 0
	global_store_dwordx2 v[2:3], v[0:1], off
.LBB18_134:
	s_mov_b64 s[6:7], 0
.LBB18_135:
	s_andn2_b64 vcc, exec, s[6:7]
	s_cbranch_vccnz .LBB18_137
; %bb.136:
	v_cvt_f16_f32_e32 v1, v0
	global_store_dword v[2:3], v1, off
.LBB18_137:
	s_mov_b64 s[6:7], 0
.LBB18_138:
	s_andn2_b64 vcc, exec, s[6:7]
	s_cbranch_vccnz .LBB18_147
; %bb.139:
	s_cmp_lt_i32 s18, 6
	s_mov_b64 s[6:7], -1
	s_cbranch_scc1 .LBB18_145
; %bb.140:
	s_cmp_gt_i32 s18, 6
	s_cbranch_scc0 .LBB18_142
; %bb.141:
	v_cvt_f64_f32_e32 v[4:5], v0
	s_mov_b64 s[6:7], 0
	global_store_dwordx2 v[2:3], v[4:5], off
.LBB18_142:
	s_andn2_b64 vcc, exec, s[6:7]
	s_cbranch_vccnz .LBB18_144
; %bb.143:
	global_store_dword v[2:3], v0, off
.LBB18_144:
	s_mov_b64 s[6:7], 0
.LBB18_145:
	s_andn2_b64 vcc, exec, s[6:7]
	s_cbranch_vccnz .LBB18_147
; %bb.146:
	v_cvt_f16_f32_e32 v1, v0
	global_store_short v[2:3], v1, off
.LBB18_147:
	s_mov_b64 s[6:7], 0
.LBB18_148:
	s_andn2_b64 vcc, exec, s[6:7]
	s_cbranch_vccnz .LBB18_164
; %bb.149:
	s_cmp_lt_i32 s18, 2
	s_mov_b64 s[6:7], -1
	s_cbranch_scc1 .LBB18_159
; %bb.150:
	s_cmp_lt_i32 s18, 3
	s_cbranch_scc1 .LBB18_156
; %bb.151:
	s_cmp_gt_i32 s18, 3
	s_cbranch_scc0 .LBB18_153
; %bb.152:
	v_trunc_f32_e32 v1, v0
	s_mov_b32 s6, 0x2f800000
	v_mul_f32_e64 v4, |v1|, s6
	v_floor_f32_e32 v4, v4
	s_mov_b32 s6, 0xcf800000
	v_cvt_u32_f32_e32 v5, v4
	v_fma_f32 v4, v4, s6, |v1|
	v_cvt_u32_f32_e32 v4, v4
	v_ashrrev_i32_e32 v1, 31, v1
	v_xor_b32_e32 v5, v5, v1
	s_mov_b64 s[6:7], 0
	v_xor_b32_e32 v4, v4, v1
	v_sub_co_u32_e32 v4, vcc, v4, v1
	v_subb_co_u32_e32 v5, vcc, v5, v1, vcc
	global_store_dwordx2 v[2:3], v[4:5], off
.LBB18_153:
	s_andn2_b64 vcc, exec, s[6:7]
	s_cbranch_vccnz .LBB18_155
; %bb.154:
	v_cvt_i32_f32_e32 v1, v0
	global_store_dword v[2:3], v1, off
.LBB18_155:
	s_mov_b64 s[6:7], 0
.LBB18_156:
	s_andn2_b64 vcc, exec, s[6:7]
	s_cbranch_vccnz .LBB18_158
; %bb.157:
	v_cvt_i32_f32_e32 v1, v0
	global_store_short v[2:3], v1, off
.LBB18_158:
	s_mov_b64 s[6:7], 0
.LBB18_159:
	s_andn2_b64 vcc, exec, s[6:7]
	s_cbranch_vccnz .LBB18_164
; %bb.160:
	s_cmp_gt_i32 s18, 0
	s_mov_b64 s[6:7], -1
	s_cbranch_scc0 .LBB18_162
; %bb.161:
	v_cvt_i32_f32_e32 v1, v0
	s_mov_b64 s[6:7], 0
	global_store_byte v[2:3], v1, off
.LBB18_162:
	s_andn2_b64 vcc, exec, s[6:7]
	s_cbranch_vccnz .LBB18_164
; %bb.163:
	v_trunc_f32_e32 v0, v0
	s_mov_b32 s6, 0x2f800000
	v_mul_f32_e64 v1, |v0|, s6
	v_floor_f32_e32 v1, v1
	s_mov_b32 s6, 0xcf800000
	v_fma_f32 v1, v1, s6, |v0|
	v_cvt_u32_f32_e32 v1, v1
	v_ashrrev_i32_e32 v0, 31, v0
	v_xor_b32_e32 v1, v1, v0
	v_sub_u32_e32 v0, v1, v0
	global_store_byte v[2:3], v0, off
.LBB18_164:
	s_branch .LBB18_45
.LBB18_165:
	s_mov_b64 s[18:19], 0
                                        ; implicit-def: $vgpr11
	s_branch .LBB18_275
.LBB18_166:
	s_mov_b64 s[14:15], -1
                                        ; implicit-def: $vgpr6
.LBB18_167:
	s_mov_b64 s[6:7], 0
.LBB18_168:
	s_and_b64 vcc, exec, s[6:7]
	s_cbranch_vccz .LBB18_172
; %bb.169:
	s_cmp_eq_u32 s22, 29
	s_cbranch_scc0 .LBB18_171
; %bb.170:
	global_load_dwordx2 v[2:3], v[0:1], off
	s_mov_b64 s[0:1], -1
	s_mov_b64 s[14:15], 0
	s_mov_b64 s[6:7], 0
	s_waitcnt vmcnt(0)
	v_ffbh_u32_e32 v4, v3
	v_min_u32_e32 v4, 32, v4
	v_lshlrev_b64 v[2:3], v4, v[2:3]
	v_min_u32_e32 v2, 1, v2
	v_or_b32_e32 v2, v3, v2
	v_cvt_f32_u32_e32 v2, v2
	v_sub_u32_e32 v3, 32, v4
	v_ldexp_f32 v6, v2, v3
	s_branch .LBB18_173
.LBB18_171:
	s_mov_b64 s[14:15], -1
                                        ; implicit-def: $vgpr6
.LBB18_172:
	s_mov_b64 s[6:7], 0
.LBB18_173:
	s_and_b64 vcc, exec, s[6:7]
	s_cbranch_vccz .LBB18_191
; %bb.174:
	s_cmp_lt_i32 s22, 27
	s_cbranch_scc1 .LBB18_177
; %bb.175:
	s_cmp_gt_i32 s22, 27
	s_cbranch_scc0 .LBB18_178
; %bb.176:
	global_load_dword v2, v[0:1], off
	s_mov_b64 s[0:1], 0
	s_waitcnt vmcnt(0)
	v_cvt_f32_u32_e32 v6, v2
	s_branch .LBB18_179
.LBB18_177:
	s_mov_b64 s[0:1], -1
                                        ; implicit-def: $vgpr6
	s_branch .LBB18_182
.LBB18_178:
	s_mov_b64 s[0:1], -1
                                        ; implicit-def: $vgpr6
.LBB18_179:
	s_andn2_b64 vcc, exec, s[0:1]
	s_cbranch_vccnz .LBB18_181
; %bb.180:
	global_load_ushort v2, v[0:1], off
	s_waitcnt vmcnt(0)
	v_cvt_f32_u32_e32 v6, v2
.LBB18_181:
	s_mov_b64 s[0:1], 0
.LBB18_182:
	s_andn2_b64 vcc, exec, s[0:1]
	s_cbranch_vccnz .LBB18_190
; %bb.183:
	global_load_ubyte v2, v[0:1], off
	s_movk_i32 s0, 0x7f
	s_waitcnt vmcnt(0)
	v_cmp_lt_i16_e32 vcc, s0, v2
	s_mov_b64 s[0:1], 0
	s_and_saveexec_b64 s[6:7], vcc
	s_xor_b64 s[6:7], exec, s[6:7]
	s_cbranch_execz .LBB18_203
; %bb.184:
	s_movk_i32 s0, 0x80
	v_cmp_eq_u16_e32 vcc, s0, v2
	s_mov_b64 s[0:1], -1
	s_and_saveexec_b64 s[18:19], vcc
; %bb.185:
	s_xor_b64 s[0:1], exec, -1
; %bb.186:
	s_or_b64 exec, exec, s[18:19]
	s_and_b64 s[0:1], s[0:1], exec
	s_or_saveexec_b64 s[6:7], s[6:7]
	v_mov_b32_e32 v6, 0x7f800001
	s_xor_b64 exec, exec, s[6:7]
	s_cbranch_execnz .LBB18_204
.LBB18_187:
	s_or_b64 exec, exec, s[6:7]
	s_and_saveexec_b64 s[6:7], s[0:1]
	s_cbranch_execz .LBB18_189
.LBB18_188:
	v_lshlrev_b32_e32 v3, 24, v2
	v_and_b32_e32 v2, 0xffff, v2
	v_and_b32_e32 v4, 7, v2
	v_ffbh_u32_e32 v6, v4
	v_min_u32_e32 v6, 32, v6
	v_subrev_u32_e32 v7, 28, v6
	v_bfe_u32 v5, v2, 3, 4
	v_lshlrev_b32_e32 v2, v7, v2
	v_sub_u32_e32 v6, 29, v6
	v_and_b32_e32 v2, 7, v2
	v_cmp_eq_u32_e32 vcc, 0, v5
	v_cndmask_b32_e32 v5, v5, v6, vcc
	v_cndmask_b32_e32 v2, v4, v2, vcc
	v_mov_b32_e32 v4, 0x3b800000
	v_lshlrev_b32_e32 v2, 20, v2
	v_and_b32_e32 v3, 0x80000000, v3
	v_lshl_add_u32 v4, v5, 23, v4
	v_or3_b32 v6, v3, v4, v2
.LBB18_189:
	s_or_b64 exec, exec, s[6:7]
.LBB18_190:
	s_mov_b64 s[0:1], -1
.LBB18_191:
	s_branch .LBB18_226
.LBB18_192:
	s_cmp_gt_i32 s22, 22
	s_cbranch_scc0 .LBB18_202
; %bb.193:
	s_cmp_lt_i32 s22, 24
	s_cbranch_scc1 .LBB18_205
; %bb.194:
	s_cmp_gt_i32 s22, 24
	s_cbranch_scc0 .LBB18_206
; %bb.195:
	global_load_ubyte v2, v[0:1], off
	s_movk_i32 s0, 0x7f
	s_waitcnt vmcnt(0)
	v_cmp_lt_i16_e32 vcc, s0, v2
	s_mov_b64 s[0:1], 0
	s_and_saveexec_b64 s[6:7], vcc
	s_xor_b64 s[6:7], exec, s[6:7]
	s_cbranch_execz .LBB18_218
; %bb.196:
	s_movk_i32 s0, 0x80
	v_cmp_eq_u16_e32 vcc, s0, v2
	s_mov_b64 s[0:1], -1
	s_and_saveexec_b64 s[18:19], vcc
; %bb.197:
	s_xor_b64 s[0:1], exec, -1
; %bb.198:
	s_or_b64 exec, exec, s[18:19]
	s_and_b64 s[0:1], s[0:1], exec
	s_or_saveexec_b64 s[6:7], s[6:7]
	v_mov_b32_e32 v6, 0x7f800001
	s_xor_b64 exec, exec, s[6:7]
	s_cbranch_execnz .LBB18_219
.LBB18_199:
	s_or_b64 exec, exec, s[6:7]
	s_and_saveexec_b64 s[6:7], s[0:1]
	s_cbranch_execz .LBB18_201
.LBB18_200:
	v_lshlrev_b32_e32 v3, 24, v2
	v_and_b32_e32 v2, 0xffff, v2
	v_and_b32_e32 v4, 3, v2
	v_ffbh_u32_e32 v6, v4
	v_min_u32_e32 v6, 32, v6
	v_subrev_u32_e32 v7, 29, v6
	v_bfe_u32 v5, v2, 2, 5
	v_lshlrev_b32_e32 v2, v7, v2
	v_sub_u32_e32 v6, 30, v6
	v_and_b32_e32 v2, 3, v2
	v_cmp_eq_u32_e32 vcc, 0, v5
	v_cndmask_b32_e32 v5, v5, v6, vcc
	v_cndmask_b32_e32 v2, v4, v2, vcc
	v_mov_b32_e32 v4, 0x37800000
	v_lshlrev_b32_e32 v2, 21, v2
	v_and_b32_e32 v3, 0x80000000, v3
	v_lshl_add_u32 v4, v5, 23, v4
	v_or3_b32 v6, v3, v4, v2
.LBB18_201:
	s_or_b64 exec, exec, s[6:7]
	s_mov_b64 s[0:1], 0
	s_branch .LBB18_207
.LBB18_202:
	s_mov_b64 s[6:7], -1
                                        ; implicit-def: $vgpr6
	s_branch .LBB18_213
.LBB18_203:
	s_or_saveexec_b64 s[6:7], s[6:7]
	v_mov_b32_e32 v6, 0x7f800001
	s_xor_b64 exec, exec, s[6:7]
	s_cbranch_execz .LBB18_187
.LBB18_204:
	v_cmp_ne_u16_e32 vcc, 0, v2
	s_andn2_b64 s[0:1], s[0:1], exec
	s_and_b64 s[18:19], vcc, exec
	v_mov_b32_e32 v6, 0
	s_or_b64 s[0:1], s[0:1], s[18:19]
	s_or_b64 exec, exec, s[6:7]
	s_and_saveexec_b64 s[6:7], s[0:1]
	s_cbranch_execnz .LBB18_188
	s_branch .LBB18_189
.LBB18_205:
	s_mov_b64 s[0:1], -1
                                        ; implicit-def: $vgpr6
	s_branch .LBB18_210
.LBB18_206:
	s_mov_b64 s[0:1], -1
                                        ; implicit-def: $vgpr6
.LBB18_207:
	s_and_b64 vcc, exec, s[0:1]
	s_cbranch_vccz .LBB18_209
; %bb.208:
	global_load_ubyte v2, v[0:1], off
	s_mov_b32 s0, 0x7f800000
	s_waitcnt vmcnt(0)
	v_lshlrev_b32_e32 v2, 24, v2
	v_and_b32_e32 v3, 0x7f000000, v2
	v_ffbh_u32_e32 v4, v3
	v_min_u32_e32 v4, 32, v4
	v_sub_u32_e64 v4, v4, 4 clamp
	v_lshlrev_b32_e32 v6, v4, v3
	v_lshlrev_b32_e32 v4, 23, v4
	v_lshrrev_b32_e32 v6, 4, v6
	v_add_u32_e32 v5, 0x1000000, v3
	v_sub_u32_e32 v4, v6, v4
	v_ashrrev_i32_e32 v5, 8, v5
	v_add_u32_e32 v4, 0x3c000000, v4
	v_and_or_b32 v4, v5, s0, v4
	v_cmp_ne_u32_e32 vcc, 0, v3
	v_cndmask_b32_e32 v3, 0, v4, vcc
	s_brev_b32 s0, 1
	v_and_or_b32 v6, v2, s0, v3
.LBB18_209:
	s_mov_b64 s[0:1], 0
.LBB18_210:
	s_andn2_b64 vcc, exec, s[0:1]
	s_cbranch_vccnz .LBB18_212
; %bb.211:
	global_load_ubyte v2, v[0:1], off
	s_movk_i32 s0, 0x7f00
	s_brev_b32 s1, 16
	s_waitcnt vmcnt(0)
	v_lshlrev_b16_e32 v3, 8, v2
	v_lshlrev_b32_e32 v2, 25, v2
	v_lshrrev_b32_e32 v4, 4, v2
	v_and_or_b32 v5, v3, s0, 0.5
	v_or_b32_e32 v4, 0x70000000, v4
	v_add_f32_e32 v5, -0.5, v5
	v_mul_f32_e32 v4, 0x7800000, v4
	v_cmp_gt_u32_e32 vcc, s1, v2
	v_bfe_i32 v3, v3, 0, 16
	v_cndmask_b32_e32 v2, v4, v5, vcc
	s_brev_b32 s0, 1
	v_and_or_b32 v6, v3, s0, v2
.LBB18_212:
	s_mov_b64 s[6:7], 0
	s_mov_b64 s[0:1], -1
.LBB18_213:
	s_andn2_b64 vcc, exec, s[6:7]
	s_cbranch_vccnz .LBB18_226
; %bb.214:
	s_cmp_gt_i32 s22, 14
	s_cbranch_scc0 .LBB18_217
; %bb.215:
	s_cmp_eq_u32 s22, 15
	s_cbranch_scc0 .LBB18_220
; %bb.216:
	global_load_ushort v2, v[0:1], off
	s_mov_b64 s[0:1], -1
	s_mov_b64 s[14:15], 0
	s_waitcnt vmcnt(0)
	v_lshlrev_b32_e32 v6, 16, v2
	s_branch .LBB18_221
.LBB18_217:
	s_mov_b64 s[6:7], -1
                                        ; implicit-def: $vgpr6
	s_branch .LBB18_222
.LBB18_218:
	s_or_saveexec_b64 s[6:7], s[6:7]
	v_mov_b32_e32 v6, 0x7f800001
	s_xor_b64 exec, exec, s[6:7]
	s_cbranch_execz .LBB18_199
.LBB18_219:
	v_cmp_ne_u16_e32 vcc, 0, v2
	s_andn2_b64 s[0:1], s[0:1], exec
	s_and_b64 s[18:19], vcc, exec
	v_mov_b32_e32 v6, 0
	s_or_b64 s[0:1], s[0:1], s[18:19]
	s_or_b64 exec, exec, s[6:7]
	s_and_saveexec_b64 s[6:7], s[0:1]
	s_cbranch_execnz .LBB18_200
	s_branch .LBB18_201
.LBB18_220:
	s_mov_b64 s[14:15], -1
                                        ; implicit-def: $vgpr6
.LBB18_221:
	s_mov_b64 s[6:7], 0
.LBB18_222:
	s_and_b64 vcc, exec, s[6:7]
	s_cbranch_vccz .LBB18_226
; %bb.223:
	s_cmp_eq_u32 s22, 11
	s_cbranch_scc0 .LBB18_225
; %bb.224:
	global_load_ubyte v2, v[0:1], off
	s_mov_b64 s[0:1], -1
	s_mov_b64 s[14:15], 0
	s_waitcnt vmcnt(0)
	v_cmp_ne_u16_e32 vcc, 0, v2
	v_cndmask_b32_e64 v6, 0, 1.0, vcc
	s_branch .LBB18_226
.LBB18_225:
	s_mov_b64 s[14:15], -1
                                        ; implicit-def: $vgpr6
.LBB18_226:
	s_branch .LBB18_10
.LBB18_227:
	s_cmp_lt_i32 s22, 5
	s_cbranch_scc1 .LBB18_232
; %bb.228:
	s_cmp_lt_i32 s22, 8
	s_cbranch_scc1 .LBB18_233
; %bb.229:
	;; [unrolled: 3-line block ×3, first 2 shown]
	s_cmp_gt_i32 s22, 9
	s_cbranch_scc0 .LBB18_235
; %bb.231:
	global_load_dwordx2 v[2:3], v[0:1], off
	s_mov_b64 s[0:1], 0
	s_waitcnt vmcnt(0)
	v_cvt_f32_f64_e32 v6, v[2:3]
	s_branch .LBB18_236
.LBB18_232:
                                        ; implicit-def: $vgpr6
	s_branch .LBB18_254
.LBB18_233:
	s_mov_b64 s[0:1], -1
                                        ; implicit-def: $vgpr6
	s_branch .LBB18_242
.LBB18_234:
	s_mov_b64 s[0:1], -1
                                        ; implicit-def: $vgpr6
	s_branch .LBB18_239
.LBB18_235:
	s_mov_b64 s[0:1], -1
                                        ; implicit-def: $vgpr6
.LBB18_236:
	s_andn2_b64 vcc, exec, s[0:1]
	s_cbranch_vccnz .LBB18_238
; %bb.237:
	global_load_dword v6, v[0:1], off
.LBB18_238:
	s_mov_b64 s[0:1], 0
.LBB18_239:
	s_andn2_b64 vcc, exec, s[0:1]
	s_cbranch_vccnz .LBB18_241
; %bb.240:
	global_load_dword v2, v[0:1], off
	s_waitcnt vmcnt(0)
	v_cvt_f32_f16_e32 v6, v2
.LBB18_241:
	s_mov_b64 s[0:1], 0
.LBB18_242:
	s_andn2_b64 vcc, exec, s[0:1]
	s_cbranch_vccnz .LBB18_253
; %bb.243:
	s_cmp_lt_i32 s22, 6
	s_cbranch_scc1 .LBB18_246
; %bb.244:
	s_cmp_gt_i32 s22, 6
	s_cbranch_scc0 .LBB18_247
; %bb.245:
	global_load_dwordx2 v[2:3], v[0:1], off
	s_mov_b64 s[0:1], 0
	s_waitcnt vmcnt(0)
	v_cvt_f32_f64_e32 v6, v[2:3]
	s_branch .LBB18_248
.LBB18_246:
	s_mov_b64 s[0:1], -1
                                        ; implicit-def: $vgpr6
	s_branch .LBB18_251
.LBB18_247:
	s_mov_b64 s[0:1], -1
                                        ; implicit-def: $vgpr6
.LBB18_248:
	s_andn2_b64 vcc, exec, s[0:1]
	s_cbranch_vccnz .LBB18_250
; %bb.249:
	global_load_dword v6, v[0:1], off
.LBB18_250:
	s_mov_b64 s[0:1], 0
.LBB18_251:
	s_andn2_b64 vcc, exec, s[0:1]
	s_cbranch_vccnz .LBB18_253
; %bb.252:
	global_load_ushort v2, v[0:1], off
	s_waitcnt vmcnt(0)
	v_cvt_f32_f16_e32 v6, v2
.LBB18_253:
	s_cbranch_execnz .LBB18_273
.LBB18_254:
	s_cmp_lt_i32 s22, 2
	s_cbranch_scc1 .LBB18_258
; %bb.255:
	s_cmp_lt_i32 s22, 3
	s_cbranch_scc1 .LBB18_259
; %bb.256:
	s_cmp_gt_i32 s22, 3
	s_cbranch_scc0 .LBB18_260
; %bb.257:
	global_load_dwordx2 v[2:3], v[0:1], off
	s_mov_b64 s[0:1], 0
	s_waitcnt vmcnt(0)
	v_xor_b32_e32 v5, v2, v3
	v_ffbh_i32_e32 v4, v3
	v_ashrrev_i32_e32 v5, 31, v5
	v_add_u32_e32 v4, -1, v4
	v_add_u32_e32 v5, 32, v5
	v_min_u32_e32 v4, v4, v5
	v_lshlrev_b64 v[2:3], v4, v[2:3]
	v_min_u32_e32 v2, 1, v2
	v_or_b32_e32 v2, v3, v2
	v_cvt_f32_i32_e32 v2, v2
	v_sub_u32_e32 v3, 32, v4
	v_ldexp_f32 v6, v2, v3
	s_branch .LBB18_261
.LBB18_258:
	s_mov_b64 s[0:1], -1
                                        ; implicit-def: $vgpr6
	s_branch .LBB18_267
.LBB18_259:
	s_mov_b64 s[0:1], -1
                                        ; implicit-def: $vgpr6
	s_branch .LBB18_264
.LBB18_260:
	s_mov_b64 s[0:1], -1
                                        ; implicit-def: $vgpr6
.LBB18_261:
	s_andn2_b64 vcc, exec, s[0:1]
	s_cbranch_vccnz .LBB18_263
; %bb.262:
	global_load_dword v2, v[0:1], off
	s_waitcnt vmcnt(0)
	v_cvt_f32_i32_e32 v6, v2
.LBB18_263:
	s_mov_b64 s[0:1], 0
.LBB18_264:
	s_andn2_b64 vcc, exec, s[0:1]
	s_cbranch_vccnz .LBB18_266
; %bb.265:
	global_load_sshort v2, v[0:1], off
	s_waitcnt vmcnt(0)
	v_cvt_f32_i32_e32 v6, v2
.LBB18_266:
	s_mov_b64 s[0:1], 0
.LBB18_267:
	s_andn2_b64 vcc, exec, s[0:1]
	s_cbranch_vccnz .LBB18_273
; %bb.268:
	s_cmp_gt_i32 s22, 0
	s_cbranch_scc0 .LBB18_270
; %bb.269:
	global_load_sbyte v2, v[0:1], off
	s_mov_b64 s[0:1], 0
	s_waitcnt vmcnt(0)
	v_cvt_f32_i32_e32 v6, v2
	s_branch .LBB18_271
.LBB18_270:
	s_mov_b64 s[0:1], -1
                                        ; implicit-def: $vgpr6
.LBB18_271:
	s_andn2_b64 vcc, exec, s[0:1]
	s_cbranch_vccnz .LBB18_273
; %bb.272:
	global_load_ubyte v0, v[0:1], off
	s_waitcnt vmcnt(0)
	v_cvt_f32_ubyte0_e32 v6, v0
.LBB18_273:
	s_branch .LBB18_11
.LBB18_274:
	s_mov_b64 s[0:1], 0
                                        ; implicit-def: $vgpr11
	s_mov_b64 s[18:19], 0
.LBB18_275:
	s_and_b64 s[6:7], s[0:1], exec
	s_and_b64 s[14:15], s[14:15], exec
	s_orn2_b64 s[18:19], s[18:19], exec
.LBB18_276:
	s_or_b64 exec, exec, s[16:17]
	s_mov_b64 s[22:23], 0
	s_mov_b64 s[0:1], 0
                                        ; implicit-def: $vgpr0_vgpr1
                                        ; implicit-def: $vgpr6
	s_and_saveexec_b64 s[16:17], s[18:19]
	s_cbranch_execz .LBB18_285
; %bb.277:
	v_cmp_gt_i32_e32 vcc, s40, v11
	s_mov_b64 s[0:1], -1
	s_mov_b64 s[18:19], s[14:15]
	s_mov_b64 s[20:21], s[6:7]
	s_and_saveexec_b64 s[22:23], vcc
	s_cbranch_execz .LBB18_561
; %bb.278:
	v_mul_lo_u32 v0, v11, s3
	v_mov_b32_e32 v1, s11
	s_and_b32 s26, 0xffff, s42
	s_cmp_lt_i32 s26, 11
	v_ashrrev_i32_e32 v2, 31, v0
	v_add_co_u32_e32 v0, vcc, s10, v0
	v_addc_co_u32_e32 v1, vcc, v1, v2, vcc
	s_cbranch_scc1 .LBB18_288
; %bb.279:
	s_cmp_gt_i32 s26, 25
	s_cbranch_scc0 .LBB18_321
; %bb.280:
	s_cmp_gt_i32 s26, 28
	s_cbranch_scc0 .LBB18_323
	;; [unrolled: 3-line block ×4, first 2 shown]
; %bb.283:
	s_cmp_eq_u32 s26, 46
	s_mov_b64 s[20:21], 0
	s_cbranch_scc0 .LBB18_333
; %bb.284:
	global_load_dword v2, v[0:1], off
	s_mov_b64 s[18:19], 0
	s_waitcnt vmcnt(0)
	v_lshlrev_b32_e32 v6, 16, v2
	s_branch .LBB18_334
.LBB18_285:
	s_or_b64 exec, exec, s[16:17]
	s_mov_b64 s[16:17], 0
	s_and_saveexec_b64 s[18:19], s[14:15]
	s_cbranch_execnz .LBB18_931
.LBB18_286:
	s_or_b64 exec, exec, s[18:19]
	s_and_saveexec_b64 s[14:15], s[20:21]
	s_xor_b64 s[14:15], exec, s[14:15]
	s_cbranch_execz .LBB18_932
.LBB18_287:
	global_load_ubyte v2, v[0:1], off
	s_or_b64 s[0:1], s[0:1], exec
	s_waitcnt vmcnt(0)
	v_cmp_ne_u16_e32 vcc, 0, v2
	v_cndmask_b32_e64 v6, 0, 1.0, vcc
	s_or_b64 exec, exec, s[14:15]
	s_and_saveexec_b64 s[14:15], s[22:23]
	s_cbranch_execz .LBB18_978
	s_branch .LBB18_933
.LBB18_288:
	s_mov_b64 s[0:1], 0
                                        ; implicit-def: $vgpr6
	s_mov_b64 s[18:19], s[14:15]
	s_cbranch_execnz .LBB18_511
.LBB18_289:
	s_andn2_b64 vcc, exec, s[0:1]
	s_cbranch_vccnz .LBB18_559
.LBB18_290:
	s_waitcnt vmcnt(0)
	v_cmp_neq_f32_e32 vcc, 0, v6
                                        ; implicit-def: $vgpr0
	s_and_saveexec_b64 s[0:1], vcc
	s_xor_b64 s[20:21], exec, s[0:1]
	s_cbranch_execz .LBB18_312
; %bb.291:
	v_mov_b32_e32 v1, 0
	v_cmp_gt_f32_e32 vcc, 0, v6
	s_mov_b64 s[0:1], -1
	s_and_saveexec_b64 s[24:25], vcc
	s_cbranch_execz .LBB18_299
; %bb.292:
	v_trunc_f32_e32 v0, v6
	v_cmp_neq_f32_e32 vcc, v6, v0
	s_mov_b64 s[28:29], 0
	v_mov_b32_e32 v1, 0
	s_and_saveexec_b64 s[26:27], vcc
	s_cbranch_execz .LBB18_298
; %bb.293:
	v_cvt_f64_f32_e32 v[0:1], v6
	s_mov_b32 s30, 0
	s_mov_b32 s1, 0xc00921fb
	;; [unrolled: 1-line block ×3, first 2 shown]
	v_trunc_f64_e32 v[2:3], v[0:1]
	s_mov_b32 s31, 0x7ff00000
	v_cmp_neq_f64_e64 vcc, |v[0:1]|, s[30:31]
	v_bfrev_b32_e32 v4, 1
	s_mov_b32 s28, 0
	s_mov_b32 s29, 0x41d00000
                                        ; implicit-def: $vgpr7
	v_add_f64 v[2:3], v[0:1], -v[2:3]
	v_mul_f64 v[2:3], |v[2:3]|, s[0:1]
	v_cndmask_b32_e32 v1, v4, v3, vcc
	v_cndmask_b32_e32 v0, 0, v2, vcc
	v_cmp_nlt_f64_e64 s[28:29], |v[0:1]|, s[28:29]
                                        ; implicit-def: $vgpr2_vgpr3
                                        ; implicit-def: $vgpr4_vgpr5
	s_and_saveexec_b64 s[34:35], s[28:29]
	s_xor_b64 s[28:29], exec, s[34:35]
	s_cbranch_execz .LBB18_295
; %bb.294:
	v_trig_preop_f64 v[4:5], |v[0:1]|, 0
	s_mov_b32 s34, 0
	s_mov_b32 s35, 0x7b000000
	s_movk_i32 s1, 0xff80
	v_ldexp_f64 v[2:3], |v[0:1]|, s1
	v_cmp_ge_f64_e64 vcc, |v[0:1]|, s[34:35]
	v_trig_preop_f64 v[7:8], |v[0:1]|, 1
	v_and_b32_e32 v9, 0x7fffffff, v1
	v_trig_preop_f64 v[16:17], |v[0:1]|, 2
	v_mov_b32_e32 v27, 0x40100000
	v_mov_b32_e32 v26, 0
	s_mov_b32 s1, 0x3ff921fb
	v_cndmask_b32_e32 v3, v9, v3, vcc
	v_cndmask_b32_e32 v2, v0, v2, vcc
	v_mul_f64 v[9:10], v[4:5], v[2:3]
	v_mul_f64 v[12:13], v[7:8], v[2:3]
	;; [unrolled: 1-line block ×3, first 2 shown]
	v_fma_f64 v[4:5], v[4:5], v[2:3], -v[9:10]
	v_fma_f64 v[7:8], v[7:8], v[2:3], -v[12:13]
	;; [unrolled: 1-line block ×3, first 2 shown]
	v_add_f64 v[14:15], v[12:13], v[4:5]
	v_add_f64 v[18:19], v[14:15], -v[12:13]
	v_add_f64 v[24:25], v[9:10], v[14:15]
	v_add_f64 v[20:21], v[14:15], -v[18:19]
	v_add_f64 v[4:5], v[4:5], -v[18:19]
	v_add_f64 v[18:19], v[22:23], v[7:8]
	v_add_f64 v[9:10], v[24:25], -v[9:10]
	v_add_f64 v[12:13], v[12:13], -v[20:21]
	v_ldexp_f64 v[20:21], v[24:25], -2
	v_add_f64 v[28:29], v[18:19], -v[22:23]
	v_add_f64 v[9:10], v[14:15], -v[9:10]
	v_add_f64 v[4:5], v[4:5], v[12:13]
	v_fract_f64_e32 v[12:13], v[20:21]
	v_cmp_neq_f64_e64 vcc, |v[20:21]|, s[30:31]
	v_add_f64 v[7:8], v[7:8], -v[28:29]
	s_mov_b32 s30, 0x33145c07
	s_mov_b32 s31, 0x3c91a626
	v_add_f64 v[14:15], v[18:19], v[4:5]
	v_ldexp_f64 v[12:13], v[12:13], 2
	v_add_f64 v[20:21], v[9:10], v[14:15]
	v_cndmask_b32_e32 v13, 0, v13, vcc
	v_cndmask_b32_e32 v12, 0, v12, vcc
	v_add_f64 v[30:31], v[14:15], -v[18:19]
	v_add_f64 v[24:25], v[20:21], v[12:13]
	v_add_f64 v[9:10], v[20:21], -v[9:10]
	v_add_f64 v[32:33], v[14:15], -v[30:31]
	;; [unrolled: 1-line block ×3, first 2 shown]
	v_cmp_gt_f64_e32 vcc, 0, v[24:25]
	v_add_f64 v[24:25], v[18:19], -v[28:29]
	v_add_f64 v[9:10], v[14:15], -v[9:10]
	;; [unrolled: 1-line block ×3, first 2 shown]
	v_cndmask_b32_e32 v27, 0, v27, vcc
	v_add_f64 v[12:13], v[12:13], v[26:27]
	v_add_f64 v[24:25], v[22:23], -v[24:25]
	v_add_f64 v[4:5], v[4:5], v[18:19]
	v_add_f64 v[34:35], v[20:21], v[12:13]
	;; [unrolled: 1-line block ×3, first 2 shown]
	v_cvt_i32_f64_e32 v29, v[34:35]
	v_add_f64 v[4:5], v[7:8], v[4:5]
	v_cvt_f64_i32_e32 v[27:28], v29
	v_add_f64 v[12:13], v[12:13], -v[27:28]
	v_add_f64 v[2:3], v[2:3], v[4:5]
	v_add_f64 v[7:8], v[20:21], v[12:13]
	;; [unrolled: 1-line block ×3, first 2 shown]
	v_mov_b32_e32 v9, 0x3ff00000
	v_add_f64 v[4:5], v[7:8], -v[12:13]
	v_cmp_le_f64_e32 vcc, 0.5, v[7:8]
	v_add_f64 v[4:5], v[20:21], -v[4:5]
	v_cndmask_b32_e32 v27, 0, v9, vcc
	v_add_f64 v[2:3], v[2:3], v[4:5]
	v_add_f64 v[4:5], v[7:8], -v[26:27]
	v_add_f64 v[7:8], v[4:5], v[2:3]
	v_mul_f64 v[9:10], v[7:8], s[0:1]
	v_add_f64 v[4:5], v[7:8], -v[4:5]
	v_fma_f64 v[12:13], v[7:8], s[0:1], -v[9:10]
	v_add_f64 v[2:3], v[2:3], -v[4:5]
	v_fma_f64 v[4:5], v[7:8], s[30:31], v[12:13]
	v_fma_f64 v[4:5], v[2:3], s[0:1], v[4:5]
	v_add_f64 v[2:3], v[9:10], v[4:5]
	v_add_f64 v[7:8], v[2:3], -v[9:10]
	v_add_f64 v[4:5], v[4:5], -v[7:8]
	v_addc_co_u32_e32 v7, vcc, 0, v29, vcc
.LBB18_295:
	s_andn2_saveexec_b64 s[0:1], s[28:29]
	s_cbranch_execz .LBB18_297
; %bb.296:
	s_mov_b32 s28, 0x6dc9c883
	s_mov_b32 s29, 0x3fe45f30
	v_mul_f64 v[2:3], |v[0:1]|, s[28:29]
	s_mov_b32 s28, 0x54442d18
	s_mov_b32 s29, 0xbff921fb
	;; [unrolled: 1-line block ×4, first 2 shown]
	v_rndne_f64_e32 v[7:8], v[2:3]
	v_fma_f64 v[2:3], v[7:8], s[28:29], |v[0:1]|
	v_mul_f64 v[4:5], v[7:8], s[30:31]
	s_mov_b32 s28, 0x252049c0
	s_mov_b32 s29, 0xb97b839a
	v_fma_f64 v[14:15], v[7:8], s[30:31], v[2:3]
	v_add_f64 v[9:10], v[2:3], v[4:5]
	s_mov_b32 s31, 0x3c91a626
	v_add_f64 v[12:13], v[2:3], -v[9:10]
	v_add_f64 v[9:10], v[9:10], -v[14:15]
	v_add_f64 v[2:3], v[12:13], v[4:5]
	v_fma_f64 v[4:5], v[7:8], s[30:31], v[4:5]
	v_add_f64 v[2:3], v[9:10], v[2:3]
	v_add_f64 v[2:3], v[2:3], -v[4:5]
	v_fma_f64 v[4:5], v[7:8], s[28:29], v[2:3]
	v_cvt_i32_f64_e32 v7, v[7:8]
	v_add_f64 v[2:3], v[14:15], v[4:5]
	v_add_f64 v[9:10], v[2:3], -v[14:15]
	v_add_f64 v[4:5], v[4:5], -v[9:10]
.LBB18_297:
	s_or_b64 exec, exec, s[0:1]
	v_mul_f64 v[8:9], v[2:3], v[2:3]
	v_add_f64 v[12:13], v[4:5], v[4:5]
	s_mov_b32 s0, 0xc751c08c
	s_mov_b32 s1, 0x3ef5e089
	v_and_b32_e32 v7, 1, v7
	v_cmp_eq_u32_e32 vcc, 0, v7
	s_mov_b32 s30, 0x54442d18
	s_mov_b32 s31, 0xc00921fb
	v_fma_f64 v[14:15], v[2:3], v[2:3], -v[8:9]
	s_mov_b64 s[28:29], exec
	v_sub_f32_e32 v6, 1.0, v6
	v_fma_f64 v[12:13], v[2:3], v[12:13], v[14:15]
	v_add_f64 v[8:9], v[8:9], v[12:13]
	v_mov_b32_e32 v12, 0xa9a29f71
	v_mov_b32_e32 v13, 0xbf078809
	v_fma_f64 v[12:13], v[8:9], s[0:1], v[12:13]
	s_mov_b32 s0, 0x90a8aae0
	s_mov_b32 s1, 0x3f17746f
	v_fma_f64 v[12:13], v[8:9], v[12:13], s[0:1]
	s_mov_b32 s0, 0xa6fbf144
	s_mov_b32 s1, 0xbefbb44d
	;; [unrolled: 3-line block ×12, first 2 shown]
	v_fma_f64 v[12:13], v[8:9], v[12:13], s[0:1]
	s_movk_i32 s0, 0x1f8
	v_cmp_class_f64_e64 s[0:1], v[0:1], s0
	v_mul_f64 v[8:9], v[8:9], v[12:13]
	v_mul_f64 v[12:13], v[2:3], v[8:9]
	v_add_f64 v[14:15], v[2:3], v[12:13]
	v_fma_f64 v[8:9], v[2:3], v[8:9], -v[12:13]
	v_add_f64 v[2:3], v[14:15], -v[2:3]
	v_add_f64 v[4:5], v[4:5], v[8:9]
	v_add_f64 v[2:3], v[12:13], -v[2:3]
	v_add_f64 v[2:3], v[4:5], v[2:3]
	v_add_f64 v[4:5], v[14:15], v[2:3]
	v_rcp_f64_e32 v[8:9], v[4:5]
	v_fma_f64 v[12:13], -v[4:5], v[8:9], 1.0
	v_fma_f64 v[8:9], v[12:13], v[8:9], v[8:9]
	v_fma_f64 v[12:13], -v[4:5], v[8:9], 1.0
	v_fma_f64 v[8:9], v[12:13], v[8:9], v[8:9]
	v_add_f64 v[12:13], v[4:5], -v[14:15]
	v_mul_f64 v[14:15], v[4:5], v[8:9]
	v_add_f64 v[2:3], v[2:3], -v[12:13]
	v_fma_f64 v[12:13], v[8:9], v[4:5], -v[14:15]
	v_fma_f64 v[2:3], v[8:9], v[2:3], v[12:13]
	v_add_f64 v[12:13], v[14:15], v[2:3]
	v_add_f64 v[16:17], -v[12:13], 1.0
	v_add_f64 v[14:15], v[12:13], -v[14:15]
	v_add_f64 v[18:19], -v[16:17], 1.0
	v_add_f64 v[2:3], v[14:15], -v[2:3]
	v_add_f64 v[12:13], v[18:19], -v[12:13]
	v_add_f64 v[2:3], v[2:3], v[12:13]
	v_add_f64 v[2:3], v[16:17], v[2:3]
	v_mul_f64 v[2:3], v[8:9], v[2:3]
	v_add_f64 v[2:3], v[8:9], v[2:3]
	v_and_b32_e32 v8, 0x80000000, v1
	v_mov_b32_e32 v1, 0x7ff80000
	v_xor_b32_e32 v0, 0x80000000, v3
	v_cndmask_b32_e32 v2, v2, v4, vcc
	v_cndmask_b32_e32 v3, v0, v5, vcc
	v_cndmask_b32_e64 v0, 0, v2, s[0:1]
	v_xor_b32_e32 v2, v3, v8
	v_cndmask_b32_e64 v1, v1, v2, s[0:1]
	v_div_scale_f64 v[2:3], s[0:1], v[0:1], v[0:1], s[30:31]
	v_div_scale_f64 v[9:10], vcc, s[30:31], v[0:1], s[30:31]
	v_rcp_f64_e32 v[4:5], v[2:3]
	v_fma_f64 v[7:8], -v[2:3], v[4:5], 1.0
	v_fma_f64 v[4:5], v[4:5], v[7:8], v[4:5]
	v_fma_f64 v[7:8], -v[2:3], v[4:5], 1.0
	v_fma_f64 v[4:5], v[4:5], v[7:8], v[4:5]
	v_mul_f64 v[7:8], v[9:10], v[4:5]
	v_fma_f64 v[2:3], -v[2:3], v[7:8], v[9:10]
	v_div_fmas_f64 v[2:3], v[2:3], v[4:5], v[7:8]
	v_div_fixup_f64 v[0:1], v[2:3], v[0:1], s[30:31]
	v_cvt_f32_f64_e32 v1, v[0:1]
.LBB18_298:
	s_or_b64 exec, exec, s[26:27]
	s_orn2_b64 s[0:1], s[28:29], exec
.LBB18_299:
	s_or_b64 exec, exec, s[24:25]
	v_mov_b32_e32 v0, 0x7fc00000
	s_and_saveexec_b64 s[24:25], s[0:1]
	s_cbranch_execz .LBB18_311
; %bb.300:
	s_mov_b32 s28, 0x41200000
	v_cmp_gt_f32_e32 vcc, s28, v6
	s_and_saveexec_b64 s[0:1], vcc
	s_cbranch_execz .LBB18_304
; %bb.301:
	s_mov_b64 s[26:27], 0
.LBB18_302:                             ; =>This Inner Loop Header: Depth=1
	v_div_scale_f32 v0, s[30:31], v6, v6, 1.0
	v_div_scale_f32 v2, vcc, 1.0, v6, 1.0
	v_rcp_f32_e32 v3, v0
	v_fma_f32 v4, -v0, v3, 1.0
	v_fmac_f32_e32 v3, v4, v3
	v_mul_f32_e32 v4, v2, v3
	v_fma_f32 v5, -v0, v4, v2
	v_fmac_f32_e32 v4, v5, v3
	v_fma_f32 v0, -v0, v4, v2
	v_div_fmas_f32 v0, v0, v3, v4
	v_div_fixup_f32 v0, v0, v6, 1.0
	v_add_f32_e32 v6, 1.0, v6
	v_cmp_ngt_f32_e32 vcc, s28, v6
	s_or_b64 s[26:27], vcc, s[26:27]
	v_sub_f32_e32 v1, v1, v0
	s_andn2_b64 exec, exec, s[26:27]
	s_cbranch_execnz .LBB18_302
; %bb.303:
	s_or_b64 exec, exec, s[26:27]
.LBB18_304:
	s_or_b64 exec, exec, s[0:1]
	s_mov_b32 s0, 0x41200000
	v_cmp_neq_f32_e32 vcc, s0, v6
                                        ; implicit-def: $vgpr0
	s_and_saveexec_b64 s[0:1], vcc
	s_xor_b64 s[26:27], exec, s[0:1]
	s_cbranch_execz .LBB18_308
; %bb.305:
	v_cvt_f64_f32_e32 v[2:3], v6
	s_mov_b32 s0, 0x85d8a000
	s_mov_b32 s1, 0x43763457
	v_mov_b32_e32 v0, 0
	v_cmp_gt_f64_e32 vcc, s[0:1], v[2:3]
	s_and_saveexec_b64 s[0:1], vcc
	s_cbranch_execz .LBB18_307
; %bb.306:
	v_mul_f32_e32 v0, v6, v6
	v_div_scale_f32 v2, s[28:29], v0, v0, 1.0
	v_div_scale_f32 v3, vcc, 1.0, v0, 1.0
	v_mov_b32_e32 v8, 0x3b820821
	v_rcp_f32_e32 v4, v2
	v_fma_f32 v5, -v2, v4, 1.0
	v_fmac_f32_e32 v4, v5, v4
	v_mul_f32_e32 v5, v3, v4
	v_fma_f32 v7, -v2, v5, v3
	v_fmac_f32_e32 v5, v7, v4
	v_fma_f32 v2, -v2, v5, v3
	v_div_fmas_f32 v2, v2, v4, v5
	v_mov_b32_e32 v3, 0x3daaaaab
	v_mov_b32_e32 v4, 0xbcaccacd
	;; [unrolled: 1-line block ×4, first 2 shown]
	v_div_fixup_f32 v0, v2, v0, 1.0
	v_fma_f32 v2, 0, v0, v3
	v_fmac_f32_e32 v4, v0, v2
	v_fmac_f32_e32 v5, v0, v4
	;; [unrolled: 1-line block ×4, first 2 shown]
	v_mov_b32_e32 v2, 0xbc088889
	v_fmac_f32_e32 v2, v0, v8
	v_fmac_f32_e32 v3, v0, v2
	v_mul_f32_e32 v0, v0, v3
.LBB18_307:
	s_or_b64 exec, exec, s[0:1]
	v_div_scale_f32 v2, s[0:1], v6, v6, -0.5
	v_div_scale_f32 v3, vcc, -0.5, v6, -0.5
	s_mov_b32 s0, 0x800000
	v_cmp_gt_f32_e64 s[0:1], s0, v6
	v_cndmask_b32_e64 v5, 0, 32, s[0:1]
	s_mov_b32 s28, 0x3f317217
	v_rcp_f32_e32 v4, v2
	v_fma_f32 v7, -v2, v4, 1.0
	v_fmac_f32_e32 v4, v7, v4
	v_mul_f32_e32 v7, v3, v4
	v_fma_f32 v8, -v2, v7, v3
	v_fmac_f32_e32 v7, v8, v4
	v_fma_f32 v2, -v2, v7, v3
	v_div_fmas_f32 v2, v2, v4, v7
	v_ldexp_f32 v3, v6, v5
	v_log_f32_e32 v3, v3
	v_mul_f32_e32 v4, 0x3f317217, v3
	v_fma_f32 v4, v3, s28, -v4
	v_fmac_f32_e32 v4, 0x3377d1cf, v3
	s_mov_b32 s28, 0x7f800000
	v_fmac_f32_e32 v4, 0x3f317217, v3
	v_cmp_lt_f32_e64 vcc, |v3|, s28
	v_cndmask_b32_e32 v3, v3, v4, vcc
	v_mov_b32_e32 v4, 0x41b17218
	v_cndmask_b32_e64 v4, 0, v4, s[0:1]
	v_sub_f32_e32 v3, v3, v4
	v_div_fixup_f32 v2, v2, v6, -0.5
	v_add_f32_e32 v2, v3, v2
	v_sub_f32_e32 v0, v2, v0
	v_add_f32_e32 v0, v1, v0
                                        ; implicit-def: $vgpr1
.LBB18_308:
	s_andn2_saveexec_b64 s[0:1], s[26:27]
; %bb.309:
	v_add_f32_e32 v0, 0x40101cb7, v1
; %bb.310:
	s_or_b64 exec, exec, s[0:1]
.LBB18_311:
	s_or_b64 exec, exec, s[24:25]
                                        ; implicit-def: $vgpr6
.LBB18_312:
	s_andn2_saveexec_b64 s[0:1], s[20:21]
; %bb.313:
	v_xor_b32_e32 v0, 0x80000000, v6
	s_brev_b32 s20, -2
	v_mov_b32_e32 v1, 0x7f800000
	v_bfi_b32 v0, s20, v1, v0
; %bb.314:
	s_or_b64 exec, exec, s[0:1]
	v_mul_lo_u32 v1, v11, s2
	v_mov_b32_e32 v3, s9
	s_and_b32 s28, s33, 0xff
	s_cmp_lt_i32 s28, 11
	v_ashrrev_i32_e32 v4, 31, v1
	v_add_co_u32_e32 v2, vcc, s8, v1
	v_addc_co_u32_e32 v3, vcc, v3, v4, vcc
	s_cbranch_scc1 .LBB18_322
; %bb.315:
	s_and_b32 s29, 0xffff, s28
	s_cmp_gt_i32 s29, 25
	s_cbranch_scc0 .LBB18_324
; %bb.316:
	s_cmp_gt_i32 s29, 28
	s_cbranch_scc0 .LBB18_326
; %bb.317:
	;; [unrolled: 3-line block ×4, first 2 shown]
	s_mov_b64 s[24:25], 0
	s_mov_b64 s[0:1], -1
	s_cmp_eq_u32 s29, 46
	s_mov_b64 s[20:21], 0
	s_cbranch_scc0 .LBB18_338
; %bb.320:
	v_bfe_u32 v1, v0, 16, 1
	s_movk_i32 s0, 0x7fff
	v_add3_u32 v1, v0, v1, s0
	v_cmp_o_f32_e32 vcc, v0, v0
	v_mov_b32_e32 v4, 0x7fc0
	v_cndmask_b32_sdwa v1, v4, v1, vcc dst_sel:DWORD dst_unused:UNUSED_PAD src0_sel:DWORD src1_sel:WORD_1
	global_store_dword v[2:3], v1, off
	s_mov_b64 s[20:21], -1
	s_mov_b64 s[0:1], 0
	s_branch .LBB18_338
.LBB18_321:
	s_mov_b64 s[20:21], -1
	s_mov_b64 s[0:1], 0
	s_mov_b64 s[18:19], s[14:15]
                                        ; implicit-def: $vgpr6
	s_branch .LBB18_475
.LBB18_322:
	s_mov_b64 s[24:25], -1
	s_mov_b64 s[20:21], 0
	s_mov_b64 s[0:1], s[6:7]
	s_branch .LBB18_407
.LBB18_323:
	s_mov_b64 s[20:21], -1
	s_mov_b64 s[0:1], 0
	s_mov_b64 s[18:19], s[14:15]
                                        ; implicit-def: $vgpr6
	s_branch .LBB18_456
.LBB18_324:
	s_mov_b64 s[24:25], -1
	s_mov_b64 s[20:21], 0
	s_mov_b64 s[0:1], s[6:7]
	s_branch .LBB18_365
.LBB18_325:
	s_mov_b64 s[20:21], -1
	s_mov_b64 s[0:1], 0
	s_mov_b64 s[18:19], s[14:15]
                                        ; implicit-def: $vgpr6
	s_branch .LBB18_451
.LBB18_326:
	s_mov_b64 s[24:25], -1
	s_mov_b64 s[20:21], 0
	s_mov_b64 s[0:1], s[6:7]
	s_branch .LBB18_348
.LBB18_327:
	s_andn2_saveexec_b64 s[22:23], s[22:23]
	s_cbranch_execz .LBB18_79
.LBB18_328:
	s_mov_b32 s26, 0x46000000
	v_add_f32_e64 v1, |v0|, s26
	v_and_b32_e32 v1, 0xff, v1
	v_cmp_ne_u32_e32 vcc, 0, v1
	s_andn2_b64 s[18:19], s[18:19], exec
	s_and_b64 s[26:27], vcc, exec
	s_or_b64 s[18:19], s[18:19], s[26:27]
	s_or_b64 exec, exec, s[22:23]
	v_mov_b32_e32 v4, 0
	s_and_saveexec_b64 s[22:23], s[18:19]
	s_cbranch_execnz .LBB18_80
	s_branch .LBB18_81
.LBB18_329:
	s_mov_b64 s[20:21], -1
	s_mov_b64 s[0:1], 0
	s_mov_b64 s[18:19], s[14:15]
                                        ; implicit-def: $vgpr6
	s_branch .LBB18_334
.LBB18_330:
	s_mov_b64 s[24:25], -1
	s_mov_b64 s[20:21], 0
	s_mov_b64 s[0:1], s[6:7]
	s_branch .LBB18_344
.LBB18_331:
	s_andn2_saveexec_b64 s[22:23], s[22:23]
	s_cbranch_execz .LBB18_92
.LBB18_332:
	s_mov_b32 s26, 0x42800000
	v_add_f32_e64 v1, |v0|, s26
	v_and_b32_e32 v1, 0xff, v1
	v_cmp_ne_u32_e32 vcc, 0, v1
	s_andn2_b64 s[18:19], s[18:19], exec
	s_and_b64 s[26:27], vcc, exec
	s_or_b64 s[18:19], s[18:19], s[26:27]
	s_or_b64 exec, exec, s[22:23]
	v_mov_b32_e32 v4, 0
	s_and_saveexec_b64 s[22:23], s[18:19]
	s_cbranch_execnz .LBB18_93
	s_branch .LBB18_94
.LBB18_333:
	s_mov_b64 s[18:19], -1
                                        ; implicit-def: $vgpr6
	s_mov_b64 s[0:1], 0
.LBB18_334:
	s_and_b64 vcc, exec, s[20:21]
	s_cbranch_vccz .LBB18_450
; %bb.335:
	s_cmp_eq_u32 s26, 44
	s_cbranch_scc0 .LBB18_449
; %bb.336:
	global_load_ubyte v2, v[0:1], off
	s_movk_i32 s18, 0xff
	v_mov_b32_e32 v3, 0x7f800001
	v_mov_b32_e32 v4, 0x400000
	s_mov_b64 s[0:1], -1
	s_waitcnt vmcnt(0)
	v_lshlrev_b32_e32 v5, 23, v2
	v_cmp_ne_u32_e32 vcc, s18, v2
	v_cndmask_b32_e32 v3, v3, v5, vcc
	v_cmp_ne_u32_e32 vcc, 0, v2
	v_cndmask_b32_e32 v6, v4, v3, vcc
	s_mov_b64 s[18:19], 0
	s_branch .LBB18_450
.LBB18_337:
	s_mov_b64 s[24:25], -1
	s_mov_b64 s[20:21], 0
	s_mov_b64 s[0:1], s[6:7]
.LBB18_338:
	s_and_b64 vcc, exec, s[24:25]
	s_cbranch_vccz .LBB18_343
; %bb.339:
	s_cmp_eq_u32 s29, 44
	s_mov_b64 s[0:1], -1
	s_cbranch_scc0 .LBB18_343
; %bb.340:
	v_bfe_u32 v1, v0, 23, 8
	s_movk_i32 s0, 0xff
	v_cmp_ne_u32_e32 vcc, s0, v1
	v_mov_b32_e32 v4, 0xff
	s_and_saveexec_b64 s[20:21], vcc
; %bb.341:
	s_mov_b32 s0, 0x3fffff
	v_and_b32_e32 v5, 0x400000, v0
	v_and_or_b32 v1, v0, s0, v1
	v_cmp_ne_u32_e32 vcc, 0, v5
	v_cmp_ne_u32_e64 s[0:1], 0, v1
	s_and_b64 s[0:1], vcc, s[0:1]
	v_lshrrev_b32_e32 v4, 23, v0
	v_cndmask_b32_e64 v1, 0, 1, s[0:1]
	v_add_u32_e32 v4, v4, v1
; %bb.342:
	s_or_b64 exec, exec, s[20:21]
	s_mov_b64 s[20:21], -1
	s_mov_b64 s[0:1], 0
	global_store_byte v[2:3], v4, off
.LBB18_343:
	s_mov_b64 s[24:25], 0
.LBB18_344:
	s_and_b64 vcc, exec, s[24:25]
	s_cbranch_vccz .LBB18_347
; %bb.345:
	s_cmp_eq_u32 s29, 29
	s_mov_b64 s[0:1], -1
	s_cbranch_scc0 .LBB18_347
; %bb.346:
	v_trunc_f32_e32 v1, v0
	v_mul_f32_e32 v4, 0x2f800000, v1
	v_floor_f32_e32 v4, v4
	v_fmac_f32_e32 v1, 0xcf800000, v4
	v_cvt_u32_f32_e32 v5, v4
	v_cvt_u32_f32_e32 v4, v1
	s_mov_b64 s[20:21], -1
	s_mov_b64 s[0:1], 0
	s_mov_b64 s[24:25], 0
	global_store_dwordx2 v[2:3], v[4:5], off
	s_branch .LBB18_348
.LBB18_347:
	s_mov_b64 s[24:25], 0
.LBB18_348:
	s_and_b64 vcc, exec, s[24:25]
	s_cbranch_vccz .LBB18_364
; %bb.349:
	s_cmp_lt_i32 s29, 27
	s_mov_b64 s[20:21], -1
	s_cbranch_scc1 .LBB18_355
; %bb.350:
	v_cvt_u32_f32_e32 v1, v0
	s_cmp_gt_i32 s29, 27
	s_cbranch_scc0 .LBB18_352
; %bb.351:
	s_mov_b64 s[20:21], 0
	global_store_dword v[2:3], v1, off
.LBB18_352:
	s_andn2_b64 vcc, exec, s[20:21]
	s_cbranch_vccnz .LBB18_354
; %bb.353:
	global_store_short v[2:3], v1, off
.LBB18_354:
	s_mov_b64 s[20:21], 0
.LBB18_355:
	s_andn2_b64 vcc, exec, s[20:21]
	s_cbranch_vccnz .LBB18_363
; %bb.356:
	v_and_b32_e32 v1, 0x7fffffff, v0
	s_mov_b32 s20, 0x43800000
	v_cmp_gt_u32_e32 vcc, s20, v1
	v_mov_b32_e32 v4, 0x80
	s_and_saveexec_b64 s[20:21], vcc
	s_cbranch_execz .LBB18_362
; %bb.357:
	s_mov_b32 s24, 0x3bffffff
	v_cmp_lt_u32_e32 vcc, s24, v1
	s_mov_b64 s[24:25], 0
                                        ; implicit-def: $vgpr1
	s_and_saveexec_b64 s[26:27], vcc
	s_xor_b64 s[26:27], exec, s[26:27]
	s_cbranch_execz .LBB18_574
; %bb.358:
	v_bfe_u32 v1, v0, 20, 1
	s_mov_b32 s30, 0x487ffff
	v_add3_u32 v1, v0, v1, s30
	s_mov_b64 s[24:25], exec
	v_lshrrev_b32_e32 v1, 20, v1
	s_andn2_saveexec_b64 s[26:27], s[26:27]
	s_cbranch_execnz .LBB18_575
.LBB18_359:
	s_or_b64 exec, exec, s[26:27]
	v_mov_b32_e32 v4, 0
	s_and_saveexec_b64 s[26:27], s[24:25]
.LBB18_360:
	v_lshrrev_b32_e32 v4, 24, v0
	s_movk_i32 s24, 0x80
	v_and_or_b32 v4, v4, s24, v1
.LBB18_361:
	s_or_b64 exec, exec, s[26:27]
.LBB18_362:
	s_or_b64 exec, exec, s[20:21]
	global_store_byte v[2:3], v4, off
.LBB18_363:
	s_mov_b64 s[20:21], -1
.LBB18_364:
	s_mov_b64 s[24:25], 0
.LBB18_365:
	s_and_b64 vcc, exec, s[24:25]
	s_cbranch_vccz .LBB18_406
; %bb.366:
	s_cmp_gt_i32 s29, 22
	s_mov_b64 s[24:25], -1
	s_cbranch_scc0 .LBB18_398
; %bb.367:
	s_cmp_lt_i32 s29, 24
	s_mov_b64 s[20:21], -1
	s_cbranch_scc1 .LBB18_387
; %bb.368:
	s_cmp_gt_i32 s29, 24
	s_cbranch_scc0 .LBB18_376
; %bb.369:
	v_and_b32_e32 v1, 0x7fffffff, v0
	s_mov_b32 s20, 0x47800000
	v_cmp_gt_u32_e32 vcc, s20, v1
	v_mov_b32_e32 v4, 0x80
	s_and_saveexec_b64 s[20:21], vcc
	s_cbranch_execz .LBB18_375
; %bb.370:
	s_mov_b32 s24, 0x37ffffff
	v_cmp_lt_u32_e32 vcc, s24, v1
	s_mov_b64 s[24:25], 0
                                        ; implicit-def: $vgpr1
	s_and_saveexec_b64 s[26:27], vcc
	s_xor_b64 s[26:27], exec, s[26:27]
	s_cbranch_execz .LBB18_577
; %bb.371:
	v_bfe_u32 v1, v0, 21, 1
	s_mov_b32 s30, 0x88fffff
	v_add3_u32 v1, v0, v1, s30
	s_mov_b64 s[24:25], exec
	v_lshrrev_b32_e32 v1, 21, v1
	s_andn2_saveexec_b64 s[26:27], s[26:27]
	s_cbranch_execnz .LBB18_578
.LBB18_372:
	s_or_b64 exec, exec, s[26:27]
	v_mov_b32_e32 v4, 0
	s_and_saveexec_b64 s[26:27], s[24:25]
.LBB18_373:
	v_lshrrev_b32_e32 v4, 24, v0
	s_movk_i32 s24, 0x80
	v_and_or_b32 v4, v4, s24, v1
.LBB18_374:
	s_or_b64 exec, exec, s[26:27]
.LBB18_375:
	s_or_b64 exec, exec, s[20:21]
	s_mov_b64 s[20:21], 0
	global_store_byte v[2:3], v4, off
.LBB18_376:
	s_and_b64 vcc, exec, s[20:21]
	s_cbranch_vccz .LBB18_386
; %bb.377:
	v_and_b32_e32 v4, 0x7fffffff, v0
	s_mov_b32 s20, 0x43f00000
	v_cmp_gt_u32_e32 vcc, s20, v4
                                        ; implicit-def: $vgpr1
	s_and_saveexec_b64 s[20:21], vcc
	s_xor_b64 s[20:21], exec, s[20:21]
	s_cbranch_execz .LBB18_383
; %bb.378:
	s_mov_b32 s24, 0x3c7fffff
	v_cmp_lt_u32_e32 vcc, s24, v4
                                        ; implicit-def: $vgpr1
	s_and_saveexec_b64 s[24:25], vcc
	s_xor_b64 s[24:25], exec, s[24:25]
; %bb.379:
	v_bfe_u32 v1, v0, 20, 1
	s_mov_b32 s26, 0x407ffff
	v_add3_u32 v1, v0, v1, s26
	v_lshrrev_b32_e32 v4, 20, v1
	v_and_b32_e32 v1, 0xff00000, v1
	s_mov_b32 s26, 0x7f00000
	v_mov_b32_e32 v5, 0x7e
	v_cmp_ne_u32_e32 vcc, s26, v1
	v_cndmask_b32_e32 v1, v5, v4, vcc
; %bb.380:
	s_andn2_saveexec_b64 s[24:25], s[24:25]
; %bb.381:
	s_mov_b32 s26, 0x46800000
	v_add_f32_e64 v1, |v0|, s26
; %bb.382:
	s_or_b64 exec, exec, s[24:25]
                                        ; implicit-def: $vgpr4
.LBB18_383:
	s_andn2_saveexec_b64 s[20:21], s[20:21]
; %bb.384:
	s_mov_b32 s24, 0x7f800000
	v_mov_b32_e32 v1, 0x7e
	v_mov_b32_e32 v5, 0x7f
	v_cmp_lt_u32_e32 vcc, s24, v4
	v_cndmask_b32_e32 v1, v1, v5, vcc
; %bb.385:
	s_or_b64 exec, exec, s[20:21]
	v_lshrrev_b32_e32 v4, 24, v0
	s_movk_i32 s20, 0x80
	v_and_or_b32 v1, v4, s20, v1
	global_store_byte v[2:3], v1, off
.LBB18_386:
	s_mov_b64 s[20:21], 0
.LBB18_387:
	s_andn2_b64 vcc, exec, s[20:21]
	s_cbranch_vccnz .LBB18_397
; %bb.388:
	v_and_b32_e32 v4, 0x7fffffff, v0
	s_mov_b32 s20, 0x47800000
	v_cmp_gt_u32_e32 vcc, s20, v4
                                        ; implicit-def: $vgpr1
	s_and_saveexec_b64 s[20:21], vcc
	s_xor_b64 s[20:21], exec, s[20:21]
	s_cbranch_execz .LBB18_394
; %bb.389:
	s_mov_b32 s24, 0x387fffff
	v_cmp_lt_u32_e32 vcc, s24, v4
                                        ; implicit-def: $vgpr1
	s_and_saveexec_b64 s[24:25], vcc
	s_xor_b64 s[24:25], exec, s[24:25]
; %bb.390:
	v_bfe_u32 v1, v0, 21, 1
	s_mov_b32 s26, 0x80fffff
	v_add3_u32 v1, v0, v1, s26
	v_lshrrev_b32_e32 v1, 21, v1
; %bb.391:
	s_andn2_saveexec_b64 s[24:25], s[24:25]
; %bb.392:
	s_mov_b32 s26, 0x43000000
	v_add_f32_e64 v1, |v0|, s26
; %bb.393:
	s_or_b64 exec, exec, s[24:25]
                                        ; implicit-def: $vgpr4
.LBB18_394:
	s_andn2_saveexec_b64 s[20:21], s[20:21]
; %bb.395:
	s_mov_b32 s24, 0x7f800000
	v_mov_b32_e32 v1, 0x7c
	v_mov_b32_e32 v5, 0x7f
	v_cmp_lt_u32_e32 vcc, s24, v4
	v_cndmask_b32_e32 v1, v1, v5, vcc
; %bb.396:
	s_or_b64 exec, exec, s[20:21]
	v_lshrrev_b32_e32 v4, 24, v0
	s_movk_i32 s20, 0x80
	v_and_or_b32 v1, v4, s20, v1
	global_store_byte v[2:3], v1, off
.LBB18_397:
	s_mov_b64 s[24:25], 0
	s_mov_b64 s[20:21], -1
.LBB18_398:
	s_andn2_b64 vcc, exec, s[24:25]
	s_cbranch_vccnz .LBB18_406
; %bb.399:
	s_cmp_gt_i32 s29, 14
	s_mov_b64 s[24:25], -1
	s_cbranch_scc0 .LBB18_403
; %bb.400:
	s_cmp_eq_u32 s29, 15
	s_mov_b64 s[0:1], -1
	s_cbranch_scc0 .LBB18_402
; %bb.401:
	v_bfe_u32 v1, v0, 16, 1
	s_movk_i32 s0, 0x7fff
	v_add3_u32 v1, v0, v1, s0
	v_cmp_o_f32_e32 vcc, v0, v0
	v_mov_b32_e32 v4, 0x7fc0
	v_cndmask_b32_sdwa v1, v4, v1, vcc dst_sel:DWORD dst_unused:UNUSED_PAD src0_sel:DWORD src1_sel:WORD_1
	global_store_short v[2:3], v1, off
	s_mov_b64 s[20:21], -1
	s_mov_b64 s[0:1], 0
.LBB18_402:
	s_mov_b64 s[24:25], 0
.LBB18_403:
	s_and_b64 vcc, exec, s[24:25]
	s_cbranch_vccz .LBB18_406
; %bb.404:
	s_cmp_eq_u32 s29, 11
	s_mov_b64 s[0:1], -1
	s_cbranch_scc0 .LBB18_406
; %bb.405:
	v_cmp_neq_f32_e32 vcc, 0, v0
	v_cndmask_b32_e64 v1, 0, 1, vcc
	s_mov_b64 s[20:21], -1
	s_mov_b64 s[0:1], 0
	global_store_byte v[2:3], v1, off
.LBB18_406:
	s_mov_b64 s[24:25], 0
.LBB18_407:
	s_and_b64 vcc, exec, s[24:25]
	s_cbranch_vccz .LBB18_446
; %bb.408:
	s_and_b32 s24, 0xffff, s28
	s_cmp_lt_i32 s24, 5
	s_mov_b64 s[20:21], -1
	s_cbranch_scc1 .LBB18_429
; %bb.409:
	s_cmp_lt_i32 s24, 8
	s_cbranch_scc1 .LBB18_419
; %bb.410:
	s_cmp_lt_i32 s24, 9
	s_cbranch_scc1 .LBB18_416
; %bb.411:
	s_cmp_gt_i32 s24, 9
	s_cbranch_scc0 .LBB18_413
; %bb.412:
	v_cvt_f64_f32_e32 v[4:5], v0
	v_mov_b32_e32 v6, 0
	v_mov_b32_e32 v7, v6
	s_mov_b64 s[20:21], 0
	global_store_dwordx4 v[2:3], v[4:7], off
.LBB18_413:
	s_andn2_b64 vcc, exec, s[20:21]
	s_cbranch_vccnz .LBB18_415
; %bb.414:
	v_mov_b32_e32 v1, 0
	global_store_dwordx2 v[2:3], v[0:1], off
.LBB18_415:
	s_mov_b64 s[20:21], 0
.LBB18_416:
	s_andn2_b64 vcc, exec, s[20:21]
	s_cbranch_vccnz .LBB18_418
; %bb.417:
	v_cvt_f16_f32_e32 v1, v0
	global_store_dword v[2:3], v1, off
.LBB18_418:
	s_mov_b64 s[20:21], 0
.LBB18_419:
	s_andn2_b64 vcc, exec, s[20:21]
	s_cbranch_vccnz .LBB18_428
; %bb.420:
	s_cmp_lt_i32 s24, 6
	s_mov_b64 s[20:21], -1
	s_cbranch_scc1 .LBB18_426
; %bb.421:
	s_cmp_gt_i32 s24, 6
	s_cbranch_scc0 .LBB18_423
; %bb.422:
	v_cvt_f64_f32_e32 v[4:5], v0
	s_mov_b64 s[20:21], 0
	global_store_dwordx2 v[2:3], v[4:5], off
.LBB18_423:
	s_andn2_b64 vcc, exec, s[20:21]
	s_cbranch_vccnz .LBB18_425
; %bb.424:
	global_store_dword v[2:3], v0, off
.LBB18_425:
	s_mov_b64 s[20:21], 0
.LBB18_426:
	s_andn2_b64 vcc, exec, s[20:21]
	s_cbranch_vccnz .LBB18_428
; %bb.427:
	v_cvt_f16_f32_e32 v1, v0
	global_store_short v[2:3], v1, off
.LBB18_428:
	s_mov_b64 s[20:21], 0
.LBB18_429:
	s_andn2_b64 vcc, exec, s[20:21]
	s_cbranch_vccnz .LBB18_445
; %bb.430:
	s_cmp_lt_i32 s24, 2
	s_mov_b64 s[20:21], -1
	s_cbranch_scc1 .LBB18_440
; %bb.431:
	s_cmp_lt_i32 s24, 3
	s_cbranch_scc1 .LBB18_437
; %bb.432:
	s_cmp_gt_i32 s24, 3
	s_cbranch_scc0 .LBB18_434
; %bb.433:
	v_trunc_f32_e32 v1, v0
	s_mov_b32 s20, 0x2f800000
	v_mul_f32_e64 v4, |v1|, s20
	v_floor_f32_e32 v4, v4
	s_mov_b32 s20, 0xcf800000
	v_cvt_u32_f32_e32 v5, v4
	v_fma_f32 v4, v4, s20, |v1|
	v_cvt_u32_f32_e32 v4, v4
	v_ashrrev_i32_e32 v1, 31, v1
	v_xor_b32_e32 v5, v5, v1
	s_mov_b64 s[20:21], 0
	v_xor_b32_e32 v4, v4, v1
	v_sub_co_u32_e32 v4, vcc, v4, v1
	v_subb_co_u32_e32 v5, vcc, v5, v1, vcc
	global_store_dwordx2 v[2:3], v[4:5], off
.LBB18_434:
	s_andn2_b64 vcc, exec, s[20:21]
	s_cbranch_vccnz .LBB18_436
; %bb.435:
	v_cvt_i32_f32_e32 v1, v0
	global_store_dword v[2:3], v1, off
.LBB18_436:
	s_mov_b64 s[20:21], 0
.LBB18_437:
	s_andn2_b64 vcc, exec, s[20:21]
	s_cbranch_vccnz .LBB18_439
; %bb.438:
	v_cvt_i32_f32_e32 v1, v0
	global_store_short v[2:3], v1, off
.LBB18_439:
	s_mov_b64 s[20:21], 0
.LBB18_440:
	s_andn2_b64 vcc, exec, s[20:21]
	s_cbranch_vccnz .LBB18_445
; %bb.441:
	s_cmp_gt_i32 s24, 0
	s_mov_b64 s[20:21], -1
	s_cbranch_scc0 .LBB18_443
; %bb.442:
	v_cvt_i32_f32_e32 v1, v0
	s_mov_b64 s[20:21], 0
	global_store_byte v[2:3], v1, off
.LBB18_443:
	s_andn2_b64 vcc, exec, s[20:21]
	s_cbranch_vccnz .LBB18_445
; %bb.444:
	v_trunc_f32_e32 v0, v0
	s_mov_b32 s20, 0x2f800000
	v_mul_f32_e64 v1, |v0|, s20
	v_floor_f32_e32 v1, v1
	s_mov_b32 s20, 0xcf800000
	v_fma_f32 v1, v1, s20, |v0|
	v_cvt_u32_f32_e32 v1, v1
	v_ashrrev_i32_e32 v0, 31, v0
	v_xor_b32_e32 v1, v1, v0
	v_sub_u32_e32 v0, v1, v0
	global_store_byte v[2:3], v0, off
.LBB18_445:
	s_mov_b64 s[20:21], -1
.LBB18_446:
	s_andn2_b64 vcc, exec, s[20:21]
	s_cbranch_vccnz .LBB18_448
; %bb.447:
	v_add_u32_e32 v11, 0x80, v11
	s_mov_b64 s[24:25], -1
	s_branch .LBB18_560
.LBB18_448:
	s_mov_b64 s[24:25], 0
                                        ; implicit-def: $vgpr11
	s_branch .LBB18_560
.LBB18_449:
	s_mov_b64 s[18:19], -1
                                        ; implicit-def: $vgpr6
.LBB18_450:
	s_mov_b64 s[20:21], 0
.LBB18_451:
	s_and_b64 vcc, exec, s[20:21]
	s_cbranch_vccz .LBB18_455
; %bb.452:
	s_cmp_eq_u32 s26, 29
	s_cbranch_scc0 .LBB18_454
; %bb.453:
	global_load_dwordx2 v[2:3], v[0:1], off
	s_mov_b64 s[0:1], -1
	s_mov_b64 s[18:19], 0
	s_mov_b64 s[20:21], 0
	s_waitcnt vmcnt(0)
	v_ffbh_u32_e32 v4, v3
	v_min_u32_e32 v4, 32, v4
	v_lshlrev_b64 v[2:3], v4, v[2:3]
	v_min_u32_e32 v2, 1, v2
	v_or_b32_e32 v2, v3, v2
	v_cvt_f32_u32_e32 v2, v2
	v_sub_u32_e32 v3, 32, v4
	v_ldexp_f32 v6, v2, v3
	s_branch .LBB18_456
.LBB18_454:
	s_mov_b64 s[18:19], -1
                                        ; implicit-def: $vgpr6
.LBB18_455:
	s_mov_b64 s[20:21], 0
.LBB18_456:
	s_and_b64 vcc, exec, s[20:21]
	s_cbranch_vccz .LBB18_474
; %bb.457:
	s_cmp_lt_i32 s26, 27
	s_cbranch_scc1 .LBB18_460
; %bb.458:
	s_cmp_gt_i32 s26, 27
	s_cbranch_scc0 .LBB18_461
; %bb.459:
	global_load_dword v2, v[0:1], off
	s_mov_b64 s[0:1], 0
	s_waitcnt vmcnt(0)
	v_cvt_f32_u32_e32 v6, v2
	s_branch .LBB18_462
.LBB18_460:
	s_mov_b64 s[0:1], -1
                                        ; implicit-def: $vgpr6
	s_branch .LBB18_465
.LBB18_461:
	s_mov_b64 s[0:1], -1
                                        ; implicit-def: $vgpr6
.LBB18_462:
	s_andn2_b64 vcc, exec, s[0:1]
	s_cbranch_vccnz .LBB18_464
; %bb.463:
	global_load_ushort v2, v[0:1], off
	s_waitcnt vmcnt(0)
	v_cvt_f32_u32_e32 v6, v2
.LBB18_464:
	s_mov_b64 s[0:1], 0
.LBB18_465:
	s_andn2_b64 vcc, exec, s[0:1]
	s_cbranch_vccnz .LBB18_473
; %bb.466:
	global_load_ubyte v2, v[0:1], off
	s_movk_i32 s0, 0x7f
	s_waitcnt vmcnt(0)
	v_cmp_lt_i16_e32 vcc, s0, v2
	s_mov_b64 s[0:1], 0
	s_and_saveexec_b64 s[20:21], vcc
	s_xor_b64 s[20:21], exec, s[20:21]
	s_cbranch_execz .LBB18_487
; %bb.467:
	s_movk_i32 s0, 0x80
	v_cmp_eq_u16_e32 vcc, s0, v2
	s_mov_b64 s[0:1], -1
	s_and_saveexec_b64 s[24:25], vcc
; %bb.468:
	s_xor_b64 s[0:1], exec, -1
; %bb.469:
	s_or_b64 exec, exec, s[24:25]
	s_and_b64 s[0:1], s[0:1], exec
	s_or_saveexec_b64 s[20:21], s[20:21]
	v_mov_b32_e32 v6, 0x7f800001
	s_xor_b64 exec, exec, s[20:21]
	s_cbranch_execnz .LBB18_488
.LBB18_470:
	s_or_b64 exec, exec, s[20:21]
	s_and_saveexec_b64 s[20:21], s[0:1]
	s_cbranch_execz .LBB18_472
.LBB18_471:
	v_lshlrev_b32_e32 v3, 24, v2
	v_and_b32_e32 v2, 0xffff, v2
	v_and_b32_e32 v4, 7, v2
	v_ffbh_u32_e32 v6, v4
	v_min_u32_e32 v6, 32, v6
	v_subrev_u32_e32 v7, 28, v6
	v_bfe_u32 v5, v2, 3, 4
	v_lshlrev_b32_e32 v2, v7, v2
	v_sub_u32_e32 v6, 29, v6
	v_and_b32_e32 v2, 7, v2
	v_cmp_eq_u32_e32 vcc, 0, v5
	v_cndmask_b32_e32 v5, v5, v6, vcc
	v_cndmask_b32_e32 v2, v4, v2, vcc
	v_mov_b32_e32 v4, 0x3b800000
	v_lshlrev_b32_e32 v2, 20, v2
	v_and_b32_e32 v3, 0x80000000, v3
	v_lshl_add_u32 v4, v5, 23, v4
	v_or3_b32 v6, v3, v4, v2
.LBB18_472:
	s_or_b64 exec, exec, s[20:21]
.LBB18_473:
	s_mov_b64 s[0:1], -1
.LBB18_474:
	s_mov_b64 s[20:21], 0
.LBB18_475:
	s_and_b64 vcc, exec, s[20:21]
	s_cbranch_vccz .LBB18_510
; %bb.476:
	s_cmp_gt_i32 s26, 22
	s_cbranch_scc0 .LBB18_486
; %bb.477:
	s_cmp_lt_i32 s26, 24
	s_cbranch_scc1 .LBB18_489
; %bb.478:
	s_cmp_gt_i32 s26, 24
	s_cbranch_scc0 .LBB18_490
; %bb.479:
	global_load_ubyte v2, v[0:1], off
	s_movk_i32 s0, 0x7f
	s_waitcnt vmcnt(0)
	v_cmp_lt_i16_e32 vcc, s0, v2
	s_mov_b64 s[0:1], 0
	s_and_saveexec_b64 s[20:21], vcc
	s_xor_b64 s[20:21], exec, s[20:21]
	s_cbranch_execz .LBB18_502
; %bb.480:
	s_movk_i32 s0, 0x80
	v_cmp_eq_u16_e32 vcc, s0, v2
	s_mov_b64 s[0:1], -1
	s_and_saveexec_b64 s[24:25], vcc
; %bb.481:
	s_xor_b64 s[0:1], exec, -1
; %bb.482:
	s_or_b64 exec, exec, s[24:25]
	s_and_b64 s[0:1], s[0:1], exec
	s_or_saveexec_b64 s[20:21], s[20:21]
	v_mov_b32_e32 v6, 0x7f800001
	s_xor_b64 exec, exec, s[20:21]
	s_cbranch_execnz .LBB18_503
.LBB18_483:
	s_or_b64 exec, exec, s[20:21]
	s_and_saveexec_b64 s[20:21], s[0:1]
	s_cbranch_execz .LBB18_485
.LBB18_484:
	v_lshlrev_b32_e32 v3, 24, v2
	v_and_b32_e32 v2, 0xffff, v2
	v_and_b32_e32 v4, 3, v2
	v_ffbh_u32_e32 v6, v4
	v_min_u32_e32 v6, 32, v6
	v_subrev_u32_e32 v7, 29, v6
	v_bfe_u32 v5, v2, 2, 5
	v_lshlrev_b32_e32 v2, v7, v2
	v_sub_u32_e32 v6, 30, v6
	v_and_b32_e32 v2, 3, v2
	v_cmp_eq_u32_e32 vcc, 0, v5
	v_cndmask_b32_e32 v5, v5, v6, vcc
	v_cndmask_b32_e32 v2, v4, v2, vcc
	v_mov_b32_e32 v4, 0x37800000
	v_lshlrev_b32_e32 v2, 21, v2
	v_and_b32_e32 v3, 0x80000000, v3
	v_lshl_add_u32 v4, v5, 23, v4
	v_or3_b32 v6, v3, v4, v2
.LBB18_485:
	s_or_b64 exec, exec, s[20:21]
	s_mov_b64 s[0:1], 0
	s_branch .LBB18_491
.LBB18_486:
	s_mov_b64 s[20:21], -1
                                        ; implicit-def: $vgpr6
	s_branch .LBB18_497
.LBB18_487:
	s_or_saveexec_b64 s[20:21], s[20:21]
	v_mov_b32_e32 v6, 0x7f800001
	s_xor_b64 exec, exec, s[20:21]
	s_cbranch_execz .LBB18_470
.LBB18_488:
	v_cmp_ne_u16_e32 vcc, 0, v2
	s_andn2_b64 s[0:1], s[0:1], exec
	s_and_b64 s[24:25], vcc, exec
	v_mov_b32_e32 v6, 0
	s_or_b64 s[0:1], s[0:1], s[24:25]
	s_or_b64 exec, exec, s[20:21]
	s_and_saveexec_b64 s[20:21], s[0:1]
	s_cbranch_execnz .LBB18_471
	s_branch .LBB18_472
.LBB18_489:
	s_mov_b64 s[0:1], -1
                                        ; implicit-def: $vgpr6
	s_branch .LBB18_494
.LBB18_490:
	s_mov_b64 s[0:1], -1
                                        ; implicit-def: $vgpr6
.LBB18_491:
	s_and_b64 vcc, exec, s[0:1]
	s_cbranch_vccz .LBB18_493
; %bb.492:
	global_load_ubyte v2, v[0:1], off
	s_mov_b32 s0, 0x7f800000
	s_waitcnt vmcnt(0)
	v_lshlrev_b32_e32 v2, 24, v2
	v_and_b32_e32 v3, 0x7f000000, v2
	v_ffbh_u32_e32 v4, v3
	v_min_u32_e32 v4, 32, v4
	v_sub_u32_e64 v4, v4, 4 clamp
	v_lshlrev_b32_e32 v6, v4, v3
	v_lshlrev_b32_e32 v4, 23, v4
	v_lshrrev_b32_e32 v6, 4, v6
	v_add_u32_e32 v5, 0x1000000, v3
	v_sub_u32_e32 v4, v6, v4
	v_ashrrev_i32_e32 v5, 8, v5
	v_add_u32_e32 v4, 0x3c000000, v4
	v_and_or_b32 v4, v5, s0, v4
	v_cmp_ne_u32_e32 vcc, 0, v3
	v_cndmask_b32_e32 v3, 0, v4, vcc
	s_brev_b32 s0, 1
	v_and_or_b32 v6, v2, s0, v3
.LBB18_493:
	s_mov_b64 s[0:1], 0
.LBB18_494:
	s_andn2_b64 vcc, exec, s[0:1]
	s_cbranch_vccnz .LBB18_496
; %bb.495:
	global_load_ubyte v2, v[0:1], off
	s_movk_i32 s0, 0x7f00
	s_brev_b32 s1, 16
	s_waitcnt vmcnt(0)
	v_lshlrev_b16_e32 v3, 8, v2
	v_lshlrev_b32_e32 v2, 25, v2
	v_lshrrev_b32_e32 v4, 4, v2
	v_and_or_b32 v5, v3, s0, 0.5
	v_or_b32_e32 v4, 0x70000000, v4
	v_add_f32_e32 v5, -0.5, v5
	v_mul_f32_e32 v4, 0x7800000, v4
	v_cmp_gt_u32_e32 vcc, s1, v2
	v_bfe_i32 v3, v3, 0, 16
	v_cndmask_b32_e32 v2, v4, v5, vcc
	s_brev_b32 s0, 1
	v_and_or_b32 v6, v3, s0, v2
.LBB18_496:
	s_mov_b64 s[20:21], 0
	s_mov_b64 s[0:1], -1
.LBB18_497:
	s_andn2_b64 vcc, exec, s[20:21]
	s_cbranch_vccnz .LBB18_510
; %bb.498:
	s_cmp_gt_i32 s26, 14
	s_cbranch_scc0 .LBB18_501
; %bb.499:
	s_cmp_eq_u32 s26, 15
	s_cbranch_scc0 .LBB18_504
; %bb.500:
	global_load_ushort v2, v[0:1], off
	s_mov_b64 s[0:1], -1
	s_mov_b64 s[18:19], 0
	s_waitcnt vmcnt(0)
	v_lshlrev_b32_e32 v6, 16, v2
	s_branch .LBB18_505
.LBB18_501:
	s_mov_b64 s[20:21], -1
                                        ; implicit-def: $vgpr6
	s_branch .LBB18_506
.LBB18_502:
	s_or_saveexec_b64 s[20:21], s[20:21]
	v_mov_b32_e32 v6, 0x7f800001
	s_xor_b64 exec, exec, s[20:21]
	s_cbranch_execz .LBB18_483
.LBB18_503:
	v_cmp_ne_u16_e32 vcc, 0, v2
	s_andn2_b64 s[0:1], s[0:1], exec
	s_and_b64 s[24:25], vcc, exec
	v_mov_b32_e32 v6, 0
	s_or_b64 s[0:1], s[0:1], s[24:25]
	s_or_b64 exec, exec, s[20:21]
	s_and_saveexec_b64 s[20:21], s[0:1]
	s_cbranch_execnz .LBB18_484
	s_branch .LBB18_485
.LBB18_504:
	s_mov_b64 s[18:19], -1
                                        ; implicit-def: $vgpr6
.LBB18_505:
	s_mov_b64 s[20:21], 0
.LBB18_506:
	s_and_b64 vcc, exec, s[20:21]
	s_cbranch_vccz .LBB18_510
; %bb.507:
	s_cmp_eq_u32 s26, 11
	s_cbranch_scc0 .LBB18_509
; %bb.508:
	global_load_ubyte v2, v[0:1], off
	s_mov_b64 s[0:1], -1
	s_mov_b64 s[18:19], 0
	s_waitcnt vmcnt(0)
	v_cmp_ne_u16_e32 vcc, 0, v2
	v_cndmask_b32_e64 v6, 0, 1.0, vcc
	s_branch .LBB18_510
.LBB18_509:
	s_mov_b64 s[18:19], -1
                                        ; implicit-def: $vgpr6
.LBB18_510:
	s_branch .LBB18_289
.LBB18_511:
	s_cmp_lt_i32 s26, 5
	s_cbranch_scc1 .LBB18_516
; %bb.512:
	s_cmp_lt_i32 s26, 8
	s_cbranch_scc1 .LBB18_517
; %bb.513:
	;; [unrolled: 3-line block ×3, first 2 shown]
	s_cmp_gt_i32 s26, 9
	s_cbranch_scc0 .LBB18_519
; %bb.515:
	global_load_dwordx2 v[2:3], v[0:1], off
	s_mov_b64 s[0:1], 0
	s_waitcnt vmcnt(0)
	v_cvt_f32_f64_e32 v6, v[2:3]
	s_branch .LBB18_520
.LBB18_516:
	s_mov_b64 s[0:1], -1
                                        ; implicit-def: $vgpr6
	s_branch .LBB18_538
.LBB18_517:
	s_mov_b64 s[0:1], -1
                                        ; implicit-def: $vgpr6
	s_branch .LBB18_526
.LBB18_518:
	s_mov_b64 s[0:1], -1
                                        ; implicit-def: $vgpr6
	s_branch .LBB18_523
.LBB18_519:
	s_mov_b64 s[0:1], -1
                                        ; implicit-def: $vgpr6
.LBB18_520:
	s_andn2_b64 vcc, exec, s[0:1]
	s_cbranch_vccnz .LBB18_522
; %bb.521:
	global_load_dword v6, v[0:1], off
.LBB18_522:
	s_mov_b64 s[0:1], 0
.LBB18_523:
	s_andn2_b64 vcc, exec, s[0:1]
	s_cbranch_vccnz .LBB18_525
; %bb.524:
	global_load_dword v2, v[0:1], off
	s_waitcnt vmcnt(0)
	v_cvt_f32_f16_e32 v6, v2
.LBB18_525:
	s_mov_b64 s[0:1], 0
.LBB18_526:
	s_andn2_b64 vcc, exec, s[0:1]
	s_cbranch_vccnz .LBB18_537
; %bb.527:
	s_cmp_lt_i32 s26, 6
	s_cbranch_scc1 .LBB18_530
; %bb.528:
	s_cmp_gt_i32 s26, 6
	s_cbranch_scc0 .LBB18_531
; %bb.529:
	global_load_dwordx2 v[2:3], v[0:1], off
	s_mov_b64 s[0:1], 0
	s_waitcnt vmcnt(0)
	v_cvt_f32_f64_e32 v6, v[2:3]
	s_branch .LBB18_532
.LBB18_530:
	s_mov_b64 s[0:1], -1
                                        ; implicit-def: $vgpr6
	s_branch .LBB18_535
.LBB18_531:
	s_mov_b64 s[0:1], -1
                                        ; implicit-def: $vgpr6
.LBB18_532:
	s_andn2_b64 vcc, exec, s[0:1]
	s_cbranch_vccnz .LBB18_534
; %bb.533:
	global_load_dword v6, v[0:1], off
.LBB18_534:
	s_mov_b64 s[0:1], 0
.LBB18_535:
	s_andn2_b64 vcc, exec, s[0:1]
	s_cbranch_vccnz .LBB18_537
; %bb.536:
	global_load_ushort v2, v[0:1], off
	s_waitcnt vmcnt(0)
	v_cvt_f32_f16_e32 v6, v2
.LBB18_537:
	s_mov_b64 s[0:1], 0
.LBB18_538:
	s_andn2_b64 vcc, exec, s[0:1]
	s_cbranch_vccnz .LBB18_558
; %bb.539:
	s_cmp_lt_i32 s26, 2
	s_cbranch_scc1 .LBB18_543
; %bb.540:
	s_cmp_lt_i32 s26, 3
	s_cbranch_scc1 .LBB18_544
; %bb.541:
	s_cmp_gt_i32 s26, 3
	s_cbranch_scc0 .LBB18_545
; %bb.542:
	global_load_dwordx2 v[2:3], v[0:1], off
	s_mov_b64 s[0:1], 0
	s_waitcnt vmcnt(0)
	v_xor_b32_e32 v5, v2, v3
	v_ffbh_i32_e32 v4, v3
	v_ashrrev_i32_e32 v5, 31, v5
	v_add_u32_e32 v4, -1, v4
	v_add_u32_e32 v5, 32, v5
	v_min_u32_e32 v4, v4, v5
	v_lshlrev_b64 v[2:3], v4, v[2:3]
	v_min_u32_e32 v2, 1, v2
	v_or_b32_e32 v2, v3, v2
	v_cvt_f32_i32_e32 v2, v2
	v_sub_u32_e32 v3, 32, v4
	v_ldexp_f32 v6, v2, v3
	s_branch .LBB18_546
.LBB18_543:
	s_mov_b64 s[0:1], -1
                                        ; implicit-def: $vgpr6
	s_branch .LBB18_552
.LBB18_544:
	s_mov_b64 s[0:1], -1
                                        ; implicit-def: $vgpr6
	s_branch .LBB18_549
.LBB18_545:
	s_mov_b64 s[0:1], -1
                                        ; implicit-def: $vgpr6
.LBB18_546:
	s_andn2_b64 vcc, exec, s[0:1]
	s_cbranch_vccnz .LBB18_548
; %bb.547:
	global_load_dword v2, v[0:1], off
	s_waitcnt vmcnt(0)
	v_cvt_f32_i32_e32 v6, v2
.LBB18_548:
	s_mov_b64 s[0:1], 0
.LBB18_549:
	s_andn2_b64 vcc, exec, s[0:1]
	s_cbranch_vccnz .LBB18_551
; %bb.550:
	global_load_sshort v2, v[0:1], off
	s_waitcnt vmcnt(0)
	v_cvt_f32_i32_e32 v6, v2
.LBB18_551:
	s_mov_b64 s[0:1], 0
.LBB18_552:
	s_andn2_b64 vcc, exec, s[0:1]
	s_cbranch_vccnz .LBB18_558
; %bb.553:
	s_cmp_gt_i32 s26, 0
	s_cbranch_scc0 .LBB18_555
; %bb.554:
	global_load_sbyte v2, v[0:1], off
	s_mov_b64 s[0:1], 0
	s_waitcnt vmcnt(0)
	v_cvt_f32_i32_e32 v6, v2
	s_branch .LBB18_556
.LBB18_555:
	s_mov_b64 s[0:1], -1
                                        ; implicit-def: $vgpr6
.LBB18_556:
	s_andn2_b64 vcc, exec, s[0:1]
	s_cbranch_vccnz .LBB18_558
; %bb.557:
	global_load_ubyte v0, v[0:1], off
	s_waitcnt vmcnt(0)
	v_cvt_f32_ubyte0_e32 v6, v0
.LBB18_558:
	s_branch .LBB18_290
.LBB18_559:
	s_mov_b64 s[24:25], 0
                                        ; implicit-def: $vgpr11
	s_mov_b64 s[0:1], s[6:7]
.LBB18_560:
	s_andn2_b64 s[20:21], s[6:7], exec
	s_and_b64 s[0:1], s[0:1], exec
	s_or_b64 s[20:21], s[20:21], s[0:1]
	s_andn2_b64 s[0:1], s[14:15], exec
	s_and_b64 s[18:19], s[18:19], exec
	s_or_b64 s[18:19], s[0:1], s[18:19]
	s_orn2_b64 s[0:1], s[24:25], exec
.LBB18_561:
	s_or_b64 exec, exec, s[22:23]
	s_mov_b64 s[24:25], 0
	s_mov_b64 s[26:27], 0
	;; [unrolled: 1-line block ×3, first 2 shown]
                                        ; implicit-def: $vgpr0_vgpr1
                                        ; implicit-def: $vgpr6
	s_and_saveexec_b64 s[22:23], s[0:1]
	s_cbranch_execz .LBB18_930
; %bb.562:
	v_cmp_gt_i32_e32 vcc, s40, v11
	s_mov_b64 s[34:35], -1
	s_mov_b64 s[0:1], s[18:19]
	s_mov_b64 s[28:29], s[20:21]
	s_and_saveexec_b64 s[24:25], vcc
	s_cbranch_execz .LBB18_844
; %bb.563:
	v_mul_lo_u32 v0, v11, s3
	v_mov_b32_e32 v1, s11
	s_and_b32 s34, 0xffff, s42
	s_cmp_lt_i32 s34, 11
	v_ashrrev_i32_e32 v2, 31, v0
	v_add_co_u32_e32 v0, vcc, s10, v0
	v_addc_co_u32_e32 v1, vcc, v1, v2, vcc
	s_cbranch_scc1 .LBB18_570
; %bb.564:
	s_cmp_gt_i32 s34, 25
	s_cbranch_scc0 .LBB18_571
; %bb.565:
	s_cmp_gt_i32 s34, 28
	s_cbranch_scc0 .LBB18_572
	;; [unrolled: 3-line block ×4, first 2 shown]
; %bb.568:
	s_cmp_eq_u32 s34, 46
	s_mov_b64 s[28:29], 0
	s_cbranch_scc0 .LBB18_579
; %bb.569:
	global_load_dword v2, v[0:1], off
	s_mov_b64 s[0:1], -1
	s_waitcnt vmcnt(0)
	v_lshlrev_b32_e32 v6, 16, v2
	s_branch .LBB18_580
.LBB18_570:
	s_mov_b64 s[28:29], -1
	s_mov_b64 s[0:1], 0
                                        ; implicit-def: $vgpr6
	s_mov_b64 s[26:27], s[18:19]
	s_branch .LBB18_645
.LBB18_571:
	s_mov_b64 s[28:29], -1
	s_mov_b64 s[0:1], 0
	s_mov_b64 s[26:27], s[18:19]
                                        ; implicit-def: $vgpr6
	s_branch .LBB18_609
.LBB18_572:
	s_mov_b64 s[28:29], -1
	s_mov_b64 s[0:1], 0
	s_mov_b64 s[26:27], s[18:19]
                                        ; implicit-def: $vgpr6
	s_branch .LBB18_590
.LBB18_573:
	s_mov_b64 s[28:29], -1
	s_mov_b64 s[0:1], 0
	s_mov_b64 s[26:27], s[18:19]
                                        ; implicit-def: $vgpr6
	s_branch .LBB18_585
.LBB18_574:
	s_andn2_saveexec_b64 s[26:27], s[26:27]
	s_cbranch_execz .LBB18_359
.LBB18_575:
	s_mov_b32 s30, 0x46000000
	v_add_f32_e64 v1, |v0|, s30
	v_and_b32_e32 v1, 0xff, v1
	v_cmp_ne_u32_e32 vcc, 0, v1
	s_andn2_b64 s[24:25], s[24:25], exec
	s_and_b64 s[30:31], vcc, exec
	s_or_b64 s[24:25], s[24:25], s[30:31]
	s_or_b64 exec, exec, s[26:27]
	v_mov_b32_e32 v4, 0
	s_and_saveexec_b64 s[26:27], s[24:25]
	s_cbranch_execnz .LBB18_360
	s_branch .LBB18_361
.LBB18_576:
	s_mov_b64 s[28:29], -1
	s_mov_b64 s[0:1], 0
	s_mov_b64 s[26:27], s[18:19]
                                        ; implicit-def: $vgpr6
	s_branch .LBB18_580
.LBB18_577:
	s_andn2_saveexec_b64 s[26:27], s[26:27]
	s_cbranch_execz .LBB18_372
.LBB18_578:
	s_mov_b32 s30, 0x42800000
	v_add_f32_e64 v1, |v0|, s30
	v_and_b32_e32 v1, 0xff, v1
	v_cmp_ne_u32_e32 vcc, 0, v1
	s_andn2_b64 s[24:25], s[24:25], exec
	s_and_b64 s[30:31], vcc, exec
	s_or_b64 s[24:25], s[24:25], s[30:31]
	s_or_b64 exec, exec, s[26:27]
	v_mov_b32_e32 v4, 0
	s_and_saveexec_b64 s[26:27], s[24:25]
	s_cbranch_execnz .LBB18_373
	s_branch .LBB18_374
.LBB18_579:
	s_mov_b64 s[26:27], -1
                                        ; implicit-def: $vgpr6
	s_mov_b64 s[0:1], 0
.LBB18_580:
	s_and_b64 vcc, exec, s[28:29]
	s_cbranch_vccz .LBB18_584
; %bb.581:
	s_cmp_eq_u32 s34, 44
	s_cbranch_scc0 .LBB18_583
; %bb.582:
	global_load_ubyte v2, v[0:1], off
	s_movk_i32 s26, 0xff
	v_mov_b32_e32 v3, 0x7f800001
	v_mov_b32_e32 v4, 0x400000
	s_mov_b64 s[0:1], -1
	s_waitcnt vmcnt(0)
	v_lshlrev_b32_e32 v5, 23, v2
	v_cmp_ne_u32_e32 vcc, s26, v2
	v_cndmask_b32_e32 v3, v3, v5, vcc
	v_cmp_ne_u32_e32 vcc, 0, v2
	v_cndmask_b32_e32 v6, v4, v3, vcc
	s_mov_b64 s[26:27], 0
	s_branch .LBB18_584
.LBB18_583:
	s_mov_b64 s[26:27], -1
                                        ; implicit-def: $vgpr6
.LBB18_584:
	s_mov_b64 s[28:29], 0
.LBB18_585:
	s_and_b64 vcc, exec, s[28:29]
	s_cbranch_vccz .LBB18_589
; %bb.586:
	s_cmp_eq_u32 s34, 29
	s_cbranch_scc0 .LBB18_588
; %bb.587:
	global_load_dwordx2 v[2:3], v[0:1], off
	s_mov_b64 s[0:1], -1
	s_mov_b64 s[26:27], 0
	s_mov_b64 s[28:29], 0
	s_waitcnt vmcnt(0)
	v_ffbh_u32_e32 v4, v3
	v_min_u32_e32 v4, 32, v4
	v_lshlrev_b64 v[2:3], v4, v[2:3]
	v_min_u32_e32 v2, 1, v2
	v_or_b32_e32 v2, v3, v2
	v_cvt_f32_u32_e32 v2, v2
	v_sub_u32_e32 v3, 32, v4
	v_ldexp_f32 v6, v2, v3
	s_branch .LBB18_590
.LBB18_588:
	s_mov_b64 s[26:27], -1
                                        ; implicit-def: $vgpr6
.LBB18_589:
	s_mov_b64 s[28:29], 0
.LBB18_590:
	s_and_b64 vcc, exec, s[28:29]
	s_cbranch_vccz .LBB18_608
; %bb.591:
	s_cmp_lt_i32 s34, 27
	s_cbranch_scc1 .LBB18_594
; %bb.592:
	s_cmp_gt_i32 s34, 27
	s_cbranch_scc0 .LBB18_595
; %bb.593:
	global_load_dword v2, v[0:1], off
	s_mov_b64 s[0:1], 0
	s_waitcnt vmcnt(0)
	v_cvt_f32_u32_e32 v6, v2
	s_branch .LBB18_596
.LBB18_594:
	s_mov_b64 s[0:1], -1
                                        ; implicit-def: $vgpr6
	s_branch .LBB18_599
.LBB18_595:
	s_mov_b64 s[0:1], -1
                                        ; implicit-def: $vgpr6
.LBB18_596:
	s_andn2_b64 vcc, exec, s[0:1]
	s_cbranch_vccnz .LBB18_598
; %bb.597:
	global_load_ushort v2, v[0:1], off
	s_waitcnt vmcnt(0)
	v_cvt_f32_u32_e32 v6, v2
.LBB18_598:
	s_mov_b64 s[0:1], 0
.LBB18_599:
	s_andn2_b64 vcc, exec, s[0:1]
	s_cbranch_vccnz .LBB18_607
; %bb.600:
	global_load_ubyte v2, v[0:1], off
	s_movk_i32 s0, 0x7f
	s_waitcnt vmcnt(0)
	v_cmp_lt_i16_e32 vcc, s0, v2
	s_mov_b64 s[0:1], 0
	s_and_saveexec_b64 s[28:29], vcc
	s_xor_b64 s[28:29], exec, s[28:29]
	s_cbranch_execz .LBB18_621
; %bb.601:
	s_movk_i32 s0, 0x80
	v_cmp_eq_u16_e32 vcc, s0, v2
	s_mov_b64 s[0:1], -1
	s_and_saveexec_b64 s[30:31], vcc
; %bb.602:
	s_xor_b64 s[0:1], exec, -1
; %bb.603:
	s_or_b64 exec, exec, s[30:31]
	s_and_b64 s[0:1], s[0:1], exec
	s_or_saveexec_b64 s[28:29], s[28:29]
	v_mov_b32_e32 v6, 0x7f800001
	s_xor_b64 exec, exec, s[28:29]
	s_cbranch_execnz .LBB18_622
.LBB18_604:
	s_or_b64 exec, exec, s[28:29]
	s_and_saveexec_b64 s[28:29], s[0:1]
	s_cbranch_execz .LBB18_606
.LBB18_605:
	v_lshlrev_b32_e32 v3, 24, v2
	v_and_b32_e32 v2, 0xffff, v2
	v_and_b32_e32 v4, 7, v2
	v_ffbh_u32_e32 v6, v4
	v_min_u32_e32 v6, 32, v6
	v_subrev_u32_e32 v7, 28, v6
	v_bfe_u32 v5, v2, 3, 4
	v_lshlrev_b32_e32 v2, v7, v2
	v_sub_u32_e32 v6, 29, v6
	v_and_b32_e32 v2, 7, v2
	v_cmp_eq_u32_e32 vcc, 0, v5
	v_cndmask_b32_e32 v5, v5, v6, vcc
	v_cndmask_b32_e32 v2, v4, v2, vcc
	v_mov_b32_e32 v4, 0x3b800000
	v_lshlrev_b32_e32 v2, 20, v2
	v_and_b32_e32 v3, 0x80000000, v3
	v_lshl_add_u32 v4, v5, 23, v4
	v_or3_b32 v6, v3, v4, v2
.LBB18_606:
	s_or_b64 exec, exec, s[28:29]
.LBB18_607:
	s_mov_b64 s[0:1], -1
.LBB18_608:
	s_mov_b64 s[28:29], 0
.LBB18_609:
	s_and_b64 vcc, exec, s[28:29]
	s_cbranch_vccz .LBB18_644
; %bb.610:
	s_cmp_gt_i32 s34, 22
	s_cbranch_scc0 .LBB18_620
; %bb.611:
	s_cmp_lt_i32 s34, 24
	s_cbranch_scc1 .LBB18_623
; %bb.612:
	s_cmp_gt_i32 s34, 24
	s_cbranch_scc0 .LBB18_624
; %bb.613:
	global_load_ubyte v2, v[0:1], off
	s_movk_i32 s0, 0x7f
	s_waitcnt vmcnt(0)
	v_cmp_lt_i16_e32 vcc, s0, v2
	s_mov_b64 s[0:1], 0
	s_and_saveexec_b64 s[28:29], vcc
	s_xor_b64 s[28:29], exec, s[28:29]
	s_cbranch_execz .LBB18_636
; %bb.614:
	s_movk_i32 s0, 0x80
	v_cmp_eq_u16_e32 vcc, s0, v2
	s_mov_b64 s[0:1], -1
	s_and_saveexec_b64 s[30:31], vcc
; %bb.615:
	s_xor_b64 s[0:1], exec, -1
; %bb.616:
	s_or_b64 exec, exec, s[30:31]
	s_and_b64 s[0:1], s[0:1], exec
	s_or_saveexec_b64 s[28:29], s[28:29]
	v_mov_b32_e32 v6, 0x7f800001
	s_xor_b64 exec, exec, s[28:29]
	s_cbranch_execnz .LBB18_637
.LBB18_617:
	s_or_b64 exec, exec, s[28:29]
	s_and_saveexec_b64 s[28:29], s[0:1]
	s_cbranch_execz .LBB18_619
.LBB18_618:
	v_lshlrev_b32_e32 v3, 24, v2
	v_and_b32_e32 v2, 0xffff, v2
	v_and_b32_e32 v4, 3, v2
	v_ffbh_u32_e32 v6, v4
	v_min_u32_e32 v6, 32, v6
	v_subrev_u32_e32 v7, 29, v6
	v_bfe_u32 v5, v2, 2, 5
	v_lshlrev_b32_e32 v2, v7, v2
	v_sub_u32_e32 v6, 30, v6
	v_and_b32_e32 v2, 3, v2
	v_cmp_eq_u32_e32 vcc, 0, v5
	v_cndmask_b32_e32 v5, v5, v6, vcc
	v_cndmask_b32_e32 v2, v4, v2, vcc
	v_mov_b32_e32 v4, 0x37800000
	v_lshlrev_b32_e32 v2, 21, v2
	v_and_b32_e32 v3, 0x80000000, v3
	v_lshl_add_u32 v4, v5, 23, v4
	v_or3_b32 v6, v3, v4, v2
.LBB18_619:
	s_or_b64 exec, exec, s[28:29]
	s_mov_b64 s[0:1], 0
	s_branch .LBB18_625
.LBB18_620:
	s_mov_b64 s[28:29], -1
                                        ; implicit-def: $vgpr6
	s_branch .LBB18_631
.LBB18_621:
	s_or_saveexec_b64 s[28:29], s[28:29]
	v_mov_b32_e32 v6, 0x7f800001
	s_xor_b64 exec, exec, s[28:29]
	s_cbranch_execz .LBB18_604
.LBB18_622:
	v_cmp_ne_u16_e32 vcc, 0, v2
	s_andn2_b64 s[0:1], s[0:1], exec
	s_and_b64 s[30:31], vcc, exec
	v_mov_b32_e32 v6, 0
	s_or_b64 s[0:1], s[0:1], s[30:31]
	s_or_b64 exec, exec, s[28:29]
	s_and_saveexec_b64 s[28:29], s[0:1]
	s_cbranch_execnz .LBB18_605
	s_branch .LBB18_606
.LBB18_623:
	s_mov_b64 s[0:1], -1
                                        ; implicit-def: $vgpr6
	s_branch .LBB18_628
.LBB18_624:
	s_mov_b64 s[0:1], -1
                                        ; implicit-def: $vgpr6
.LBB18_625:
	s_and_b64 vcc, exec, s[0:1]
	s_cbranch_vccz .LBB18_627
; %bb.626:
	global_load_ubyte v2, v[0:1], off
	s_mov_b32 s0, 0x7f800000
	s_waitcnt vmcnt(0)
	v_lshlrev_b32_e32 v2, 24, v2
	v_and_b32_e32 v3, 0x7f000000, v2
	v_ffbh_u32_e32 v4, v3
	v_min_u32_e32 v4, 32, v4
	v_sub_u32_e64 v4, v4, 4 clamp
	v_lshlrev_b32_e32 v6, v4, v3
	v_lshlrev_b32_e32 v4, 23, v4
	v_lshrrev_b32_e32 v6, 4, v6
	v_add_u32_e32 v5, 0x1000000, v3
	v_sub_u32_e32 v4, v6, v4
	v_ashrrev_i32_e32 v5, 8, v5
	v_add_u32_e32 v4, 0x3c000000, v4
	v_and_or_b32 v4, v5, s0, v4
	v_cmp_ne_u32_e32 vcc, 0, v3
	v_cndmask_b32_e32 v3, 0, v4, vcc
	s_brev_b32 s0, 1
	v_and_or_b32 v6, v2, s0, v3
.LBB18_627:
	s_mov_b64 s[0:1], 0
.LBB18_628:
	s_andn2_b64 vcc, exec, s[0:1]
	s_cbranch_vccnz .LBB18_630
; %bb.629:
	global_load_ubyte v2, v[0:1], off
	s_movk_i32 s0, 0x7f00
	s_brev_b32 s1, 16
	s_waitcnt vmcnt(0)
	v_lshlrev_b16_e32 v3, 8, v2
	v_lshlrev_b32_e32 v2, 25, v2
	v_lshrrev_b32_e32 v4, 4, v2
	v_and_or_b32 v5, v3, s0, 0.5
	v_or_b32_e32 v4, 0x70000000, v4
	v_add_f32_e32 v5, -0.5, v5
	v_mul_f32_e32 v4, 0x7800000, v4
	v_cmp_gt_u32_e32 vcc, s1, v2
	v_bfe_i32 v3, v3, 0, 16
	v_cndmask_b32_e32 v2, v4, v5, vcc
	s_brev_b32 s0, 1
	v_and_or_b32 v6, v3, s0, v2
.LBB18_630:
	s_mov_b64 s[28:29], 0
	s_mov_b64 s[0:1], -1
.LBB18_631:
	s_andn2_b64 vcc, exec, s[28:29]
	s_cbranch_vccnz .LBB18_644
; %bb.632:
	s_cmp_gt_i32 s34, 14
	s_cbranch_scc0 .LBB18_635
; %bb.633:
	s_cmp_eq_u32 s34, 15
	s_cbranch_scc0 .LBB18_638
; %bb.634:
	global_load_ushort v2, v[0:1], off
	s_mov_b64 s[0:1], -1
	s_mov_b64 s[26:27], 0
	s_waitcnt vmcnt(0)
	v_lshlrev_b32_e32 v6, 16, v2
	s_branch .LBB18_639
.LBB18_635:
	s_mov_b64 s[28:29], -1
                                        ; implicit-def: $vgpr6
	s_branch .LBB18_640
.LBB18_636:
	s_or_saveexec_b64 s[28:29], s[28:29]
	v_mov_b32_e32 v6, 0x7f800001
	s_xor_b64 exec, exec, s[28:29]
	s_cbranch_execz .LBB18_617
.LBB18_637:
	v_cmp_ne_u16_e32 vcc, 0, v2
	s_andn2_b64 s[0:1], s[0:1], exec
	s_and_b64 s[30:31], vcc, exec
	v_mov_b32_e32 v6, 0
	s_or_b64 s[0:1], s[0:1], s[30:31]
	s_or_b64 exec, exec, s[28:29]
	s_and_saveexec_b64 s[28:29], s[0:1]
	s_cbranch_execnz .LBB18_618
	s_branch .LBB18_619
.LBB18_638:
	s_mov_b64 s[26:27], -1
                                        ; implicit-def: $vgpr6
.LBB18_639:
	s_mov_b64 s[28:29], 0
.LBB18_640:
	s_and_b64 vcc, exec, s[28:29]
	s_cbranch_vccz .LBB18_644
; %bb.641:
	s_cmp_eq_u32 s34, 11
	s_cbranch_scc0 .LBB18_643
; %bb.642:
	global_load_ubyte v2, v[0:1], off
	s_mov_b64 s[0:1], -1
	s_mov_b64 s[26:27], 0
	s_waitcnt vmcnt(0)
	v_cmp_ne_u16_e32 vcc, 0, v2
	v_cndmask_b32_e64 v6, 0, 1.0, vcc
	s_branch .LBB18_644
.LBB18_643:
	s_mov_b64 s[26:27], -1
                                        ; implicit-def: $vgpr6
.LBB18_644:
	s_mov_b64 s[28:29], 0
.LBB18_645:
	s_and_b64 vcc, exec, s[28:29]
	s_cbranch_vccz .LBB18_694
; %bb.646:
	s_cmp_lt_i32 s34, 5
	s_cbranch_scc1 .LBB18_651
; %bb.647:
	s_cmp_lt_i32 s34, 8
	s_cbranch_scc1 .LBB18_652
	;; [unrolled: 3-line block ×3, first 2 shown]
; %bb.649:
	s_cmp_gt_i32 s34, 9
	s_cbranch_scc0 .LBB18_654
; %bb.650:
	global_load_dwordx2 v[2:3], v[0:1], off
	s_mov_b64 s[0:1], 0
	s_waitcnt vmcnt(0)
	v_cvt_f32_f64_e32 v6, v[2:3]
	s_branch .LBB18_655
.LBB18_651:
	s_mov_b64 s[0:1], -1
                                        ; implicit-def: $vgpr6
	s_branch .LBB18_673
.LBB18_652:
	s_mov_b64 s[0:1], -1
                                        ; implicit-def: $vgpr6
	s_branch .LBB18_661
.LBB18_653:
	s_mov_b64 s[0:1], -1
                                        ; implicit-def: $vgpr6
	s_branch .LBB18_658
.LBB18_654:
	s_mov_b64 s[0:1], -1
                                        ; implicit-def: $vgpr6
.LBB18_655:
	s_andn2_b64 vcc, exec, s[0:1]
	s_cbranch_vccnz .LBB18_657
; %bb.656:
	global_load_dword v6, v[0:1], off
.LBB18_657:
	s_mov_b64 s[0:1], 0
.LBB18_658:
	s_andn2_b64 vcc, exec, s[0:1]
	s_cbranch_vccnz .LBB18_660
; %bb.659:
	global_load_dword v2, v[0:1], off
	s_waitcnt vmcnt(0)
	v_cvt_f32_f16_e32 v6, v2
.LBB18_660:
	s_mov_b64 s[0:1], 0
.LBB18_661:
	s_andn2_b64 vcc, exec, s[0:1]
	s_cbranch_vccnz .LBB18_672
; %bb.662:
	s_cmp_lt_i32 s34, 6
	s_cbranch_scc1 .LBB18_665
; %bb.663:
	s_cmp_gt_i32 s34, 6
	s_cbranch_scc0 .LBB18_666
; %bb.664:
	global_load_dwordx2 v[2:3], v[0:1], off
	s_mov_b64 s[0:1], 0
	s_waitcnt vmcnt(0)
	v_cvt_f32_f64_e32 v6, v[2:3]
	s_branch .LBB18_667
.LBB18_665:
	s_mov_b64 s[0:1], -1
                                        ; implicit-def: $vgpr6
	s_branch .LBB18_670
.LBB18_666:
	s_mov_b64 s[0:1], -1
                                        ; implicit-def: $vgpr6
.LBB18_667:
	s_andn2_b64 vcc, exec, s[0:1]
	s_cbranch_vccnz .LBB18_669
; %bb.668:
	global_load_dword v6, v[0:1], off
.LBB18_669:
	s_mov_b64 s[0:1], 0
.LBB18_670:
	s_andn2_b64 vcc, exec, s[0:1]
	s_cbranch_vccnz .LBB18_672
; %bb.671:
	global_load_ushort v2, v[0:1], off
	s_waitcnt vmcnt(0)
	v_cvt_f32_f16_e32 v6, v2
.LBB18_672:
	s_mov_b64 s[0:1], 0
.LBB18_673:
	s_andn2_b64 vcc, exec, s[0:1]
	s_cbranch_vccnz .LBB18_693
; %bb.674:
	s_cmp_lt_i32 s34, 2
	s_cbranch_scc1 .LBB18_678
; %bb.675:
	s_cmp_lt_i32 s34, 3
	s_cbranch_scc1 .LBB18_679
; %bb.676:
	s_cmp_gt_i32 s34, 3
	s_cbranch_scc0 .LBB18_680
; %bb.677:
	global_load_dwordx2 v[2:3], v[0:1], off
	s_mov_b64 s[0:1], 0
	s_waitcnt vmcnt(0)
	v_xor_b32_e32 v5, v2, v3
	v_ffbh_i32_e32 v4, v3
	v_ashrrev_i32_e32 v5, 31, v5
	v_add_u32_e32 v4, -1, v4
	v_add_u32_e32 v5, 32, v5
	v_min_u32_e32 v4, v4, v5
	v_lshlrev_b64 v[2:3], v4, v[2:3]
	v_min_u32_e32 v2, 1, v2
	v_or_b32_e32 v2, v3, v2
	v_cvt_f32_i32_e32 v2, v2
	v_sub_u32_e32 v3, 32, v4
	v_ldexp_f32 v6, v2, v3
	s_branch .LBB18_681
.LBB18_678:
	s_mov_b64 s[0:1], -1
                                        ; implicit-def: $vgpr6
	s_branch .LBB18_687
.LBB18_679:
	s_mov_b64 s[0:1], -1
                                        ; implicit-def: $vgpr6
	s_branch .LBB18_684
.LBB18_680:
	s_mov_b64 s[0:1], -1
                                        ; implicit-def: $vgpr6
.LBB18_681:
	s_andn2_b64 vcc, exec, s[0:1]
	s_cbranch_vccnz .LBB18_683
; %bb.682:
	global_load_dword v2, v[0:1], off
	s_waitcnt vmcnt(0)
	v_cvt_f32_i32_e32 v6, v2
.LBB18_683:
	s_mov_b64 s[0:1], 0
.LBB18_684:
	s_andn2_b64 vcc, exec, s[0:1]
	s_cbranch_vccnz .LBB18_686
; %bb.685:
	global_load_sshort v2, v[0:1], off
	s_waitcnt vmcnt(0)
	v_cvt_f32_i32_e32 v6, v2
.LBB18_686:
	s_mov_b64 s[0:1], 0
.LBB18_687:
	s_andn2_b64 vcc, exec, s[0:1]
	s_cbranch_vccnz .LBB18_693
; %bb.688:
	s_cmp_gt_i32 s34, 0
	s_cbranch_scc0 .LBB18_690
; %bb.689:
	global_load_sbyte v2, v[0:1], off
	s_mov_b64 s[0:1], 0
	s_waitcnt vmcnt(0)
	v_cvt_f32_i32_e32 v6, v2
	s_branch .LBB18_691
.LBB18_690:
	s_mov_b64 s[0:1], -1
                                        ; implicit-def: $vgpr6
.LBB18_691:
	s_andn2_b64 vcc, exec, s[0:1]
	s_cbranch_vccnz .LBB18_693
; %bb.692:
	global_load_ubyte v0, v[0:1], off
	s_waitcnt vmcnt(0)
	v_cvt_f32_ubyte0_e32 v6, v0
.LBB18_693:
	s_mov_b64 s[0:1], -1
.LBB18_694:
	s_andn2_b64 vcc, exec, s[0:1]
	s_cbranch_vccnz .LBB18_726
; %bb.695:
	s_waitcnt vmcnt(0)
	v_cmp_neq_f32_e32 vcc, 0, v6
                                        ; implicit-def: $vgpr0
	s_and_saveexec_b64 s[0:1], vcc
	s_xor_b64 s[28:29], exec, s[0:1]
	s_cbranch_execz .LBB18_717
; %bb.696:
	v_mov_b32_e32 v1, 0
	v_cmp_gt_f32_e32 vcc, 0, v6
	s_mov_b64 s[0:1], -1
	s_and_saveexec_b64 s[30:31], vcc
	s_cbranch_execz .LBB18_704
; %bb.697:
	v_trunc_f32_e32 v0, v6
	v_cmp_neq_f32_e32 vcc, v6, v0
	s_mov_b64 s[36:37], 0
	v_mov_b32_e32 v1, 0
	s_and_saveexec_b64 s[34:35], vcc
	s_cbranch_execz .LBB18_703
; %bb.698:
	v_cvt_f64_f32_e32 v[0:1], v6
	s_mov_b32 s38, 0
	s_mov_b32 s1, 0xc00921fb
	;; [unrolled: 1-line block ×3, first 2 shown]
	v_trunc_f64_e32 v[2:3], v[0:1]
	s_mov_b32 s39, 0x7ff00000
	v_cmp_neq_f64_e64 vcc, |v[0:1]|, s[38:39]
	v_bfrev_b32_e32 v4, 1
	s_mov_b32 s36, 0
	s_mov_b32 s37, 0x41d00000
                                        ; implicit-def: $vgpr7
	v_add_f64 v[2:3], v[0:1], -v[2:3]
	v_mul_f64 v[2:3], |v[2:3]|, s[0:1]
	v_cndmask_b32_e32 v1, v4, v3, vcc
	v_cndmask_b32_e32 v0, 0, v2, vcc
	v_cmp_nlt_f64_e64 s[36:37], |v[0:1]|, s[36:37]
                                        ; implicit-def: $vgpr2_vgpr3
                                        ; implicit-def: $vgpr4_vgpr5
	s_and_saveexec_b64 s[44:45], s[36:37]
	s_xor_b64 s[36:37], exec, s[44:45]
	s_cbranch_execz .LBB18_700
; %bb.699:
	v_trig_preop_f64 v[4:5], |v[0:1]|, 0
	s_mov_b32 s44, 0
	s_mov_b32 s45, 0x7b000000
	s_movk_i32 s1, 0xff80
	v_ldexp_f64 v[2:3], |v[0:1]|, s1
	v_cmp_ge_f64_e64 vcc, |v[0:1]|, s[44:45]
	v_trig_preop_f64 v[7:8], |v[0:1]|, 1
	v_and_b32_e32 v9, 0x7fffffff, v1
	v_trig_preop_f64 v[16:17], |v[0:1]|, 2
	v_mov_b32_e32 v27, 0x40100000
	v_mov_b32_e32 v26, 0
	s_mov_b32 s1, 0x3ff921fb
	v_cndmask_b32_e32 v3, v9, v3, vcc
	v_cndmask_b32_e32 v2, v0, v2, vcc
	v_mul_f64 v[9:10], v[4:5], v[2:3]
	v_mul_f64 v[12:13], v[7:8], v[2:3]
	;; [unrolled: 1-line block ×3, first 2 shown]
	v_fma_f64 v[4:5], v[4:5], v[2:3], -v[9:10]
	v_fma_f64 v[7:8], v[7:8], v[2:3], -v[12:13]
	;; [unrolled: 1-line block ×3, first 2 shown]
	v_add_f64 v[14:15], v[12:13], v[4:5]
	v_add_f64 v[18:19], v[14:15], -v[12:13]
	v_add_f64 v[24:25], v[9:10], v[14:15]
	v_add_f64 v[20:21], v[14:15], -v[18:19]
	v_add_f64 v[4:5], v[4:5], -v[18:19]
	v_add_f64 v[18:19], v[22:23], v[7:8]
	v_add_f64 v[9:10], v[24:25], -v[9:10]
	v_add_f64 v[12:13], v[12:13], -v[20:21]
	v_ldexp_f64 v[20:21], v[24:25], -2
	v_add_f64 v[28:29], v[18:19], -v[22:23]
	v_add_f64 v[9:10], v[14:15], -v[9:10]
	v_add_f64 v[4:5], v[4:5], v[12:13]
	v_fract_f64_e32 v[12:13], v[20:21]
	v_cmp_neq_f64_e64 vcc, |v[20:21]|, s[38:39]
	v_add_f64 v[7:8], v[7:8], -v[28:29]
	s_mov_b32 s38, 0x33145c07
	s_mov_b32 s39, 0x3c91a626
	v_add_f64 v[14:15], v[18:19], v[4:5]
	v_ldexp_f64 v[12:13], v[12:13], 2
	v_add_f64 v[20:21], v[9:10], v[14:15]
	v_cndmask_b32_e32 v13, 0, v13, vcc
	v_cndmask_b32_e32 v12, 0, v12, vcc
	v_add_f64 v[30:31], v[14:15], -v[18:19]
	v_add_f64 v[24:25], v[20:21], v[12:13]
	v_add_f64 v[9:10], v[20:21], -v[9:10]
	v_add_f64 v[32:33], v[14:15], -v[30:31]
	;; [unrolled: 1-line block ×3, first 2 shown]
	v_cmp_gt_f64_e32 vcc, 0, v[24:25]
	v_add_f64 v[24:25], v[18:19], -v[28:29]
	v_add_f64 v[9:10], v[14:15], -v[9:10]
	;; [unrolled: 1-line block ×3, first 2 shown]
	v_cndmask_b32_e32 v27, 0, v27, vcc
	v_add_f64 v[12:13], v[12:13], v[26:27]
	v_add_f64 v[24:25], v[22:23], -v[24:25]
	v_add_f64 v[4:5], v[4:5], v[18:19]
	v_add_f64 v[34:35], v[20:21], v[12:13]
	;; [unrolled: 1-line block ×3, first 2 shown]
	v_cvt_i32_f64_e32 v29, v[34:35]
	v_add_f64 v[4:5], v[7:8], v[4:5]
	v_cvt_f64_i32_e32 v[27:28], v29
	v_add_f64 v[12:13], v[12:13], -v[27:28]
	v_add_f64 v[2:3], v[2:3], v[4:5]
	v_add_f64 v[7:8], v[20:21], v[12:13]
	;; [unrolled: 1-line block ×3, first 2 shown]
	v_mov_b32_e32 v9, 0x3ff00000
	v_add_f64 v[4:5], v[7:8], -v[12:13]
	v_cmp_le_f64_e32 vcc, 0.5, v[7:8]
	v_add_f64 v[4:5], v[20:21], -v[4:5]
	v_cndmask_b32_e32 v27, 0, v9, vcc
	v_add_f64 v[2:3], v[2:3], v[4:5]
	v_add_f64 v[4:5], v[7:8], -v[26:27]
	v_add_f64 v[7:8], v[4:5], v[2:3]
	v_mul_f64 v[9:10], v[7:8], s[0:1]
	v_add_f64 v[4:5], v[7:8], -v[4:5]
	v_fma_f64 v[12:13], v[7:8], s[0:1], -v[9:10]
	v_add_f64 v[2:3], v[2:3], -v[4:5]
	v_fma_f64 v[4:5], v[7:8], s[38:39], v[12:13]
	v_fma_f64 v[4:5], v[2:3], s[0:1], v[4:5]
	v_add_f64 v[2:3], v[9:10], v[4:5]
	v_add_f64 v[7:8], v[2:3], -v[9:10]
	v_add_f64 v[4:5], v[4:5], -v[7:8]
	v_addc_co_u32_e32 v7, vcc, 0, v29, vcc
.LBB18_700:
	s_andn2_saveexec_b64 s[0:1], s[36:37]
	s_cbranch_execz .LBB18_702
; %bb.701:
	s_mov_b32 s36, 0x6dc9c883
	s_mov_b32 s37, 0x3fe45f30
	v_mul_f64 v[2:3], |v[0:1]|, s[36:37]
	s_mov_b32 s36, 0x54442d18
	s_mov_b32 s37, 0xbff921fb
	;; [unrolled: 1-line block ×4, first 2 shown]
	v_rndne_f64_e32 v[7:8], v[2:3]
	v_fma_f64 v[2:3], v[7:8], s[36:37], |v[0:1]|
	v_mul_f64 v[4:5], v[7:8], s[38:39]
	s_mov_b32 s36, 0x252049c0
	s_mov_b32 s37, 0xb97b839a
	v_fma_f64 v[14:15], v[7:8], s[38:39], v[2:3]
	v_add_f64 v[9:10], v[2:3], v[4:5]
	s_mov_b32 s39, 0x3c91a626
	v_add_f64 v[12:13], v[2:3], -v[9:10]
	v_add_f64 v[9:10], v[9:10], -v[14:15]
	v_add_f64 v[2:3], v[12:13], v[4:5]
	v_fma_f64 v[4:5], v[7:8], s[38:39], v[4:5]
	v_add_f64 v[2:3], v[9:10], v[2:3]
	v_add_f64 v[2:3], v[2:3], -v[4:5]
	v_fma_f64 v[4:5], v[7:8], s[36:37], v[2:3]
	v_cvt_i32_f64_e32 v7, v[7:8]
	v_add_f64 v[2:3], v[14:15], v[4:5]
	v_add_f64 v[9:10], v[2:3], -v[14:15]
	v_add_f64 v[4:5], v[4:5], -v[9:10]
.LBB18_702:
	s_or_b64 exec, exec, s[0:1]
	v_mul_f64 v[8:9], v[2:3], v[2:3]
	v_add_f64 v[12:13], v[4:5], v[4:5]
	s_mov_b32 s0, 0xc751c08c
	s_mov_b32 s1, 0x3ef5e089
	v_and_b32_e32 v7, 1, v7
	v_cmp_eq_u32_e32 vcc, 0, v7
	s_mov_b32 s38, 0x54442d18
	s_mov_b32 s39, 0xc00921fb
	v_fma_f64 v[14:15], v[2:3], v[2:3], -v[8:9]
	s_mov_b64 s[36:37], exec
	v_sub_f32_e32 v6, 1.0, v6
	v_fma_f64 v[12:13], v[2:3], v[12:13], v[14:15]
	v_add_f64 v[8:9], v[8:9], v[12:13]
	v_mov_b32_e32 v12, 0xa9a29f71
	v_mov_b32_e32 v13, 0xbf078809
	v_fma_f64 v[12:13], v[8:9], s[0:1], v[12:13]
	s_mov_b32 s0, 0x90a8aae0
	s_mov_b32 s1, 0x3f17746f
	v_fma_f64 v[12:13], v[8:9], v[12:13], s[0:1]
	s_mov_b32 s0, 0xa6fbf144
	s_mov_b32 s1, 0xbefbb44d
	v_fma_f64 v[12:13], v[8:9], v[12:13], s[0:1]
	s_mov_b32 s0, 0xa7943acf
	s_mov_b32 s1, 0x3f21e634
	v_fma_f64 v[12:13], v[8:9], v[12:13], s[0:1]
	s_mov_b32 s0, 0xdeb68feb
	s_mov_b32 s1, 0x3f2d250f
	v_fma_f64 v[12:13], v[8:9], v[12:13], s[0:1]
	s_mov_b32 s0, 0xb58c4d95
	s_mov_b32 s1, 0x3f437fd9
	v_fma_f64 v[12:13], v[8:9], v[12:13], s[0:1]
	s_mov_b32 s0, 0x15120e2c
	s_mov_b32 s1, 0x3f57d5af
	v_fma_f64 v[12:13], v[8:9], v[12:13], s[0:1]
	s_mov_b32 s0, 0xe09491df
	s_mov_b32 s1, 0x3f6d6d93
	v_fma_f64 v[12:13], v[8:9], v[12:13], s[0:1]
	s_mov_b32 s0, 0x2033784d
	s_mov_b32 s1, 0x3f8226e1
	v_fma_f64 v[12:13], v[8:9], v[12:13], s[0:1]
	s_mov_b32 s0, 0x9ac36ae2
	s_mov_b32 s1, 0x3f9664f4
	v_fma_f64 v[12:13], v[8:9], v[12:13], s[0:1]
	s_mov_b32 s0, 0x1b451c21
	s_mov_b32 s1, 0x3faba1ba
	v_fma_f64 v[12:13], v[8:9], v[12:13], s[0:1]
	s_mov_b32 s0, 0x111185b7
	s_mov_b32 s1, 0x3fc11111
	v_fma_f64 v[12:13], v[8:9], v[12:13], s[0:1]
	s_mov_b32 s0, 0x555554ee
	s_mov_b32 s1, 0x3fd55555
	v_fma_f64 v[12:13], v[8:9], v[12:13], s[0:1]
	s_movk_i32 s0, 0x1f8
	v_cmp_class_f64_e64 s[0:1], v[0:1], s0
	v_mul_f64 v[8:9], v[8:9], v[12:13]
	v_mul_f64 v[12:13], v[2:3], v[8:9]
	v_add_f64 v[14:15], v[2:3], v[12:13]
	v_fma_f64 v[8:9], v[2:3], v[8:9], -v[12:13]
	v_add_f64 v[2:3], v[14:15], -v[2:3]
	v_add_f64 v[4:5], v[4:5], v[8:9]
	v_add_f64 v[2:3], v[12:13], -v[2:3]
	v_add_f64 v[2:3], v[4:5], v[2:3]
	v_add_f64 v[4:5], v[14:15], v[2:3]
	v_rcp_f64_e32 v[8:9], v[4:5]
	v_fma_f64 v[12:13], -v[4:5], v[8:9], 1.0
	v_fma_f64 v[8:9], v[12:13], v[8:9], v[8:9]
	v_fma_f64 v[12:13], -v[4:5], v[8:9], 1.0
	v_fma_f64 v[8:9], v[12:13], v[8:9], v[8:9]
	v_add_f64 v[12:13], v[4:5], -v[14:15]
	v_mul_f64 v[14:15], v[4:5], v[8:9]
	v_add_f64 v[2:3], v[2:3], -v[12:13]
	v_fma_f64 v[12:13], v[8:9], v[4:5], -v[14:15]
	v_fma_f64 v[2:3], v[8:9], v[2:3], v[12:13]
	v_add_f64 v[12:13], v[14:15], v[2:3]
	v_add_f64 v[16:17], -v[12:13], 1.0
	v_add_f64 v[14:15], v[12:13], -v[14:15]
	v_add_f64 v[18:19], -v[16:17], 1.0
	v_add_f64 v[2:3], v[14:15], -v[2:3]
	v_add_f64 v[12:13], v[18:19], -v[12:13]
	v_add_f64 v[2:3], v[2:3], v[12:13]
	v_add_f64 v[2:3], v[16:17], v[2:3]
	v_mul_f64 v[2:3], v[8:9], v[2:3]
	v_add_f64 v[2:3], v[8:9], v[2:3]
	v_and_b32_e32 v8, 0x80000000, v1
	v_mov_b32_e32 v1, 0x7ff80000
	v_xor_b32_e32 v0, 0x80000000, v3
	v_cndmask_b32_e32 v2, v2, v4, vcc
	v_cndmask_b32_e32 v3, v0, v5, vcc
	v_cndmask_b32_e64 v0, 0, v2, s[0:1]
	v_xor_b32_e32 v2, v3, v8
	v_cndmask_b32_e64 v1, v1, v2, s[0:1]
	v_div_scale_f64 v[2:3], s[0:1], v[0:1], v[0:1], s[38:39]
	v_div_scale_f64 v[9:10], vcc, s[38:39], v[0:1], s[38:39]
	v_rcp_f64_e32 v[4:5], v[2:3]
	v_fma_f64 v[7:8], -v[2:3], v[4:5], 1.0
	v_fma_f64 v[4:5], v[4:5], v[7:8], v[4:5]
	v_fma_f64 v[7:8], -v[2:3], v[4:5], 1.0
	v_fma_f64 v[4:5], v[4:5], v[7:8], v[4:5]
	v_mul_f64 v[7:8], v[9:10], v[4:5]
	v_fma_f64 v[2:3], -v[2:3], v[7:8], v[9:10]
	v_div_fmas_f64 v[2:3], v[2:3], v[4:5], v[7:8]
	v_div_fixup_f64 v[0:1], v[2:3], v[0:1], s[38:39]
	v_cvt_f32_f64_e32 v1, v[0:1]
.LBB18_703:
	s_or_b64 exec, exec, s[34:35]
	s_orn2_b64 s[0:1], s[36:37], exec
.LBB18_704:
	s_or_b64 exec, exec, s[30:31]
	v_mov_b32_e32 v0, 0x7fc00000
	s_and_saveexec_b64 s[30:31], s[0:1]
	s_cbranch_execz .LBB18_716
; %bb.705:
	s_mov_b32 s36, 0x41200000
	v_cmp_gt_f32_e32 vcc, s36, v6
	s_and_saveexec_b64 s[0:1], vcc
	s_cbranch_execz .LBB18_709
; %bb.706:
	s_mov_b64 s[34:35], 0
.LBB18_707:                             ; =>This Inner Loop Header: Depth=1
	v_div_scale_f32 v0, s[38:39], v6, v6, 1.0
	v_div_scale_f32 v2, vcc, 1.0, v6, 1.0
	v_rcp_f32_e32 v3, v0
	v_fma_f32 v4, -v0, v3, 1.0
	v_fmac_f32_e32 v3, v4, v3
	v_mul_f32_e32 v4, v2, v3
	v_fma_f32 v5, -v0, v4, v2
	v_fmac_f32_e32 v4, v5, v3
	v_fma_f32 v0, -v0, v4, v2
	v_div_fmas_f32 v0, v0, v3, v4
	v_div_fixup_f32 v0, v0, v6, 1.0
	v_add_f32_e32 v6, 1.0, v6
	v_cmp_ngt_f32_e32 vcc, s36, v6
	s_or_b64 s[34:35], vcc, s[34:35]
	v_sub_f32_e32 v1, v1, v0
	s_andn2_b64 exec, exec, s[34:35]
	s_cbranch_execnz .LBB18_707
; %bb.708:
	s_or_b64 exec, exec, s[34:35]
.LBB18_709:
	s_or_b64 exec, exec, s[0:1]
	s_mov_b32 s0, 0x41200000
	v_cmp_neq_f32_e32 vcc, s0, v6
                                        ; implicit-def: $vgpr0
	s_and_saveexec_b64 s[0:1], vcc
	s_xor_b64 s[34:35], exec, s[0:1]
	s_cbranch_execz .LBB18_713
; %bb.710:
	v_cvt_f64_f32_e32 v[2:3], v6
	s_mov_b32 s0, 0x85d8a000
	s_mov_b32 s1, 0x43763457
	v_mov_b32_e32 v0, 0
	v_cmp_gt_f64_e32 vcc, s[0:1], v[2:3]
	s_and_saveexec_b64 s[0:1], vcc
	s_cbranch_execz .LBB18_712
; %bb.711:
	v_mul_f32_e32 v0, v6, v6
	v_div_scale_f32 v2, s[36:37], v0, v0, 1.0
	v_div_scale_f32 v3, vcc, 1.0, v0, 1.0
	v_mov_b32_e32 v8, 0x3b820821
	v_rcp_f32_e32 v4, v2
	v_fma_f32 v5, -v2, v4, 1.0
	v_fmac_f32_e32 v4, v5, v4
	v_mul_f32_e32 v5, v3, v4
	v_fma_f32 v7, -v2, v5, v3
	v_fmac_f32_e32 v5, v7, v4
	v_fma_f32 v2, -v2, v5, v3
	v_div_fmas_f32 v2, v2, v4, v5
	v_mov_b32_e32 v3, 0x3daaaaab
	v_mov_b32_e32 v4, 0xbcaccacd
	v_mov_b32_e32 v5, 0x3bf83e10
	v_mov_b32_e32 v7, 0xbb888889
	v_div_fixup_f32 v0, v2, v0, 1.0
	v_fma_f32 v2, 0, v0, v3
	v_fmac_f32_e32 v4, v0, v2
	v_fmac_f32_e32 v5, v0, v4
	;; [unrolled: 1-line block ×4, first 2 shown]
	v_mov_b32_e32 v2, 0xbc088889
	v_fmac_f32_e32 v2, v0, v8
	v_fmac_f32_e32 v3, v0, v2
	v_mul_f32_e32 v0, v0, v3
.LBB18_712:
	s_or_b64 exec, exec, s[0:1]
	v_div_scale_f32 v2, s[0:1], v6, v6, -0.5
	v_div_scale_f32 v3, vcc, -0.5, v6, -0.5
	s_mov_b32 s0, 0x800000
	v_cmp_gt_f32_e64 s[0:1], s0, v6
	v_cndmask_b32_e64 v5, 0, 32, s[0:1]
	s_mov_b32 s36, 0x3f317217
	v_rcp_f32_e32 v4, v2
	v_fma_f32 v7, -v2, v4, 1.0
	v_fmac_f32_e32 v4, v7, v4
	v_mul_f32_e32 v7, v3, v4
	v_fma_f32 v8, -v2, v7, v3
	v_fmac_f32_e32 v7, v8, v4
	v_fma_f32 v2, -v2, v7, v3
	v_div_fmas_f32 v2, v2, v4, v7
	v_ldexp_f32 v3, v6, v5
	v_log_f32_e32 v3, v3
	v_mul_f32_e32 v4, 0x3f317217, v3
	v_fma_f32 v4, v3, s36, -v4
	v_fmac_f32_e32 v4, 0x3377d1cf, v3
	s_mov_b32 s36, 0x7f800000
	v_fmac_f32_e32 v4, 0x3f317217, v3
	v_cmp_lt_f32_e64 vcc, |v3|, s36
	v_cndmask_b32_e32 v3, v3, v4, vcc
	v_mov_b32_e32 v4, 0x41b17218
	v_cndmask_b32_e64 v4, 0, v4, s[0:1]
	v_sub_f32_e32 v3, v3, v4
	v_div_fixup_f32 v2, v2, v6, -0.5
	v_add_f32_e32 v2, v3, v2
	v_sub_f32_e32 v0, v2, v0
	v_add_f32_e32 v0, v1, v0
                                        ; implicit-def: $vgpr1
.LBB18_713:
	s_andn2_saveexec_b64 s[0:1], s[34:35]
; %bb.714:
	v_add_f32_e32 v0, 0x40101cb7, v1
; %bb.715:
	s_or_b64 exec, exec, s[0:1]
.LBB18_716:
	s_or_b64 exec, exec, s[30:31]
                                        ; implicit-def: $vgpr6
.LBB18_717:
	s_andn2_saveexec_b64 s[0:1], s[28:29]
; %bb.718:
	v_xor_b32_e32 v0, 0x80000000, v6
	s_brev_b32 s28, -2
	v_mov_b32_e32 v1, 0x7f800000
	v_bfi_b32 v0, s28, v1, v0
; %bb.719:
	s_or_b64 exec, exec, s[0:1]
	v_mul_lo_u32 v1, v11, s2
	v_mov_b32_e32 v3, s9
	s_and_b32 s36, s33, 0xff
	s_cmp_lt_i32 s36, 11
	v_ashrrev_i32_e32 v4, 31, v1
	v_add_co_u32_e32 v2, vcc, s8, v1
	v_addc_co_u32_e32 v3, vcc, v3, v4, vcc
	s_cbranch_scc1 .LBB18_727
; %bb.720:
	s_and_b32 s37, 0xffff, s36
	s_cmp_gt_i32 s37, 25
	s_cbranch_scc0 .LBB18_728
; %bb.721:
	s_cmp_gt_i32 s37, 28
	s_cbranch_scc0 .LBB18_729
; %bb.722:
	;; [unrolled: 3-line block ×4, first 2 shown]
	s_mov_b64 s[30:31], 0
	s_mov_b64 s[0:1], -1
	s_cmp_eq_u32 s37, 46
	s_mov_b64 s[28:29], 0
	s_cbranch_scc0 .LBB18_732
; %bb.725:
	v_bfe_u32 v1, v0, 16, 1
	s_movk_i32 s0, 0x7fff
	v_add3_u32 v1, v0, v1, s0
	v_cmp_o_f32_e32 vcc, v0, v0
	v_mov_b32_e32 v4, 0x7fc0
	v_cndmask_b32_sdwa v1, v4, v1, vcc dst_sel:DWORD dst_unused:UNUSED_PAD src0_sel:DWORD src1_sel:WORD_1
	global_store_dword v[2:3], v1, off
	s_mov_b64 s[28:29], -1
	s_mov_b64 s[0:1], 0
	s_branch .LBB18_732
.LBB18_726:
	s_mov_b64 s[30:31], 0
                                        ; implicit-def: $vgpr11
	s_mov_b64 s[0:1], s[20:21]
	s_branch .LBB18_843
.LBB18_727:
	s_mov_b64 s[30:31], -1
	s_mov_b64 s[28:29], 0
	s_mov_b64 s[0:1], s[20:21]
	s_branch .LBB18_801
.LBB18_728:
	s_mov_b64 s[30:31], -1
	s_mov_b64 s[28:29], 0
	s_mov_b64 s[0:1], s[20:21]
	s_branch .LBB18_759
.LBB18_729:
	s_mov_b64 s[30:31], -1
	s_mov_b64 s[28:29], 0
	s_mov_b64 s[0:1], s[20:21]
	s_branch .LBB18_742
.LBB18_730:
	s_mov_b64 s[30:31], -1
	s_mov_b64 s[28:29], 0
	s_mov_b64 s[0:1], s[20:21]
	s_branch .LBB18_738
.LBB18_731:
	s_mov_b64 s[30:31], -1
	s_mov_b64 s[28:29], 0
	s_mov_b64 s[0:1], s[20:21]
.LBB18_732:
	s_and_b64 vcc, exec, s[30:31]
	s_cbranch_vccz .LBB18_737
; %bb.733:
	s_cmp_eq_u32 s37, 44
	s_mov_b64 s[0:1], -1
	s_cbranch_scc0 .LBB18_737
; %bb.734:
	v_bfe_u32 v1, v0, 23, 8
	s_movk_i32 s0, 0xff
	v_cmp_ne_u32_e32 vcc, s0, v1
	v_mov_b32_e32 v4, 0xff
	s_and_saveexec_b64 s[28:29], vcc
; %bb.735:
	s_mov_b32 s0, 0x3fffff
	v_and_b32_e32 v5, 0x400000, v0
	v_and_or_b32 v1, v0, s0, v1
	v_cmp_ne_u32_e32 vcc, 0, v5
	v_cmp_ne_u32_e64 s[0:1], 0, v1
	s_and_b64 s[0:1], vcc, s[0:1]
	v_lshrrev_b32_e32 v4, 23, v0
	v_cndmask_b32_e64 v1, 0, 1, s[0:1]
	v_add_u32_e32 v4, v4, v1
; %bb.736:
	s_or_b64 exec, exec, s[28:29]
	s_mov_b64 s[28:29], -1
	s_mov_b64 s[0:1], 0
	global_store_byte v[2:3], v4, off
.LBB18_737:
	s_mov_b64 s[30:31], 0
.LBB18_738:
	s_and_b64 vcc, exec, s[30:31]
	s_cbranch_vccz .LBB18_741
; %bb.739:
	s_cmp_eq_u32 s37, 29
	s_mov_b64 s[0:1], -1
	s_cbranch_scc0 .LBB18_741
; %bb.740:
	v_trunc_f32_e32 v1, v0
	v_mul_f32_e32 v4, 0x2f800000, v1
	v_floor_f32_e32 v4, v4
	v_fmac_f32_e32 v1, 0xcf800000, v4
	v_cvt_u32_f32_e32 v5, v4
	v_cvt_u32_f32_e32 v4, v1
	s_mov_b64 s[28:29], -1
	s_mov_b64 s[0:1], 0
	s_mov_b64 s[30:31], 0
	global_store_dwordx2 v[2:3], v[4:5], off
	s_branch .LBB18_742
.LBB18_741:
	s_mov_b64 s[30:31], 0
.LBB18_742:
	s_and_b64 vcc, exec, s[30:31]
	s_cbranch_vccz .LBB18_758
; %bb.743:
	s_cmp_lt_i32 s37, 27
	s_mov_b64 s[28:29], -1
	s_cbranch_scc1 .LBB18_749
; %bb.744:
	v_cvt_u32_f32_e32 v1, v0
	s_cmp_gt_i32 s37, 27
	s_cbranch_scc0 .LBB18_746
; %bb.745:
	s_mov_b64 s[28:29], 0
	global_store_dword v[2:3], v1, off
.LBB18_746:
	s_andn2_b64 vcc, exec, s[28:29]
	s_cbranch_vccnz .LBB18_748
; %bb.747:
	global_store_short v[2:3], v1, off
.LBB18_748:
	s_mov_b64 s[28:29], 0
.LBB18_749:
	s_andn2_b64 vcc, exec, s[28:29]
	s_cbranch_vccnz .LBB18_757
; %bb.750:
	v_and_b32_e32 v1, 0x7fffffff, v0
	s_mov_b32 s28, 0x43800000
	v_cmp_gt_u32_e32 vcc, s28, v1
	v_mov_b32_e32 v4, 0x80
	s_and_saveexec_b64 s[28:29], vcc
	s_cbranch_execz .LBB18_756
; %bb.751:
	s_mov_b32 s30, 0x3bffffff
	v_cmp_lt_u32_e32 vcc, s30, v1
	s_mov_b64 s[30:31], 0
                                        ; implicit-def: $vgpr1
	s_and_saveexec_b64 s[34:35], vcc
	s_xor_b64 s[34:35], exec, s[34:35]
	s_cbranch_execz .LBB18_857
; %bb.752:
	v_bfe_u32 v1, v0, 20, 1
	s_mov_b32 s38, 0x487ffff
	v_add3_u32 v1, v0, v1, s38
	s_mov_b64 s[30:31], exec
	v_lshrrev_b32_e32 v1, 20, v1
	s_andn2_saveexec_b64 s[34:35], s[34:35]
	s_cbranch_execnz .LBB18_858
.LBB18_753:
	s_or_b64 exec, exec, s[34:35]
	v_mov_b32_e32 v4, 0
	s_and_saveexec_b64 s[34:35], s[30:31]
.LBB18_754:
	v_lshrrev_b32_e32 v4, 24, v0
	s_movk_i32 s30, 0x80
	v_and_or_b32 v4, v4, s30, v1
.LBB18_755:
	s_or_b64 exec, exec, s[34:35]
.LBB18_756:
	s_or_b64 exec, exec, s[28:29]
	global_store_byte v[2:3], v4, off
.LBB18_757:
	s_mov_b64 s[28:29], -1
.LBB18_758:
	s_mov_b64 s[30:31], 0
.LBB18_759:
	s_and_b64 vcc, exec, s[30:31]
	s_cbranch_vccz .LBB18_800
; %bb.760:
	s_cmp_gt_i32 s37, 22
	s_mov_b64 s[30:31], -1
	s_cbranch_scc0 .LBB18_792
; %bb.761:
	s_cmp_lt_i32 s37, 24
	s_mov_b64 s[28:29], -1
	s_cbranch_scc1 .LBB18_781
; %bb.762:
	s_cmp_gt_i32 s37, 24
	s_cbranch_scc0 .LBB18_770
; %bb.763:
	v_and_b32_e32 v1, 0x7fffffff, v0
	s_mov_b32 s28, 0x47800000
	v_cmp_gt_u32_e32 vcc, s28, v1
	v_mov_b32_e32 v4, 0x80
	s_and_saveexec_b64 s[28:29], vcc
	s_cbranch_execz .LBB18_769
; %bb.764:
	s_mov_b32 s30, 0x37ffffff
	v_cmp_lt_u32_e32 vcc, s30, v1
	s_mov_b64 s[30:31], 0
                                        ; implicit-def: $vgpr1
	s_and_saveexec_b64 s[34:35], vcc
	s_xor_b64 s[34:35], exec, s[34:35]
	s_cbranch_execz .LBB18_860
; %bb.765:
	v_bfe_u32 v1, v0, 21, 1
	s_mov_b32 s38, 0x88fffff
	v_add3_u32 v1, v0, v1, s38
	s_mov_b64 s[30:31], exec
	v_lshrrev_b32_e32 v1, 21, v1
	s_andn2_saveexec_b64 s[34:35], s[34:35]
	s_cbranch_execnz .LBB18_861
.LBB18_766:
	s_or_b64 exec, exec, s[34:35]
	v_mov_b32_e32 v4, 0
	s_and_saveexec_b64 s[34:35], s[30:31]
.LBB18_767:
	v_lshrrev_b32_e32 v4, 24, v0
	s_movk_i32 s30, 0x80
	v_and_or_b32 v4, v4, s30, v1
.LBB18_768:
	s_or_b64 exec, exec, s[34:35]
.LBB18_769:
	s_or_b64 exec, exec, s[28:29]
	s_mov_b64 s[28:29], 0
	global_store_byte v[2:3], v4, off
.LBB18_770:
	s_and_b64 vcc, exec, s[28:29]
	s_cbranch_vccz .LBB18_780
; %bb.771:
	v_and_b32_e32 v4, 0x7fffffff, v0
	s_mov_b32 s28, 0x43f00000
	v_cmp_gt_u32_e32 vcc, s28, v4
                                        ; implicit-def: $vgpr1
	s_and_saveexec_b64 s[28:29], vcc
	s_xor_b64 s[28:29], exec, s[28:29]
	s_cbranch_execz .LBB18_777
; %bb.772:
	s_mov_b32 s30, 0x3c7fffff
	v_cmp_lt_u32_e32 vcc, s30, v4
                                        ; implicit-def: $vgpr1
	s_and_saveexec_b64 s[30:31], vcc
	s_xor_b64 s[30:31], exec, s[30:31]
; %bb.773:
	v_bfe_u32 v1, v0, 20, 1
	s_mov_b32 s34, 0x407ffff
	v_add3_u32 v1, v0, v1, s34
	v_lshrrev_b32_e32 v4, 20, v1
	v_and_b32_e32 v1, 0xff00000, v1
	s_mov_b32 s34, 0x7f00000
	v_mov_b32_e32 v5, 0x7e
	v_cmp_ne_u32_e32 vcc, s34, v1
	v_cndmask_b32_e32 v1, v5, v4, vcc
; %bb.774:
	s_andn2_saveexec_b64 s[30:31], s[30:31]
; %bb.775:
	s_mov_b32 s34, 0x46800000
	v_add_f32_e64 v1, |v0|, s34
; %bb.776:
	s_or_b64 exec, exec, s[30:31]
                                        ; implicit-def: $vgpr4
.LBB18_777:
	s_andn2_saveexec_b64 s[28:29], s[28:29]
; %bb.778:
	s_mov_b32 s30, 0x7f800000
	v_mov_b32_e32 v1, 0x7e
	v_mov_b32_e32 v5, 0x7f
	v_cmp_lt_u32_e32 vcc, s30, v4
	v_cndmask_b32_e32 v1, v1, v5, vcc
; %bb.779:
	s_or_b64 exec, exec, s[28:29]
	v_lshrrev_b32_e32 v4, 24, v0
	s_movk_i32 s28, 0x80
	v_and_or_b32 v1, v4, s28, v1
	global_store_byte v[2:3], v1, off
.LBB18_780:
	s_mov_b64 s[28:29], 0
.LBB18_781:
	s_andn2_b64 vcc, exec, s[28:29]
	s_cbranch_vccnz .LBB18_791
; %bb.782:
	v_and_b32_e32 v4, 0x7fffffff, v0
	s_mov_b32 s28, 0x47800000
	v_cmp_gt_u32_e32 vcc, s28, v4
                                        ; implicit-def: $vgpr1
	s_and_saveexec_b64 s[28:29], vcc
	s_xor_b64 s[28:29], exec, s[28:29]
	s_cbranch_execz .LBB18_788
; %bb.783:
	s_mov_b32 s30, 0x387fffff
	v_cmp_lt_u32_e32 vcc, s30, v4
                                        ; implicit-def: $vgpr1
	s_and_saveexec_b64 s[30:31], vcc
	s_xor_b64 s[30:31], exec, s[30:31]
; %bb.784:
	v_bfe_u32 v1, v0, 21, 1
	s_mov_b32 s34, 0x80fffff
	v_add3_u32 v1, v0, v1, s34
	v_lshrrev_b32_e32 v1, 21, v1
; %bb.785:
	s_andn2_saveexec_b64 s[30:31], s[30:31]
; %bb.786:
	s_mov_b32 s34, 0x43000000
	v_add_f32_e64 v1, |v0|, s34
; %bb.787:
	s_or_b64 exec, exec, s[30:31]
                                        ; implicit-def: $vgpr4
.LBB18_788:
	s_andn2_saveexec_b64 s[28:29], s[28:29]
; %bb.789:
	s_mov_b32 s30, 0x7f800000
	v_mov_b32_e32 v1, 0x7c
	v_mov_b32_e32 v5, 0x7f
	v_cmp_lt_u32_e32 vcc, s30, v4
	v_cndmask_b32_e32 v1, v1, v5, vcc
; %bb.790:
	s_or_b64 exec, exec, s[28:29]
	v_lshrrev_b32_e32 v4, 24, v0
	s_movk_i32 s28, 0x80
	v_and_or_b32 v1, v4, s28, v1
	global_store_byte v[2:3], v1, off
.LBB18_791:
	s_mov_b64 s[30:31], 0
	s_mov_b64 s[28:29], -1
.LBB18_792:
	s_andn2_b64 vcc, exec, s[30:31]
	s_cbranch_vccnz .LBB18_800
; %bb.793:
	s_cmp_gt_i32 s37, 14
	s_mov_b64 s[30:31], -1
	s_cbranch_scc0 .LBB18_797
; %bb.794:
	s_cmp_eq_u32 s37, 15
	s_mov_b64 s[0:1], -1
	s_cbranch_scc0 .LBB18_796
; %bb.795:
	v_bfe_u32 v1, v0, 16, 1
	s_movk_i32 s0, 0x7fff
	v_add3_u32 v1, v0, v1, s0
	v_cmp_o_f32_e32 vcc, v0, v0
	v_mov_b32_e32 v4, 0x7fc0
	v_cndmask_b32_sdwa v1, v4, v1, vcc dst_sel:DWORD dst_unused:UNUSED_PAD src0_sel:DWORD src1_sel:WORD_1
	global_store_short v[2:3], v1, off
	s_mov_b64 s[28:29], -1
	s_mov_b64 s[0:1], 0
.LBB18_796:
	s_mov_b64 s[30:31], 0
.LBB18_797:
	s_and_b64 vcc, exec, s[30:31]
	s_cbranch_vccz .LBB18_800
; %bb.798:
	s_cmp_eq_u32 s37, 11
	s_mov_b64 s[0:1], -1
	s_cbranch_scc0 .LBB18_800
; %bb.799:
	v_cmp_neq_f32_e32 vcc, 0, v0
	v_cndmask_b32_e64 v1, 0, 1, vcc
	s_mov_b64 s[28:29], -1
	s_mov_b64 s[0:1], 0
	global_store_byte v[2:3], v1, off
.LBB18_800:
	s_mov_b64 s[30:31], 0
.LBB18_801:
	s_and_b64 vcc, exec, s[30:31]
	s_cbranch_vccz .LBB18_840
; %bb.802:
	s_and_b32 s30, 0xffff, s36
	s_cmp_lt_i32 s30, 5
	s_mov_b64 s[28:29], -1
	s_cbranch_scc1 .LBB18_823
; %bb.803:
	s_cmp_lt_i32 s30, 8
	s_cbranch_scc1 .LBB18_813
; %bb.804:
	s_cmp_lt_i32 s30, 9
	s_cbranch_scc1 .LBB18_810
; %bb.805:
	s_cmp_gt_i32 s30, 9
	s_cbranch_scc0 .LBB18_807
; %bb.806:
	v_cvt_f64_f32_e32 v[4:5], v0
	v_mov_b32_e32 v6, 0
	v_mov_b32_e32 v7, v6
	s_mov_b64 s[28:29], 0
	global_store_dwordx4 v[2:3], v[4:7], off
.LBB18_807:
	s_andn2_b64 vcc, exec, s[28:29]
	s_cbranch_vccnz .LBB18_809
; %bb.808:
	v_mov_b32_e32 v1, 0
	global_store_dwordx2 v[2:3], v[0:1], off
.LBB18_809:
	s_mov_b64 s[28:29], 0
.LBB18_810:
	s_andn2_b64 vcc, exec, s[28:29]
	s_cbranch_vccnz .LBB18_812
; %bb.811:
	v_cvt_f16_f32_e32 v1, v0
	global_store_dword v[2:3], v1, off
.LBB18_812:
	s_mov_b64 s[28:29], 0
.LBB18_813:
	s_andn2_b64 vcc, exec, s[28:29]
	s_cbranch_vccnz .LBB18_822
; %bb.814:
	s_cmp_lt_i32 s30, 6
	s_mov_b64 s[28:29], -1
	s_cbranch_scc1 .LBB18_820
; %bb.815:
	s_cmp_gt_i32 s30, 6
	s_cbranch_scc0 .LBB18_817
; %bb.816:
	v_cvt_f64_f32_e32 v[4:5], v0
	s_mov_b64 s[28:29], 0
	global_store_dwordx2 v[2:3], v[4:5], off
.LBB18_817:
	s_andn2_b64 vcc, exec, s[28:29]
	s_cbranch_vccnz .LBB18_819
; %bb.818:
	global_store_dword v[2:3], v0, off
.LBB18_819:
	s_mov_b64 s[28:29], 0
.LBB18_820:
	s_andn2_b64 vcc, exec, s[28:29]
	s_cbranch_vccnz .LBB18_822
; %bb.821:
	v_cvt_f16_f32_e32 v1, v0
	global_store_short v[2:3], v1, off
.LBB18_822:
	s_mov_b64 s[28:29], 0
.LBB18_823:
	s_andn2_b64 vcc, exec, s[28:29]
	s_cbranch_vccnz .LBB18_839
; %bb.824:
	s_cmp_lt_i32 s30, 2
	s_mov_b64 s[28:29], -1
	s_cbranch_scc1 .LBB18_834
; %bb.825:
	s_cmp_lt_i32 s30, 3
	s_cbranch_scc1 .LBB18_831
; %bb.826:
	s_cmp_gt_i32 s30, 3
	s_cbranch_scc0 .LBB18_828
; %bb.827:
	v_trunc_f32_e32 v1, v0
	s_mov_b32 s28, 0x2f800000
	v_mul_f32_e64 v4, |v1|, s28
	v_floor_f32_e32 v4, v4
	s_mov_b32 s28, 0xcf800000
	v_cvt_u32_f32_e32 v5, v4
	v_fma_f32 v4, v4, s28, |v1|
	v_cvt_u32_f32_e32 v4, v4
	v_ashrrev_i32_e32 v1, 31, v1
	v_xor_b32_e32 v5, v5, v1
	s_mov_b64 s[28:29], 0
	v_xor_b32_e32 v4, v4, v1
	v_sub_co_u32_e32 v4, vcc, v4, v1
	v_subb_co_u32_e32 v5, vcc, v5, v1, vcc
	global_store_dwordx2 v[2:3], v[4:5], off
.LBB18_828:
	s_andn2_b64 vcc, exec, s[28:29]
	s_cbranch_vccnz .LBB18_830
; %bb.829:
	v_cvt_i32_f32_e32 v1, v0
	global_store_dword v[2:3], v1, off
.LBB18_830:
	s_mov_b64 s[28:29], 0
.LBB18_831:
	s_andn2_b64 vcc, exec, s[28:29]
	s_cbranch_vccnz .LBB18_833
; %bb.832:
	v_cvt_i32_f32_e32 v1, v0
	global_store_short v[2:3], v1, off
.LBB18_833:
	s_mov_b64 s[28:29], 0
.LBB18_834:
	s_andn2_b64 vcc, exec, s[28:29]
	s_cbranch_vccnz .LBB18_839
; %bb.835:
	s_cmp_gt_i32 s30, 0
	s_mov_b64 s[28:29], -1
	s_cbranch_scc0 .LBB18_837
; %bb.836:
	v_cvt_i32_f32_e32 v1, v0
	s_mov_b64 s[28:29], 0
	global_store_byte v[2:3], v1, off
.LBB18_837:
	s_andn2_b64 vcc, exec, s[28:29]
	s_cbranch_vccnz .LBB18_839
; %bb.838:
	v_trunc_f32_e32 v0, v0
	s_mov_b32 s28, 0x2f800000
	v_mul_f32_e64 v1, |v0|, s28
	v_floor_f32_e32 v1, v1
	s_mov_b32 s28, 0xcf800000
	v_fma_f32 v1, v1, s28, |v0|
	v_cvt_u32_f32_e32 v1, v1
	v_ashrrev_i32_e32 v0, 31, v0
	v_xor_b32_e32 v1, v1, v0
	v_sub_u32_e32 v0, v1, v0
	global_store_byte v[2:3], v0, off
.LBB18_839:
	s_mov_b64 s[28:29], -1
.LBB18_840:
	s_andn2_b64 vcc, exec, s[28:29]
	s_cbranch_vccnz .LBB18_842
; %bb.841:
	v_add_u32_e32 v11, 0x80, v11
	s_mov_b64 s[30:31], -1
	s_branch .LBB18_843
.LBB18_842:
	s_mov_b64 s[30:31], 0
                                        ; implicit-def: $vgpr11
.LBB18_843:
	s_andn2_b64 s[28:29], s[20:21], exec
	s_and_b64 s[0:1], s[0:1], exec
	s_or_b64 s[28:29], s[28:29], s[0:1]
	s_andn2_b64 s[0:1], s[18:19], exec
	s_and_b64 s[26:27], s[26:27], exec
	s_or_b64 s[0:1], s[0:1], s[26:27]
	s_orn2_b64 s[34:35], s[30:31], exec
.LBB18_844:
	s_or_b64 exec, exec, s[24:25]
	s_mov_b64 s[30:31], 0
	s_mov_b64 s[26:27], 0
	;; [unrolled: 1-line block ×3, first 2 shown]
                                        ; implicit-def: $vgpr0_vgpr1
                                        ; implicit-def: $vgpr6
	s_and_saveexec_b64 s[24:25], s[34:35]
	s_cbranch_execz .LBB18_929
; %bb.845:
	v_cmp_gt_i32_e32 vcc, s40, v11
	s_mov_b64 s[34:35], 0
	s_mov_b64 s[38:39], s[0:1]
	;; [unrolled: 1-line block ×3, first 2 shown]
                                        ; implicit-def: $vgpr0_vgpr1
                                        ; implicit-def: $vgpr6
	s_and_saveexec_b64 s[26:27], vcc
	s_cbranch_execz .LBB18_928
; %bb.846:
	v_mul_lo_u32 v0, v11, s3
	v_mov_b32_e32 v1, s11
	s_and_b32 s43, 0xffff, s42
	s_cmp_lt_i32 s43, 11
	v_ashrrev_i32_e32 v2, 31, v0
	v_add_co_u32_e32 v0, vcc, s10, v0
	v_addc_co_u32_e32 v1, vcc, v1, v2, vcc
	s_cbranch_scc1 .LBB18_853
; %bb.847:
	s_cmp_gt_i32 s43, 25
	s_cbranch_scc0 .LBB18_854
; %bb.848:
	s_cmp_gt_i32 s43, 28
	s_cbranch_scc0 .LBB18_855
	;; [unrolled: 3-line block ×4, first 2 shown]
; %bb.851:
	s_cmp_eq_u32 s43, 46
	s_mov_b64 s[38:39], 0
	s_cbranch_scc0 .LBB18_862
; %bb.852:
	global_load_dword v2, v[0:1], off
	s_mov_b64 s[36:37], -1
	s_waitcnt vmcnt(0)
	v_lshlrev_b32_e32 v6, 16, v2
	s_branch .LBB18_864
.LBB18_853:
	s_mov_b64 s[38:39], -1
                                        ; implicit-def: $vgpr6
	s_mov_b64 s[30:31], s[0:1]
	s_branch .LBB18_927
.LBB18_854:
	s_mov_b64 s[38:39], -1
	s_mov_b64 s[30:31], s[0:1]
                                        ; implicit-def: $vgpr6
	s_branch .LBB18_893
.LBB18_855:
	s_mov_b64 s[38:39], -1
	s_mov_b64 s[30:31], s[0:1]
                                        ; implicit-def: $vgpr6
	s_branch .LBB18_874
.LBB18_856:
	s_mov_b64 s[38:39], -1
	s_mov_b64 s[30:31], s[0:1]
                                        ; implicit-def: $vgpr6
	s_branch .LBB18_869
.LBB18_857:
	s_andn2_saveexec_b64 s[34:35], s[34:35]
	s_cbranch_execz .LBB18_753
.LBB18_858:
	s_mov_b32 s38, 0x46000000
	v_add_f32_e64 v1, |v0|, s38
	v_and_b32_e32 v1, 0xff, v1
	v_cmp_ne_u32_e32 vcc, 0, v1
	s_andn2_b64 s[30:31], s[30:31], exec
	s_and_b64 s[38:39], vcc, exec
	s_or_b64 s[30:31], s[30:31], s[38:39]
	s_or_b64 exec, exec, s[34:35]
	v_mov_b32_e32 v4, 0
	s_and_saveexec_b64 s[34:35], s[30:31]
	s_cbranch_execnz .LBB18_754
	s_branch .LBB18_755
.LBB18_859:
	s_mov_b64 s[38:39], -1
	s_mov_b64 s[30:31], s[0:1]
	s_branch .LBB18_863
.LBB18_860:
	s_andn2_saveexec_b64 s[34:35], s[34:35]
	s_cbranch_execz .LBB18_766
.LBB18_861:
	s_mov_b32 s38, 0x42800000
	v_add_f32_e64 v1, |v0|, s38
	v_and_b32_e32 v1, 0xff, v1
	v_cmp_ne_u32_e32 vcc, 0, v1
	s_andn2_b64 s[30:31], s[30:31], exec
	s_and_b64 s[38:39], vcc, exec
	s_or_b64 s[30:31], s[30:31], s[38:39]
	s_or_b64 exec, exec, s[34:35]
	v_mov_b32_e32 v4, 0
	s_and_saveexec_b64 s[34:35], s[30:31]
	s_cbranch_execnz .LBB18_767
	s_branch .LBB18_768
.LBB18_862:
	s_mov_b64 s[30:31], -1
.LBB18_863:
                                        ; implicit-def: $vgpr6
.LBB18_864:
	s_and_b64 vcc, exec, s[38:39]
	s_cbranch_vccz .LBB18_868
; %bb.865:
	s_cmp_eq_u32 s43, 44
	s_cbranch_scc0 .LBB18_867
; %bb.866:
	global_load_ubyte v2, v[0:1], off
	s_movk_i32 s36, 0xff
	v_mov_b32_e32 v3, 0x7f800001
	v_mov_b32_e32 v4, 0x400000
	s_mov_b64 s[30:31], 0
	s_waitcnt vmcnt(0)
	v_lshlrev_b32_e32 v5, 23, v2
	v_cmp_ne_u32_e32 vcc, s36, v2
	v_cndmask_b32_e32 v3, v3, v5, vcc
	v_cmp_ne_u32_e32 vcc, 0, v2
	v_cndmask_b32_e32 v6, v4, v3, vcc
	s_mov_b64 s[36:37], -1
	s_branch .LBB18_868
.LBB18_867:
	s_mov_b64 s[30:31], -1
                                        ; implicit-def: $vgpr6
.LBB18_868:
	s_mov_b64 s[38:39], 0
.LBB18_869:
	s_and_b64 vcc, exec, s[38:39]
	s_cbranch_vccz .LBB18_873
; %bb.870:
	s_cmp_eq_u32 s43, 29
	s_cbranch_scc0 .LBB18_872
; %bb.871:
	global_load_dwordx2 v[2:3], v[0:1], off
	s_mov_b64 s[30:31], 0
	s_mov_b64 s[36:37], -1
	s_mov_b64 s[38:39], 0
	s_waitcnt vmcnt(0)
	v_ffbh_u32_e32 v4, v3
	v_min_u32_e32 v4, 32, v4
	v_lshlrev_b64 v[2:3], v4, v[2:3]
	v_min_u32_e32 v2, 1, v2
	v_or_b32_e32 v2, v3, v2
	v_cvt_f32_u32_e32 v2, v2
	v_sub_u32_e32 v3, 32, v4
	v_ldexp_f32 v6, v2, v3
	s_branch .LBB18_874
.LBB18_872:
	s_mov_b64 s[30:31], -1
                                        ; implicit-def: $vgpr6
.LBB18_873:
	s_mov_b64 s[38:39], 0
.LBB18_874:
	s_and_b64 vcc, exec, s[38:39]
	s_cbranch_vccz .LBB18_892
; %bb.875:
	s_cmp_lt_i32 s43, 27
	s_cbranch_scc1 .LBB18_878
; %bb.876:
	s_cmp_gt_i32 s43, 27
	s_cbranch_scc0 .LBB18_879
; %bb.877:
	global_load_dword v2, v[0:1], off
	s_mov_b64 s[36:37], 0
	s_waitcnt vmcnt(0)
	v_cvt_f32_u32_e32 v6, v2
	s_branch .LBB18_880
.LBB18_878:
	s_mov_b64 s[36:37], -1
                                        ; implicit-def: $vgpr6
	s_branch .LBB18_883
.LBB18_879:
	s_mov_b64 s[36:37], -1
                                        ; implicit-def: $vgpr6
.LBB18_880:
	s_andn2_b64 vcc, exec, s[36:37]
	s_cbranch_vccnz .LBB18_882
; %bb.881:
	global_load_ushort v2, v[0:1], off
	s_waitcnt vmcnt(0)
	v_cvt_f32_u32_e32 v6, v2
.LBB18_882:
	s_mov_b64 s[36:37], 0
.LBB18_883:
	s_andn2_b64 vcc, exec, s[36:37]
	s_cbranch_vccnz .LBB18_891
; %bb.884:
	global_load_ubyte v2, v[0:1], off
	s_movk_i32 s36, 0x7f
	s_waitcnt vmcnt(0)
	v_cmp_lt_i16_e32 vcc, s36, v2
	s_mov_b64 s[36:37], 0
	s_and_saveexec_b64 s[38:39], vcc
	s_xor_b64 s[38:39], exec, s[38:39]
	s_cbranch_execz .LBB18_905
; %bb.885:
	s_movk_i32 s36, 0x80
	v_cmp_eq_u16_e32 vcc, s36, v2
	s_mov_b64 s[36:37], -1
	s_and_saveexec_b64 s[40:41], vcc
; %bb.886:
	s_xor_b64 s[36:37], exec, -1
; %bb.887:
	s_or_b64 exec, exec, s[40:41]
	s_and_b64 s[36:37], s[36:37], exec
	s_or_saveexec_b64 s[38:39], s[38:39]
	v_mov_b32_e32 v6, 0x7f800001
	s_xor_b64 exec, exec, s[38:39]
	s_cbranch_execnz .LBB18_906
.LBB18_888:
	s_or_b64 exec, exec, s[38:39]
	s_and_saveexec_b64 s[38:39], s[36:37]
	s_cbranch_execz .LBB18_890
.LBB18_889:
	v_lshlrev_b32_e32 v3, 24, v2
	v_and_b32_e32 v2, 0xffff, v2
	v_and_b32_e32 v4, 7, v2
	v_ffbh_u32_e32 v6, v4
	v_min_u32_e32 v6, 32, v6
	v_subrev_u32_e32 v7, 28, v6
	v_bfe_u32 v5, v2, 3, 4
	v_lshlrev_b32_e32 v2, v7, v2
	v_sub_u32_e32 v6, 29, v6
	v_and_b32_e32 v2, 7, v2
	v_cmp_eq_u32_e32 vcc, 0, v5
	v_cndmask_b32_e32 v5, v5, v6, vcc
	v_cndmask_b32_e32 v2, v4, v2, vcc
	v_mov_b32_e32 v4, 0x3b800000
	v_lshlrev_b32_e32 v2, 20, v2
	v_and_b32_e32 v3, 0x80000000, v3
	v_lshl_add_u32 v4, v5, 23, v4
	v_or3_b32 v6, v3, v4, v2
.LBB18_890:
	s_or_b64 exec, exec, s[38:39]
.LBB18_891:
	s_mov_b64 s[36:37], -1
.LBB18_892:
	s_mov_b64 s[38:39], 0
.LBB18_893:
	s_and_b64 vcc, exec, s[38:39]
	s_cbranch_vccz .LBB18_926
; %bb.894:
	s_cmp_gt_i32 s43, 22
	s_cbranch_scc0 .LBB18_904
; %bb.895:
	s_cmp_lt_i32 s43, 24
	s_cbranch_scc1 .LBB18_907
; %bb.896:
	s_cmp_gt_i32 s43, 24
	s_cbranch_scc0 .LBB18_908
; %bb.897:
	global_load_ubyte v2, v[0:1], off
	s_movk_i32 s34, 0x7f
	s_waitcnt vmcnt(0)
	v_cmp_lt_i16_e32 vcc, s34, v2
	s_mov_b64 s[34:35], 0
	s_and_saveexec_b64 s[36:37], vcc
	s_xor_b64 s[36:37], exec, s[36:37]
	s_cbranch_execz .LBB18_920
; %bb.898:
	s_movk_i32 s34, 0x80
	v_cmp_eq_u16_e32 vcc, s34, v2
	s_mov_b64 s[34:35], -1
	s_and_saveexec_b64 s[38:39], vcc
; %bb.899:
	s_xor_b64 s[34:35], exec, -1
; %bb.900:
	s_or_b64 exec, exec, s[38:39]
	s_and_b64 s[34:35], s[34:35], exec
	s_or_saveexec_b64 s[36:37], s[36:37]
	v_mov_b32_e32 v6, 0x7f800001
	s_xor_b64 exec, exec, s[36:37]
	s_cbranch_execnz .LBB18_921
.LBB18_901:
	s_or_b64 exec, exec, s[36:37]
	s_and_saveexec_b64 s[36:37], s[34:35]
	s_cbranch_execz .LBB18_903
.LBB18_902:
	v_lshlrev_b32_e32 v3, 24, v2
	v_and_b32_e32 v2, 0xffff, v2
	v_and_b32_e32 v4, 3, v2
	v_ffbh_u32_e32 v6, v4
	v_min_u32_e32 v6, 32, v6
	v_subrev_u32_e32 v7, 29, v6
	v_bfe_u32 v5, v2, 2, 5
	v_lshlrev_b32_e32 v2, v7, v2
	v_sub_u32_e32 v6, 30, v6
	v_and_b32_e32 v2, 3, v2
	v_cmp_eq_u32_e32 vcc, 0, v5
	v_cndmask_b32_e32 v5, v5, v6, vcc
	v_cndmask_b32_e32 v2, v4, v2, vcc
	v_mov_b32_e32 v4, 0x37800000
	v_lshlrev_b32_e32 v2, 21, v2
	v_and_b32_e32 v3, 0x80000000, v3
	v_lshl_add_u32 v4, v5, 23, v4
	v_or3_b32 v6, v3, v4, v2
.LBB18_903:
	s_or_b64 exec, exec, s[36:37]
	s_mov_b64 s[34:35], 0
	s_branch .LBB18_909
.LBB18_904:
	s_mov_b64 s[34:35], -1
                                        ; implicit-def: $vgpr6
	s_branch .LBB18_915
.LBB18_905:
	s_or_saveexec_b64 s[38:39], s[38:39]
	v_mov_b32_e32 v6, 0x7f800001
	s_xor_b64 exec, exec, s[38:39]
	s_cbranch_execz .LBB18_888
.LBB18_906:
	v_cmp_ne_u16_e32 vcc, 0, v2
	s_andn2_b64 s[36:37], s[36:37], exec
	s_and_b64 s[40:41], vcc, exec
	v_mov_b32_e32 v6, 0
	s_or_b64 s[36:37], s[36:37], s[40:41]
	s_or_b64 exec, exec, s[38:39]
	s_and_saveexec_b64 s[38:39], s[36:37]
	s_cbranch_execnz .LBB18_889
	s_branch .LBB18_890
.LBB18_907:
	s_mov_b64 s[34:35], -1
                                        ; implicit-def: $vgpr6
	s_branch .LBB18_912
.LBB18_908:
	s_mov_b64 s[34:35], -1
                                        ; implicit-def: $vgpr6
.LBB18_909:
	s_and_b64 vcc, exec, s[34:35]
	s_cbranch_vccz .LBB18_911
; %bb.910:
	global_load_ubyte v2, v[0:1], off
	s_mov_b32 s34, 0x7f800000
	s_waitcnt vmcnt(0)
	v_lshlrev_b32_e32 v2, 24, v2
	v_and_b32_e32 v3, 0x7f000000, v2
	v_ffbh_u32_e32 v4, v3
	v_min_u32_e32 v4, 32, v4
	v_sub_u32_e64 v4, v4, 4 clamp
	v_lshlrev_b32_e32 v6, v4, v3
	v_lshlrev_b32_e32 v4, 23, v4
	v_lshrrev_b32_e32 v6, 4, v6
	v_add_u32_e32 v5, 0x1000000, v3
	v_sub_u32_e32 v4, v6, v4
	v_ashrrev_i32_e32 v5, 8, v5
	v_add_u32_e32 v4, 0x3c000000, v4
	v_and_or_b32 v4, v5, s34, v4
	v_cmp_ne_u32_e32 vcc, 0, v3
	v_cndmask_b32_e32 v3, 0, v4, vcc
	s_brev_b32 s34, 1
	v_and_or_b32 v6, v2, s34, v3
.LBB18_911:
	s_mov_b64 s[34:35], 0
.LBB18_912:
	s_andn2_b64 vcc, exec, s[34:35]
	s_cbranch_vccnz .LBB18_914
; %bb.913:
	global_load_ubyte v2, v[0:1], off
	s_movk_i32 s34, 0x7f00
	s_brev_b32 s35, 16
	s_waitcnt vmcnt(0)
	v_lshlrev_b16_e32 v3, 8, v2
	v_lshlrev_b32_e32 v2, 25, v2
	v_lshrrev_b32_e32 v4, 4, v2
	v_and_or_b32 v5, v3, s34, 0.5
	v_or_b32_e32 v4, 0x70000000, v4
	v_add_f32_e32 v5, -0.5, v5
	v_mul_f32_e32 v4, 0x7800000, v4
	v_cmp_gt_u32_e32 vcc, s35, v2
	v_bfe_i32 v3, v3, 0, 16
	v_cndmask_b32_e32 v2, v4, v5, vcc
	s_brev_b32 s34, 1
	v_and_or_b32 v6, v3, s34, v2
.LBB18_914:
	s_mov_b64 s[34:35], 0
	s_mov_b64 s[36:37], -1
.LBB18_915:
	s_andn2_b64 vcc, exec, s[34:35]
	s_mov_b64 s[34:35], 0
	s_cbranch_vccnz .LBB18_926
; %bb.916:
	s_cmp_gt_i32 s43, 14
	s_cbranch_scc0 .LBB18_919
; %bb.917:
	s_cmp_eq_u32 s43, 15
	s_cbranch_scc0 .LBB18_922
; %bb.918:
	global_load_ushort v2, v[0:1], off
	s_mov_b64 s[30:31], 0
	s_mov_b64 s[36:37], -1
	s_waitcnt vmcnt(0)
	v_lshlrev_b32_e32 v6, 16, v2
	s_branch .LBB18_923
.LBB18_919:
	s_mov_b64 s[38:39], -1
                                        ; implicit-def: $vgpr6
	s_branch .LBB18_924
.LBB18_920:
	s_or_saveexec_b64 s[36:37], s[36:37]
	v_mov_b32_e32 v6, 0x7f800001
	s_xor_b64 exec, exec, s[36:37]
	s_cbranch_execz .LBB18_901
.LBB18_921:
	v_cmp_ne_u16_e32 vcc, 0, v2
	s_andn2_b64 s[34:35], s[34:35], exec
	s_and_b64 s[38:39], vcc, exec
	v_mov_b32_e32 v6, 0
	s_or_b64 s[34:35], s[34:35], s[38:39]
	s_or_b64 exec, exec, s[36:37]
	s_and_saveexec_b64 s[36:37], s[34:35]
	s_cbranch_execnz .LBB18_902
	s_branch .LBB18_903
.LBB18_922:
	s_mov_b64 s[30:31], -1
                                        ; implicit-def: $vgpr6
.LBB18_923:
	s_mov_b64 s[38:39], 0
.LBB18_924:
	s_and_b64 vcc, exec, s[38:39]
	s_cbranch_vccz .LBB18_926
; %bb.925:
	s_cmp_lg_u32 s43, 11
	s_cselect_b64 s[38:39], -1, 0
	s_andn2_b64 s[30:31], s[30:31], exec
	s_and_b64 s[38:39], s[38:39], exec
	s_mov_b64 s[34:35], -1
	s_or_b64 s[30:31], s[30:31], s[38:39]
.LBB18_926:
	s_mov_b64 s[38:39], 0
.LBB18_927:
	s_and_b64 s[40:41], s[38:39], exec
	s_andn2_b64 s[38:39], s[0:1], exec
	s_and_b64 s[30:31], s[30:31], exec
	s_and_b64 s[36:37], s[36:37], exec
	;; [unrolled: 1-line block ×3, first 2 shown]
	s_or_b64 s[38:39], s[38:39], s[30:31]
.LBB18_928:
	s_or_b64 exec, exec, s[26:27]
	s_and_b64 s[30:31], s[34:35], exec
	s_andn2_b64 s[0:1], s[0:1], exec
	s_and_b64 s[34:35], s[38:39], exec
	s_and_b64 s[36:37], s[36:37], exec
	;; [unrolled: 1-line block ×3, first 2 shown]
	s_or_b64 s[0:1], s[0:1], s[34:35]
.LBB18_929:
	s_or_b64 exec, exec, s[24:25]
	s_andn2_b64 s[20:21], s[20:21], exec
	s_and_b64 s[24:25], s[28:29], exec
	s_andn2_b64 s[18:19], s[18:19], exec
	s_and_b64 s[0:1], s[0:1], exec
	s_or_b64 s[20:21], s[20:21], s[24:25]
	s_and_b64 s[28:29], s[36:37], exec
	s_and_b64 s[26:27], s[26:27], exec
	s_and_b64 s[24:25], s[30:31], exec
	s_or_b64 s[18:19], s[18:19], s[0:1]
.LBB18_930:
	s_or_b64 exec, exec, s[22:23]
	s_andn2_b64 s[0:1], s[6:7], exec
	s_and_b64 s[6:7], s[20:21], exec
	s_andn2_b64 s[14:15], s[14:15], exec
	s_and_b64 s[18:19], s[18:19], exec
	s_or_b64 s[6:7], s[0:1], s[6:7]
	s_and_b64 s[0:1], s[28:29], exec
	s_and_b64 s[22:23], s[26:27], exec
	;; [unrolled: 1-line block ×3, first 2 shown]
	s_or_b64 s[14:15], s[14:15], s[18:19]
	s_or_b64 exec, exec, s[16:17]
	s_mov_b64 s[16:17], 0
	s_and_saveexec_b64 s[18:19], s[14:15]
	s_cbranch_execz .LBB18_286
.LBB18_931:
	s_mov_b64 s[16:17], exec
	s_andn2_b64 s[20:21], s[20:21], exec
	s_trap 2
	s_or_b64 exec, exec, s[18:19]
	s_and_saveexec_b64 s[14:15], s[20:21]
	s_xor_b64 s[14:15], exec, s[14:15]
	s_cbranch_execnz .LBB18_287
.LBB18_932:
	s_or_b64 exec, exec, s[14:15]
	s_and_saveexec_b64 s[14:15], s[22:23]
	s_cbranch_execz .LBB18_978
.LBB18_933:
	s_sext_i32_i16 s18, s42
	s_cmp_lt_i32 s18, 5
	s_cbranch_scc1 .LBB18_938
; %bb.934:
	s_cmp_lt_i32 s18, 8
	s_cbranch_scc1 .LBB18_939
; %bb.935:
	;; [unrolled: 3-line block ×3, first 2 shown]
	s_cmp_gt_i32 s18, 9
	s_cbranch_scc0 .LBB18_941
; %bb.937:
	global_load_dwordx2 v[2:3], v[0:1], off
	s_mov_b64 s[18:19], 0
	s_waitcnt vmcnt(0)
	v_cvt_f32_f64_e32 v6, v[2:3]
	s_branch .LBB18_942
.LBB18_938:
                                        ; implicit-def: $vgpr6
	s_branch .LBB18_959
.LBB18_939:
                                        ; implicit-def: $vgpr6
	s_branch .LBB18_948
.LBB18_940:
	s_mov_b64 s[18:19], -1
                                        ; implicit-def: $vgpr6
	s_branch .LBB18_945
.LBB18_941:
	s_mov_b64 s[18:19], -1
                                        ; implicit-def: $vgpr6
.LBB18_942:
	s_andn2_b64 vcc, exec, s[18:19]
	s_cbranch_vccnz .LBB18_944
; %bb.943:
	global_load_dword v6, v[0:1], off
.LBB18_944:
	s_mov_b64 s[18:19], 0
.LBB18_945:
	s_andn2_b64 vcc, exec, s[18:19]
	s_cbranch_vccnz .LBB18_947
; %bb.946:
	global_load_dword v2, v[0:1], off
	s_waitcnt vmcnt(0)
	v_cvt_f32_f16_e32 v6, v2
.LBB18_947:
	s_cbranch_execnz .LBB18_958
.LBB18_948:
	s_sext_i32_i16 s18, s42
	s_cmp_lt_i32 s18, 6
	s_cbranch_scc1 .LBB18_951
; %bb.949:
	s_cmp_gt_i32 s18, 6
	s_cbranch_scc0 .LBB18_952
; %bb.950:
	global_load_dwordx2 v[2:3], v[0:1], off
	s_mov_b64 s[18:19], 0
	s_waitcnt vmcnt(0)
	v_cvt_f32_f64_e32 v6, v[2:3]
	s_branch .LBB18_953
.LBB18_951:
	s_mov_b64 s[18:19], -1
                                        ; implicit-def: $vgpr6
	s_branch .LBB18_956
.LBB18_952:
	s_mov_b64 s[18:19], -1
                                        ; implicit-def: $vgpr6
.LBB18_953:
	s_andn2_b64 vcc, exec, s[18:19]
	s_cbranch_vccnz .LBB18_955
; %bb.954:
	global_load_dword v6, v[0:1], off
.LBB18_955:
	s_mov_b64 s[18:19], 0
.LBB18_956:
	s_andn2_b64 vcc, exec, s[18:19]
	s_cbranch_vccnz .LBB18_958
; %bb.957:
	global_load_ushort v2, v[0:1], off
	s_waitcnt vmcnt(0)
	v_cvt_f32_f16_e32 v6, v2
.LBB18_958:
	s_cbranch_execnz .LBB18_977
.LBB18_959:
	s_sext_i32_i16 s18, s42
	s_cmp_lt_i32 s18, 2
	s_cbranch_scc1 .LBB18_963
; %bb.960:
	s_cmp_lt_i32 s18, 3
	s_cbranch_scc1 .LBB18_964
; %bb.961:
	s_cmp_gt_i32 s18, 3
	s_cbranch_scc0 .LBB18_965
; %bb.962:
	global_load_dwordx2 v[2:3], v[0:1], off
	s_mov_b64 s[18:19], 0
	s_waitcnt vmcnt(0)
	v_xor_b32_e32 v5, v2, v3
	v_ffbh_i32_e32 v4, v3
	v_ashrrev_i32_e32 v5, 31, v5
	v_add_u32_e32 v4, -1, v4
	v_add_u32_e32 v5, 32, v5
	v_min_u32_e32 v4, v4, v5
	v_lshlrev_b64 v[2:3], v4, v[2:3]
	v_min_u32_e32 v2, 1, v2
	v_or_b32_e32 v2, v3, v2
	v_cvt_f32_i32_e32 v2, v2
	v_sub_u32_e32 v3, 32, v4
	v_ldexp_f32 v6, v2, v3
	s_branch .LBB18_966
.LBB18_963:
                                        ; implicit-def: $vgpr6
	s_branch .LBB18_972
.LBB18_964:
	s_mov_b64 s[18:19], -1
                                        ; implicit-def: $vgpr6
	s_branch .LBB18_969
.LBB18_965:
	s_mov_b64 s[18:19], -1
                                        ; implicit-def: $vgpr6
.LBB18_966:
	s_andn2_b64 vcc, exec, s[18:19]
	s_cbranch_vccnz .LBB18_968
; %bb.967:
	global_load_dword v2, v[0:1], off
	s_waitcnt vmcnt(0)
	v_cvt_f32_i32_e32 v6, v2
.LBB18_968:
	s_mov_b64 s[18:19], 0
.LBB18_969:
	s_andn2_b64 vcc, exec, s[18:19]
	s_cbranch_vccnz .LBB18_971
; %bb.970:
	global_load_sshort v2, v[0:1], off
	s_waitcnt vmcnt(0)
	v_cvt_f32_i32_e32 v6, v2
.LBB18_971:
	s_cbranch_execnz .LBB18_977
.LBB18_972:
	s_sext_i32_i16 s18, s42
	s_cmp_gt_i32 s18, 0
	s_cbranch_scc0 .LBB18_974
; %bb.973:
	global_load_sbyte v2, v[0:1], off
	s_mov_b64 s[18:19], 0
	s_waitcnt vmcnt(0)
	v_cvt_f32_i32_e32 v6, v2
	s_branch .LBB18_975
.LBB18_974:
	s_mov_b64 s[18:19], -1
                                        ; implicit-def: $vgpr6
.LBB18_975:
	s_andn2_b64 vcc, exec, s[18:19]
	s_cbranch_vccnz .LBB18_977
; %bb.976:
	global_load_ubyte v0, v[0:1], off
	s_waitcnt vmcnt(0)
	v_cvt_f32_ubyte0_e32 v6, v0
.LBB18_977:
	s_or_b64 s[0:1], s[0:1], exec
.LBB18_978:
	s_or_b64 exec, exec, s[14:15]
	s_mov_b64 s[20:21], 0
	s_mov_b64 s[18:19], 0
                                        ; implicit-def: $sgpr26
                                        ; implicit-def: $vgpr2_vgpr3
                                        ; implicit-def: $vgpr0
	s_and_saveexec_b64 s[14:15], s[0:1]
	s_cbranch_execz .LBB18_1020
; %bb.979:
	s_waitcnt vmcnt(0)
	v_cmp_neq_f32_e32 vcc, 0, v6
                                        ; implicit-def: $vgpr0
	s_and_saveexec_b64 s[0:1], vcc
	s_xor_b64 s[18:19], exec, s[0:1]
	s_cbranch_execz .LBB18_1001
; %bb.980:
	v_mov_b32_e32 v1, 0
	v_cmp_gt_f32_e32 vcc, 0, v6
	s_mov_b64 s[0:1], -1
	s_and_saveexec_b64 s[20:21], vcc
	s_cbranch_execz .LBB18_988
; %bb.981:
	v_trunc_f32_e32 v0, v6
	v_cmp_neq_f32_e32 vcc, v6, v0
	s_mov_b64 s[24:25], 0
	v_mov_b32_e32 v1, 0
	s_and_saveexec_b64 s[22:23], vcc
	s_cbranch_execz .LBB18_987
; %bb.982:
	v_cvt_f64_f32_e32 v[0:1], v6
	s_mov_b32 s26, 0
	s_mov_b32 s1, 0xc00921fb
	;; [unrolled: 1-line block ×3, first 2 shown]
	v_trunc_f64_e32 v[2:3], v[0:1]
	s_mov_b32 s27, 0x7ff00000
	v_cmp_neq_f64_e64 vcc, |v[0:1]|, s[26:27]
	v_bfrev_b32_e32 v4, 1
	s_mov_b32 s24, 0
	s_mov_b32 s25, 0x41d00000
                                        ; implicit-def: $vgpr7
	v_add_f64 v[2:3], v[0:1], -v[2:3]
	v_mul_f64 v[2:3], |v[2:3]|, s[0:1]
	v_cndmask_b32_e32 v1, v4, v3, vcc
	v_cndmask_b32_e32 v0, 0, v2, vcc
	v_cmp_nlt_f64_e64 s[24:25], |v[0:1]|, s[24:25]
                                        ; implicit-def: $vgpr2_vgpr3
                                        ; implicit-def: $vgpr4_vgpr5
	s_and_saveexec_b64 s[28:29], s[24:25]
	s_xor_b64 s[24:25], exec, s[28:29]
	s_cbranch_execz .LBB18_984
; %bb.983:
	v_trig_preop_f64 v[4:5], |v[0:1]|, 0
	s_mov_b32 s28, 0
	s_mov_b32 s29, 0x7b000000
	s_movk_i32 s1, 0xff80
	v_ldexp_f64 v[2:3], |v[0:1]|, s1
	v_cmp_ge_f64_e64 vcc, |v[0:1]|, s[28:29]
	v_trig_preop_f64 v[7:8], |v[0:1]|, 1
	v_and_b32_e32 v9, 0x7fffffff, v1
	v_trig_preop_f64 v[16:17], |v[0:1]|, 2
	v_mov_b32_e32 v27, 0x40100000
	v_mov_b32_e32 v26, 0
	s_mov_b32 s1, 0x3ff921fb
	v_cndmask_b32_e32 v3, v9, v3, vcc
	v_cndmask_b32_e32 v2, v0, v2, vcc
	v_mul_f64 v[9:10], v[4:5], v[2:3]
	v_mul_f64 v[12:13], v[7:8], v[2:3]
	;; [unrolled: 1-line block ×3, first 2 shown]
	v_fma_f64 v[4:5], v[4:5], v[2:3], -v[9:10]
	v_fma_f64 v[7:8], v[7:8], v[2:3], -v[12:13]
	;; [unrolled: 1-line block ×3, first 2 shown]
	v_add_f64 v[14:15], v[12:13], v[4:5]
	v_add_f64 v[18:19], v[14:15], -v[12:13]
	v_add_f64 v[24:25], v[9:10], v[14:15]
	v_add_f64 v[20:21], v[14:15], -v[18:19]
	v_add_f64 v[4:5], v[4:5], -v[18:19]
	v_add_f64 v[18:19], v[22:23], v[7:8]
	v_add_f64 v[9:10], v[24:25], -v[9:10]
	v_add_f64 v[12:13], v[12:13], -v[20:21]
	v_ldexp_f64 v[20:21], v[24:25], -2
	v_add_f64 v[28:29], v[18:19], -v[22:23]
	v_add_f64 v[9:10], v[14:15], -v[9:10]
	v_add_f64 v[4:5], v[4:5], v[12:13]
	v_fract_f64_e32 v[12:13], v[20:21]
	v_cmp_neq_f64_e64 vcc, |v[20:21]|, s[26:27]
	v_add_f64 v[7:8], v[7:8], -v[28:29]
	s_mov_b32 s26, 0x33145c07
	s_mov_b32 s27, 0x3c91a626
	v_add_f64 v[14:15], v[18:19], v[4:5]
	v_ldexp_f64 v[12:13], v[12:13], 2
	v_add_f64 v[20:21], v[9:10], v[14:15]
	v_cndmask_b32_e32 v13, 0, v13, vcc
	v_cndmask_b32_e32 v12, 0, v12, vcc
	v_add_f64 v[30:31], v[14:15], -v[18:19]
	v_add_f64 v[24:25], v[20:21], v[12:13]
	v_add_f64 v[9:10], v[20:21], -v[9:10]
	v_add_f64 v[32:33], v[14:15], -v[30:31]
	;; [unrolled: 1-line block ×3, first 2 shown]
	v_cmp_gt_f64_e32 vcc, 0, v[24:25]
	v_add_f64 v[24:25], v[18:19], -v[28:29]
	v_add_f64 v[9:10], v[14:15], -v[9:10]
	;; [unrolled: 1-line block ×3, first 2 shown]
	v_cndmask_b32_e32 v27, 0, v27, vcc
	v_add_f64 v[12:13], v[12:13], v[26:27]
	v_add_f64 v[24:25], v[22:23], -v[24:25]
	v_add_f64 v[4:5], v[4:5], v[18:19]
	v_add_f64 v[34:35], v[20:21], v[12:13]
	;; [unrolled: 1-line block ×3, first 2 shown]
	v_cvt_i32_f64_e32 v29, v[34:35]
	v_add_f64 v[4:5], v[7:8], v[4:5]
	v_cvt_f64_i32_e32 v[27:28], v29
	v_add_f64 v[12:13], v[12:13], -v[27:28]
	v_add_f64 v[2:3], v[2:3], v[4:5]
	v_add_f64 v[7:8], v[20:21], v[12:13]
	v_add_f64 v[2:3], v[9:10], v[2:3]
	v_mov_b32_e32 v9, 0x3ff00000
	v_add_f64 v[4:5], v[7:8], -v[12:13]
	v_cmp_le_f64_e32 vcc, 0.5, v[7:8]
	v_add_f64 v[4:5], v[20:21], -v[4:5]
	v_cndmask_b32_e32 v27, 0, v9, vcc
	v_add_f64 v[2:3], v[2:3], v[4:5]
	v_add_f64 v[4:5], v[7:8], -v[26:27]
	v_add_f64 v[7:8], v[4:5], v[2:3]
	v_mul_f64 v[9:10], v[7:8], s[0:1]
	v_add_f64 v[4:5], v[7:8], -v[4:5]
	v_fma_f64 v[12:13], v[7:8], s[0:1], -v[9:10]
	v_add_f64 v[2:3], v[2:3], -v[4:5]
	v_fma_f64 v[4:5], v[7:8], s[26:27], v[12:13]
	v_fma_f64 v[4:5], v[2:3], s[0:1], v[4:5]
	v_add_f64 v[2:3], v[9:10], v[4:5]
	v_add_f64 v[7:8], v[2:3], -v[9:10]
	v_add_f64 v[4:5], v[4:5], -v[7:8]
	v_addc_co_u32_e32 v7, vcc, 0, v29, vcc
.LBB18_984:
	s_andn2_saveexec_b64 s[0:1], s[24:25]
	s_cbranch_execz .LBB18_986
; %bb.985:
	s_mov_b32 s24, 0x6dc9c883
	s_mov_b32 s25, 0x3fe45f30
	v_mul_f64 v[2:3], |v[0:1]|, s[24:25]
	s_mov_b32 s24, 0x54442d18
	s_mov_b32 s25, 0xbff921fb
	;; [unrolled: 1-line block ×4, first 2 shown]
	v_rndne_f64_e32 v[7:8], v[2:3]
	v_fma_f64 v[2:3], v[7:8], s[24:25], |v[0:1]|
	v_mul_f64 v[4:5], v[7:8], s[26:27]
	s_mov_b32 s24, 0x252049c0
	s_mov_b32 s25, 0xb97b839a
	v_fma_f64 v[14:15], v[7:8], s[26:27], v[2:3]
	v_add_f64 v[9:10], v[2:3], v[4:5]
	s_mov_b32 s27, 0x3c91a626
	v_add_f64 v[12:13], v[2:3], -v[9:10]
	v_add_f64 v[9:10], v[9:10], -v[14:15]
	v_add_f64 v[2:3], v[12:13], v[4:5]
	v_fma_f64 v[4:5], v[7:8], s[26:27], v[4:5]
	v_add_f64 v[2:3], v[9:10], v[2:3]
	v_add_f64 v[2:3], v[2:3], -v[4:5]
	v_fma_f64 v[4:5], v[7:8], s[24:25], v[2:3]
	v_cvt_i32_f64_e32 v7, v[7:8]
	v_add_f64 v[2:3], v[14:15], v[4:5]
	v_add_f64 v[9:10], v[2:3], -v[14:15]
	v_add_f64 v[4:5], v[4:5], -v[9:10]
.LBB18_986:
	s_or_b64 exec, exec, s[0:1]
	v_mul_f64 v[8:9], v[2:3], v[2:3]
	v_add_f64 v[12:13], v[4:5], v[4:5]
	s_mov_b32 s0, 0xc751c08c
	s_mov_b32 s1, 0x3ef5e089
	v_and_b32_e32 v7, 1, v7
	v_cmp_eq_u32_e32 vcc, 0, v7
	s_mov_b32 s26, 0x54442d18
	s_mov_b32 s27, 0xc00921fb
	v_fma_f64 v[14:15], v[2:3], v[2:3], -v[8:9]
	s_mov_b64 s[24:25], exec
	v_sub_f32_e32 v6, 1.0, v6
	v_fma_f64 v[12:13], v[2:3], v[12:13], v[14:15]
	v_add_f64 v[8:9], v[8:9], v[12:13]
	v_mov_b32_e32 v12, 0xa9a29f71
	v_mov_b32_e32 v13, 0xbf078809
	v_fma_f64 v[12:13], v[8:9], s[0:1], v[12:13]
	s_mov_b32 s0, 0x90a8aae0
	s_mov_b32 s1, 0x3f17746f
	v_fma_f64 v[12:13], v[8:9], v[12:13], s[0:1]
	s_mov_b32 s0, 0xa6fbf144
	s_mov_b32 s1, 0xbefbb44d
	;; [unrolled: 3-line block ×12, first 2 shown]
	v_fma_f64 v[12:13], v[8:9], v[12:13], s[0:1]
	s_movk_i32 s0, 0x1f8
	v_cmp_class_f64_e64 s[0:1], v[0:1], s0
	v_mul_f64 v[8:9], v[8:9], v[12:13]
	v_mul_f64 v[12:13], v[2:3], v[8:9]
	v_add_f64 v[14:15], v[2:3], v[12:13]
	v_fma_f64 v[8:9], v[2:3], v[8:9], -v[12:13]
	v_add_f64 v[2:3], v[14:15], -v[2:3]
	v_add_f64 v[4:5], v[4:5], v[8:9]
	v_add_f64 v[2:3], v[12:13], -v[2:3]
	v_add_f64 v[2:3], v[4:5], v[2:3]
	v_add_f64 v[4:5], v[14:15], v[2:3]
	v_rcp_f64_e32 v[8:9], v[4:5]
	v_fma_f64 v[12:13], -v[4:5], v[8:9], 1.0
	v_fma_f64 v[8:9], v[12:13], v[8:9], v[8:9]
	v_fma_f64 v[12:13], -v[4:5], v[8:9], 1.0
	v_fma_f64 v[8:9], v[12:13], v[8:9], v[8:9]
	v_add_f64 v[12:13], v[4:5], -v[14:15]
	v_mul_f64 v[14:15], v[4:5], v[8:9]
	v_add_f64 v[2:3], v[2:3], -v[12:13]
	v_fma_f64 v[12:13], v[8:9], v[4:5], -v[14:15]
	v_fma_f64 v[2:3], v[8:9], v[2:3], v[12:13]
	v_add_f64 v[12:13], v[14:15], v[2:3]
	v_add_f64 v[16:17], -v[12:13], 1.0
	v_add_f64 v[14:15], v[12:13], -v[14:15]
	v_add_f64 v[18:19], -v[16:17], 1.0
	v_add_f64 v[2:3], v[14:15], -v[2:3]
	v_add_f64 v[12:13], v[18:19], -v[12:13]
	v_add_f64 v[2:3], v[2:3], v[12:13]
	v_add_f64 v[2:3], v[16:17], v[2:3]
	v_mul_f64 v[2:3], v[8:9], v[2:3]
	v_add_f64 v[2:3], v[8:9], v[2:3]
	v_and_b32_e32 v8, 0x80000000, v1
	v_mov_b32_e32 v1, 0x7ff80000
	v_xor_b32_e32 v0, 0x80000000, v3
	v_cndmask_b32_e32 v2, v2, v4, vcc
	v_cndmask_b32_e32 v3, v0, v5, vcc
	v_cndmask_b32_e64 v0, 0, v2, s[0:1]
	v_xor_b32_e32 v2, v3, v8
	v_cndmask_b32_e64 v1, v1, v2, s[0:1]
	v_div_scale_f64 v[2:3], s[0:1], v[0:1], v[0:1], s[26:27]
	v_div_scale_f64 v[9:10], vcc, s[26:27], v[0:1], s[26:27]
	v_rcp_f64_e32 v[4:5], v[2:3]
	v_fma_f64 v[7:8], -v[2:3], v[4:5], 1.0
	v_fma_f64 v[4:5], v[4:5], v[7:8], v[4:5]
	v_fma_f64 v[7:8], -v[2:3], v[4:5], 1.0
	v_fma_f64 v[4:5], v[4:5], v[7:8], v[4:5]
	v_mul_f64 v[7:8], v[9:10], v[4:5]
	v_fma_f64 v[2:3], -v[2:3], v[7:8], v[9:10]
	v_div_fmas_f64 v[2:3], v[2:3], v[4:5], v[7:8]
	v_div_fixup_f64 v[0:1], v[2:3], v[0:1], s[26:27]
	v_cvt_f32_f64_e32 v1, v[0:1]
.LBB18_987:
	s_or_b64 exec, exec, s[22:23]
	s_orn2_b64 s[0:1], s[24:25], exec
.LBB18_988:
	s_or_b64 exec, exec, s[20:21]
	v_mov_b32_e32 v0, 0x7fc00000
	s_and_saveexec_b64 s[20:21], s[0:1]
	s_cbranch_execz .LBB18_1000
; %bb.989:
	s_mov_b32 s24, 0x41200000
	v_cmp_gt_f32_e32 vcc, s24, v6
	s_and_saveexec_b64 s[0:1], vcc
	s_cbranch_execz .LBB18_993
; %bb.990:
	s_mov_b64 s[22:23], 0
.LBB18_991:                             ; =>This Inner Loop Header: Depth=1
	v_div_scale_f32 v0, s[26:27], v6, v6, 1.0
	v_div_scale_f32 v2, vcc, 1.0, v6, 1.0
	v_rcp_f32_e32 v3, v0
	v_fma_f32 v4, -v0, v3, 1.0
	v_fmac_f32_e32 v3, v4, v3
	v_mul_f32_e32 v4, v2, v3
	v_fma_f32 v5, -v0, v4, v2
	v_fmac_f32_e32 v4, v5, v3
	v_fma_f32 v0, -v0, v4, v2
	v_div_fmas_f32 v0, v0, v3, v4
	v_div_fixup_f32 v0, v0, v6, 1.0
	v_add_f32_e32 v6, 1.0, v6
	v_cmp_ngt_f32_e32 vcc, s24, v6
	s_or_b64 s[22:23], vcc, s[22:23]
	v_sub_f32_e32 v1, v1, v0
	s_andn2_b64 exec, exec, s[22:23]
	s_cbranch_execnz .LBB18_991
; %bb.992:
	s_or_b64 exec, exec, s[22:23]
.LBB18_993:
	s_or_b64 exec, exec, s[0:1]
	s_mov_b32 s0, 0x41200000
	v_cmp_neq_f32_e32 vcc, s0, v6
                                        ; implicit-def: $vgpr0
	s_and_saveexec_b64 s[0:1], vcc
	s_xor_b64 s[22:23], exec, s[0:1]
	s_cbranch_execz .LBB18_997
; %bb.994:
	v_cvt_f64_f32_e32 v[2:3], v6
	s_mov_b32 s0, 0x85d8a000
	s_mov_b32 s1, 0x43763457
	v_mov_b32_e32 v0, 0
	v_cmp_gt_f64_e32 vcc, s[0:1], v[2:3]
	s_and_saveexec_b64 s[0:1], vcc
	s_cbranch_execz .LBB18_996
; %bb.995:
	v_mul_f32_e32 v0, v6, v6
	v_div_scale_f32 v2, s[24:25], v0, v0, 1.0
	v_div_scale_f32 v3, vcc, 1.0, v0, 1.0
	v_mov_b32_e32 v8, 0x3b820821
	v_rcp_f32_e32 v4, v2
	v_fma_f32 v5, -v2, v4, 1.0
	v_fmac_f32_e32 v4, v5, v4
	v_mul_f32_e32 v5, v3, v4
	v_fma_f32 v7, -v2, v5, v3
	v_fmac_f32_e32 v5, v7, v4
	v_fma_f32 v2, -v2, v5, v3
	v_div_fmas_f32 v2, v2, v4, v5
	v_mov_b32_e32 v3, 0x3daaaaab
	v_mov_b32_e32 v4, 0xbcaccacd
	;; [unrolled: 1-line block ×4, first 2 shown]
	v_div_fixup_f32 v0, v2, v0, 1.0
	v_fma_f32 v2, 0, v0, v3
	v_fmac_f32_e32 v4, v0, v2
	v_fmac_f32_e32 v5, v0, v4
	;; [unrolled: 1-line block ×4, first 2 shown]
	v_mov_b32_e32 v2, 0xbc088889
	v_fmac_f32_e32 v2, v0, v8
	v_fmac_f32_e32 v3, v0, v2
	v_mul_f32_e32 v0, v0, v3
.LBB18_996:
	s_or_b64 exec, exec, s[0:1]
	v_div_scale_f32 v2, s[0:1], v6, v6, -0.5
	v_div_scale_f32 v3, vcc, -0.5, v6, -0.5
	s_mov_b32 s0, 0x800000
	v_cmp_gt_f32_e64 s[0:1], s0, v6
	v_cndmask_b32_e64 v5, 0, 32, s[0:1]
	s_mov_b32 s24, 0x3f317217
	v_rcp_f32_e32 v4, v2
	v_fma_f32 v7, -v2, v4, 1.0
	v_fmac_f32_e32 v4, v7, v4
	v_mul_f32_e32 v7, v3, v4
	v_fma_f32 v8, -v2, v7, v3
	v_fmac_f32_e32 v7, v8, v4
	v_fma_f32 v2, -v2, v7, v3
	v_div_fmas_f32 v2, v2, v4, v7
	v_ldexp_f32 v3, v6, v5
	v_log_f32_e32 v3, v3
	v_mul_f32_e32 v4, 0x3f317217, v3
	v_fma_f32 v4, v3, s24, -v4
	v_fmac_f32_e32 v4, 0x3377d1cf, v3
	s_mov_b32 s24, 0x7f800000
	v_fmac_f32_e32 v4, 0x3f317217, v3
	v_cmp_lt_f32_e64 vcc, |v3|, s24
	v_cndmask_b32_e32 v3, v3, v4, vcc
	v_mov_b32_e32 v4, 0x41b17218
	v_cndmask_b32_e64 v4, 0, v4, s[0:1]
	v_sub_f32_e32 v3, v3, v4
	v_div_fixup_f32 v2, v2, v6, -0.5
	v_add_f32_e32 v2, v3, v2
	v_sub_f32_e32 v0, v2, v0
	v_add_f32_e32 v0, v1, v0
                                        ; implicit-def: $vgpr1
.LBB18_997:
	s_andn2_saveexec_b64 s[0:1], s[22:23]
; %bb.998:
	v_add_f32_e32 v0, 0x40101cb7, v1
; %bb.999:
	s_or_b64 exec, exec, s[0:1]
.LBB18_1000:
	s_or_b64 exec, exec, s[20:21]
                                        ; implicit-def: $vgpr6
.LBB18_1001:
	s_andn2_saveexec_b64 s[0:1], s[18:19]
; %bb.1002:
	v_xor_b32_e32 v0, 0x80000000, v6
	s_brev_b32 s18, -2
	v_mov_b32_e32 v1, 0x7f800000
	v_bfi_b32 v0, s18, v1, v0
; %bb.1003:
	s_or_b64 exec, exec, s[0:1]
	v_mul_lo_u32 v1, v11, s2
	v_mov_b32_e32 v3, s9
	s_and_b32 s26, s33, 0xff
	s_cmp_lt_i32 s26, 11
	v_ashrrev_i32_e32 v4, 31, v1
	v_add_co_u32_e32 v2, vcc, s8, v1
	v_addc_co_u32_e32 v3, vcc, v3, v4, vcc
	s_cbranch_scc1 .LBB18_1023
; %bb.1004:
	s_and_b32 s27, 0xffff, s26
	s_mov_b64 s[20:21], -1
	s_cmp_gt_i32 s27, 25
	s_mov_b64 s[0:1], s[6:7]
	s_cbranch_scc0 .LBB18_1041
; %bb.1005:
	s_mov_b64 s[18:19], -1
	s_cmp_gt_i32 s27, 28
	s_mov_b64 s[0:1], s[6:7]
	s_cbranch_scc0 .LBB18_1025
; %bb.1006:
	s_cmp_gt_i32 s27, 43
	s_mov_b64 s[0:1], s[6:7]
	s_cbranch_scc0 .LBB18_1017
; %bb.1007:
	;; [unrolled: 4-line block ×3, first 2 shown]
	s_cmp_eq_u32 s27, 46
	s_mov_b64 s[0:1], -1
	s_cbranch_scc0 .LBB18_1010
; %bb.1009:
	v_bfe_u32 v1, v0, 16, 1
	s_movk_i32 s0, 0x7fff
	v_add3_u32 v1, v0, v1, s0
	v_cmp_o_f32_e32 vcc, v0, v0
	v_mov_b32_e32 v4, 0x7fc0
	v_cndmask_b32_sdwa v1, v4, v1, vcc dst_sel:DWORD dst_unused:UNUSED_PAD src0_sel:DWORD src1_sel:WORD_1
	global_store_dword v[2:3], v1, off
	s_mov_b64 s[0:1], 0
.LBB18_1010:
	s_mov_b64 s[18:19], 0
.LBB18_1011:
	s_and_b64 vcc, exec, s[18:19]
	s_cbranch_vccz .LBB18_1016
; %bb.1012:
	s_cmp_eq_u32 s27, 44
	s_mov_b64 s[0:1], -1
	s_cbranch_scc0 .LBB18_1016
; %bb.1013:
	v_bfe_u32 v1, v0, 23, 8
	s_movk_i32 s0, 0xff
	v_cmp_ne_u32_e32 vcc, s0, v1
	v_mov_b32_e32 v4, 0xff
	s_and_saveexec_b64 s[18:19], vcc
; %bb.1014:
	s_mov_b32 s0, 0x3fffff
	v_and_b32_e32 v5, 0x400000, v0
	v_and_or_b32 v1, v0, s0, v1
	v_cmp_ne_u32_e32 vcc, 0, v5
	v_cmp_ne_u32_e64 s[0:1], 0, v1
	s_and_b64 s[0:1], vcc, s[0:1]
	v_lshrrev_b32_e32 v4, 23, v0
	v_cndmask_b32_e64 v1, 0, 1, s[0:1]
	v_add_u32_e32 v4, v4, v1
; %bb.1015:
	s_or_b64 exec, exec, s[18:19]
	s_mov_b64 s[0:1], 0
	global_store_byte v[2:3], v4, off
.LBB18_1016:
	s_mov_b64 s[18:19], 0
.LBB18_1017:
	s_and_b64 vcc, exec, s[18:19]
	s_cbranch_vccz .LBB18_1024
; %bb.1018:
	s_cmp_eq_u32 s27, 29
	s_mov_b64 s[0:1], -1
	s_cbranch_scc0 .LBB18_1024
; %bb.1019:
	v_trunc_f32_e32 v1, v0
	v_mul_f32_e32 v4, 0x2f800000, v1
	v_floor_f32_e32 v4, v4
	v_fmac_f32_e32 v1, 0xcf800000, v4
	v_cvt_u32_f32_e32 v5, v4
	v_cvt_u32_f32_e32 v4, v1
	s_mov_b64 s[0:1], 0
	s_mov_b64 s[18:19], 0
	global_store_dwordx2 v[2:3], v[4:5], off
	s_branch .LBB18_1025
.LBB18_1020:
	s_or_b64 exec, exec, s[14:15]
	s_and_saveexec_b64 s[0:1], s[6:7]
	s_cbranch_execnz .LBB18_1083
.LBB18_1021:
	s_or_b64 exec, exec, s[0:1]
	s_and_saveexec_b64 s[0:1], s[20:21]
	s_xor_b64 s[0:1], exec, s[0:1]
	s_cbranch_execz .LBB18_1084
.LBB18_1022:
	v_cmp_neq_f32_e32 vcc, 0, v0
	v_cndmask_b32_e64 v1, 0, 1, vcc
	global_store_byte v[2:3], v1, off
	s_or_b64 exec, exec, s[0:1]
	s_and_saveexec_b64 s[0:1], s[18:19]
	s_xor_b64 s[0:1], exec, s[0:1]
	s_cbranch_execz .LBB18_1122
	s_branch .LBB18_1085
.LBB18_1023:
	s_mov_b64 s[20:21], 0
	s_mov_b64 s[18:19], -1
	s_mov_b64 s[0:1], s[6:7]
	s_branch .LBB18_1082
.LBB18_1024:
	s_mov_b64 s[18:19], 0
.LBB18_1025:
	s_and_b64 vcc, exec, s[18:19]
	s_cbranch_vccz .LBB18_1040
; %bb.1026:
	s_cmp_lt_i32 s27, 27
	s_mov_b64 s[18:19], -1
	s_cbranch_scc1 .LBB18_1032
; %bb.1027:
	v_cvt_u32_f32_e32 v1, v0
	s_cmp_gt_i32 s27, 27
	s_cbranch_scc0 .LBB18_1029
; %bb.1028:
	s_mov_b64 s[18:19], 0
	global_store_dword v[2:3], v1, off
.LBB18_1029:
	s_andn2_b64 vcc, exec, s[18:19]
	s_cbranch_vccnz .LBB18_1031
; %bb.1030:
	global_store_short v[2:3], v1, off
.LBB18_1031:
	s_mov_b64 s[18:19], 0
.LBB18_1032:
	s_andn2_b64 vcc, exec, s[18:19]
	s_cbranch_vccnz .LBB18_1040
; %bb.1033:
	v_and_b32_e32 v1, 0x7fffffff, v0
	s_mov_b32 s18, 0x43800000
	v_cmp_gt_u32_e32 vcc, s18, v1
	v_mov_b32_e32 v4, 0x80
	s_and_saveexec_b64 s[18:19], vcc
	s_cbranch_execz .LBB18_1039
; %bb.1034:
	s_mov_b32 s20, 0x3bffffff
	v_cmp_lt_u32_e32 vcc, s20, v1
	s_mov_b64 s[20:21], 0
                                        ; implicit-def: $vgpr1
	s_and_saveexec_b64 s[22:23], vcc
	s_xor_b64 s[22:23], exec, s[22:23]
	s_cbranch_execz .LBB18_1137
; %bb.1035:
	v_bfe_u32 v1, v0, 20, 1
	s_mov_b32 s24, 0x487ffff
	v_add3_u32 v1, v0, v1, s24
	s_mov_b64 s[20:21], exec
	v_lshrrev_b32_e32 v1, 20, v1
	s_andn2_saveexec_b64 s[22:23], s[22:23]
	s_cbranch_execnz .LBB18_1138
.LBB18_1036:
	s_or_b64 exec, exec, s[22:23]
	v_mov_b32_e32 v4, 0
	s_and_saveexec_b64 s[22:23], s[20:21]
.LBB18_1037:
	v_lshrrev_b32_e32 v4, 24, v0
	s_movk_i32 s20, 0x80
	v_and_or_b32 v4, v4, s20, v1
.LBB18_1038:
	s_or_b64 exec, exec, s[22:23]
.LBB18_1039:
	s_or_b64 exec, exec, s[18:19]
	global_store_byte v[2:3], v4, off
.LBB18_1040:
	s_mov_b64 s[20:21], 0
.LBB18_1041:
	s_mov_b64 s[18:19], 0
	s_and_b64 vcc, exec, s[20:21]
	s_cbranch_vccz .LBB18_1081
; %bb.1042:
	s_cmp_gt_i32 s27, 22
	s_mov_b64 s[20:21], -1
	s_cbranch_scc0 .LBB18_1074
; %bb.1043:
	s_cmp_lt_i32 s27, 24
	s_cbranch_scc1 .LBB18_1063
; %bb.1044:
	s_cmp_gt_i32 s27, 24
	s_cbranch_scc0 .LBB18_1052
; %bb.1045:
	v_and_b32_e32 v1, 0x7fffffff, v0
	s_mov_b32 s20, 0x47800000
	v_cmp_gt_u32_e32 vcc, s20, v1
	v_mov_b32_e32 v4, 0x80
	s_and_saveexec_b64 s[20:21], vcc
	s_cbranch_execz .LBB18_1051
; %bb.1046:
	s_mov_b32 s22, 0x37ffffff
	v_cmp_lt_u32_e32 vcc, s22, v1
	s_mov_b64 s[22:23], 0
                                        ; implicit-def: $vgpr1
	s_and_saveexec_b64 s[24:25], vcc
	s_xor_b64 s[24:25], exec, s[24:25]
	s_cbranch_execz .LBB18_1286
; %bb.1047:
	v_bfe_u32 v1, v0, 21, 1
	s_mov_b32 s28, 0x88fffff
	v_add3_u32 v1, v0, v1, s28
	s_mov_b64 s[22:23], exec
	v_lshrrev_b32_e32 v1, 21, v1
	s_andn2_saveexec_b64 s[24:25], s[24:25]
	s_cbranch_execnz .LBB18_1287
.LBB18_1048:
	s_or_b64 exec, exec, s[24:25]
	v_mov_b32_e32 v4, 0
	s_and_saveexec_b64 s[24:25], s[22:23]
.LBB18_1049:
	v_lshrrev_b32_e32 v4, 24, v0
	s_movk_i32 s22, 0x80
	v_and_or_b32 v4, v4, s22, v1
.LBB18_1050:
	s_or_b64 exec, exec, s[24:25]
.LBB18_1051:
	s_or_b64 exec, exec, s[20:21]
	s_mov_b64 s[20:21], 0
	global_store_byte v[2:3], v4, off
.LBB18_1052:
	s_and_b64 vcc, exec, s[20:21]
	s_cbranch_vccz .LBB18_1062
; %bb.1053:
	v_and_b32_e32 v4, 0x7fffffff, v0
	s_mov_b32 s20, 0x43f00000
	v_cmp_gt_u32_e32 vcc, s20, v4
                                        ; implicit-def: $vgpr1
	s_and_saveexec_b64 s[20:21], vcc
	s_xor_b64 s[20:21], exec, s[20:21]
	s_cbranch_execz .LBB18_1059
; %bb.1054:
	s_mov_b32 s22, 0x3c7fffff
	v_cmp_lt_u32_e32 vcc, s22, v4
                                        ; implicit-def: $vgpr1
	s_and_saveexec_b64 s[22:23], vcc
	s_xor_b64 s[22:23], exec, s[22:23]
; %bb.1055:
	v_bfe_u32 v1, v0, 20, 1
	s_mov_b32 s24, 0x407ffff
	v_add3_u32 v1, v0, v1, s24
	v_lshrrev_b32_e32 v4, 20, v1
	v_and_b32_e32 v1, 0xff00000, v1
	s_mov_b32 s24, 0x7f00000
	v_mov_b32_e32 v5, 0x7e
	v_cmp_ne_u32_e32 vcc, s24, v1
	v_cndmask_b32_e32 v1, v5, v4, vcc
; %bb.1056:
	s_andn2_saveexec_b64 s[22:23], s[22:23]
; %bb.1057:
	s_mov_b32 s24, 0x46800000
	v_add_f32_e64 v1, |v0|, s24
; %bb.1058:
	s_or_b64 exec, exec, s[22:23]
                                        ; implicit-def: $vgpr4
.LBB18_1059:
	s_andn2_saveexec_b64 s[20:21], s[20:21]
; %bb.1060:
	s_mov_b32 s22, 0x7f800000
	v_mov_b32_e32 v1, 0x7e
	v_mov_b32_e32 v5, 0x7f
	v_cmp_lt_u32_e32 vcc, s22, v4
	v_cndmask_b32_e32 v1, v1, v5, vcc
; %bb.1061:
	s_or_b64 exec, exec, s[20:21]
	v_lshrrev_b32_e32 v4, 24, v0
	s_movk_i32 s20, 0x80
	v_and_or_b32 v1, v4, s20, v1
	global_store_byte v[2:3], v1, off
.LBB18_1062:
	s_mov_b64 s[20:21], 0
.LBB18_1063:
	s_andn2_b64 vcc, exec, s[20:21]
	s_cbranch_vccnz .LBB18_1073
; %bb.1064:
	v_and_b32_e32 v4, 0x7fffffff, v0
	s_mov_b32 s20, 0x47800000
	v_cmp_gt_u32_e32 vcc, s20, v4
                                        ; implicit-def: $vgpr1
	s_and_saveexec_b64 s[20:21], vcc
	s_xor_b64 s[20:21], exec, s[20:21]
	s_cbranch_execz .LBB18_1070
; %bb.1065:
	s_mov_b32 s22, 0x387fffff
	v_cmp_lt_u32_e32 vcc, s22, v4
                                        ; implicit-def: $vgpr1
	s_and_saveexec_b64 s[22:23], vcc
	s_xor_b64 s[22:23], exec, s[22:23]
; %bb.1066:
	v_bfe_u32 v1, v0, 21, 1
	s_mov_b32 s24, 0x80fffff
	v_add3_u32 v1, v0, v1, s24
	v_lshrrev_b32_e32 v1, 21, v1
; %bb.1067:
	s_andn2_saveexec_b64 s[22:23], s[22:23]
; %bb.1068:
	s_mov_b32 s24, 0x43000000
	v_add_f32_e64 v1, |v0|, s24
; %bb.1069:
	s_or_b64 exec, exec, s[22:23]
                                        ; implicit-def: $vgpr4
.LBB18_1070:
	s_andn2_saveexec_b64 s[20:21], s[20:21]
; %bb.1071:
	s_mov_b32 s22, 0x7f800000
	v_mov_b32_e32 v1, 0x7c
	v_mov_b32_e32 v5, 0x7f
	v_cmp_lt_u32_e32 vcc, s22, v4
	v_cndmask_b32_e32 v1, v1, v5, vcc
; %bb.1072:
	s_or_b64 exec, exec, s[20:21]
	v_lshrrev_b32_e32 v4, 24, v0
	s_movk_i32 s20, 0x80
	v_and_or_b32 v1, v4, s20, v1
	global_store_byte v[2:3], v1, off
.LBB18_1073:
	s_mov_b64 s[20:21], 0
.LBB18_1074:
	s_andn2_b64 vcc, exec, s[20:21]
	s_mov_b64 s[20:21], 0
	s_cbranch_vccnz .LBB18_1082
; %bb.1075:
	s_cmp_gt_i32 s27, 14
	s_mov_b64 s[22:23], -1
	s_cbranch_scc0 .LBB18_1079
; %bb.1076:
	s_cmp_eq_u32 s27, 15
	s_mov_b64 s[0:1], -1
	s_cbranch_scc0 .LBB18_1078
; %bb.1077:
	v_bfe_u32 v1, v0, 16, 1
	s_movk_i32 s0, 0x7fff
	v_add3_u32 v1, v0, v1, s0
	v_cmp_o_f32_e32 vcc, v0, v0
	v_mov_b32_e32 v4, 0x7fc0
	v_cndmask_b32_sdwa v1, v4, v1, vcc dst_sel:DWORD dst_unused:UNUSED_PAD src0_sel:DWORD src1_sel:WORD_1
	global_store_short v[2:3], v1, off
	s_mov_b64 s[0:1], 0
.LBB18_1078:
	s_mov_b64 s[22:23], 0
.LBB18_1079:
	s_and_b64 vcc, exec, s[22:23]
	s_cbranch_vccz .LBB18_1082
; %bb.1080:
	s_cmp_lg_u32 s27, 11
	s_cselect_b64 s[22:23], -1, 0
	s_andn2_b64 s[0:1], s[0:1], exec
	s_and_b64 s[22:23], s[22:23], exec
	s_mov_b64 s[20:21], -1
	s_or_b64 s[0:1], s[0:1], s[22:23]
	s_branch .LBB18_1082
.LBB18_1081:
	s_mov_b64 s[20:21], 0
.LBB18_1082:
	s_andn2_b64 s[6:7], s[6:7], exec
	s_and_b64 s[0:1], s[0:1], exec
	s_and_b64 s[18:19], s[18:19], exec
	;; [unrolled: 1-line block ×3, first 2 shown]
	s_or_b64 s[6:7], s[6:7], s[0:1]
	s_or_b64 exec, exec, s[14:15]
	s_and_saveexec_b64 s[0:1], s[6:7]
	s_cbranch_execz .LBB18_1021
.LBB18_1083:
	s_or_b64 s[16:17], s[16:17], exec
	s_andn2_b64 s[20:21], s[20:21], exec
	s_trap 2
	s_or_b64 exec, exec, s[0:1]
	s_and_saveexec_b64 s[0:1], s[20:21]
	s_xor_b64 s[0:1], exec, s[0:1]
	s_cbranch_execnz .LBB18_1022
.LBB18_1084:
	s_or_b64 exec, exec, s[0:1]
	s_and_saveexec_b64 s[0:1], s[18:19]
	s_xor_b64 s[0:1], exec, s[0:1]
	s_cbranch_execz .LBB18_1122
.LBB18_1085:
	s_sext_i32_i16 s14, s26
	s_cmp_lt_i32 s14, 5
	s_mov_b64 s[6:7], -1
	s_cbranch_scc1 .LBB18_1106
; %bb.1086:
	s_cmp_lt_i32 s14, 8
	s_cbranch_scc1 .LBB18_1096
; %bb.1087:
	s_cmp_lt_i32 s14, 9
	s_cbranch_scc1 .LBB18_1093
; %bb.1088:
	s_cmp_gt_i32 s14, 9
	s_cbranch_scc0 .LBB18_1090
; %bb.1089:
	v_cvt_f64_f32_e32 v[4:5], v0
	s_waitcnt vmcnt(0)
	v_mov_b32_e32 v6, 0
	v_mov_b32_e32 v7, v6
	s_mov_b64 s[6:7], 0
	global_store_dwordx4 v[2:3], v[4:7], off
.LBB18_1090:
	s_andn2_b64 vcc, exec, s[6:7]
	s_cbranch_vccnz .LBB18_1092
; %bb.1091:
	v_mov_b32_e32 v1, 0
	global_store_dwordx2 v[2:3], v[0:1], off
.LBB18_1092:
	s_mov_b64 s[6:7], 0
.LBB18_1093:
	s_andn2_b64 vcc, exec, s[6:7]
	s_cbranch_vccnz .LBB18_1095
; %bb.1094:
	v_cvt_f16_f32_e32 v1, v0
	global_store_dword v[2:3], v1, off
.LBB18_1095:
	s_mov_b64 s[6:7], 0
.LBB18_1096:
	s_andn2_b64 vcc, exec, s[6:7]
	s_cbranch_vccnz .LBB18_1105
; %bb.1097:
	s_sext_i32_i16 s14, s26
	s_cmp_lt_i32 s14, 6
	s_mov_b64 s[6:7], -1
	s_cbranch_scc1 .LBB18_1103
; %bb.1098:
	s_cmp_gt_i32 s14, 6
	s_cbranch_scc0 .LBB18_1100
; %bb.1099:
	v_cvt_f64_f32_e32 v[4:5], v0
	s_mov_b64 s[6:7], 0
	global_store_dwordx2 v[2:3], v[4:5], off
.LBB18_1100:
	s_andn2_b64 vcc, exec, s[6:7]
	s_cbranch_vccnz .LBB18_1102
; %bb.1101:
	global_store_dword v[2:3], v0, off
.LBB18_1102:
	s_mov_b64 s[6:7], 0
.LBB18_1103:
	s_andn2_b64 vcc, exec, s[6:7]
	s_cbranch_vccnz .LBB18_1105
; %bb.1104:
	v_cvt_f16_f32_e32 v1, v0
	global_store_short v[2:3], v1, off
.LBB18_1105:
	s_mov_b64 s[6:7], 0
.LBB18_1106:
	s_andn2_b64 vcc, exec, s[6:7]
	s_cbranch_vccnz .LBB18_1122
; %bb.1107:
	s_sext_i32_i16 s14, s26
	s_cmp_lt_i32 s14, 2
	s_mov_b64 s[6:7], -1
	s_cbranch_scc1 .LBB18_1117
; %bb.1108:
	s_cmp_lt_i32 s14, 3
	s_cbranch_scc1 .LBB18_1114
; %bb.1109:
	s_cmp_gt_i32 s14, 3
	s_cbranch_scc0 .LBB18_1111
; %bb.1110:
	v_trunc_f32_e32 v1, v0
	s_mov_b32 s6, 0x2f800000
	v_mul_f32_e64 v4, |v1|, s6
	v_floor_f32_e32 v4, v4
	s_mov_b32 s6, 0xcf800000
	v_cvt_u32_f32_e32 v5, v4
	v_fma_f32 v4, v4, s6, |v1|
	v_cvt_u32_f32_e32 v4, v4
	v_ashrrev_i32_e32 v1, 31, v1
	v_xor_b32_e32 v5, v5, v1
	s_mov_b64 s[6:7], 0
	v_xor_b32_e32 v4, v4, v1
	v_sub_co_u32_e32 v4, vcc, v4, v1
	v_subb_co_u32_e32 v5, vcc, v5, v1, vcc
	global_store_dwordx2 v[2:3], v[4:5], off
.LBB18_1111:
	s_andn2_b64 vcc, exec, s[6:7]
	s_cbranch_vccnz .LBB18_1113
; %bb.1112:
	v_cvt_i32_f32_e32 v1, v0
	global_store_dword v[2:3], v1, off
.LBB18_1113:
	s_mov_b64 s[6:7], 0
.LBB18_1114:
	s_andn2_b64 vcc, exec, s[6:7]
	s_cbranch_vccnz .LBB18_1116
; %bb.1115:
	v_cvt_i32_f32_e32 v1, v0
	global_store_short v[2:3], v1, off
.LBB18_1116:
	s_mov_b64 s[6:7], 0
.LBB18_1117:
	s_andn2_b64 vcc, exec, s[6:7]
	s_cbranch_vccnz .LBB18_1122
; %bb.1118:
	s_sext_i32_i16 s6, s26
	s_cmp_gt_i32 s6, 0
	s_mov_b64 s[6:7], -1
	s_cbranch_scc0 .LBB18_1120
; %bb.1119:
	v_cvt_i32_f32_e32 v1, v0
	s_mov_b64 s[6:7], 0
	global_store_byte v[2:3], v1, off
.LBB18_1120:
	s_andn2_b64 vcc, exec, s[6:7]
	s_cbranch_vccnz .LBB18_1122
; %bb.1121:
	v_trunc_f32_e32 v0, v0
	s_mov_b32 s6, 0x2f800000
	v_mul_f32_e64 v1, |v0|, s6
	v_floor_f32_e32 v1, v1
	s_mov_b32 s6, 0xcf800000
	v_fma_f32 v1, v1, s6, |v0|
	v_cvt_u32_f32_e32 v1, v1
	v_ashrrev_i32_e32 v0, 31, v0
	v_xor_b32_e32 v1, v1, v0
	v_sub_u32_e32 v0, v1, v0
	global_store_byte v[2:3], v0, off
.LBB18_1122:
	s_or_b64 exec, exec, s[0:1]
	s_and_b64 s[6:7], s[16:17], exec
                                        ; implicit-def: $vgpr11
.LBB18_1123:
	s_or_saveexec_b64 s[4:5], s[4:5]
	s_mov_b64 s[0:1], 0
                                        ; implicit-def: $sgpr20
                                        ; implicit-def: $vgpr0_vgpr1
                                        ; implicit-def: $vgpr6
	s_xor_b64 exec, exec, s[4:5]
	s_cbranch_execz .LBB18_1813
; %bb.1124:
	s_waitcnt vmcnt(0)
	v_mul_lo_u32 v6, s3, v11
	v_mov_b32_e32 v1, s11
	s_and_b32 s24, 0xffff, s42
	s_cmp_lt_i32 s24, 11
	v_ashrrev_i32_e32 v2, 31, v6
	v_add_co_u32_e32 v0, vcc, s10, v6
	v_addc_co_u32_e32 v1, vcc, v1, v2, vcc
	s_cbranch_scc1 .LBB18_1131
; %bb.1125:
	s_cmp_gt_i32 s24, 25
	s_mov_b64 s[12:13], 0
	s_cbranch_scc0 .LBB18_1133
; %bb.1126:
	s_cmp_gt_i32 s24, 28
	s_cbranch_scc0 .LBB18_1134
; %bb.1127:
	s_cmp_gt_i32 s24, 43
	;; [unrolled: 3-line block ×3, first 2 shown]
	s_cbranch_scc0 .LBB18_1136
; %bb.1129:
	s_cmp_eq_u32 s24, 46
	s_mov_b64 s[14:15], 0
	s_cbranch_scc0 .LBB18_1139
; %bb.1130:
	global_load_dword v2, v[0:1], off
	s_mov_b64 s[16:17], -1
	s_waitcnt vmcnt(0)
	v_lshlrev_b32_e32 v7, 16, v2
	s_branch .LBB18_1140
.LBB18_1131:
	s_mov_b64 s[16:17], 0
                                        ; implicit-def: $vgpr7
	s_mov_b64 s[14:15], s[6:7]
	s_cbranch_execnz .LBB18_1203
.LBB18_1132:
	s_andn2_b64 vcc, exec, s[16:17]
	s_cbranch_vccz .LBB18_1248
	s_branch .LBB18_1810
.LBB18_1133:
	s_mov_b64 s[16:17], 0
                                        ; implicit-def: $vgpr7
	s_cbranch_execnz .LBB18_1168
	s_branch .LBB18_1199
.LBB18_1134:
	s_mov_b64 s[14:15], -1
	s_mov_b64 s[16:17], 0
                                        ; implicit-def: $vgpr7
	s_branch .LBB18_1149
.LBB18_1135:
	s_mov_b64 s[16:17], 0
                                        ; implicit-def: $vgpr7
	s_cbranch_execnz .LBB18_1145
	s_branch .LBB18_1148
.LBB18_1136:
	s_mov_b64 s[14:15], -1
	s_mov_b64 s[16:17], 0
                                        ; implicit-def: $vgpr7
	s_branch .LBB18_1140
.LBB18_1137:
	s_andn2_saveexec_b64 s[22:23], s[22:23]
	s_cbranch_execz .LBB18_1036
.LBB18_1138:
	s_mov_b32 s24, 0x46000000
	v_add_f32_e64 v1, |v0|, s24
	v_and_b32_e32 v1, 0xff, v1
	v_cmp_ne_u32_e32 vcc, 0, v1
	s_andn2_b64 s[20:21], s[20:21], exec
	s_and_b64 s[24:25], vcc, exec
	s_or_b64 s[20:21], s[20:21], s[24:25]
	s_or_b64 exec, exec, s[22:23]
	v_mov_b32_e32 v4, 0
	s_and_saveexec_b64 s[22:23], s[20:21]
	s_cbranch_execnz .LBB18_1037
	s_branch .LBB18_1038
.LBB18_1139:
	s_mov_b64 s[0:1], -1
                                        ; implicit-def: $vgpr7
	s_mov_b64 s[16:17], 0
.LBB18_1140:
	s_and_b64 vcc, exec, s[14:15]
	s_cbranch_vccz .LBB18_1143
; %bb.1141:
	s_cmp_eq_u32 s24, 44
	s_cbranch_scc0 .LBB18_1144
; %bb.1142:
	global_load_ubyte v2, v[0:1], off
	s_movk_i32 s14, 0xff
	v_mov_b32_e32 v3, 0x7f800001
	v_mov_b32_e32 v4, 0x400000
	s_mov_b64 s[0:1], 0
	s_mov_b64 s[16:17], -1
	s_waitcnt vmcnt(0)
	v_lshlrev_b32_e32 v5, 23, v2
	v_cmp_ne_u32_e32 vcc, s14, v2
	v_cndmask_b32_e32 v3, v3, v5, vcc
	v_cmp_ne_u32_e32 vcc, 0, v2
	v_cndmask_b32_e32 v7, v4, v3, vcc
.LBB18_1143:
	s_branch .LBB18_1148
.LBB18_1144:
	s_mov_b64 s[0:1], -1
                                        ; implicit-def: $vgpr7
	s_branch .LBB18_1148
.LBB18_1145:
	s_cmp_eq_u32 s24, 29
	s_cbranch_scc0 .LBB18_1147
; %bb.1146:
	global_load_dwordx2 v[2:3], v[0:1], off
	s_mov_b64 s[0:1], 0
	s_mov_b64 s[16:17], -1
	s_mov_b64 s[14:15], 0
	s_waitcnt vmcnt(0)
	v_ffbh_u32_e32 v4, v3
	v_min_u32_e32 v4, 32, v4
	v_lshlrev_b64 v[2:3], v4, v[2:3]
	v_min_u32_e32 v2, 1, v2
	v_or_b32_e32 v2, v3, v2
	v_cvt_f32_u32_e32 v2, v2
	v_sub_u32_e32 v3, 32, v4
	v_ldexp_f32 v7, v2, v3
	s_branch .LBB18_1149
.LBB18_1147:
	s_mov_b64 s[0:1], -1
                                        ; implicit-def: $vgpr7
.LBB18_1148:
	s_mov_b64 s[14:15], 0
.LBB18_1149:
	s_and_b64 vcc, exec, s[14:15]
	s_cbranch_vccz .LBB18_1167
; %bb.1150:
	s_cmp_lt_i32 s24, 27
	s_cbranch_scc1 .LBB18_1153
; %bb.1151:
	s_cmp_gt_i32 s24, 27
	s_cbranch_scc0 .LBB18_1154
; %bb.1152:
	global_load_dword v2, v[0:1], off
	s_mov_b64 s[14:15], 0
	s_waitcnt vmcnt(0)
	v_cvt_f32_u32_e32 v7, v2
	s_branch .LBB18_1155
.LBB18_1153:
	s_mov_b64 s[14:15], -1
                                        ; implicit-def: $vgpr7
	s_branch .LBB18_1158
.LBB18_1154:
	s_mov_b64 s[14:15], -1
                                        ; implicit-def: $vgpr7
.LBB18_1155:
	s_andn2_b64 vcc, exec, s[14:15]
	s_cbranch_vccnz .LBB18_1157
; %bb.1156:
	global_load_ushort v2, v[0:1], off
	s_waitcnt vmcnt(0)
	v_cvt_f32_u32_e32 v7, v2
.LBB18_1157:
	s_mov_b64 s[14:15], 0
.LBB18_1158:
	s_andn2_b64 vcc, exec, s[14:15]
	s_cbranch_vccnz .LBB18_1166
; %bb.1159:
	global_load_ubyte v2, v[0:1], off
	s_movk_i32 s14, 0x7f
	s_waitcnt vmcnt(0)
	v_cmp_lt_i16_e32 vcc, s14, v2
	s_mov_b64 s[14:15], 0
	s_and_saveexec_b64 s[16:17], vcc
	s_xor_b64 s[16:17], exec, s[16:17]
	s_cbranch_execz .LBB18_1179
; %bb.1160:
	s_movk_i32 s14, 0x80
	v_cmp_eq_u16_e32 vcc, s14, v2
	s_mov_b64 s[14:15], -1
	s_and_saveexec_b64 s[18:19], vcc
; %bb.1161:
	s_xor_b64 s[14:15], exec, -1
; %bb.1162:
	s_or_b64 exec, exec, s[18:19]
	s_and_b64 s[14:15], s[14:15], exec
	s_or_saveexec_b64 s[16:17], s[16:17]
	v_mov_b32_e32 v7, 0x7f800001
	s_xor_b64 exec, exec, s[16:17]
	s_cbranch_execnz .LBB18_1180
.LBB18_1163:
	s_or_b64 exec, exec, s[16:17]
	s_and_saveexec_b64 s[16:17], s[14:15]
	s_cbranch_execz .LBB18_1165
.LBB18_1164:
	v_lshlrev_b32_e32 v3, 24, v2
	v_and_b32_e32 v2, 0xffff, v2
	v_and_b32_e32 v4, 7, v2
	v_ffbh_u32_e32 v7, v4
	v_min_u32_e32 v7, 32, v7
	v_subrev_u32_e32 v8, 28, v7
	v_bfe_u32 v5, v2, 3, 4
	v_lshlrev_b32_e32 v2, v8, v2
	v_sub_u32_e32 v7, 29, v7
	v_and_b32_e32 v2, 7, v2
	v_cmp_eq_u32_e32 vcc, 0, v5
	v_cndmask_b32_e32 v5, v5, v7, vcc
	v_cndmask_b32_e32 v2, v4, v2, vcc
	v_mov_b32_e32 v4, 0x3b800000
	v_lshlrev_b32_e32 v2, 20, v2
	v_and_b32_e32 v3, 0x80000000, v3
	v_lshl_add_u32 v4, v5, 23, v4
	v_or3_b32 v7, v3, v4, v2
.LBB18_1165:
	s_or_b64 exec, exec, s[16:17]
.LBB18_1166:
	s_mov_b64 s[16:17], -1
.LBB18_1167:
	s_branch .LBB18_1199
.LBB18_1168:
	s_cmp_gt_i32 s24, 22
	s_cbranch_scc0 .LBB18_1178
; %bb.1169:
	s_cmp_lt_i32 s24, 24
	s_cbranch_scc1 .LBB18_1181
; %bb.1170:
	s_cmp_gt_i32 s24, 24
	s_cbranch_scc0 .LBB18_1182
; %bb.1171:
	global_load_ubyte v2, v[0:1], off
	s_movk_i32 s12, 0x7f
	s_waitcnt vmcnt(0)
	v_cmp_lt_i16_e32 vcc, s12, v2
	s_mov_b64 s[12:13], 0
	s_and_saveexec_b64 s[14:15], vcc
	s_xor_b64 s[14:15], exec, s[14:15]
	s_cbranch_execz .LBB18_1193
; %bb.1172:
	s_movk_i32 s12, 0x80
	v_cmp_eq_u16_e32 vcc, s12, v2
	s_mov_b64 s[12:13], -1
	s_and_saveexec_b64 s[16:17], vcc
; %bb.1173:
	s_xor_b64 s[12:13], exec, -1
; %bb.1174:
	s_or_b64 exec, exec, s[16:17]
	s_and_b64 s[12:13], s[12:13], exec
	s_or_saveexec_b64 s[14:15], s[14:15]
	v_mov_b32_e32 v7, 0x7f800001
	s_xor_b64 exec, exec, s[14:15]
	s_cbranch_execnz .LBB18_1194
.LBB18_1175:
	s_or_b64 exec, exec, s[14:15]
	s_and_saveexec_b64 s[14:15], s[12:13]
	s_cbranch_execz .LBB18_1177
.LBB18_1176:
	v_lshlrev_b32_e32 v3, 24, v2
	v_and_b32_e32 v2, 0xffff, v2
	v_and_b32_e32 v4, 3, v2
	v_ffbh_u32_e32 v7, v4
	v_min_u32_e32 v7, 32, v7
	v_subrev_u32_e32 v8, 29, v7
	v_bfe_u32 v5, v2, 2, 5
	v_lshlrev_b32_e32 v2, v8, v2
	v_sub_u32_e32 v7, 30, v7
	v_and_b32_e32 v2, 3, v2
	v_cmp_eq_u32_e32 vcc, 0, v5
	v_cndmask_b32_e32 v5, v5, v7, vcc
	v_cndmask_b32_e32 v2, v4, v2, vcc
	v_mov_b32_e32 v4, 0x37800000
	v_lshlrev_b32_e32 v2, 21, v2
	v_and_b32_e32 v3, 0x80000000, v3
	v_lshl_add_u32 v4, v5, 23, v4
	v_or3_b32 v7, v3, v4, v2
.LBB18_1177:
	s_or_b64 exec, exec, s[14:15]
	s_mov_b64 s[12:13], 0
	s_branch .LBB18_1183
.LBB18_1178:
                                        ; implicit-def: $vgpr7
	s_mov_b64 s[12:13], 0
	s_branch .LBB18_1189
.LBB18_1179:
	s_or_saveexec_b64 s[16:17], s[16:17]
	v_mov_b32_e32 v7, 0x7f800001
	s_xor_b64 exec, exec, s[16:17]
	s_cbranch_execz .LBB18_1163
.LBB18_1180:
	v_cmp_ne_u16_e32 vcc, 0, v2
	s_andn2_b64 s[14:15], s[14:15], exec
	s_and_b64 s[18:19], vcc, exec
	v_mov_b32_e32 v7, 0
	s_or_b64 s[14:15], s[14:15], s[18:19]
	s_or_b64 exec, exec, s[16:17]
	s_and_saveexec_b64 s[16:17], s[14:15]
	s_cbranch_execnz .LBB18_1164
	s_branch .LBB18_1165
.LBB18_1181:
	s_mov_b64 s[12:13], -1
                                        ; implicit-def: $vgpr7
	s_branch .LBB18_1186
.LBB18_1182:
	s_mov_b64 s[12:13], -1
                                        ; implicit-def: $vgpr7
.LBB18_1183:
	s_and_b64 vcc, exec, s[12:13]
	s_cbranch_vccz .LBB18_1185
; %bb.1184:
	global_load_ubyte v2, v[0:1], off
	s_mov_b32 s12, 0x7f800000
	s_waitcnt vmcnt(0)
	v_lshlrev_b32_e32 v2, 24, v2
	v_and_b32_e32 v3, 0x7f000000, v2
	v_ffbh_u32_e32 v4, v3
	v_min_u32_e32 v4, 32, v4
	v_sub_u32_e64 v4, v4, 4 clamp
	v_lshlrev_b32_e32 v7, v4, v3
	v_lshlrev_b32_e32 v4, 23, v4
	v_lshrrev_b32_e32 v7, 4, v7
	v_add_u32_e32 v5, 0x1000000, v3
	v_sub_u32_e32 v4, v7, v4
	v_ashrrev_i32_e32 v5, 8, v5
	v_add_u32_e32 v4, 0x3c000000, v4
	v_and_or_b32 v4, v5, s12, v4
	v_cmp_ne_u32_e32 vcc, 0, v3
	v_cndmask_b32_e32 v3, 0, v4, vcc
	s_brev_b32 s12, 1
	v_and_or_b32 v7, v2, s12, v3
.LBB18_1185:
	s_mov_b64 s[12:13], 0
.LBB18_1186:
	s_andn2_b64 vcc, exec, s[12:13]
	s_cbranch_vccnz .LBB18_1188
; %bb.1187:
	global_load_ubyte v2, v[0:1], off
	s_movk_i32 s12, 0x7f00
	s_brev_b32 s13, 16
	s_waitcnt vmcnt(0)
	v_lshlrev_b16_e32 v3, 8, v2
	v_lshlrev_b32_e32 v2, 25, v2
	v_lshrrev_b32_e32 v4, 4, v2
	v_and_or_b32 v5, v3, s12, 0.5
	v_or_b32_e32 v4, 0x70000000, v4
	v_add_f32_e32 v5, -0.5, v5
	v_mul_f32_e32 v4, 0x7800000, v4
	v_cmp_gt_u32_e32 vcc, s13, v2
	v_bfe_i32 v3, v3, 0, 16
	v_cndmask_b32_e32 v2, v4, v5, vcc
	s_brev_b32 s12, 1
	v_and_or_b32 v7, v3, s12, v2
.LBB18_1188:
	s_mov_b64 s[16:17], -1
	s_mov_b64 s[12:13], 0
	s_cbranch_execnz .LBB18_1199
.LBB18_1189:
	s_cmp_gt_i32 s24, 14
	s_cbranch_scc0 .LBB18_1192
; %bb.1190:
	s_cmp_eq_u32 s24, 15
	s_cbranch_scc0 .LBB18_1195
; %bb.1191:
	global_load_ushort v2, v[0:1], off
	s_mov_b64 s[0:1], 0
	s_mov_b64 s[16:17], -1
	s_waitcnt vmcnt(0)
	v_lshlrev_b32_e32 v7, 16, v2
	s_branch .LBB18_1196
.LBB18_1192:
	s_mov_b64 s[14:15], -1
                                        ; implicit-def: $vgpr7
	s_branch .LBB18_1197
.LBB18_1193:
	s_or_saveexec_b64 s[14:15], s[14:15]
	v_mov_b32_e32 v7, 0x7f800001
	s_xor_b64 exec, exec, s[14:15]
	s_cbranch_execz .LBB18_1175
.LBB18_1194:
	v_cmp_ne_u16_e32 vcc, 0, v2
	s_andn2_b64 s[12:13], s[12:13], exec
	s_and_b64 s[16:17], vcc, exec
	v_mov_b32_e32 v7, 0
	s_or_b64 s[12:13], s[12:13], s[16:17]
	s_or_b64 exec, exec, s[14:15]
	s_and_saveexec_b64 s[14:15], s[12:13]
	s_cbranch_execnz .LBB18_1176
	s_branch .LBB18_1177
.LBB18_1195:
	s_mov_b64 s[0:1], -1
                                        ; implicit-def: $vgpr7
.LBB18_1196:
	s_mov_b64 s[14:15], 0
.LBB18_1197:
	s_and_b64 vcc, exec, s[14:15]
	s_cbranch_vccz .LBB18_1199
; %bb.1198:
	s_cmp_lg_u32 s24, 11
	s_mov_b64 s[12:13], -1
	s_cselect_b64 s[0:1], -1, 0
.LBB18_1199:
	s_and_b64 vcc, exec, s[0:1]
	s_mov_b64 s[14:15], s[6:7]
	s_cbranch_vccnz .LBB18_1284
; %bb.1200:
	s_andn2_b64 vcc, exec, s[12:13]
	s_cbranch_vccnz .LBB18_1202
.LBB18_1201:
	global_load_ubyte v2, v[0:1], off
	s_mov_b64 s[16:17], -1
	s_waitcnt vmcnt(0)
	v_cmp_ne_u16_e32 vcc, 0, v2
	v_cndmask_b32_e64 v7, 0, 1.0, vcc
.LBB18_1202:
	s_branch .LBB18_1132
.LBB18_1203:
	s_cmp_lt_i32 s24, 5
	s_cbranch_scc1 .LBB18_1208
; %bb.1204:
	s_cmp_lt_i32 s24, 8
	s_cbranch_scc1 .LBB18_1209
; %bb.1205:
	;; [unrolled: 3-line block ×3, first 2 shown]
	s_cmp_gt_i32 s24, 9
	s_cbranch_scc0 .LBB18_1211
; %bb.1207:
	global_load_dwordx2 v[2:3], v[0:1], off
	s_mov_b64 s[0:1], 0
	s_waitcnt vmcnt(0)
	v_cvt_f32_f64_e32 v7, v[2:3]
	s_branch .LBB18_1212
.LBB18_1208:
                                        ; implicit-def: $vgpr7
	s_branch .LBB18_1229
.LBB18_1209:
                                        ; implicit-def: $vgpr7
	s_branch .LBB18_1218
.LBB18_1210:
	s_mov_b64 s[0:1], -1
                                        ; implicit-def: $vgpr7
	s_branch .LBB18_1215
.LBB18_1211:
	s_mov_b64 s[0:1], -1
                                        ; implicit-def: $vgpr7
.LBB18_1212:
	s_andn2_b64 vcc, exec, s[0:1]
	s_cbranch_vccnz .LBB18_1214
; %bb.1213:
	global_load_dword v7, v[0:1], off
.LBB18_1214:
	s_mov_b64 s[0:1], 0
.LBB18_1215:
	s_andn2_b64 vcc, exec, s[0:1]
	s_cbranch_vccnz .LBB18_1217
; %bb.1216:
	global_load_dword v2, v[0:1], off
	s_waitcnt vmcnt(0)
	v_cvt_f32_f16_e32 v7, v2
.LBB18_1217:
	s_cbranch_execnz .LBB18_1228
.LBB18_1218:
	s_cmp_lt_i32 s24, 6
	s_cbranch_scc1 .LBB18_1221
; %bb.1219:
	s_cmp_gt_i32 s24, 6
	s_cbranch_scc0 .LBB18_1222
; %bb.1220:
	global_load_dwordx2 v[2:3], v[0:1], off
	s_mov_b64 s[0:1], 0
	s_waitcnt vmcnt(0)
	v_cvt_f32_f64_e32 v7, v[2:3]
	s_branch .LBB18_1223
.LBB18_1221:
	s_mov_b64 s[0:1], -1
                                        ; implicit-def: $vgpr7
	s_branch .LBB18_1226
.LBB18_1222:
	s_mov_b64 s[0:1], -1
                                        ; implicit-def: $vgpr7
.LBB18_1223:
	s_andn2_b64 vcc, exec, s[0:1]
	s_cbranch_vccnz .LBB18_1225
; %bb.1224:
	global_load_dword v7, v[0:1], off
.LBB18_1225:
	s_mov_b64 s[0:1], 0
.LBB18_1226:
	s_andn2_b64 vcc, exec, s[0:1]
	s_cbranch_vccnz .LBB18_1228
; %bb.1227:
	global_load_ushort v2, v[0:1], off
	s_waitcnt vmcnt(0)
	v_cvt_f32_f16_e32 v7, v2
.LBB18_1228:
	s_cbranch_execnz .LBB18_1247
.LBB18_1229:
	s_cmp_lt_i32 s24, 2
	s_cbranch_scc1 .LBB18_1233
; %bb.1230:
	s_cmp_lt_i32 s24, 3
	s_cbranch_scc1 .LBB18_1234
; %bb.1231:
	s_cmp_gt_i32 s24, 3
	s_cbranch_scc0 .LBB18_1235
; %bb.1232:
	global_load_dwordx2 v[2:3], v[0:1], off
	s_mov_b64 s[0:1], 0
	s_waitcnt vmcnt(0)
	v_xor_b32_e32 v5, v2, v3
	v_ffbh_i32_e32 v4, v3
	v_ashrrev_i32_e32 v5, 31, v5
	v_add_u32_e32 v4, -1, v4
	v_add_u32_e32 v5, 32, v5
	v_min_u32_e32 v4, v4, v5
	v_lshlrev_b64 v[2:3], v4, v[2:3]
	v_min_u32_e32 v2, 1, v2
	v_or_b32_e32 v2, v3, v2
	v_cvt_f32_i32_e32 v2, v2
	v_sub_u32_e32 v3, 32, v4
	v_ldexp_f32 v7, v2, v3
	s_branch .LBB18_1236
.LBB18_1233:
                                        ; implicit-def: $vgpr7
	s_branch .LBB18_1242
.LBB18_1234:
	s_mov_b64 s[0:1], -1
                                        ; implicit-def: $vgpr7
	s_branch .LBB18_1239
.LBB18_1235:
	s_mov_b64 s[0:1], -1
                                        ; implicit-def: $vgpr7
.LBB18_1236:
	s_andn2_b64 vcc, exec, s[0:1]
	s_cbranch_vccnz .LBB18_1238
; %bb.1237:
	global_load_dword v2, v[0:1], off
	s_waitcnt vmcnt(0)
	v_cvt_f32_i32_e32 v7, v2
.LBB18_1238:
	s_mov_b64 s[0:1], 0
.LBB18_1239:
	s_andn2_b64 vcc, exec, s[0:1]
	s_cbranch_vccnz .LBB18_1241
; %bb.1240:
	global_load_sshort v2, v[0:1], off
	s_waitcnt vmcnt(0)
	v_cvt_f32_i32_e32 v7, v2
.LBB18_1241:
	s_cbranch_execnz .LBB18_1247
.LBB18_1242:
	s_cmp_gt_i32 s24, 0
	s_cbranch_scc0 .LBB18_1244
; %bb.1243:
	global_load_sbyte v2, v[0:1], off
	s_mov_b64 s[0:1], 0
	s_waitcnt vmcnt(0)
	v_cvt_f32_i32_e32 v7, v2
	s_branch .LBB18_1245
.LBB18_1244:
	s_mov_b64 s[0:1], -1
                                        ; implicit-def: $vgpr7
.LBB18_1245:
	s_andn2_b64 vcc, exec, s[0:1]
	s_cbranch_vccnz .LBB18_1247
; %bb.1246:
	global_load_ubyte v0, v[0:1], off
	s_waitcnt vmcnt(0)
	v_cvt_f32_ubyte0_e32 v7, v0
.LBB18_1247:
.LBB18_1248:
	s_waitcnt vmcnt(0)
	v_cmp_neq_f32_e32 vcc, 0, v7
                                        ; implicit-def: $vgpr0
	s_and_saveexec_b64 s[0:1], vcc
	s_xor_b64 s[12:13], exec, s[0:1]
	s_cbranch_execz .LBB18_1270
; %bb.1249:
	v_mov_b32_e32 v1, 0
	v_cmp_gt_f32_e32 vcc, 0, v7
	s_mov_b64 s[0:1], -1
	s_and_saveexec_b64 s[16:17], vcc
	s_cbranch_execz .LBB18_1257
; %bb.1250:
	v_trunc_f32_e32 v0, v7
	v_cmp_neq_f32_e32 vcc, v7, v0
	s_mov_b64 s[20:21], 0
	v_mov_b32_e32 v1, 0
	s_and_saveexec_b64 s[18:19], vcc
	s_cbranch_execz .LBB18_1256
; %bb.1251:
	v_cvt_f64_f32_e32 v[0:1], v7
	s_mov_b32 s0, 0
	s_mov_b32 s21, 0xc00921fb
	;; [unrolled: 1-line block ×3, first 2 shown]
	v_trunc_f64_e32 v[2:3], v[0:1]
	s_mov_b32 s1, 0x7ff00000
	v_cmp_neq_f64_e64 vcc, |v[0:1]|, s[0:1]
	v_bfrev_b32_e32 v4, 1
	s_mov_b32 s22, 0
	s_mov_b32 s23, 0x41d00000
                                        ; implicit-def: $vgpr8
	v_add_f64 v[2:3], v[0:1], -v[2:3]
	v_mul_f64 v[2:3], |v[2:3]|, s[20:21]
	v_cndmask_b32_e32 v1, v4, v3, vcc
	v_cndmask_b32_e32 v0, 0, v2, vcc
	v_cmp_nlt_f64_e64 s[22:23], |v[0:1]|, s[22:23]
                                        ; implicit-def: $vgpr2_vgpr3
                                        ; implicit-def: $vgpr4_vgpr5
	s_and_saveexec_b64 s[26:27], s[22:23]
	s_xor_b64 s[22:23], exec, s[26:27]
	s_cbranch_execz .LBB18_1253
; %bb.1252:
	v_trig_preop_f64 v[2:3], |v[0:1]|, 0
	s_mov_b32 s26, 0
	s_mov_b32 s27, 0x7b000000
	s_movk_i32 s21, 0xff80
	v_ldexp_f64 v[8:9], |v[0:1]|, s21
	v_cmp_ge_f64_e64 vcc, |v[0:1]|, s[26:27]
	v_trig_preop_f64 v[4:5], |v[0:1]|, 1
	v_and_b32_e32 v10, 0x7fffffff, v1
	v_trig_preop_f64 v[18:19], |v[0:1]|, 2
	v_mov_b32_e32 v28, 0
	s_mov_b32 s21, 0x3ff921fb
	v_cndmask_b32_e32 v9, v10, v9, vcc
	v_cndmask_b32_e32 v8, v0, v8, vcc
	v_mov_b32_e32 v10, 0x40100000
	v_mul_f64 v[12:13], v[2:3], v[8:9]
	v_mul_f64 v[14:15], v[4:5], v[8:9]
	;; [unrolled: 1-line block ×3, first 2 shown]
	v_fma_f64 v[2:3], v[2:3], v[8:9], -v[12:13]
	v_fma_f64 v[4:5], v[4:5], v[8:9], -v[14:15]
	v_fma_f64 v[8:9], v[18:19], v[8:9], -v[24:25]
	v_add_f64 v[16:17], v[14:15], v[2:3]
	v_add_f64 v[20:21], v[16:17], -v[14:15]
	v_add_f64 v[26:27], v[12:13], v[16:17]
	v_add_f64 v[22:23], v[16:17], -v[20:21]
	v_add_f64 v[2:3], v[2:3], -v[20:21]
	v_add_f64 v[20:21], v[24:25], v[4:5]
	v_add_f64 v[12:13], v[26:27], -v[12:13]
	v_add_f64 v[14:15], v[14:15], -v[22:23]
	v_ldexp_f64 v[22:23], v[26:27], -2
	v_add_f64 v[30:31], v[20:21], -v[24:25]
	v_add_f64 v[12:13], v[16:17], -v[12:13]
	v_add_f64 v[2:3], v[2:3], v[14:15]
	v_fract_f64_e32 v[14:15], v[22:23]
	v_cmp_neq_f64_e64 vcc, |v[22:23]|, s[0:1]
	v_add_f64 v[4:5], v[4:5], -v[30:31]
	v_add_f64 v[16:17], v[20:21], v[2:3]
	v_ldexp_f64 v[14:15], v[14:15], 2
	v_add_f64 v[22:23], v[12:13], v[16:17]
	v_cndmask_b32_e32 v15, 0, v15, vcc
	v_cndmask_b32_e32 v14, 0, v14, vcc
	v_add_f64 v[32:33], v[16:17], -v[20:21]
	v_add_f64 v[26:27], v[22:23], v[14:15]
	v_add_f64 v[12:13], v[22:23], -v[12:13]
	v_add_f64 v[34:35], v[16:17], -v[32:33]
	;; [unrolled: 1-line block ×3, first 2 shown]
	v_cmp_gt_f64_e32 vcc, 0, v[26:27]
	v_add_f64 v[26:27], v[20:21], -v[30:31]
	v_add_f64 v[12:13], v[16:17], -v[12:13]
	;; [unrolled: 1-line block ×3, first 2 shown]
	v_cndmask_b32_e32 v29, 0, v10, vcc
	v_add_f64 v[14:15], v[14:15], v[28:29]
	v_add_f64 v[26:27], v[24:25], -v[26:27]
	v_add_f64 v[2:3], v[2:3], v[20:21]
	v_add_f64 v[29:30], v[22:23], v[14:15]
	v_add_f64 v[4:5], v[4:5], v[26:27]
	v_cvt_i32_f64_e32 v31, v[29:30]
	v_add_f64 v[2:3], v[4:5], v[2:3]
	v_cvt_f64_i32_e32 v[29:30], v31
	v_add_f64 v[14:15], v[14:15], -v[29:30]
	v_add_f64 v[2:3], v[8:9], v[2:3]
	v_add_f64 v[4:5], v[22:23], v[14:15]
	;; [unrolled: 1-line block ×3, first 2 shown]
	v_mov_b32_e32 v12, 0x3ff00000
	v_add_f64 v[8:9], v[4:5], -v[14:15]
	v_cmp_le_f64_e32 vcc, 0.5, v[4:5]
	v_add_f64 v[9:10], v[22:23], -v[8:9]
	v_cndmask_b32_e32 v29, 0, v12, vcc
	v_add_f64 v[4:5], v[4:5], -v[28:29]
	v_addc_co_u32_e64 v8, s[0:1], 0, v31, vcc
	s_mov_b32 s0, 0x33145c07
	s_mov_b32 s1, 0x3c91a626
	v_add_f64 v[2:3], v[2:3], v[9:10]
	v_add_f64 v[9:10], v[4:5], v[2:3]
	v_mul_f64 v[12:13], v[9:10], s[20:21]
	v_add_f64 v[4:5], v[9:10], -v[4:5]
	v_fma_f64 v[14:15], v[9:10], s[20:21], -v[12:13]
	v_add_f64 v[2:3], v[2:3], -v[4:5]
	v_fma_f64 v[4:5], v[9:10], s[0:1], v[14:15]
	v_fma_f64 v[4:5], v[2:3], s[20:21], v[4:5]
	v_add_f64 v[2:3], v[12:13], v[4:5]
	v_add_f64 v[9:10], v[2:3], -v[12:13]
	v_add_f64 v[4:5], v[4:5], -v[9:10]
.LBB18_1253:
	s_andn2_saveexec_b64 s[0:1], s[22:23]
	s_cbranch_execz .LBB18_1255
; %bb.1254:
	s_mov_b32 s20, 0x6dc9c883
	s_mov_b32 s21, 0x3fe45f30
	v_mul_f64 v[2:3], |v[0:1]|, s[20:21]
	s_mov_b32 s20, 0x54442d18
	s_mov_b32 s21, 0xbff921fb
	;; [unrolled: 1-line block ×4, first 2 shown]
	v_rndne_f64_e32 v[8:9], v[2:3]
	v_fma_f64 v[2:3], v[8:9], s[20:21], |v[0:1]|
	v_mul_f64 v[4:5], v[8:9], s[22:23]
	s_mov_b32 s20, 0x252049c0
	s_mov_b32 s21, 0xb97b839a
	v_fma_f64 v[16:17], v[8:9], s[22:23], v[2:3]
	v_add_f64 v[12:13], v[2:3], v[4:5]
	s_mov_b32 s23, 0x3c91a626
	v_add_f64 v[14:15], v[2:3], -v[12:13]
	v_add_f64 v[12:13], v[12:13], -v[16:17]
	v_add_f64 v[2:3], v[14:15], v[4:5]
	v_fma_f64 v[4:5], v[8:9], s[22:23], v[4:5]
	v_add_f64 v[2:3], v[12:13], v[2:3]
	v_add_f64 v[2:3], v[2:3], -v[4:5]
	v_fma_f64 v[4:5], v[8:9], s[20:21], v[2:3]
	v_cvt_i32_f64_e32 v8, v[8:9]
	v_add_f64 v[2:3], v[16:17], v[4:5]
	v_add_f64 v[12:13], v[2:3], -v[16:17]
	v_add_f64 v[4:5], v[4:5], -v[12:13]
.LBB18_1255:
	s_or_b64 exec, exec, s[0:1]
	v_mul_f64 v[9:10], v[2:3], v[2:3]
	v_add_f64 v[12:13], v[4:5], v[4:5]
	s_mov_b32 s0, 0xc751c08c
	s_mov_b32 s1, 0x3ef5e089
	v_and_b32_e32 v8, 1, v8
	v_cmp_eq_u32_e32 vcc, 0, v8
	s_mov_b32 s22, 0x54442d18
	s_mov_b32 s23, 0xc00921fb
	v_fma_f64 v[14:15], v[2:3], v[2:3], -v[9:10]
	s_mov_b64 s[20:21], exec
	v_sub_f32_e32 v7, 1.0, v7
	v_fma_f64 v[12:13], v[2:3], v[12:13], v[14:15]
	v_add_f64 v[9:10], v[9:10], v[12:13]
	v_mov_b32_e32 v12, 0xa9a29f71
	v_mov_b32_e32 v13, 0xbf078809
	v_fma_f64 v[12:13], v[9:10], s[0:1], v[12:13]
	s_mov_b32 s0, 0x90a8aae0
	s_mov_b32 s1, 0x3f17746f
	v_fma_f64 v[12:13], v[9:10], v[12:13], s[0:1]
	s_mov_b32 s0, 0xa6fbf144
	s_mov_b32 s1, 0xbefbb44d
	v_fma_f64 v[12:13], v[9:10], v[12:13], s[0:1]
	s_mov_b32 s0, 0xa7943acf
	s_mov_b32 s1, 0x3f21e634
	v_fma_f64 v[12:13], v[9:10], v[12:13], s[0:1]
	s_mov_b32 s0, 0xdeb68feb
	s_mov_b32 s1, 0x3f2d250f
	v_fma_f64 v[12:13], v[9:10], v[12:13], s[0:1]
	s_mov_b32 s0, 0xb58c4d95
	s_mov_b32 s1, 0x3f437fd9
	v_fma_f64 v[12:13], v[9:10], v[12:13], s[0:1]
	s_mov_b32 s0, 0x15120e2c
	s_mov_b32 s1, 0x3f57d5af
	v_fma_f64 v[12:13], v[9:10], v[12:13], s[0:1]
	s_mov_b32 s0, 0xe09491df
	s_mov_b32 s1, 0x3f6d6d93
	v_fma_f64 v[12:13], v[9:10], v[12:13], s[0:1]
	s_mov_b32 s0, 0x2033784d
	s_mov_b32 s1, 0x3f8226e1
	v_fma_f64 v[12:13], v[9:10], v[12:13], s[0:1]
	s_mov_b32 s0, 0x9ac36ae2
	s_mov_b32 s1, 0x3f9664f4
	v_fma_f64 v[12:13], v[9:10], v[12:13], s[0:1]
	s_mov_b32 s0, 0x1b451c21
	s_mov_b32 s1, 0x3faba1ba
	v_fma_f64 v[12:13], v[9:10], v[12:13], s[0:1]
	s_mov_b32 s0, 0x111185b7
	s_mov_b32 s1, 0x3fc11111
	v_fma_f64 v[12:13], v[9:10], v[12:13], s[0:1]
	s_mov_b32 s0, 0x555554ee
	s_mov_b32 s1, 0x3fd55555
	v_fma_f64 v[12:13], v[9:10], v[12:13], s[0:1]
	s_movk_i32 s0, 0x1f8
	v_cmp_class_f64_e64 s[0:1], v[0:1], s0
	v_mul_f64 v[9:10], v[9:10], v[12:13]
	v_mul_f64 v[12:13], v[2:3], v[9:10]
	v_add_f64 v[14:15], v[2:3], v[12:13]
	v_fma_f64 v[9:10], v[2:3], v[9:10], -v[12:13]
	v_add_f64 v[2:3], v[14:15], -v[2:3]
	v_add_f64 v[4:5], v[4:5], v[9:10]
	v_add_f64 v[2:3], v[12:13], -v[2:3]
	v_add_f64 v[2:3], v[4:5], v[2:3]
	v_add_f64 v[4:5], v[14:15], v[2:3]
	v_rcp_f64_e32 v[9:10], v[4:5]
	v_fma_f64 v[12:13], -v[4:5], v[9:10], 1.0
	v_fma_f64 v[9:10], v[12:13], v[9:10], v[9:10]
	v_fma_f64 v[12:13], -v[4:5], v[9:10], 1.0
	v_fma_f64 v[9:10], v[12:13], v[9:10], v[9:10]
	v_add_f64 v[12:13], v[4:5], -v[14:15]
	v_mul_f64 v[14:15], v[4:5], v[9:10]
	v_add_f64 v[2:3], v[2:3], -v[12:13]
	v_fma_f64 v[12:13], v[9:10], v[4:5], -v[14:15]
	v_fma_f64 v[2:3], v[9:10], v[2:3], v[12:13]
	v_add_f64 v[12:13], v[14:15], v[2:3]
	v_add_f64 v[16:17], -v[12:13], 1.0
	v_add_f64 v[14:15], v[12:13], -v[14:15]
	v_add_f64 v[18:19], -v[16:17], 1.0
	v_add_f64 v[2:3], v[14:15], -v[2:3]
	v_add_f64 v[12:13], v[18:19], -v[12:13]
	v_add_f64 v[2:3], v[2:3], v[12:13]
	v_add_f64 v[2:3], v[16:17], v[2:3]
	v_mul_f64 v[2:3], v[9:10], v[2:3]
	v_add_f64 v[2:3], v[9:10], v[2:3]
	v_and_b32_e32 v9, 0x80000000, v1
	v_mov_b32_e32 v1, 0x7ff80000
	v_xor_b32_e32 v0, 0x80000000, v3
	v_cndmask_b32_e32 v2, v2, v4, vcc
	v_cndmask_b32_e32 v3, v0, v5, vcc
	v_cndmask_b32_e64 v0, 0, v2, s[0:1]
	v_xor_b32_e32 v2, v3, v9
	v_cndmask_b32_e64 v1, v1, v2, s[0:1]
	v_div_scale_f64 v[2:3], s[0:1], v[0:1], v[0:1], s[22:23]
	v_div_scale_f64 v[12:13], vcc, s[22:23], v[0:1], s[22:23]
	v_rcp_f64_e32 v[4:5], v[2:3]
	v_fma_f64 v[8:9], -v[2:3], v[4:5], 1.0
	v_fma_f64 v[4:5], v[4:5], v[8:9], v[4:5]
	v_fma_f64 v[8:9], -v[2:3], v[4:5], 1.0
	v_fma_f64 v[4:5], v[4:5], v[8:9], v[4:5]
	v_mul_f64 v[8:9], v[12:13], v[4:5]
	v_fma_f64 v[2:3], -v[2:3], v[8:9], v[12:13]
	v_div_fmas_f64 v[2:3], v[2:3], v[4:5], v[8:9]
	v_div_fixup_f64 v[0:1], v[2:3], v[0:1], s[22:23]
	v_cvt_f32_f64_e32 v1, v[0:1]
.LBB18_1256:
	s_or_b64 exec, exec, s[18:19]
	s_orn2_b64 s[0:1], s[20:21], exec
.LBB18_1257:
	s_or_b64 exec, exec, s[16:17]
	v_mov_b32_e32 v0, 0x7fc00000
	s_and_saveexec_b64 s[16:17], s[0:1]
	s_cbranch_execz .LBB18_1269
; %bb.1258:
	s_mov_b32 s20, 0x41200000
	v_cmp_gt_f32_e32 vcc, s20, v7
	s_and_saveexec_b64 s[0:1], vcc
	s_cbranch_execz .LBB18_1262
; %bb.1259:
	s_mov_b64 s[18:19], 0
.LBB18_1260:                            ; =>This Inner Loop Header: Depth=1
	v_div_scale_f32 v0, s[22:23], v7, v7, 1.0
	v_div_scale_f32 v2, vcc, 1.0, v7, 1.0
	v_rcp_f32_e32 v3, v0
	v_fma_f32 v4, -v0, v3, 1.0
	v_fmac_f32_e32 v3, v4, v3
	v_mul_f32_e32 v4, v2, v3
	v_fma_f32 v5, -v0, v4, v2
	v_fmac_f32_e32 v4, v5, v3
	v_fma_f32 v0, -v0, v4, v2
	v_div_fmas_f32 v0, v0, v3, v4
	v_div_fixup_f32 v0, v0, v7, 1.0
	v_add_f32_e32 v7, 1.0, v7
	v_cmp_ngt_f32_e32 vcc, s20, v7
	s_or_b64 s[18:19], vcc, s[18:19]
	v_sub_f32_e32 v1, v1, v0
	s_andn2_b64 exec, exec, s[18:19]
	s_cbranch_execnz .LBB18_1260
; %bb.1261:
	s_or_b64 exec, exec, s[18:19]
.LBB18_1262:
	s_or_b64 exec, exec, s[0:1]
	s_mov_b32 s0, 0x41200000
	v_cmp_neq_f32_e32 vcc, s0, v7
                                        ; implicit-def: $vgpr0
	s_and_saveexec_b64 s[0:1], vcc
	s_xor_b64 s[18:19], exec, s[0:1]
	s_cbranch_execz .LBB18_1266
; %bb.1263:
	v_cvt_f64_f32_e32 v[2:3], v7
	s_mov_b32 s0, 0x85d8a000
	s_mov_b32 s1, 0x43763457
	v_mov_b32_e32 v0, 0
	v_cmp_gt_f64_e32 vcc, s[0:1], v[2:3]
	s_and_saveexec_b64 s[0:1], vcc
	s_cbranch_execz .LBB18_1265
; %bb.1264:
	v_mul_f32_e32 v0, v7, v7
	v_div_scale_f32 v2, s[20:21], v0, v0, 1.0
	v_div_scale_f32 v3, vcc, 1.0, v0, 1.0
	v_mov_b32_e32 v9, 0x3b820821
	v_rcp_f32_e32 v4, v2
	v_fma_f32 v5, -v2, v4, 1.0
	v_fmac_f32_e32 v4, v5, v4
	v_mul_f32_e32 v5, v3, v4
	v_fma_f32 v8, -v2, v5, v3
	v_fmac_f32_e32 v5, v8, v4
	v_fma_f32 v2, -v2, v5, v3
	v_div_fmas_f32 v2, v2, v4, v5
	v_mov_b32_e32 v3, 0x3daaaaab
	v_mov_b32_e32 v4, 0xbcaccacd
	;; [unrolled: 1-line block ×4, first 2 shown]
	v_div_fixup_f32 v0, v2, v0, 1.0
	v_fma_f32 v2, 0, v0, v3
	v_fmac_f32_e32 v4, v0, v2
	v_fmac_f32_e32 v5, v0, v4
	;; [unrolled: 1-line block ×4, first 2 shown]
	v_mov_b32_e32 v2, 0xbc088889
	v_fmac_f32_e32 v2, v0, v9
	v_fmac_f32_e32 v3, v0, v2
	v_mul_f32_e32 v0, v0, v3
.LBB18_1265:
	s_or_b64 exec, exec, s[0:1]
	v_div_scale_f32 v2, s[0:1], v7, v7, -0.5
	v_div_scale_f32 v3, vcc, -0.5, v7, -0.5
	s_mov_b32 s0, 0x800000
	v_cmp_gt_f32_e64 s[0:1], s0, v7
	v_cndmask_b32_e64 v5, 0, 32, s[0:1]
	s_mov_b32 s20, 0x3f317217
	v_rcp_f32_e32 v4, v2
	v_fma_f32 v8, -v2, v4, 1.0
	v_fmac_f32_e32 v4, v8, v4
	v_mul_f32_e32 v8, v3, v4
	v_fma_f32 v9, -v2, v8, v3
	v_fmac_f32_e32 v8, v9, v4
	v_fma_f32 v2, -v2, v8, v3
	v_div_fmas_f32 v2, v2, v4, v8
	v_ldexp_f32 v3, v7, v5
	v_log_f32_e32 v3, v3
	v_mul_f32_e32 v4, 0x3f317217, v3
	v_fma_f32 v4, v3, s20, -v4
	v_fmac_f32_e32 v4, 0x3377d1cf, v3
	s_mov_b32 s20, 0x7f800000
	v_fmac_f32_e32 v4, 0x3f317217, v3
	v_cmp_lt_f32_e64 vcc, |v3|, s20
	v_cndmask_b32_e32 v3, v3, v4, vcc
	v_mov_b32_e32 v4, 0x41b17218
	v_cndmask_b32_e64 v4, 0, v4, s[0:1]
	v_sub_f32_e32 v3, v3, v4
	v_div_fixup_f32 v2, v2, v7, -0.5
	v_add_f32_e32 v2, v3, v2
	v_sub_f32_e32 v0, v2, v0
	v_add_f32_e32 v0, v1, v0
                                        ; implicit-def: $vgpr1
.LBB18_1266:
	s_andn2_saveexec_b64 s[0:1], s[18:19]
; %bb.1267:
	v_add_f32_e32 v0, 0x40101cb7, v1
; %bb.1268:
	s_or_b64 exec, exec, s[0:1]
.LBB18_1269:
	s_or_b64 exec, exec, s[16:17]
                                        ; implicit-def: $vgpr7
.LBB18_1270:
	s_andn2_saveexec_b64 s[0:1], s[12:13]
; %bb.1271:
	v_xor_b32_e32 v0, 0x80000000, v7
	s_brev_b32 s12, -2
	v_mov_b32_e32 v1, 0x7f800000
	v_bfi_b32 v0, s12, v1, v0
; %bb.1272:
	s_or_b64 exec, exec, s[0:1]
	s_lshl_b32 s3, s3, 7
	v_add_u32_e32 v7, s3, v6
	v_ashrrev_i32_e32 v2, 31, v7
	v_mov_b32_e32 v3, s11
	v_add_co_u32_e32 v1, vcc, s10, v7
	s_cmp_lt_i32 s24, 11
	v_addc_co_u32_e32 v2, vcc, v3, v2, vcc
	s_cbranch_scc1 .LBB18_1279
; %bb.1273:
	s_cmp_gt_i32 s24, 25
	s_mov_b64 s[12:13], 0
	s_cbranch_scc0 .LBB18_1281
; %bb.1274:
	s_cmp_gt_i32 s24, 28
	s_cbranch_scc0 .LBB18_1282
; %bb.1275:
	s_cmp_gt_i32 s24, 43
	;; [unrolled: 3-line block ×3, first 2 shown]
	s_cbranch_scc0 .LBB18_1285
; %bb.1277:
	s_cmp_eq_u32 s24, 46
	s_mov_b64 s[18:19], 0
	s_cbranch_scc0 .LBB18_1288
; %bb.1278:
	global_load_dword v3, v[1:2], off
	s_mov_b64 s[0:1], 0
	s_mov_b64 s[16:17], -1
	s_waitcnt vmcnt(0)
	v_lshlrev_b32_e32 v8, 16, v3
	s_branch .LBB18_1289
.LBB18_1279:
	s_mov_b64 s[16:17], 0
                                        ; implicit-def: $vgpr8
	s_cbranch_execnz .LBB18_1354
.LBB18_1280:
	s_andn2_b64 vcc, exec, s[16:17]
	s_cbranch_vccnz .LBB18_1810
	s_branch .LBB18_1401
.LBB18_1281:
	s_mov_b64 s[16:17], 0
	s_mov_b64 s[0:1], 0
                                        ; implicit-def: $vgpr8
	s_cbranch_execnz .LBB18_1318
	s_branch .LBB18_1350
.LBB18_1282:
	s_mov_b64 s[18:19], -1
	s_mov_b64 s[16:17], 0
	s_mov_b64 s[0:1], 0
                                        ; implicit-def: $vgpr8
	s_branch .LBB18_1299
.LBB18_1283:
	s_mov_b64 s[18:19], -1
	s_mov_b64 s[16:17], 0
	s_mov_b64 s[0:1], 0
                                        ; implicit-def: $vgpr8
	s_branch .LBB18_1294
.LBB18_1284:
	s_or_b64 s[14:15], s[6:7], exec
	s_trap 2
	s_cbranch_execz .LBB18_1201
	s_branch .LBB18_1202
.LBB18_1285:
	s_mov_b64 s[18:19], -1
	s_mov_b64 s[16:17], 0
	s_mov_b64 s[0:1], 0
                                        ; implicit-def: $vgpr8
	s_branch .LBB18_1289
.LBB18_1286:
	s_andn2_saveexec_b64 s[24:25], s[24:25]
	s_cbranch_execz .LBB18_1048
.LBB18_1287:
	s_mov_b32 s28, 0x42800000
	v_add_f32_e64 v1, |v0|, s28
	v_and_b32_e32 v1, 0xff, v1
	v_cmp_ne_u32_e32 vcc, 0, v1
	s_andn2_b64 s[22:23], s[22:23], exec
	s_and_b64 s[28:29], vcc, exec
	s_or_b64 s[22:23], s[22:23], s[28:29]
	s_or_b64 exec, exec, s[24:25]
	v_mov_b32_e32 v4, 0
	s_and_saveexec_b64 s[24:25], s[22:23]
	s_cbranch_execnz .LBB18_1049
	s_branch .LBB18_1050
.LBB18_1288:
	s_mov_b64 s[0:1], -1
                                        ; implicit-def: $vgpr8
	s_mov_b64 s[16:17], 0
.LBB18_1289:
	s_and_b64 vcc, exec, s[18:19]
	s_cbranch_vccz .LBB18_1293
; %bb.1290:
	s_cmp_eq_u32 s24, 44
	s_cbranch_scc0 .LBB18_1292
; %bb.1291:
	global_load_ubyte v3, v[1:2], off
	s_movk_i32 s16, 0xff
	v_mov_b32_e32 v4, 0x7f800001
	v_mov_b32_e32 v5, 0x400000
	s_mov_b64 s[0:1], 0
	s_waitcnt vmcnt(0)
	v_lshlrev_b32_e32 v6, 23, v3
	v_cmp_ne_u32_e32 vcc, s16, v3
	v_cndmask_b32_e32 v4, v4, v6, vcc
	v_cmp_ne_u32_e32 vcc, 0, v3
	v_cndmask_b32_e32 v8, v5, v4, vcc
	s_mov_b64 s[16:17], -1
	s_branch .LBB18_1293
.LBB18_1292:
	s_mov_b64 s[0:1], -1
                                        ; implicit-def: $vgpr8
.LBB18_1293:
	s_mov_b64 s[18:19], 0
.LBB18_1294:
	s_and_b64 vcc, exec, s[18:19]
	s_cbranch_vccz .LBB18_1298
; %bb.1295:
	s_cmp_eq_u32 s24, 29
	s_cbranch_scc0 .LBB18_1297
; %bb.1296:
	global_load_dwordx2 v[3:4], v[1:2], off
	s_mov_b64 s[0:1], 0
	s_mov_b64 s[16:17], -1
	s_mov_b64 s[18:19], 0
	s_waitcnt vmcnt(0)
	v_ffbh_u32_e32 v5, v4
	v_min_u32_e32 v5, 32, v5
	v_lshlrev_b64 v[3:4], v5, v[3:4]
	v_min_u32_e32 v3, 1, v3
	v_or_b32_e32 v3, v4, v3
	v_cvt_f32_u32_e32 v3, v3
	v_sub_u32_e32 v4, 32, v5
	v_ldexp_f32 v8, v3, v4
	s_branch .LBB18_1299
.LBB18_1297:
	s_mov_b64 s[0:1], -1
                                        ; implicit-def: $vgpr8
.LBB18_1298:
	s_mov_b64 s[18:19], 0
.LBB18_1299:
	s_and_b64 vcc, exec, s[18:19]
	s_cbranch_vccz .LBB18_1317
; %bb.1300:
	s_cmp_lt_i32 s24, 27
	s_cbranch_scc1 .LBB18_1303
; %bb.1301:
	s_cmp_gt_i32 s24, 27
	s_cbranch_scc0 .LBB18_1304
; %bb.1302:
	global_load_dword v3, v[1:2], off
	s_mov_b64 s[16:17], 0
	s_waitcnt vmcnt(0)
	v_cvt_f32_u32_e32 v8, v3
	s_branch .LBB18_1305
.LBB18_1303:
	s_mov_b64 s[16:17], -1
                                        ; implicit-def: $vgpr8
	s_branch .LBB18_1308
.LBB18_1304:
	s_mov_b64 s[16:17], -1
                                        ; implicit-def: $vgpr8
.LBB18_1305:
	s_andn2_b64 vcc, exec, s[16:17]
	s_cbranch_vccnz .LBB18_1307
; %bb.1306:
	global_load_ushort v3, v[1:2], off
	s_waitcnt vmcnt(0)
	v_cvt_f32_u32_e32 v8, v3
.LBB18_1307:
	s_mov_b64 s[16:17], 0
.LBB18_1308:
	s_andn2_b64 vcc, exec, s[16:17]
	s_cbranch_vccnz .LBB18_1316
; %bb.1309:
	global_load_ubyte v3, v[1:2], off
	s_movk_i32 s16, 0x7f
	s_waitcnt vmcnt(0)
	v_cmp_lt_i16_e32 vcc, s16, v3
	s_mov_b64 s[16:17], 0
	s_and_saveexec_b64 s[18:19], vcc
	s_xor_b64 s[18:19], exec, s[18:19]
	s_cbranch_execz .LBB18_1329
; %bb.1310:
	s_movk_i32 s16, 0x80
	v_cmp_eq_u16_e32 vcc, s16, v3
	s_mov_b64 s[16:17], -1
	s_and_saveexec_b64 s[20:21], vcc
; %bb.1311:
	s_xor_b64 s[16:17], exec, -1
; %bb.1312:
	s_or_b64 exec, exec, s[20:21]
	s_and_b64 s[16:17], s[16:17], exec
	s_or_saveexec_b64 s[18:19], s[18:19]
	v_mov_b32_e32 v8, 0x7f800001
	s_xor_b64 exec, exec, s[18:19]
	s_cbranch_execnz .LBB18_1330
.LBB18_1313:
	s_or_b64 exec, exec, s[18:19]
	s_and_saveexec_b64 s[18:19], s[16:17]
	s_cbranch_execz .LBB18_1315
.LBB18_1314:
	v_lshlrev_b32_e32 v4, 24, v3
	v_and_b32_e32 v3, 0xffff, v3
	v_and_b32_e32 v5, 7, v3
	v_ffbh_u32_e32 v8, v5
	v_min_u32_e32 v8, 32, v8
	v_subrev_u32_e32 v9, 28, v8
	v_bfe_u32 v6, v3, 3, 4
	v_lshlrev_b32_e32 v3, v9, v3
	v_sub_u32_e32 v8, 29, v8
	v_and_b32_e32 v3, 7, v3
	v_cmp_eq_u32_e32 vcc, 0, v6
	v_cndmask_b32_e32 v6, v6, v8, vcc
	v_cndmask_b32_e32 v3, v5, v3, vcc
	v_mov_b32_e32 v5, 0x3b800000
	v_lshlrev_b32_e32 v3, 20, v3
	v_and_b32_e32 v4, 0x80000000, v4
	v_lshl_add_u32 v5, v6, 23, v5
	v_or3_b32 v8, v4, v5, v3
.LBB18_1315:
	s_or_b64 exec, exec, s[18:19]
.LBB18_1316:
	s_mov_b64 s[16:17], -1
.LBB18_1317:
	s_branch .LBB18_1350
.LBB18_1318:
	s_cmp_gt_i32 s24, 22
	s_cbranch_scc0 .LBB18_1328
; %bb.1319:
	s_cmp_lt_i32 s24, 24
	s_cbranch_scc1 .LBB18_1331
; %bb.1320:
	s_cmp_gt_i32 s24, 24
	s_cbranch_scc0 .LBB18_1332
; %bb.1321:
	global_load_ubyte v3, v[1:2], off
	s_movk_i32 s12, 0x7f
	s_waitcnt vmcnt(0)
	v_cmp_lt_i16_e32 vcc, s12, v3
	s_mov_b64 s[12:13], 0
	s_and_saveexec_b64 s[16:17], vcc
	s_xor_b64 s[16:17], exec, s[16:17]
	s_cbranch_execz .LBB18_1344
; %bb.1322:
	s_movk_i32 s12, 0x80
	v_cmp_eq_u16_e32 vcc, s12, v3
	s_mov_b64 s[12:13], -1
	s_and_saveexec_b64 s[18:19], vcc
; %bb.1323:
	s_xor_b64 s[12:13], exec, -1
; %bb.1324:
	s_or_b64 exec, exec, s[18:19]
	s_and_b64 s[12:13], s[12:13], exec
	s_or_saveexec_b64 s[16:17], s[16:17]
	v_mov_b32_e32 v8, 0x7f800001
	s_xor_b64 exec, exec, s[16:17]
	s_cbranch_execnz .LBB18_1345
.LBB18_1325:
	s_or_b64 exec, exec, s[16:17]
	s_and_saveexec_b64 s[16:17], s[12:13]
	s_cbranch_execz .LBB18_1327
.LBB18_1326:
	v_lshlrev_b32_e32 v4, 24, v3
	v_and_b32_e32 v3, 0xffff, v3
	v_and_b32_e32 v5, 3, v3
	v_ffbh_u32_e32 v8, v5
	v_min_u32_e32 v8, 32, v8
	v_subrev_u32_e32 v9, 29, v8
	v_bfe_u32 v6, v3, 2, 5
	v_lshlrev_b32_e32 v3, v9, v3
	v_sub_u32_e32 v8, 30, v8
	v_and_b32_e32 v3, 3, v3
	v_cmp_eq_u32_e32 vcc, 0, v6
	v_cndmask_b32_e32 v6, v6, v8, vcc
	v_cndmask_b32_e32 v3, v5, v3, vcc
	v_mov_b32_e32 v5, 0x37800000
	v_lshlrev_b32_e32 v3, 21, v3
	v_and_b32_e32 v4, 0x80000000, v4
	v_lshl_add_u32 v5, v6, 23, v5
	v_or3_b32 v8, v4, v5, v3
.LBB18_1327:
	s_or_b64 exec, exec, s[16:17]
	s_mov_b64 s[12:13], 0
	s_branch .LBB18_1333
.LBB18_1328:
	s_mov_b64 s[12:13], -1
                                        ; implicit-def: $vgpr8
	s_branch .LBB18_1339
.LBB18_1329:
	s_or_saveexec_b64 s[18:19], s[18:19]
	v_mov_b32_e32 v8, 0x7f800001
	s_xor_b64 exec, exec, s[18:19]
	s_cbranch_execz .LBB18_1313
.LBB18_1330:
	v_cmp_ne_u16_e32 vcc, 0, v3
	s_andn2_b64 s[16:17], s[16:17], exec
	s_and_b64 s[20:21], vcc, exec
	v_mov_b32_e32 v8, 0
	s_or_b64 s[16:17], s[16:17], s[20:21]
	s_or_b64 exec, exec, s[18:19]
	s_and_saveexec_b64 s[18:19], s[16:17]
	s_cbranch_execnz .LBB18_1314
	s_branch .LBB18_1315
.LBB18_1331:
	s_mov_b64 s[12:13], -1
                                        ; implicit-def: $vgpr8
	s_branch .LBB18_1336
.LBB18_1332:
	s_mov_b64 s[12:13], -1
                                        ; implicit-def: $vgpr8
.LBB18_1333:
	s_and_b64 vcc, exec, s[12:13]
	s_cbranch_vccz .LBB18_1335
; %bb.1334:
	global_load_ubyte v3, v[1:2], off
	s_mov_b32 s12, 0x7f800000
	s_waitcnt vmcnt(0)
	v_lshlrev_b32_e32 v3, 24, v3
	v_and_b32_e32 v4, 0x7f000000, v3
	v_ffbh_u32_e32 v5, v4
	v_min_u32_e32 v5, 32, v5
	v_sub_u32_e64 v5, v5, 4 clamp
	v_lshlrev_b32_e32 v8, v5, v4
	v_lshlrev_b32_e32 v5, 23, v5
	v_lshrrev_b32_e32 v8, 4, v8
	v_add_u32_e32 v6, 0x1000000, v4
	v_sub_u32_e32 v5, v8, v5
	v_ashrrev_i32_e32 v6, 8, v6
	v_add_u32_e32 v5, 0x3c000000, v5
	v_and_or_b32 v5, v6, s12, v5
	v_cmp_ne_u32_e32 vcc, 0, v4
	v_cndmask_b32_e32 v4, 0, v5, vcc
	s_brev_b32 s12, 1
	v_and_or_b32 v8, v3, s12, v4
.LBB18_1335:
	s_mov_b64 s[12:13], 0
.LBB18_1336:
	s_andn2_b64 vcc, exec, s[12:13]
	s_cbranch_vccnz .LBB18_1338
; %bb.1337:
	global_load_ubyte v3, v[1:2], off
	s_movk_i32 s12, 0x7f00
	s_brev_b32 s13, 16
	s_waitcnt vmcnt(0)
	v_lshlrev_b16_e32 v4, 8, v3
	v_lshlrev_b32_e32 v3, 25, v3
	v_lshrrev_b32_e32 v5, 4, v3
	v_and_or_b32 v6, v4, s12, 0.5
	v_or_b32_e32 v5, 0x70000000, v5
	v_add_f32_e32 v6, -0.5, v6
	v_mul_f32_e32 v5, 0x7800000, v5
	v_cmp_gt_u32_e32 vcc, s13, v3
	v_bfe_i32 v4, v4, 0, 16
	v_cndmask_b32_e32 v3, v5, v6, vcc
	s_brev_b32 s12, 1
	v_and_or_b32 v8, v4, s12, v3
.LBB18_1338:
	s_mov_b64 s[12:13], 0
	s_mov_b64 s[16:17], -1
.LBB18_1339:
	s_andn2_b64 vcc, exec, s[12:13]
	s_mov_b64 s[12:13], 0
	s_cbranch_vccnz .LBB18_1350
; %bb.1340:
	s_cmp_gt_i32 s24, 14
	s_cbranch_scc0 .LBB18_1343
; %bb.1341:
	s_cmp_eq_u32 s24, 15
	s_cbranch_scc0 .LBB18_1346
; %bb.1342:
	global_load_ushort v3, v[1:2], off
	s_mov_b64 s[0:1], 0
	s_mov_b64 s[16:17], -1
	s_waitcnt vmcnt(0)
	v_lshlrev_b32_e32 v8, 16, v3
	s_branch .LBB18_1347
.LBB18_1343:
	s_mov_b64 s[18:19], -1
                                        ; implicit-def: $vgpr8
	s_branch .LBB18_1348
.LBB18_1344:
	s_or_saveexec_b64 s[16:17], s[16:17]
	v_mov_b32_e32 v8, 0x7f800001
	s_xor_b64 exec, exec, s[16:17]
	s_cbranch_execz .LBB18_1325
.LBB18_1345:
	v_cmp_ne_u16_e32 vcc, 0, v3
	s_andn2_b64 s[12:13], s[12:13], exec
	s_and_b64 s[18:19], vcc, exec
	v_mov_b32_e32 v8, 0
	s_or_b64 s[12:13], s[12:13], s[18:19]
	s_or_b64 exec, exec, s[16:17]
	s_and_saveexec_b64 s[16:17], s[12:13]
	s_cbranch_execnz .LBB18_1326
	s_branch .LBB18_1327
.LBB18_1346:
	s_mov_b64 s[0:1], -1
                                        ; implicit-def: $vgpr8
.LBB18_1347:
	s_mov_b64 s[18:19], 0
.LBB18_1348:
	s_and_b64 vcc, exec, s[18:19]
	s_cbranch_vccz .LBB18_1350
; %bb.1349:
	s_cmp_lg_u32 s24, 11
	s_mov_b64 s[12:13], -1
	s_cselect_b64 s[0:1], -1, 0
.LBB18_1350:
	s_and_b64 vcc, exec, s[0:1]
	s_cbranch_vccnz .LBB18_1437
; %bb.1351:
	s_andn2_b64 vcc, exec, s[12:13]
	s_cbranch_vccnz .LBB18_1353
.LBB18_1352:
	global_load_ubyte v3, v[1:2], off
	s_mov_b64 s[16:17], -1
	s_waitcnt vmcnt(0)
	v_cmp_ne_u16_e32 vcc, 0, v3
	v_cndmask_b32_e64 v8, 0, 1.0, vcc
.LBB18_1353:
	s_branch .LBB18_1280
.LBB18_1354:
	s_cmp_lt_i32 s24, 5
	s_cbranch_scc1 .LBB18_1359
; %bb.1355:
	s_cmp_lt_i32 s24, 8
	s_cbranch_scc1 .LBB18_1360
; %bb.1356:
	;; [unrolled: 3-line block ×3, first 2 shown]
	s_cmp_gt_i32 s24, 9
	s_cbranch_scc0 .LBB18_1362
; %bb.1358:
	global_load_dwordx2 v[3:4], v[1:2], off
	s_mov_b64 s[0:1], 0
	s_waitcnt vmcnt(0)
	v_cvt_f32_f64_e32 v8, v[3:4]
	s_branch .LBB18_1363
.LBB18_1359:
                                        ; implicit-def: $vgpr8
	s_branch .LBB18_1381
.LBB18_1360:
	s_mov_b64 s[0:1], -1
                                        ; implicit-def: $vgpr8
	s_branch .LBB18_1369
.LBB18_1361:
	s_mov_b64 s[0:1], -1
                                        ; implicit-def: $vgpr8
	s_branch .LBB18_1366
.LBB18_1362:
	s_mov_b64 s[0:1], -1
                                        ; implicit-def: $vgpr8
.LBB18_1363:
	s_andn2_b64 vcc, exec, s[0:1]
	s_cbranch_vccnz .LBB18_1365
; %bb.1364:
	global_load_dword v8, v[1:2], off
.LBB18_1365:
	s_mov_b64 s[0:1], 0
.LBB18_1366:
	s_andn2_b64 vcc, exec, s[0:1]
	s_cbranch_vccnz .LBB18_1368
; %bb.1367:
	global_load_dword v3, v[1:2], off
	s_waitcnt vmcnt(0)
	v_cvt_f32_f16_e32 v8, v3
.LBB18_1368:
	s_mov_b64 s[0:1], 0
.LBB18_1369:
	s_andn2_b64 vcc, exec, s[0:1]
	s_cbranch_vccnz .LBB18_1380
; %bb.1370:
	s_cmp_lt_i32 s24, 6
	s_cbranch_scc1 .LBB18_1373
; %bb.1371:
	s_cmp_gt_i32 s24, 6
	s_cbranch_scc0 .LBB18_1374
; %bb.1372:
	global_load_dwordx2 v[3:4], v[1:2], off
	s_mov_b64 s[0:1], 0
	s_waitcnt vmcnt(0)
	v_cvt_f32_f64_e32 v8, v[3:4]
	s_branch .LBB18_1375
.LBB18_1373:
	s_mov_b64 s[0:1], -1
                                        ; implicit-def: $vgpr8
	s_branch .LBB18_1378
.LBB18_1374:
	s_mov_b64 s[0:1], -1
                                        ; implicit-def: $vgpr8
.LBB18_1375:
	s_andn2_b64 vcc, exec, s[0:1]
	s_cbranch_vccnz .LBB18_1377
; %bb.1376:
	global_load_dword v8, v[1:2], off
.LBB18_1377:
	s_mov_b64 s[0:1], 0
.LBB18_1378:
	s_andn2_b64 vcc, exec, s[0:1]
	s_cbranch_vccnz .LBB18_1380
; %bb.1379:
	global_load_ushort v3, v[1:2], off
	s_waitcnt vmcnt(0)
	v_cvt_f32_f16_e32 v8, v3
.LBB18_1380:
	s_cbranch_execnz .LBB18_1400
.LBB18_1381:
	s_cmp_lt_i32 s24, 2
	s_cbranch_scc1 .LBB18_1385
; %bb.1382:
	s_cmp_lt_i32 s24, 3
	s_cbranch_scc1 .LBB18_1386
; %bb.1383:
	s_cmp_gt_i32 s24, 3
	s_cbranch_scc0 .LBB18_1387
; %bb.1384:
	global_load_dwordx2 v[3:4], v[1:2], off
	s_mov_b64 s[0:1], 0
	s_waitcnt vmcnt(0)
	v_xor_b32_e32 v6, v3, v4
	v_ffbh_i32_e32 v5, v4
	v_ashrrev_i32_e32 v6, 31, v6
	v_add_u32_e32 v5, -1, v5
	v_add_u32_e32 v6, 32, v6
	v_min_u32_e32 v5, v5, v6
	v_lshlrev_b64 v[3:4], v5, v[3:4]
	v_min_u32_e32 v3, 1, v3
	v_or_b32_e32 v3, v4, v3
	v_cvt_f32_i32_e32 v3, v3
	v_sub_u32_e32 v4, 32, v5
	v_ldexp_f32 v8, v3, v4
	s_branch .LBB18_1388
.LBB18_1385:
	s_mov_b64 s[0:1], -1
                                        ; implicit-def: $vgpr8
	s_branch .LBB18_1394
.LBB18_1386:
	s_mov_b64 s[0:1], -1
                                        ; implicit-def: $vgpr8
	s_branch .LBB18_1391
.LBB18_1387:
	s_mov_b64 s[0:1], -1
                                        ; implicit-def: $vgpr8
.LBB18_1388:
	s_andn2_b64 vcc, exec, s[0:1]
	s_cbranch_vccnz .LBB18_1390
; %bb.1389:
	global_load_dword v3, v[1:2], off
	s_waitcnt vmcnt(0)
	v_cvt_f32_i32_e32 v8, v3
.LBB18_1390:
	s_mov_b64 s[0:1], 0
.LBB18_1391:
	s_andn2_b64 vcc, exec, s[0:1]
	s_cbranch_vccnz .LBB18_1393
; %bb.1392:
	global_load_sshort v3, v[1:2], off
	s_waitcnt vmcnt(0)
	v_cvt_f32_i32_e32 v8, v3
.LBB18_1393:
	s_mov_b64 s[0:1], 0
.LBB18_1394:
	s_andn2_b64 vcc, exec, s[0:1]
	s_cbranch_vccnz .LBB18_1400
; %bb.1395:
	s_cmp_gt_i32 s24, 0
	s_cbranch_scc0 .LBB18_1397
; %bb.1396:
	global_load_sbyte v3, v[1:2], off
	s_mov_b64 s[0:1], 0
	s_waitcnt vmcnt(0)
	v_cvt_f32_i32_e32 v8, v3
	s_branch .LBB18_1398
.LBB18_1397:
	s_mov_b64 s[0:1], -1
                                        ; implicit-def: $vgpr8
.LBB18_1398:
	s_andn2_b64 vcc, exec, s[0:1]
	s_cbranch_vccnz .LBB18_1400
; %bb.1399:
	global_load_ubyte v1, v[1:2], off
	s_waitcnt vmcnt(0)
	v_cvt_f32_ubyte0_e32 v8, v1
.LBB18_1400:
.LBB18_1401:
	s_waitcnt vmcnt(0)
	v_cmp_neq_f32_e32 vcc, 0, v8
                                        ; implicit-def: $vgpr2
	s_and_saveexec_b64 s[0:1], vcc
	s_xor_b64 s[12:13], exec, s[0:1]
	s_cbranch_execz .LBB18_1423
; %bb.1402:
	v_mov_b32_e32 v1, 0
	v_cmp_gt_f32_e32 vcc, 0, v8
	s_mov_b64 s[0:1], -1
	s_and_saveexec_b64 s[16:17], vcc
	s_cbranch_execz .LBB18_1410
; %bb.1403:
	v_trunc_f32_e32 v1, v8
	v_cmp_neq_f32_e32 vcc, v8, v1
	s_mov_b64 s[20:21], 0
	v_mov_b32_e32 v1, 0
	s_and_saveexec_b64 s[18:19], vcc
	s_cbranch_execz .LBB18_1409
; %bb.1404:
	v_cvt_f64_f32_e32 v[1:2], v8
	s_mov_b32 s0, 0
	s_mov_b32 s21, 0xc00921fb
	s_mov_b32 s20, 0x54442d18
	v_trunc_f64_e32 v[3:4], v[1:2]
	s_mov_b32 s1, 0x7ff00000
	v_cmp_neq_f64_e64 vcc, |v[1:2]|, s[0:1]
	v_bfrev_b32_e32 v5, 1
	s_mov_b32 s22, 0
	s_mov_b32 s23, 0x41d00000
                                        ; implicit-def: $vgpr9
	v_add_f64 v[3:4], v[1:2], -v[3:4]
	v_mul_f64 v[3:4], |v[3:4]|, s[20:21]
	v_cndmask_b32_e32 v2, v5, v4, vcc
	v_cndmask_b32_e32 v1, 0, v3, vcc
	v_cmp_nlt_f64_e64 s[22:23], |v[1:2]|, s[22:23]
                                        ; implicit-def: $vgpr3_vgpr4
                                        ; implicit-def: $vgpr5_vgpr6
	s_and_saveexec_b64 s[26:27], s[22:23]
	s_xor_b64 s[22:23], exec, s[26:27]
	s_cbranch_execz .LBB18_1406
; %bb.1405:
	v_trig_preop_f64 v[3:4], |v[1:2]|, 0
	s_mov_b32 s26, 0
	s_mov_b32 s27, 0x7b000000
	s_movk_i32 s21, 0xff80
	v_ldexp_f64 v[9:10], |v[1:2]|, s21
	v_cmp_ge_f64_e64 vcc, |v[1:2]|, s[26:27]
	v_trig_preop_f64 v[5:6], |v[1:2]|, 1
	v_and_b32_e32 v12, 0x7fffffff, v2
	v_trig_preop_f64 v[18:19], |v[1:2]|, 2
	v_mov_b32_e32 v29, 0x40100000
	v_mov_b32_e32 v28, 0
	s_mov_b32 s21, 0x3ff921fb
	v_cndmask_b32_e32 v10, v12, v10, vcc
	v_cndmask_b32_e32 v9, v1, v9, vcc
	v_mul_f64 v[12:13], v[3:4], v[9:10]
	v_mul_f64 v[14:15], v[5:6], v[9:10]
	;; [unrolled: 1-line block ×3, first 2 shown]
	v_fma_f64 v[3:4], v[3:4], v[9:10], -v[12:13]
	v_fma_f64 v[5:6], v[5:6], v[9:10], -v[14:15]
	;; [unrolled: 1-line block ×3, first 2 shown]
	v_add_f64 v[16:17], v[14:15], v[3:4]
	v_add_f64 v[20:21], v[16:17], -v[14:15]
	v_add_f64 v[26:27], v[12:13], v[16:17]
	v_add_f64 v[22:23], v[16:17], -v[20:21]
	v_add_f64 v[3:4], v[3:4], -v[20:21]
	v_add_f64 v[20:21], v[24:25], v[5:6]
	v_add_f64 v[12:13], v[26:27], -v[12:13]
	v_add_f64 v[14:15], v[14:15], -v[22:23]
	v_ldexp_f64 v[22:23], v[26:27], -2
	v_add_f64 v[30:31], v[20:21], -v[24:25]
	v_add_f64 v[12:13], v[16:17], -v[12:13]
	v_add_f64 v[3:4], v[3:4], v[14:15]
	v_fract_f64_e32 v[14:15], v[22:23]
	v_cmp_neq_f64_e64 vcc, |v[22:23]|, s[0:1]
	v_add_f64 v[5:6], v[5:6], -v[30:31]
	v_add_f64 v[16:17], v[20:21], v[3:4]
	v_ldexp_f64 v[14:15], v[14:15], 2
	v_add_f64 v[22:23], v[12:13], v[16:17]
	v_cndmask_b32_e32 v15, 0, v15, vcc
	v_cndmask_b32_e32 v14, 0, v14, vcc
	v_add_f64 v[32:33], v[16:17], -v[20:21]
	v_add_f64 v[26:27], v[22:23], v[14:15]
	v_add_f64 v[12:13], v[22:23], -v[12:13]
	v_add_f64 v[34:35], v[16:17], -v[32:33]
	;; [unrolled: 1-line block ×3, first 2 shown]
	v_cmp_gt_f64_e32 vcc, 0, v[26:27]
	v_add_f64 v[26:27], v[20:21], -v[30:31]
	v_add_f64 v[12:13], v[16:17], -v[12:13]
	;; [unrolled: 1-line block ×3, first 2 shown]
	v_cndmask_b32_e32 v29, 0, v29, vcc
	v_add_f64 v[14:15], v[14:15], v[28:29]
	v_add_f64 v[26:27], v[24:25], -v[26:27]
	v_add_f64 v[3:4], v[3:4], v[20:21]
	v_add_f64 v[29:30], v[22:23], v[14:15]
	;; [unrolled: 1-line block ×3, first 2 shown]
	v_cvt_i32_f64_e32 v31, v[29:30]
	v_add_f64 v[3:4], v[5:6], v[3:4]
	v_cvt_f64_i32_e32 v[29:30], v31
	v_add_f64 v[14:15], v[14:15], -v[29:30]
	v_add_f64 v[3:4], v[9:10], v[3:4]
	v_add_f64 v[5:6], v[22:23], v[14:15]
	;; [unrolled: 1-line block ×3, first 2 shown]
	v_add_f64 v[9:10], v[5:6], -v[14:15]
	v_cmp_le_f64_e32 vcc, 0.5, v[5:6]
	v_add_f64 v[12:13], v[22:23], -v[9:10]
	v_mov_b32_e32 v10, 0x3ff00000
	v_cndmask_b32_e32 v29, 0, v10, vcc
	v_add_f64 v[5:6], v[5:6], -v[28:29]
	v_addc_co_u32_e64 v9, s[0:1], 0, v31, vcc
	s_mov_b32 s0, 0x33145c07
	s_mov_b32 s1, 0x3c91a626
	v_add_f64 v[3:4], v[3:4], v[12:13]
	v_add_f64 v[12:13], v[5:6], v[3:4]
	v_mul_f64 v[14:15], v[12:13], s[20:21]
	v_add_f64 v[5:6], v[12:13], -v[5:6]
	v_fma_f64 v[16:17], v[12:13], s[20:21], -v[14:15]
	v_add_f64 v[3:4], v[3:4], -v[5:6]
	v_fma_f64 v[5:6], v[12:13], s[0:1], v[16:17]
	v_fma_f64 v[5:6], v[3:4], s[20:21], v[5:6]
	v_add_f64 v[3:4], v[14:15], v[5:6]
	v_add_f64 v[12:13], v[3:4], -v[14:15]
	v_add_f64 v[5:6], v[5:6], -v[12:13]
.LBB18_1406:
	s_andn2_saveexec_b64 s[0:1], s[22:23]
	s_cbranch_execz .LBB18_1408
; %bb.1407:
	s_mov_b32 s20, 0x6dc9c883
	s_mov_b32 s21, 0x3fe45f30
	v_mul_f64 v[3:4], |v[1:2]|, s[20:21]
	s_mov_b32 s20, 0x54442d18
	s_mov_b32 s21, 0xbff921fb
	;; [unrolled: 1-line block ×4, first 2 shown]
	v_rndne_f64_e32 v[9:10], v[3:4]
	v_fma_f64 v[3:4], v[9:10], s[20:21], |v[1:2]|
	v_mul_f64 v[5:6], v[9:10], s[22:23]
	s_mov_b32 s20, 0x252049c0
	s_mov_b32 s21, 0xb97b839a
	v_fma_f64 v[16:17], v[9:10], s[22:23], v[3:4]
	v_add_f64 v[12:13], v[3:4], v[5:6]
	s_mov_b32 s23, 0x3c91a626
	v_add_f64 v[14:15], v[3:4], -v[12:13]
	v_add_f64 v[12:13], v[12:13], -v[16:17]
	v_add_f64 v[3:4], v[14:15], v[5:6]
	v_fma_f64 v[5:6], v[9:10], s[22:23], v[5:6]
	v_add_f64 v[3:4], v[12:13], v[3:4]
	v_add_f64 v[3:4], v[3:4], -v[5:6]
	v_fma_f64 v[5:6], v[9:10], s[20:21], v[3:4]
	v_cvt_i32_f64_e32 v9, v[9:10]
	v_add_f64 v[3:4], v[16:17], v[5:6]
	v_add_f64 v[12:13], v[3:4], -v[16:17]
	v_add_f64 v[5:6], v[5:6], -v[12:13]
.LBB18_1408:
	s_or_b64 exec, exec, s[0:1]
	v_mul_f64 v[12:13], v[3:4], v[3:4]
	v_add_f64 v[14:15], v[5:6], v[5:6]
	s_mov_b32 s0, 0xc751c08c
	s_mov_b32 s1, 0x3ef5e089
	v_and_b32_e32 v9, 1, v9
	v_cmp_eq_u32_e32 vcc, 0, v9
	v_and_b32_e32 v10, 0x80000000, v2
	s_mov_b32 s22, 0x54442d18
	v_fma_f64 v[16:17], v[3:4], v[3:4], -v[12:13]
	s_mov_b32 s23, 0xc00921fb
	s_mov_b64 s[20:21], exec
	v_sub_f32_e32 v8, 1.0, v8
	v_fma_f64 v[14:15], v[3:4], v[14:15], v[16:17]
	v_add_f64 v[12:13], v[12:13], v[14:15]
	v_mov_b32_e32 v14, 0xa9a29f71
	v_mov_b32_e32 v15, 0xbf078809
	v_fma_f64 v[14:15], v[12:13], s[0:1], v[14:15]
	s_mov_b32 s0, 0x90a8aae0
	s_mov_b32 s1, 0x3f17746f
	v_fma_f64 v[14:15], v[12:13], v[14:15], s[0:1]
	s_mov_b32 s0, 0xa6fbf144
	s_mov_b32 s1, 0xbefbb44d
	;; [unrolled: 3-line block ×12, first 2 shown]
	v_fma_f64 v[14:15], v[12:13], v[14:15], s[0:1]
	s_movk_i32 s0, 0x1f8
	v_cmp_class_f64_e64 s[0:1], v[1:2], s0
	v_mov_b32_e32 v2, 0x7ff80000
	v_mul_f64 v[12:13], v[12:13], v[14:15]
	v_mul_f64 v[14:15], v[3:4], v[12:13]
	v_add_f64 v[16:17], v[3:4], v[14:15]
	v_fma_f64 v[12:13], v[3:4], v[12:13], -v[14:15]
	v_add_f64 v[3:4], v[16:17], -v[3:4]
	v_add_f64 v[5:6], v[5:6], v[12:13]
	v_add_f64 v[3:4], v[14:15], -v[3:4]
	v_add_f64 v[3:4], v[5:6], v[3:4]
	v_add_f64 v[5:6], v[16:17], v[3:4]
	v_rcp_f64_e32 v[12:13], v[5:6]
	v_fma_f64 v[14:15], -v[5:6], v[12:13], 1.0
	v_fma_f64 v[12:13], v[14:15], v[12:13], v[12:13]
	v_fma_f64 v[14:15], -v[5:6], v[12:13], 1.0
	v_fma_f64 v[12:13], v[14:15], v[12:13], v[12:13]
	v_add_f64 v[14:15], v[5:6], -v[16:17]
	v_mul_f64 v[16:17], v[5:6], v[12:13]
	v_add_f64 v[3:4], v[3:4], -v[14:15]
	v_fma_f64 v[14:15], v[12:13], v[5:6], -v[16:17]
	v_fma_f64 v[3:4], v[12:13], v[3:4], v[14:15]
	v_add_f64 v[14:15], v[16:17], v[3:4]
	v_add_f64 v[18:19], -v[14:15], 1.0
	v_add_f64 v[16:17], v[14:15], -v[16:17]
	v_add_f64 v[20:21], -v[18:19], 1.0
	v_add_f64 v[3:4], v[16:17], -v[3:4]
	v_add_f64 v[14:15], v[20:21], -v[14:15]
	v_add_f64 v[3:4], v[3:4], v[14:15]
	v_add_f64 v[3:4], v[18:19], v[3:4]
	v_mul_f64 v[3:4], v[12:13], v[3:4]
	v_add_f64 v[3:4], v[12:13], v[3:4]
	v_xor_b32_e32 v1, 0x80000000, v4
	v_cndmask_b32_e32 v3, v3, v5, vcc
	v_cndmask_b32_e32 v4, v1, v6, vcc
	v_cndmask_b32_e64 v1, 0, v3, s[0:1]
	v_xor_b32_e32 v3, v4, v10
	v_cndmask_b32_e64 v2, v2, v3, s[0:1]
	v_div_scale_f64 v[3:4], s[0:1], v[1:2], v[1:2], s[22:23]
	v_div_scale_f64 v[12:13], vcc, s[22:23], v[1:2], s[22:23]
	v_rcp_f64_e32 v[5:6], v[3:4]
	v_fma_f64 v[9:10], -v[3:4], v[5:6], 1.0
	v_fma_f64 v[5:6], v[5:6], v[9:10], v[5:6]
	v_fma_f64 v[9:10], -v[3:4], v[5:6], 1.0
	v_fma_f64 v[5:6], v[5:6], v[9:10], v[5:6]
	v_mul_f64 v[9:10], v[12:13], v[5:6]
	v_fma_f64 v[3:4], -v[3:4], v[9:10], v[12:13]
	v_div_fmas_f64 v[3:4], v[3:4], v[5:6], v[9:10]
	v_div_fixup_f64 v[1:2], v[3:4], v[1:2], s[22:23]
	v_cvt_f32_f64_e32 v1, v[1:2]
.LBB18_1409:
	s_or_b64 exec, exec, s[18:19]
	s_orn2_b64 s[0:1], s[20:21], exec
.LBB18_1410:
	s_or_b64 exec, exec, s[16:17]
	v_mov_b32_e32 v2, 0x7fc00000
	s_and_saveexec_b64 s[16:17], s[0:1]
	s_cbranch_execz .LBB18_1422
; %bb.1411:
	s_mov_b32 s20, 0x41200000
	v_cmp_gt_f32_e32 vcc, s20, v8
	s_and_saveexec_b64 s[0:1], vcc
	s_cbranch_execz .LBB18_1415
; %bb.1412:
	s_mov_b64 s[18:19], 0
.LBB18_1413:                            ; =>This Inner Loop Header: Depth=1
	v_div_scale_f32 v2, s[22:23], v8, v8, 1.0
	v_div_scale_f32 v3, vcc, 1.0, v8, 1.0
	v_rcp_f32_e32 v4, v2
	v_fma_f32 v5, -v2, v4, 1.0
	v_fmac_f32_e32 v4, v5, v4
	v_mul_f32_e32 v5, v3, v4
	v_fma_f32 v6, -v2, v5, v3
	v_fmac_f32_e32 v5, v6, v4
	v_fma_f32 v2, -v2, v5, v3
	v_div_fmas_f32 v2, v2, v4, v5
	v_div_fixup_f32 v2, v2, v8, 1.0
	v_add_f32_e32 v8, 1.0, v8
	v_cmp_ngt_f32_e32 vcc, s20, v8
	s_or_b64 s[18:19], vcc, s[18:19]
	v_sub_f32_e32 v1, v1, v2
	s_andn2_b64 exec, exec, s[18:19]
	s_cbranch_execnz .LBB18_1413
; %bb.1414:
	s_or_b64 exec, exec, s[18:19]
.LBB18_1415:
	s_or_b64 exec, exec, s[0:1]
	s_mov_b32 s0, 0x41200000
	v_cmp_neq_f32_e32 vcc, s0, v8
                                        ; implicit-def: $vgpr2
	s_and_saveexec_b64 s[0:1], vcc
	s_xor_b64 s[18:19], exec, s[0:1]
	s_cbranch_execz .LBB18_1419
; %bb.1416:
	v_cvt_f64_f32_e32 v[2:3], v8
	s_mov_b32 s0, 0x85d8a000
	s_mov_b32 s1, 0x43763457
	v_cmp_gt_f64_e32 vcc, s[0:1], v[2:3]
	v_mov_b32_e32 v2, 0
	s_and_saveexec_b64 s[0:1], vcc
	s_cbranch_execz .LBB18_1418
; %bb.1417:
	v_mul_f32_e32 v2, v8, v8
	v_div_scale_f32 v3, s[20:21], v2, v2, 1.0
	v_div_scale_f32 v4, vcc, 1.0, v2, 1.0
	v_mov_b32_e32 v10, 0x3b820821
	v_rcp_f32_e32 v5, v3
	v_fma_f32 v6, -v3, v5, 1.0
	v_fmac_f32_e32 v5, v6, v5
	v_mul_f32_e32 v6, v4, v5
	v_fma_f32 v9, -v3, v6, v4
	v_fmac_f32_e32 v6, v9, v5
	v_fma_f32 v3, -v3, v6, v4
	v_div_fmas_f32 v3, v3, v5, v6
	v_mov_b32_e32 v4, 0x3daaaaab
	v_mov_b32_e32 v5, 0xbcaccacd
	v_mov_b32_e32 v6, 0x3bf83e10
	v_mov_b32_e32 v9, 0xbb888889
	v_div_fixup_f32 v2, v3, v2, 1.0
	v_fma_f32 v3, 0, v2, v4
	v_fmac_f32_e32 v5, v2, v3
	v_fmac_f32_e32 v6, v2, v5
	;; [unrolled: 1-line block ×4, first 2 shown]
	v_mov_b32_e32 v3, 0xbc088889
	v_fmac_f32_e32 v3, v2, v10
	v_fmac_f32_e32 v4, v2, v3
	v_mul_f32_e32 v2, v2, v4
.LBB18_1418:
	s_or_b64 exec, exec, s[0:1]
	v_div_scale_f32 v3, s[0:1], v8, v8, -0.5
	v_div_scale_f32 v4, vcc, -0.5, v8, -0.5
	s_mov_b32 s0, 0x800000
	v_cmp_gt_f32_e64 s[0:1], s0, v8
	v_cndmask_b32_e64 v6, 0, 32, s[0:1]
	s_mov_b32 s20, 0x3f317217
	v_rcp_f32_e32 v5, v3
	v_fma_f32 v9, -v3, v5, 1.0
	v_fmac_f32_e32 v5, v9, v5
	v_mul_f32_e32 v9, v4, v5
	v_fma_f32 v10, -v3, v9, v4
	v_fmac_f32_e32 v9, v10, v5
	v_fma_f32 v3, -v3, v9, v4
	v_div_fmas_f32 v3, v3, v5, v9
	v_ldexp_f32 v4, v8, v6
	v_log_f32_e32 v4, v4
	v_mul_f32_e32 v5, 0x3f317217, v4
	v_fma_f32 v5, v4, s20, -v5
	v_fmac_f32_e32 v5, 0x3377d1cf, v4
	s_mov_b32 s20, 0x7f800000
	v_fmac_f32_e32 v5, 0x3f317217, v4
	v_cmp_lt_f32_e64 vcc, |v4|, s20
	v_cndmask_b32_e32 v4, v4, v5, vcc
	v_mov_b32_e32 v5, 0x41b17218
	v_cndmask_b32_e64 v5, 0, v5, s[0:1]
	v_sub_f32_e32 v4, v4, v5
	v_div_fixup_f32 v3, v3, v8, -0.5
	v_add_f32_e32 v3, v4, v3
	v_sub_f32_e32 v2, v3, v2
	v_add_f32_e32 v2, v1, v2
                                        ; implicit-def: $vgpr1
.LBB18_1419:
	s_andn2_saveexec_b64 s[0:1], s[18:19]
; %bb.1420:
	v_add_f32_e32 v2, 0x40101cb7, v1
; %bb.1421:
	s_or_b64 exec, exec, s[0:1]
.LBB18_1422:
	s_or_b64 exec, exec, s[16:17]
                                        ; implicit-def: $vgpr8
.LBB18_1423:
	s_andn2_saveexec_b64 s[0:1], s[12:13]
; %bb.1424:
	v_xor_b32_e32 v1, 0x80000000, v8
	s_brev_b32 s12, -2
	v_mov_b32_e32 v2, 0x7f800000
	v_bfi_b32 v2, s12, v2, v1
; %bb.1425:
	s_or_b64 exec, exec, s[0:1]
	v_add_u32_e32 v1, s3, v7
	v_ashrrev_i32_e32 v4, 31, v1
	v_mov_b32_e32 v5, s11
	v_add_co_u32_e32 v3, vcc, s10, v1
	s_cmp_lt_i32 s24, 11
	v_addc_co_u32_e32 v4, vcc, v5, v4, vcc
	s_cbranch_scc1 .LBB18_1432
; %bb.1426:
	s_cmp_gt_i32 s24, 25
	s_mov_b64 s[12:13], 0
	s_cbranch_scc0 .LBB18_1434
; %bb.1427:
	s_cmp_gt_i32 s24, 28
	s_cbranch_scc0 .LBB18_1435
; %bb.1428:
	s_cmp_gt_i32 s24, 43
	;; [unrolled: 3-line block ×3, first 2 shown]
	s_cbranch_scc0 .LBB18_1438
; %bb.1430:
	s_cmp_eq_u32 s24, 46
	s_mov_b64 s[18:19], 0
	s_cbranch_scc0 .LBB18_1439
; %bb.1431:
	global_load_dword v5, v[3:4], off
	s_mov_b64 s[0:1], 0
	s_mov_b64 s[16:17], -1
	s_waitcnt vmcnt(0)
	v_lshlrev_b32_e32 v9, 16, v5
	s_branch .LBB18_1440
.LBB18_1432:
	s_mov_b64 s[16:17], 0
                                        ; implicit-def: $vgpr9
	s_cbranch_execnz .LBB18_1506
.LBB18_1433:
	s_andn2_b64 vcc, exec, s[16:17]
	s_cbranch_vccnz .LBB18_1810
	s_branch .LBB18_1554
.LBB18_1434:
	s_mov_b64 s[18:19], -1
	s_mov_b64 s[16:17], 0
	s_mov_b64 s[0:1], 0
                                        ; implicit-def: $vgpr9
	s_branch .LBB18_1469
.LBB18_1435:
	s_mov_b64 s[18:19], -1
	s_mov_b64 s[16:17], 0
	s_mov_b64 s[0:1], 0
                                        ; implicit-def: $vgpr9
	s_branch .LBB18_1450
.LBB18_1436:
	s_mov_b64 s[18:19], -1
	s_mov_b64 s[16:17], 0
	s_mov_b64 s[0:1], 0
                                        ; implicit-def: $vgpr9
	s_branch .LBB18_1445
.LBB18_1437:
	s_trap 2
	s_or_b64 s[14:15], s[14:15], exec
	s_cbranch_execz .LBB18_1352
	s_branch .LBB18_1353
.LBB18_1438:
	s_mov_b64 s[18:19], -1
	s_mov_b64 s[16:17], 0
	s_mov_b64 s[0:1], 0
                                        ; implicit-def: $vgpr9
	s_branch .LBB18_1440
.LBB18_1439:
	s_mov_b64 s[0:1], -1
                                        ; implicit-def: $vgpr9
	s_mov_b64 s[16:17], 0
.LBB18_1440:
	s_and_b64 vcc, exec, s[18:19]
	s_cbranch_vccz .LBB18_1444
; %bb.1441:
	s_cmp_eq_u32 s24, 44
	s_cbranch_scc0 .LBB18_1443
; %bb.1442:
	global_load_ubyte v5, v[3:4], off
	s_movk_i32 s16, 0xff
	v_mov_b32_e32 v6, 0x7f800001
	v_mov_b32_e32 v7, 0x400000
	s_mov_b64 s[0:1], 0
	s_waitcnt vmcnt(0)
	v_lshlrev_b32_e32 v8, 23, v5
	v_cmp_ne_u32_e32 vcc, s16, v5
	v_cndmask_b32_e32 v6, v6, v8, vcc
	v_cmp_ne_u32_e32 vcc, 0, v5
	v_cndmask_b32_e32 v9, v7, v6, vcc
	s_mov_b64 s[16:17], -1
	s_branch .LBB18_1444
.LBB18_1443:
	s_mov_b64 s[0:1], -1
                                        ; implicit-def: $vgpr9
.LBB18_1444:
	s_mov_b64 s[18:19], 0
.LBB18_1445:
	s_and_b64 vcc, exec, s[18:19]
	s_cbranch_vccz .LBB18_1449
; %bb.1446:
	s_cmp_eq_u32 s24, 29
	s_cbranch_scc0 .LBB18_1448
; %bb.1447:
	global_load_dwordx2 v[5:6], v[3:4], off
	s_mov_b64 s[0:1], 0
	s_mov_b64 s[16:17], -1
	s_mov_b64 s[18:19], 0
	s_waitcnt vmcnt(0)
	v_ffbh_u32_e32 v7, v6
	v_min_u32_e32 v7, 32, v7
	v_lshlrev_b64 v[5:6], v7, v[5:6]
	v_min_u32_e32 v5, 1, v5
	v_or_b32_e32 v5, v6, v5
	v_cvt_f32_u32_e32 v5, v5
	v_sub_u32_e32 v6, 32, v7
	v_ldexp_f32 v9, v5, v6
	s_branch .LBB18_1450
.LBB18_1448:
	s_mov_b64 s[0:1], -1
                                        ; implicit-def: $vgpr9
.LBB18_1449:
	s_mov_b64 s[18:19], 0
.LBB18_1450:
	s_and_b64 vcc, exec, s[18:19]
	s_cbranch_vccz .LBB18_1468
; %bb.1451:
	s_cmp_lt_i32 s24, 27
	s_cbranch_scc1 .LBB18_1454
; %bb.1452:
	s_cmp_gt_i32 s24, 27
	s_cbranch_scc0 .LBB18_1455
; %bb.1453:
	global_load_dword v5, v[3:4], off
	s_mov_b64 s[16:17], 0
	s_waitcnt vmcnt(0)
	v_cvt_f32_u32_e32 v9, v5
	s_branch .LBB18_1456
.LBB18_1454:
	s_mov_b64 s[16:17], -1
                                        ; implicit-def: $vgpr9
	s_branch .LBB18_1459
.LBB18_1455:
	s_mov_b64 s[16:17], -1
                                        ; implicit-def: $vgpr9
.LBB18_1456:
	s_andn2_b64 vcc, exec, s[16:17]
	s_cbranch_vccnz .LBB18_1458
; %bb.1457:
	global_load_ushort v5, v[3:4], off
	s_waitcnt vmcnt(0)
	v_cvt_f32_u32_e32 v9, v5
.LBB18_1458:
	s_mov_b64 s[16:17], 0
.LBB18_1459:
	s_andn2_b64 vcc, exec, s[16:17]
	s_cbranch_vccnz .LBB18_1467
; %bb.1460:
	global_load_ubyte v5, v[3:4], off
	s_movk_i32 s16, 0x7f
	s_waitcnt vmcnt(0)
	v_cmp_lt_i16_e32 vcc, s16, v5
	s_mov_b64 s[16:17], 0
	s_and_saveexec_b64 s[18:19], vcc
	s_xor_b64 s[18:19], exec, s[18:19]
	s_cbranch_execz .LBB18_1481
; %bb.1461:
	s_movk_i32 s16, 0x80
	v_cmp_eq_u16_e32 vcc, s16, v5
	s_mov_b64 s[16:17], -1
	s_and_saveexec_b64 s[20:21], vcc
; %bb.1462:
	s_xor_b64 s[16:17], exec, -1
; %bb.1463:
	s_or_b64 exec, exec, s[20:21]
	s_and_b64 s[16:17], s[16:17], exec
	s_or_saveexec_b64 s[18:19], s[18:19]
	v_mov_b32_e32 v9, 0x7f800001
	s_xor_b64 exec, exec, s[18:19]
	s_cbranch_execnz .LBB18_1482
.LBB18_1464:
	s_or_b64 exec, exec, s[18:19]
	s_and_saveexec_b64 s[18:19], s[16:17]
	s_cbranch_execz .LBB18_1466
.LBB18_1465:
	v_lshlrev_b32_e32 v6, 24, v5
	v_and_b32_e32 v5, 0xffff, v5
	v_and_b32_e32 v7, 7, v5
	v_ffbh_u32_e32 v9, v7
	v_min_u32_e32 v9, 32, v9
	v_subrev_u32_e32 v10, 28, v9
	v_bfe_u32 v8, v5, 3, 4
	v_lshlrev_b32_e32 v5, v10, v5
	v_sub_u32_e32 v9, 29, v9
	v_and_b32_e32 v5, 7, v5
	v_cmp_eq_u32_e32 vcc, 0, v8
	v_cndmask_b32_e32 v8, v8, v9, vcc
	v_cndmask_b32_e32 v5, v7, v5, vcc
	v_mov_b32_e32 v7, 0x3b800000
	v_lshlrev_b32_e32 v5, 20, v5
	v_and_b32_e32 v6, 0x80000000, v6
	v_lshl_add_u32 v7, v8, 23, v7
	v_or3_b32 v9, v6, v7, v5
.LBB18_1466:
	s_or_b64 exec, exec, s[18:19]
.LBB18_1467:
	s_mov_b64 s[16:17], -1
.LBB18_1468:
	s_mov_b64 s[18:19], 0
.LBB18_1469:
	s_and_b64 vcc, exec, s[18:19]
	s_cbranch_vccz .LBB18_1502
; %bb.1470:
	s_cmp_gt_i32 s24, 22
	s_cbranch_scc0 .LBB18_1480
; %bb.1471:
	s_cmp_lt_i32 s24, 24
	s_cbranch_scc1 .LBB18_1483
; %bb.1472:
	s_cmp_gt_i32 s24, 24
	s_cbranch_scc0 .LBB18_1484
; %bb.1473:
	global_load_ubyte v5, v[3:4], off
	s_movk_i32 s12, 0x7f
	s_waitcnt vmcnt(0)
	v_cmp_lt_i16_e32 vcc, s12, v5
	s_mov_b64 s[12:13], 0
	s_and_saveexec_b64 s[16:17], vcc
	s_xor_b64 s[16:17], exec, s[16:17]
	s_cbranch_execz .LBB18_1496
; %bb.1474:
	s_movk_i32 s12, 0x80
	v_cmp_eq_u16_e32 vcc, s12, v5
	s_mov_b64 s[12:13], -1
	s_and_saveexec_b64 s[18:19], vcc
; %bb.1475:
	s_xor_b64 s[12:13], exec, -1
; %bb.1476:
	s_or_b64 exec, exec, s[18:19]
	s_and_b64 s[12:13], s[12:13], exec
	s_or_saveexec_b64 s[16:17], s[16:17]
	v_mov_b32_e32 v9, 0x7f800001
	s_xor_b64 exec, exec, s[16:17]
	s_cbranch_execnz .LBB18_1497
.LBB18_1477:
	s_or_b64 exec, exec, s[16:17]
	s_and_saveexec_b64 s[16:17], s[12:13]
	s_cbranch_execz .LBB18_1479
.LBB18_1478:
	v_lshlrev_b32_e32 v6, 24, v5
	v_and_b32_e32 v5, 0xffff, v5
	v_and_b32_e32 v7, 3, v5
	v_ffbh_u32_e32 v9, v7
	v_min_u32_e32 v9, 32, v9
	v_subrev_u32_e32 v10, 29, v9
	v_bfe_u32 v8, v5, 2, 5
	v_lshlrev_b32_e32 v5, v10, v5
	v_sub_u32_e32 v9, 30, v9
	v_and_b32_e32 v5, 3, v5
	v_cmp_eq_u32_e32 vcc, 0, v8
	v_cndmask_b32_e32 v8, v8, v9, vcc
	v_cndmask_b32_e32 v5, v7, v5, vcc
	v_mov_b32_e32 v7, 0x37800000
	v_lshlrev_b32_e32 v5, 21, v5
	v_and_b32_e32 v6, 0x80000000, v6
	v_lshl_add_u32 v7, v8, 23, v7
	v_or3_b32 v9, v6, v7, v5
.LBB18_1479:
	s_or_b64 exec, exec, s[16:17]
	s_mov_b64 s[12:13], 0
	s_branch .LBB18_1485
.LBB18_1480:
	s_mov_b64 s[12:13], -1
                                        ; implicit-def: $vgpr9
	s_branch .LBB18_1491
.LBB18_1481:
	s_or_saveexec_b64 s[18:19], s[18:19]
	v_mov_b32_e32 v9, 0x7f800001
	s_xor_b64 exec, exec, s[18:19]
	s_cbranch_execz .LBB18_1464
.LBB18_1482:
	v_cmp_ne_u16_e32 vcc, 0, v5
	s_andn2_b64 s[16:17], s[16:17], exec
	s_and_b64 s[20:21], vcc, exec
	v_mov_b32_e32 v9, 0
	s_or_b64 s[16:17], s[16:17], s[20:21]
	s_or_b64 exec, exec, s[18:19]
	s_and_saveexec_b64 s[18:19], s[16:17]
	s_cbranch_execnz .LBB18_1465
	s_branch .LBB18_1466
.LBB18_1483:
	s_mov_b64 s[12:13], -1
                                        ; implicit-def: $vgpr9
	s_branch .LBB18_1488
.LBB18_1484:
	s_mov_b64 s[12:13], -1
                                        ; implicit-def: $vgpr9
.LBB18_1485:
	s_and_b64 vcc, exec, s[12:13]
	s_cbranch_vccz .LBB18_1487
; %bb.1486:
	global_load_ubyte v5, v[3:4], off
	s_mov_b32 s12, 0x7f800000
	s_waitcnt vmcnt(0)
	v_lshlrev_b32_e32 v5, 24, v5
	v_and_b32_e32 v6, 0x7f000000, v5
	v_ffbh_u32_e32 v7, v6
	v_min_u32_e32 v7, 32, v7
	v_sub_u32_e64 v7, v7, 4 clamp
	v_lshlrev_b32_e32 v9, v7, v6
	v_lshlrev_b32_e32 v7, 23, v7
	v_lshrrev_b32_e32 v9, 4, v9
	v_add_u32_e32 v8, 0x1000000, v6
	v_sub_u32_e32 v7, v9, v7
	v_ashrrev_i32_e32 v8, 8, v8
	v_add_u32_e32 v7, 0x3c000000, v7
	v_and_or_b32 v7, v8, s12, v7
	v_cmp_ne_u32_e32 vcc, 0, v6
	v_cndmask_b32_e32 v6, 0, v7, vcc
	s_brev_b32 s12, 1
	v_and_or_b32 v9, v5, s12, v6
.LBB18_1487:
	s_mov_b64 s[12:13], 0
.LBB18_1488:
	s_andn2_b64 vcc, exec, s[12:13]
	s_cbranch_vccnz .LBB18_1490
; %bb.1489:
	global_load_ubyte v5, v[3:4], off
	s_movk_i32 s12, 0x7f00
	s_brev_b32 s13, 16
	s_waitcnt vmcnt(0)
	v_lshlrev_b16_e32 v6, 8, v5
	v_lshlrev_b32_e32 v5, 25, v5
	v_lshrrev_b32_e32 v7, 4, v5
	v_and_or_b32 v8, v6, s12, 0.5
	v_or_b32_e32 v7, 0x70000000, v7
	v_add_f32_e32 v8, -0.5, v8
	v_mul_f32_e32 v7, 0x7800000, v7
	v_cmp_gt_u32_e32 vcc, s13, v5
	v_bfe_i32 v6, v6, 0, 16
	v_cndmask_b32_e32 v5, v7, v8, vcc
	s_brev_b32 s12, 1
	v_and_or_b32 v9, v6, s12, v5
.LBB18_1490:
	s_mov_b64 s[12:13], 0
	s_mov_b64 s[16:17], -1
.LBB18_1491:
	s_andn2_b64 vcc, exec, s[12:13]
	s_mov_b64 s[12:13], 0
	s_cbranch_vccnz .LBB18_1502
; %bb.1492:
	s_cmp_gt_i32 s24, 14
	s_cbranch_scc0 .LBB18_1495
; %bb.1493:
	s_cmp_eq_u32 s24, 15
	s_cbranch_scc0 .LBB18_1498
; %bb.1494:
	global_load_ushort v5, v[3:4], off
	s_mov_b64 s[0:1], 0
	s_mov_b64 s[16:17], -1
	s_waitcnt vmcnt(0)
	v_lshlrev_b32_e32 v9, 16, v5
	s_branch .LBB18_1499
.LBB18_1495:
	s_mov_b64 s[18:19], -1
                                        ; implicit-def: $vgpr9
	s_branch .LBB18_1500
.LBB18_1496:
	s_or_saveexec_b64 s[16:17], s[16:17]
	v_mov_b32_e32 v9, 0x7f800001
	s_xor_b64 exec, exec, s[16:17]
	s_cbranch_execz .LBB18_1477
.LBB18_1497:
	v_cmp_ne_u16_e32 vcc, 0, v5
	s_andn2_b64 s[12:13], s[12:13], exec
	s_and_b64 s[18:19], vcc, exec
	v_mov_b32_e32 v9, 0
	s_or_b64 s[12:13], s[12:13], s[18:19]
	s_or_b64 exec, exec, s[16:17]
	s_and_saveexec_b64 s[16:17], s[12:13]
	s_cbranch_execnz .LBB18_1478
	s_branch .LBB18_1479
.LBB18_1498:
	s_mov_b64 s[0:1], -1
                                        ; implicit-def: $vgpr9
.LBB18_1499:
	s_mov_b64 s[18:19], 0
.LBB18_1500:
	s_and_b64 vcc, exec, s[18:19]
	s_cbranch_vccz .LBB18_1502
; %bb.1501:
	s_cmp_lg_u32 s24, 11
	s_mov_b64 s[12:13], -1
	s_cselect_b64 s[0:1], -1, 0
.LBB18_1502:
	s_and_b64 vcc, exec, s[0:1]
	s_cbranch_vccnz .LBB18_1589
; %bb.1503:
	s_andn2_b64 vcc, exec, s[12:13]
	s_cbranch_vccnz .LBB18_1505
.LBB18_1504:
	global_load_ubyte v5, v[3:4], off
	s_mov_b64 s[16:17], -1
	s_waitcnt vmcnt(0)
	v_cmp_ne_u16_e32 vcc, 0, v5
	v_cndmask_b32_e64 v9, 0, 1.0, vcc
.LBB18_1505:
	s_branch .LBB18_1433
.LBB18_1506:
	s_cmp_lt_i32 s24, 5
	s_cbranch_scc1 .LBB18_1511
; %bb.1507:
	s_cmp_lt_i32 s24, 8
	s_cbranch_scc1 .LBB18_1512
; %bb.1508:
	;; [unrolled: 3-line block ×3, first 2 shown]
	s_cmp_gt_i32 s24, 9
	s_cbranch_scc0 .LBB18_1514
; %bb.1510:
	global_load_dwordx2 v[5:6], v[3:4], off
	s_mov_b64 s[0:1], 0
	s_waitcnt vmcnt(0)
	v_cvt_f32_f64_e32 v9, v[5:6]
	s_branch .LBB18_1515
.LBB18_1511:
	s_mov_b64 s[0:1], -1
                                        ; implicit-def: $vgpr9
	s_branch .LBB18_1533
.LBB18_1512:
	s_mov_b64 s[0:1], -1
                                        ; implicit-def: $vgpr9
	s_branch .LBB18_1521
.LBB18_1513:
	s_mov_b64 s[0:1], -1
                                        ; implicit-def: $vgpr9
	s_branch .LBB18_1518
.LBB18_1514:
	s_mov_b64 s[0:1], -1
                                        ; implicit-def: $vgpr9
.LBB18_1515:
	s_andn2_b64 vcc, exec, s[0:1]
	s_cbranch_vccnz .LBB18_1517
; %bb.1516:
	global_load_dword v9, v[3:4], off
.LBB18_1517:
	s_mov_b64 s[0:1], 0
.LBB18_1518:
	s_andn2_b64 vcc, exec, s[0:1]
	s_cbranch_vccnz .LBB18_1520
; %bb.1519:
	global_load_dword v5, v[3:4], off
	s_waitcnt vmcnt(0)
	v_cvt_f32_f16_e32 v9, v5
.LBB18_1520:
	s_mov_b64 s[0:1], 0
.LBB18_1521:
	s_andn2_b64 vcc, exec, s[0:1]
	s_cbranch_vccnz .LBB18_1532
; %bb.1522:
	s_cmp_lt_i32 s24, 6
	s_cbranch_scc1 .LBB18_1525
; %bb.1523:
	s_cmp_gt_i32 s24, 6
	s_cbranch_scc0 .LBB18_1526
; %bb.1524:
	global_load_dwordx2 v[5:6], v[3:4], off
	s_mov_b64 s[0:1], 0
	s_waitcnt vmcnt(0)
	v_cvt_f32_f64_e32 v9, v[5:6]
	s_branch .LBB18_1527
.LBB18_1525:
	s_mov_b64 s[0:1], -1
                                        ; implicit-def: $vgpr9
	s_branch .LBB18_1530
.LBB18_1526:
	s_mov_b64 s[0:1], -1
                                        ; implicit-def: $vgpr9
.LBB18_1527:
	s_andn2_b64 vcc, exec, s[0:1]
	s_cbranch_vccnz .LBB18_1529
; %bb.1528:
	global_load_dword v9, v[3:4], off
.LBB18_1529:
	s_mov_b64 s[0:1], 0
.LBB18_1530:
	s_andn2_b64 vcc, exec, s[0:1]
	s_cbranch_vccnz .LBB18_1532
; %bb.1531:
	global_load_ushort v5, v[3:4], off
	s_waitcnt vmcnt(0)
	v_cvt_f32_f16_e32 v9, v5
.LBB18_1532:
	s_mov_b64 s[0:1], 0
.LBB18_1533:
	s_andn2_b64 vcc, exec, s[0:1]
	s_cbranch_vccnz .LBB18_1553
; %bb.1534:
	s_cmp_lt_i32 s24, 2
	s_cbranch_scc1 .LBB18_1538
; %bb.1535:
	s_cmp_lt_i32 s24, 3
	s_cbranch_scc1 .LBB18_1539
; %bb.1536:
	s_cmp_gt_i32 s24, 3
	s_cbranch_scc0 .LBB18_1540
; %bb.1537:
	global_load_dwordx2 v[5:6], v[3:4], off
	s_mov_b64 s[0:1], 0
	s_waitcnt vmcnt(0)
	v_xor_b32_e32 v8, v5, v6
	v_ffbh_i32_e32 v7, v6
	v_ashrrev_i32_e32 v8, 31, v8
	v_add_u32_e32 v7, -1, v7
	v_add_u32_e32 v8, 32, v8
	v_min_u32_e32 v7, v7, v8
	v_lshlrev_b64 v[5:6], v7, v[5:6]
	v_min_u32_e32 v5, 1, v5
	v_or_b32_e32 v5, v6, v5
	v_cvt_f32_i32_e32 v5, v5
	v_sub_u32_e32 v6, 32, v7
	v_ldexp_f32 v9, v5, v6
	s_branch .LBB18_1541
.LBB18_1538:
	s_mov_b64 s[0:1], -1
                                        ; implicit-def: $vgpr9
	s_branch .LBB18_1547
.LBB18_1539:
	s_mov_b64 s[0:1], -1
                                        ; implicit-def: $vgpr9
	s_branch .LBB18_1544
.LBB18_1540:
	s_mov_b64 s[0:1], -1
                                        ; implicit-def: $vgpr9
.LBB18_1541:
	s_andn2_b64 vcc, exec, s[0:1]
	s_cbranch_vccnz .LBB18_1543
; %bb.1542:
	global_load_dword v5, v[3:4], off
	s_waitcnt vmcnt(0)
	v_cvt_f32_i32_e32 v9, v5
.LBB18_1543:
	s_mov_b64 s[0:1], 0
.LBB18_1544:
	s_andn2_b64 vcc, exec, s[0:1]
	s_cbranch_vccnz .LBB18_1546
; %bb.1545:
	global_load_sshort v5, v[3:4], off
	s_waitcnt vmcnt(0)
	v_cvt_f32_i32_e32 v9, v5
.LBB18_1546:
	s_mov_b64 s[0:1], 0
.LBB18_1547:
	s_andn2_b64 vcc, exec, s[0:1]
	s_cbranch_vccnz .LBB18_1553
; %bb.1548:
	s_cmp_gt_i32 s24, 0
	s_cbranch_scc0 .LBB18_1550
; %bb.1549:
	global_load_sbyte v5, v[3:4], off
	s_mov_b64 s[0:1], 0
	s_waitcnt vmcnt(0)
	v_cvt_f32_i32_e32 v9, v5
	s_branch .LBB18_1551
.LBB18_1550:
	s_mov_b64 s[0:1], -1
                                        ; implicit-def: $vgpr9
.LBB18_1551:
	s_andn2_b64 vcc, exec, s[0:1]
	s_cbranch_vccnz .LBB18_1553
; %bb.1552:
	global_load_ubyte v3, v[3:4], off
	s_waitcnt vmcnt(0)
	v_cvt_f32_ubyte0_e32 v9, v3
.LBB18_1553:
.LBB18_1554:
	s_waitcnt vmcnt(0)
	v_cmp_neq_f32_e32 vcc, 0, v9
                                        ; implicit-def: $vgpr4
	s_and_saveexec_b64 s[0:1], vcc
	s_xor_b64 s[12:13], exec, s[0:1]
	s_cbranch_execz .LBB18_1576
; %bb.1555:
	v_mov_b32_e32 v3, 0
	v_cmp_gt_f32_e32 vcc, 0, v9
	s_mov_b64 s[0:1], -1
	s_and_saveexec_b64 s[16:17], vcc
	s_cbranch_execz .LBB18_1563
; %bb.1556:
	v_trunc_f32_e32 v3, v9
	v_cmp_neq_f32_e32 vcc, v9, v3
	s_mov_b64 s[20:21], 0
	v_mov_b32_e32 v3, 0
	s_and_saveexec_b64 s[18:19], vcc
	s_cbranch_execz .LBB18_1562
; %bb.1557:
	v_cvt_f64_f32_e32 v[3:4], v9
	s_mov_b32 s0, 0
	s_mov_b32 s21, 0xc00921fb
	s_mov_b32 s20, 0x54442d18
	v_trunc_f64_e32 v[5:6], v[3:4]
	s_mov_b32 s1, 0x7ff00000
	v_cmp_neq_f64_e64 vcc, |v[3:4]|, s[0:1]
	v_bfrev_b32_e32 v7, 1
	s_mov_b32 s22, 0
	s_mov_b32 s23, 0x41d00000
                                        ; implicit-def: $vgpr10
	v_add_f64 v[5:6], v[3:4], -v[5:6]
	v_mul_f64 v[5:6], |v[5:6]|, s[20:21]
	v_cndmask_b32_e32 v4, v7, v6, vcc
	v_cndmask_b32_e32 v3, 0, v5, vcc
	v_cmp_nlt_f64_e64 s[22:23], |v[3:4]|, s[22:23]
                                        ; implicit-def: $vgpr5_vgpr6
                                        ; implicit-def: $vgpr7_vgpr8
	s_and_saveexec_b64 s[26:27], s[22:23]
	s_xor_b64 s[22:23], exec, s[26:27]
	s_cbranch_execz .LBB18_1559
; %bb.1558:
	v_trig_preop_f64 v[5:6], |v[3:4]|, 0
	s_mov_b32 s26, 0
	s_mov_b32 s27, 0x7b000000
	s_movk_i32 s21, 0xff80
	v_ldexp_f64 v[12:13], |v[3:4]|, s21
	v_cmp_ge_f64_e64 vcc, |v[3:4]|, s[26:27]
	v_trig_preop_f64 v[7:8], |v[3:4]|, 1
	v_and_b32_e32 v10, 0x7fffffff, v4
	v_trig_preop_f64 v[20:21], |v[3:4]|, 2
	v_mov_b32_e32 v30, 0
	s_mov_b32 s21, 0x3ff921fb
	v_cndmask_b32_e32 v13, v10, v13, vcc
	v_cndmask_b32_e32 v12, v3, v12, vcc
	v_mov_b32_e32 v10, 0x40100000
	v_mul_f64 v[14:15], v[5:6], v[12:13]
	v_mul_f64 v[16:17], v[7:8], v[12:13]
	;; [unrolled: 1-line block ×3, first 2 shown]
	v_fma_f64 v[5:6], v[5:6], v[12:13], -v[14:15]
	v_fma_f64 v[7:8], v[7:8], v[12:13], -v[16:17]
	;; [unrolled: 1-line block ×3, first 2 shown]
	v_add_f64 v[18:19], v[16:17], v[5:6]
	v_add_f64 v[22:23], v[18:19], -v[16:17]
	v_add_f64 v[28:29], v[14:15], v[18:19]
	v_add_f64 v[24:25], v[18:19], -v[22:23]
	v_add_f64 v[5:6], v[5:6], -v[22:23]
	v_add_f64 v[22:23], v[26:27], v[7:8]
	v_add_f64 v[14:15], v[28:29], -v[14:15]
	v_add_f64 v[16:17], v[16:17], -v[24:25]
	v_ldexp_f64 v[24:25], v[28:29], -2
	v_add_f64 v[32:33], v[22:23], -v[26:27]
	v_add_f64 v[14:15], v[18:19], -v[14:15]
	v_add_f64 v[5:6], v[5:6], v[16:17]
	v_fract_f64_e32 v[16:17], v[24:25]
	v_cmp_neq_f64_e64 vcc, |v[24:25]|, s[0:1]
	v_add_f64 v[7:8], v[7:8], -v[32:33]
	v_add_f64 v[18:19], v[22:23], v[5:6]
	v_ldexp_f64 v[16:17], v[16:17], 2
	v_add_f64 v[24:25], v[14:15], v[18:19]
	v_cndmask_b32_e32 v17, 0, v17, vcc
	v_cndmask_b32_e32 v16, 0, v16, vcc
	v_add_f64 v[34:35], v[18:19], -v[22:23]
	v_add_f64 v[28:29], v[24:25], v[16:17]
	v_add_f64 v[14:15], v[24:25], -v[14:15]
	v_add_f64 v[36:37], v[18:19], -v[34:35]
	;; [unrolled: 1-line block ×3, first 2 shown]
	v_cmp_gt_f64_e32 vcc, 0, v[28:29]
	v_add_f64 v[28:29], v[22:23], -v[32:33]
	v_add_f64 v[14:15], v[18:19], -v[14:15]
	v_add_f64 v[22:23], v[22:23], -v[36:37]
	v_cndmask_b32_e32 v31, 0, v10, vcc
	v_add_f64 v[16:17], v[16:17], v[30:31]
	v_add_f64 v[28:29], v[26:27], -v[28:29]
	v_add_f64 v[5:6], v[5:6], v[22:23]
	v_add_f64 v[38:39], v[24:25], v[16:17]
	;; [unrolled: 1-line block ×3, first 2 shown]
	v_cvt_i32_f64_e32 v10, v[38:39]
	v_add_f64 v[5:6], v[7:8], v[5:6]
	v_cvt_f64_i32_e32 v[31:32], v10
	v_add_f64 v[16:17], v[16:17], -v[31:32]
	v_add_f64 v[5:6], v[12:13], v[5:6]
	v_add_f64 v[7:8], v[24:25], v[16:17]
	;; [unrolled: 1-line block ×3, first 2 shown]
	v_mov_b32_e32 v14, 0x3ff00000
	v_add_f64 v[12:13], v[7:8], -v[16:17]
	v_cmp_le_f64_e32 vcc, 0.5, v[7:8]
	v_add_f64 v[12:13], v[24:25], -v[12:13]
	v_cndmask_b32_e32 v31, 0, v14, vcc
	v_add_f64 v[7:8], v[7:8], -v[30:31]
	v_addc_co_u32_e64 v10, s[0:1], 0, v10, vcc
	s_mov_b32 s0, 0x33145c07
	s_mov_b32 s1, 0x3c91a626
	v_add_f64 v[5:6], v[5:6], v[12:13]
	v_add_f64 v[12:13], v[7:8], v[5:6]
	v_mul_f64 v[14:15], v[12:13], s[20:21]
	v_add_f64 v[7:8], v[12:13], -v[7:8]
	v_fma_f64 v[16:17], v[12:13], s[20:21], -v[14:15]
	v_add_f64 v[5:6], v[5:6], -v[7:8]
	v_fma_f64 v[7:8], v[12:13], s[0:1], v[16:17]
	v_fma_f64 v[7:8], v[5:6], s[20:21], v[7:8]
	v_add_f64 v[5:6], v[14:15], v[7:8]
	v_add_f64 v[12:13], v[5:6], -v[14:15]
	v_add_f64 v[7:8], v[7:8], -v[12:13]
.LBB18_1559:
	s_andn2_saveexec_b64 s[0:1], s[22:23]
	s_cbranch_execz .LBB18_1561
; %bb.1560:
	s_mov_b32 s20, 0x6dc9c883
	s_mov_b32 s21, 0x3fe45f30
	v_mul_f64 v[5:6], |v[3:4]|, s[20:21]
	s_mov_b32 s20, 0x54442d18
	s_mov_b32 s21, 0xbff921fb
	;; [unrolled: 1-line block ×4, first 2 shown]
	v_rndne_f64_e32 v[12:13], v[5:6]
	v_fma_f64 v[5:6], v[12:13], s[20:21], |v[3:4]|
	v_mul_f64 v[7:8], v[12:13], s[22:23]
	s_mov_b32 s20, 0x252049c0
	s_mov_b32 s21, 0xb97b839a
	v_cvt_i32_f64_e32 v10, v[12:13]
	v_fma_f64 v[18:19], v[12:13], s[22:23], v[5:6]
	v_add_f64 v[14:15], v[5:6], v[7:8]
	s_mov_b32 s23, 0x3c91a626
	v_add_f64 v[16:17], v[5:6], -v[14:15]
	v_add_f64 v[14:15], v[14:15], -v[18:19]
	v_add_f64 v[5:6], v[16:17], v[7:8]
	v_fma_f64 v[7:8], v[12:13], s[22:23], v[7:8]
	v_add_f64 v[5:6], v[14:15], v[5:6]
	v_add_f64 v[5:6], v[5:6], -v[7:8]
	v_fma_f64 v[7:8], v[12:13], s[20:21], v[5:6]
	v_add_f64 v[5:6], v[18:19], v[7:8]
	v_add_f64 v[14:15], v[5:6], -v[18:19]
	v_add_f64 v[7:8], v[7:8], -v[14:15]
.LBB18_1561:
	s_or_b64 exec, exec, s[0:1]
	v_mul_f64 v[12:13], v[5:6], v[5:6]
	v_add_f64 v[14:15], v[7:8], v[7:8]
	s_mov_b32 s0, 0xc751c08c
	s_mov_b32 s1, 0x3ef5e089
	v_and_b32_e32 v10, 1, v10
	v_cmp_eq_u32_e32 vcc, 0, v10
	s_mov_b32 s22, 0x54442d18
	s_mov_b32 s23, 0xc00921fb
	v_fma_f64 v[16:17], v[5:6], v[5:6], -v[12:13]
	s_mov_b64 s[20:21], exec
	v_sub_f32_e32 v9, 1.0, v9
	v_fma_f64 v[14:15], v[5:6], v[14:15], v[16:17]
	v_add_f64 v[12:13], v[12:13], v[14:15]
	v_mov_b32_e32 v14, 0xa9a29f71
	v_mov_b32_e32 v15, 0xbf078809
	v_fma_f64 v[14:15], v[12:13], s[0:1], v[14:15]
	s_mov_b32 s0, 0x90a8aae0
	s_mov_b32 s1, 0x3f17746f
	v_fma_f64 v[14:15], v[12:13], v[14:15], s[0:1]
	s_mov_b32 s0, 0xa6fbf144
	s_mov_b32 s1, 0xbefbb44d
	;; [unrolled: 3-line block ×12, first 2 shown]
	v_fma_f64 v[14:15], v[12:13], v[14:15], s[0:1]
	s_movk_i32 s0, 0x1f8
	v_cmp_class_f64_e64 s[0:1], v[3:4], s0
	v_mul_f64 v[12:13], v[12:13], v[14:15]
	v_mul_f64 v[14:15], v[5:6], v[12:13]
	v_add_f64 v[16:17], v[5:6], v[14:15]
	v_fma_f64 v[12:13], v[5:6], v[12:13], -v[14:15]
	v_add_f64 v[5:6], v[16:17], -v[5:6]
	v_add_f64 v[7:8], v[7:8], v[12:13]
	v_add_f64 v[5:6], v[14:15], -v[5:6]
	v_add_f64 v[5:6], v[7:8], v[5:6]
	v_add_f64 v[7:8], v[16:17], v[5:6]
	v_rcp_f64_e32 v[12:13], v[7:8]
	v_fma_f64 v[14:15], -v[7:8], v[12:13], 1.0
	v_fma_f64 v[12:13], v[14:15], v[12:13], v[12:13]
	v_fma_f64 v[14:15], -v[7:8], v[12:13], 1.0
	v_fma_f64 v[12:13], v[14:15], v[12:13], v[12:13]
	v_add_f64 v[14:15], v[7:8], -v[16:17]
	v_mul_f64 v[16:17], v[7:8], v[12:13]
	v_add_f64 v[5:6], v[5:6], -v[14:15]
	v_fma_f64 v[14:15], v[12:13], v[7:8], -v[16:17]
	v_fma_f64 v[5:6], v[12:13], v[5:6], v[14:15]
	v_add_f64 v[14:15], v[16:17], v[5:6]
	v_add_f64 v[18:19], -v[14:15], 1.0
	v_add_f64 v[16:17], v[14:15], -v[16:17]
	v_add_f64 v[20:21], -v[18:19], 1.0
	v_add_f64 v[5:6], v[16:17], -v[5:6]
	v_add_f64 v[14:15], v[20:21], -v[14:15]
	v_add_f64 v[5:6], v[5:6], v[14:15]
	v_add_f64 v[5:6], v[18:19], v[5:6]
	v_mul_f64 v[5:6], v[12:13], v[5:6]
	v_add_f64 v[5:6], v[12:13], v[5:6]
	v_and_b32_e32 v12, 0x80000000, v4
	v_mov_b32_e32 v4, 0x7ff80000
	v_xor_b32_e32 v3, 0x80000000, v6
	v_cndmask_b32_e32 v5, v5, v7, vcc
	v_cndmask_b32_e32 v6, v3, v8, vcc
	v_cndmask_b32_e64 v3, 0, v5, s[0:1]
	v_xor_b32_e32 v5, v6, v12
	v_cndmask_b32_e64 v4, v4, v5, s[0:1]
	v_div_scale_f64 v[5:6], s[0:1], v[3:4], v[3:4], s[22:23]
	v_div_scale_f64 v[14:15], vcc, s[22:23], v[3:4], s[22:23]
	v_rcp_f64_e32 v[7:8], v[5:6]
	v_fma_f64 v[12:13], -v[5:6], v[7:8], 1.0
	v_fma_f64 v[7:8], v[7:8], v[12:13], v[7:8]
	v_fma_f64 v[12:13], -v[5:6], v[7:8], 1.0
	v_fma_f64 v[7:8], v[7:8], v[12:13], v[7:8]
	v_mul_f64 v[12:13], v[14:15], v[7:8]
	v_fma_f64 v[5:6], -v[5:6], v[12:13], v[14:15]
	v_div_fmas_f64 v[5:6], v[5:6], v[7:8], v[12:13]
	v_div_fixup_f64 v[3:4], v[5:6], v[3:4], s[22:23]
	v_cvt_f32_f64_e32 v3, v[3:4]
.LBB18_1562:
	s_or_b64 exec, exec, s[18:19]
	s_orn2_b64 s[0:1], s[20:21], exec
.LBB18_1563:
	s_or_b64 exec, exec, s[16:17]
	v_mov_b32_e32 v4, 0x7fc00000
	s_and_saveexec_b64 s[16:17], s[0:1]
	s_cbranch_execz .LBB18_1575
; %bb.1564:
	s_mov_b32 s20, 0x41200000
	v_cmp_gt_f32_e32 vcc, s20, v9
	s_and_saveexec_b64 s[0:1], vcc
	s_cbranch_execz .LBB18_1568
; %bb.1565:
	s_mov_b64 s[18:19], 0
.LBB18_1566:                            ; =>This Inner Loop Header: Depth=1
	v_div_scale_f32 v4, s[22:23], v9, v9, 1.0
	v_div_scale_f32 v5, vcc, 1.0, v9, 1.0
	v_rcp_f32_e32 v6, v4
	v_fma_f32 v7, -v4, v6, 1.0
	v_fmac_f32_e32 v6, v7, v6
	v_mul_f32_e32 v7, v5, v6
	v_fma_f32 v8, -v4, v7, v5
	v_fmac_f32_e32 v7, v8, v6
	v_fma_f32 v4, -v4, v7, v5
	v_div_fmas_f32 v4, v4, v6, v7
	v_div_fixup_f32 v4, v4, v9, 1.0
	v_add_f32_e32 v9, 1.0, v9
	v_cmp_ngt_f32_e32 vcc, s20, v9
	s_or_b64 s[18:19], vcc, s[18:19]
	v_sub_f32_e32 v3, v3, v4
	s_andn2_b64 exec, exec, s[18:19]
	s_cbranch_execnz .LBB18_1566
; %bb.1567:
	s_or_b64 exec, exec, s[18:19]
.LBB18_1568:
	s_or_b64 exec, exec, s[0:1]
	s_mov_b32 s0, 0x41200000
	v_cmp_neq_f32_e32 vcc, s0, v9
                                        ; implicit-def: $vgpr4
	s_and_saveexec_b64 s[0:1], vcc
	s_xor_b64 s[18:19], exec, s[0:1]
	s_cbranch_execz .LBB18_1572
; %bb.1569:
	v_cvt_f64_f32_e32 v[4:5], v9
	s_mov_b32 s0, 0x85d8a000
	s_mov_b32 s1, 0x43763457
	v_cmp_gt_f64_e32 vcc, s[0:1], v[4:5]
	v_mov_b32_e32 v4, 0
	s_and_saveexec_b64 s[0:1], vcc
	s_cbranch_execz .LBB18_1571
; %bb.1570:
	v_mul_f32_e32 v4, v9, v9
	v_div_scale_f32 v5, s[20:21], v4, v4, 1.0
	v_div_scale_f32 v6, vcc, 1.0, v4, 1.0
	v_mov_b32_e32 v12, 0x3b820821
	v_rcp_f32_e32 v7, v5
	v_fma_f32 v8, -v5, v7, 1.0
	v_fmac_f32_e32 v7, v8, v7
	v_mul_f32_e32 v8, v6, v7
	v_fma_f32 v10, -v5, v8, v6
	v_fmac_f32_e32 v8, v10, v7
	v_fma_f32 v5, -v5, v8, v6
	v_div_fmas_f32 v5, v5, v7, v8
	v_mov_b32_e32 v6, 0x3daaaaab
	v_mov_b32_e32 v7, 0xbcaccacd
	;; [unrolled: 1-line block ×4, first 2 shown]
	v_div_fixup_f32 v4, v5, v4, 1.0
	v_fma_f32 v5, 0, v4, v6
	v_fmac_f32_e32 v7, v4, v5
	v_fmac_f32_e32 v8, v4, v7
	;; [unrolled: 1-line block ×4, first 2 shown]
	v_mov_b32_e32 v5, 0xbc088889
	v_fmac_f32_e32 v5, v4, v12
	v_fmac_f32_e32 v6, v4, v5
	v_mul_f32_e32 v4, v4, v6
.LBB18_1571:
	s_or_b64 exec, exec, s[0:1]
	v_div_scale_f32 v5, s[0:1], v9, v9, -0.5
	v_div_scale_f32 v6, vcc, -0.5, v9, -0.5
	s_mov_b32 s0, 0x800000
	v_cmp_gt_f32_e64 s[0:1], s0, v9
	v_cndmask_b32_e64 v8, 0, 32, s[0:1]
	s_mov_b32 s20, 0x3f317217
	v_rcp_f32_e32 v7, v5
	v_fma_f32 v10, -v5, v7, 1.0
	v_fmac_f32_e32 v7, v10, v7
	v_mul_f32_e32 v10, v6, v7
	v_fma_f32 v12, -v5, v10, v6
	v_fmac_f32_e32 v10, v12, v7
	v_fma_f32 v5, -v5, v10, v6
	v_div_fmas_f32 v5, v5, v7, v10
	v_ldexp_f32 v6, v9, v8
	v_log_f32_e32 v6, v6
	v_mul_f32_e32 v7, 0x3f317217, v6
	v_fma_f32 v7, v6, s20, -v7
	v_fmac_f32_e32 v7, 0x3377d1cf, v6
	s_mov_b32 s20, 0x7f800000
	v_fmac_f32_e32 v7, 0x3f317217, v6
	v_cmp_lt_f32_e64 vcc, |v6|, s20
	v_cndmask_b32_e32 v6, v6, v7, vcc
	v_mov_b32_e32 v7, 0x41b17218
	v_cndmask_b32_e64 v7, 0, v7, s[0:1]
	v_sub_f32_e32 v6, v6, v7
	v_div_fixup_f32 v5, v5, v9, -0.5
	v_add_f32_e32 v5, v6, v5
	v_sub_f32_e32 v4, v5, v4
	v_add_f32_e32 v4, v3, v4
                                        ; implicit-def: $vgpr3
.LBB18_1572:
	s_andn2_saveexec_b64 s[0:1], s[18:19]
; %bb.1573:
	v_add_f32_e32 v4, 0x40101cb7, v3
; %bb.1574:
	s_or_b64 exec, exec, s[0:1]
.LBB18_1575:
	s_or_b64 exec, exec, s[16:17]
                                        ; implicit-def: $vgpr9
.LBB18_1576:
	s_andn2_saveexec_b64 s[0:1], s[12:13]
; %bb.1577:
	v_xor_b32_e32 v3, 0x80000000, v9
	s_brev_b32 s12, -2
	v_mov_b32_e32 v4, 0x7f800000
	v_bfi_b32 v4, s12, v4, v3
; %bb.1578:
	s_or_b64 exec, exec, s[0:1]
	v_add_u32_e32 v1, s3, v1
	v_ashrrev_i32_e32 v3, 31, v1
	v_mov_b32_e32 v6, s11
	v_add_co_u32_e32 v5, vcc, s10, v1
	s_cmp_lt_i32 s24, 11
	v_addc_co_u32_e32 v6, vcc, v6, v3, vcc
	s_cbranch_scc1 .LBB18_1585
; %bb.1579:
	s_cmp_gt_i32 s24, 25
	s_mov_b64 s[10:11], 0
	s_cbranch_scc0 .LBB18_1586
; %bb.1580:
	s_cmp_gt_i32 s24, 28
	s_cbranch_scc0 .LBB18_1587
; %bb.1581:
	s_cmp_gt_i32 s24, 43
	;; [unrolled: 3-line block ×3, first 2 shown]
	s_cbranch_scc0 .LBB18_1590
; %bb.1583:
	s_cmp_eq_u32 s24, 46
	s_mov_b64 s[16:17], 0
	s_cbranch_scc0 .LBB18_1591
; %bb.1584:
	global_load_dword v1, v[5:6], off
	s_mov_b64 s[0:1], 0
	s_mov_b64 s[12:13], -1
	s_waitcnt vmcnt(0)
	v_lshlrev_b32_e32 v1, 16, v1
	s_branch .LBB18_1592
.LBB18_1585:
	s_mov_b64 s[0:1], -1
	s_mov_b64 s[12:13], 0
                                        ; implicit-def: $vgpr1
	s_branch .LBB18_1658
.LBB18_1586:
	s_mov_b64 s[16:17], -1
	s_mov_b64 s[12:13], 0
	s_mov_b64 s[0:1], 0
                                        ; implicit-def: $vgpr1
	s_branch .LBB18_1621
.LBB18_1587:
	s_mov_b64 s[16:17], -1
	s_mov_b64 s[12:13], 0
	s_mov_b64 s[0:1], 0
                                        ; implicit-def: $vgpr1
	s_branch .LBB18_1602
.LBB18_1588:
	s_mov_b64 s[16:17], -1
	s_mov_b64 s[12:13], 0
	s_mov_b64 s[0:1], 0
                                        ; implicit-def: $vgpr1
	s_branch .LBB18_1597
.LBB18_1589:
	s_trap 2
	s_or_b64 s[14:15], s[14:15], exec
	s_cbranch_execz .LBB18_1504
	s_branch .LBB18_1505
.LBB18_1590:
	s_mov_b64 s[16:17], -1
	s_mov_b64 s[12:13], 0
	s_mov_b64 s[0:1], 0
                                        ; implicit-def: $vgpr1
	s_branch .LBB18_1592
.LBB18_1591:
	s_mov_b64 s[0:1], -1
                                        ; implicit-def: $vgpr1
	s_mov_b64 s[12:13], 0
.LBB18_1592:
	s_and_b64 vcc, exec, s[16:17]
	s_cbranch_vccz .LBB18_1596
; %bb.1593:
	s_cmp_eq_u32 s24, 44
	s_cbranch_scc0 .LBB18_1595
; %bb.1594:
	global_load_ubyte v1, v[5:6], off
	s_movk_i32 s3, 0xff
	v_mov_b32_e32 v3, 0x7f800001
	v_mov_b32_e32 v7, 0x400000
	s_mov_b64 s[0:1], 0
	s_mov_b64 s[12:13], -1
	s_waitcnt vmcnt(0)
	v_lshlrev_b32_e32 v8, 23, v1
	v_cmp_ne_u32_e32 vcc, s3, v1
	v_cndmask_b32_e32 v3, v3, v8, vcc
	v_cmp_ne_u32_e32 vcc, 0, v1
	v_cndmask_b32_e32 v1, v7, v3, vcc
	s_branch .LBB18_1596
.LBB18_1595:
	s_mov_b64 s[0:1], -1
                                        ; implicit-def: $vgpr1
.LBB18_1596:
	s_mov_b64 s[16:17], 0
.LBB18_1597:
	s_and_b64 vcc, exec, s[16:17]
	s_cbranch_vccz .LBB18_1601
; %bb.1598:
	s_cmp_eq_u32 s24, 29
	s_cbranch_scc0 .LBB18_1600
; %bb.1599:
	global_load_dwordx2 v[7:8], v[5:6], off
	s_mov_b64 s[0:1], 0
	s_mov_b64 s[12:13], -1
	s_mov_b64 s[16:17], 0
	s_waitcnt vmcnt(0)
	v_ffbh_u32_e32 v1, v8
	v_min_u32_e32 v1, 32, v1
	v_lshlrev_b64 v[7:8], v1, v[7:8]
	v_sub_u32_e32 v1, 32, v1
	v_min_u32_e32 v3, 1, v7
	v_or_b32_e32 v3, v8, v3
	v_cvt_f32_u32_e32 v3, v3
	v_ldexp_f32 v1, v3, v1
	s_branch .LBB18_1602
.LBB18_1600:
	s_mov_b64 s[0:1], -1
                                        ; implicit-def: $vgpr1
.LBB18_1601:
	s_mov_b64 s[16:17], 0
.LBB18_1602:
	s_and_b64 vcc, exec, s[16:17]
	s_cbranch_vccz .LBB18_1620
; %bb.1603:
	s_cmp_lt_i32 s24, 27
	s_cbranch_scc1 .LBB18_1606
; %bb.1604:
	s_cmp_gt_i32 s24, 27
	s_cbranch_scc0 .LBB18_1607
; %bb.1605:
	global_load_dword v1, v[5:6], off
	s_mov_b64 s[12:13], 0
	s_waitcnt vmcnt(0)
	v_cvt_f32_u32_e32 v1, v1
	s_branch .LBB18_1608
.LBB18_1606:
	s_mov_b64 s[12:13], -1
                                        ; implicit-def: $vgpr1
	s_branch .LBB18_1611
.LBB18_1607:
	s_mov_b64 s[12:13], -1
                                        ; implicit-def: $vgpr1
.LBB18_1608:
	s_andn2_b64 vcc, exec, s[12:13]
	s_cbranch_vccnz .LBB18_1610
; %bb.1609:
	global_load_ushort v1, v[5:6], off
	s_waitcnt vmcnt(0)
	v_cvt_f32_u32_e32 v1, v1
.LBB18_1610:
	s_mov_b64 s[12:13], 0
.LBB18_1611:
	s_andn2_b64 vcc, exec, s[12:13]
	s_cbranch_vccnz .LBB18_1619
; %bb.1612:
	global_load_ubyte v3, v[5:6], off
	s_movk_i32 s3, 0x7f
	s_mov_b64 s[12:13], 0
	s_waitcnt vmcnt(0)
	v_cmp_lt_i16_e32 vcc, s3, v3
	s_and_saveexec_b64 s[16:17], vcc
	s_xor_b64 s[16:17], exec, s[16:17]
	s_cbranch_execz .LBB18_1633
; %bb.1613:
	s_movk_i32 s3, 0x80
	v_cmp_eq_u16_e32 vcc, s3, v3
	s_mov_b64 s[12:13], -1
	s_and_saveexec_b64 s[18:19], vcc
; %bb.1614:
	s_xor_b64 s[12:13], exec, -1
; %bb.1615:
	s_or_b64 exec, exec, s[18:19]
	s_and_b64 s[12:13], s[12:13], exec
	s_or_saveexec_b64 s[16:17], s[16:17]
	v_mov_b32_e32 v1, 0x7f800001
	s_xor_b64 exec, exec, s[16:17]
	s_cbranch_execnz .LBB18_1634
.LBB18_1616:
	s_or_b64 exec, exec, s[16:17]
	s_and_saveexec_b64 s[16:17], s[12:13]
	s_cbranch_execz .LBB18_1618
.LBB18_1617:
	v_lshlrev_b32_e32 v1, 24, v3
	v_and_b32_e32 v3, 0xffff, v3
	v_and_b32_e32 v7, 7, v3
	v_ffbh_u32_e32 v9, v7
	v_min_u32_e32 v9, 32, v9
	v_subrev_u32_e32 v10, 28, v9
	v_bfe_u32 v8, v3, 3, 4
	v_lshlrev_b32_e32 v3, v10, v3
	v_sub_u32_e32 v9, 29, v9
	v_and_b32_e32 v3, 7, v3
	v_cmp_eq_u32_e32 vcc, 0, v8
	v_cndmask_b32_e32 v8, v8, v9, vcc
	v_cndmask_b32_e32 v3, v7, v3, vcc
	v_mov_b32_e32 v7, 0x3b800000
	v_lshlrev_b32_e32 v3, 20, v3
	v_and_b32_e32 v1, 0x80000000, v1
	v_lshl_add_u32 v7, v8, 23, v7
	v_or3_b32 v1, v1, v7, v3
.LBB18_1618:
	s_or_b64 exec, exec, s[16:17]
.LBB18_1619:
	s_mov_b64 s[12:13], -1
.LBB18_1620:
	s_mov_b64 s[16:17], 0
.LBB18_1621:
	s_and_b64 vcc, exec, s[16:17]
	s_cbranch_vccz .LBB18_1654
; %bb.1622:
	s_cmp_gt_i32 s24, 22
	s_cbranch_scc0 .LBB18_1632
; %bb.1623:
	s_cmp_lt_i32 s24, 24
	s_cbranch_scc1 .LBB18_1635
; %bb.1624:
	s_cmp_gt_i32 s24, 24
	s_cbranch_scc0 .LBB18_1636
; %bb.1625:
	global_load_ubyte v3, v[5:6], off
	s_movk_i32 s3, 0x7f
	s_waitcnt vmcnt(0)
	v_cmp_lt_i16_e32 vcc, s3, v3
	s_and_saveexec_b64 s[12:13], vcc
	s_xor_b64 s[12:13], exec, s[12:13]
	s_cbranch_execz .LBB18_1648
; %bb.1626:
	s_movk_i32 s3, 0x80
	v_cmp_eq_u16_e32 vcc, s3, v3
	s_mov_b64 s[10:11], -1
	s_and_saveexec_b64 s[16:17], vcc
; %bb.1627:
	s_xor_b64 s[10:11], exec, -1
; %bb.1628:
	s_or_b64 exec, exec, s[16:17]
	s_and_b64 s[10:11], s[10:11], exec
	s_or_saveexec_b64 s[12:13], s[12:13]
	v_mov_b32_e32 v1, 0x7f800001
	s_xor_b64 exec, exec, s[12:13]
	s_cbranch_execnz .LBB18_1649
.LBB18_1629:
	s_or_b64 exec, exec, s[12:13]
	s_and_saveexec_b64 s[12:13], s[10:11]
	s_cbranch_execz .LBB18_1631
.LBB18_1630:
	v_lshlrev_b32_e32 v1, 24, v3
	v_and_b32_e32 v3, 0xffff, v3
	v_and_b32_e32 v7, 3, v3
	v_ffbh_u32_e32 v9, v7
	v_min_u32_e32 v9, 32, v9
	v_subrev_u32_e32 v10, 29, v9
	v_bfe_u32 v8, v3, 2, 5
	v_lshlrev_b32_e32 v3, v10, v3
	v_sub_u32_e32 v9, 30, v9
	v_and_b32_e32 v3, 3, v3
	v_cmp_eq_u32_e32 vcc, 0, v8
	v_cndmask_b32_e32 v8, v8, v9, vcc
	v_cndmask_b32_e32 v3, v7, v3, vcc
	v_mov_b32_e32 v7, 0x37800000
	v_lshlrev_b32_e32 v3, 21, v3
	v_and_b32_e32 v1, 0x80000000, v1
	v_lshl_add_u32 v7, v8, 23, v7
	v_or3_b32 v1, v1, v7, v3
.LBB18_1631:
	s_or_b64 exec, exec, s[12:13]
	s_mov_b64 s[10:11], 0
	s_branch .LBB18_1637
.LBB18_1632:
	s_mov_b64 s[10:11], -1
                                        ; implicit-def: $vgpr1
	s_branch .LBB18_1643
.LBB18_1633:
	s_or_saveexec_b64 s[16:17], s[16:17]
	v_mov_b32_e32 v1, 0x7f800001
	s_xor_b64 exec, exec, s[16:17]
	s_cbranch_execz .LBB18_1616
.LBB18_1634:
	v_cmp_ne_u16_e32 vcc, 0, v3
	s_andn2_b64 s[12:13], s[12:13], exec
	s_and_b64 s[18:19], vcc, exec
	v_mov_b32_e32 v1, 0
	s_or_b64 s[12:13], s[12:13], s[18:19]
	s_or_b64 exec, exec, s[16:17]
	s_and_saveexec_b64 s[16:17], s[12:13]
	s_cbranch_execnz .LBB18_1617
	s_branch .LBB18_1618
.LBB18_1635:
	s_mov_b64 s[10:11], -1
                                        ; implicit-def: $vgpr1
	s_branch .LBB18_1640
.LBB18_1636:
	s_mov_b64 s[10:11], -1
                                        ; implicit-def: $vgpr1
.LBB18_1637:
	s_and_b64 vcc, exec, s[10:11]
	s_cbranch_vccz .LBB18_1639
; %bb.1638:
	global_load_ubyte v1, v[5:6], off
	s_mov_b32 s3, 0x7f800000
	s_waitcnt vmcnt(0)
	v_lshlrev_b32_e32 v1, 24, v1
	v_and_b32_e32 v3, 0x7f000000, v1
	v_ffbh_u32_e32 v7, v3
	v_min_u32_e32 v7, 32, v7
	v_sub_u32_e64 v7, v7, 4 clamp
	v_lshlrev_b32_e32 v9, v7, v3
	v_lshlrev_b32_e32 v7, 23, v7
	v_lshrrev_b32_e32 v9, 4, v9
	v_add_u32_e32 v8, 0x1000000, v3
	v_sub_u32_e32 v7, v9, v7
	v_ashrrev_i32_e32 v8, 8, v8
	v_add_u32_e32 v7, 0x3c000000, v7
	v_and_or_b32 v7, v8, s3, v7
	v_cmp_ne_u32_e32 vcc, 0, v3
	v_cndmask_b32_e32 v3, 0, v7, vcc
	s_brev_b32 s3, 1
	v_and_or_b32 v1, v1, s3, v3
.LBB18_1639:
	s_mov_b64 s[10:11], 0
.LBB18_1640:
	s_andn2_b64 vcc, exec, s[10:11]
	s_cbranch_vccnz .LBB18_1642
; %bb.1641:
	global_load_ubyte v1, v[5:6], off
	s_movk_i32 s3, 0x7f00
	s_brev_b32 s10, 16
	s_waitcnt vmcnt(0)
	v_lshlrev_b16_e32 v3, 8, v1
	v_lshlrev_b32_e32 v1, 25, v1
	v_lshrrev_b32_e32 v7, 4, v1
	v_and_or_b32 v8, v3, s3, 0.5
	v_or_b32_e32 v7, 0x70000000, v7
	v_add_f32_e32 v8, -0.5, v8
	v_mul_f32_e32 v7, 0x7800000, v7
	v_cmp_gt_u32_e32 vcc, s10, v1
	v_bfe_i32 v3, v3, 0, 16
	v_cndmask_b32_e32 v1, v7, v8, vcc
	s_brev_b32 s3, 1
	v_and_or_b32 v1, v3, s3, v1
.LBB18_1642:
	s_mov_b64 s[10:11], 0
	s_mov_b64 s[12:13], -1
.LBB18_1643:
	s_andn2_b64 vcc, exec, s[10:11]
	s_mov_b64 s[10:11], 0
	s_cbranch_vccnz .LBB18_1654
; %bb.1644:
	s_cmp_gt_i32 s24, 14
	s_cbranch_scc0 .LBB18_1647
; %bb.1645:
	s_cmp_eq_u32 s24, 15
	s_cbranch_scc0 .LBB18_1650
; %bb.1646:
	global_load_ushort v1, v[5:6], off
	s_mov_b64 s[0:1], 0
	s_mov_b64 s[12:13], -1
	s_waitcnt vmcnt(0)
	v_lshlrev_b32_e32 v1, 16, v1
	s_branch .LBB18_1651
.LBB18_1647:
	s_mov_b64 s[16:17], -1
                                        ; implicit-def: $vgpr1
	s_branch .LBB18_1652
.LBB18_1648:
	s_or_saveexec_b64 s[12:13], s[12:13]
	v_mov_b32_e32 v1, 0x7f800001
	s_xor_b64 exec, exec, s[12:13]
	s_cbranch_execz .LBB18_1629
.LBB18_1649:
	v_cmp_ne_u16_e32 vcc, 0, v3
	s_andn2_b64 s[10:11], s[10:11], exec
	s_and_b64 s[16:17], vcc, exec
	v_mov_b32_e32 v1, 0
	s_or_b64 s[10:11], s[10:11], s[16:17]
	s_or_b64 exec, exec, s[12:13]
	s_and_saveexec_b64 s[12:13], s[10:11]
	s_cbranch_execnz .LBB18_1630
	s_branch .LBB18_1631
.LBB18_1650:
	s_mov_b64 s[0:1], -1
                                        ; implicit-def: $vgpr1
.LBB18_1651:
	s_mov_b64 s[16:17], 0
.LBB18_1652:
	s_and_b64 vcc, exec, s[16:17]
	s_cbranch_vccz .LBB18_1654
; %bb.1653:
	s_cmp_lg_u32 s24, 11
	s_mov_b64 s[10:11], -1
	s_cselect_b64 s[0:1], -1, 0
.LBB18_1654:
	s_and_b64 vcc, exec, s[0:1]
	s_cbranch_vccnz .LBB18_2213
; %bb.1655:
	s_andn2_b64 vcc, exec, s[10:11]
	s_cbranch_vccnz .LBB18_1657
.LBB18_1656:
	global_load_ubyte v1, v[5:6], off
	s_mov_b64 s[12:13], -1
	s_waitcnt vmcnt(0)
	v_cmp_ne_u16_e32 vcc, 0, v1
	v_cndmask_b32_e64 v1, 0, 1.0, vcc
.LBB18_1657:
	s_mov_b64 s[0:1], 0
.LBB18_1658:
	s_and_b64 vcc, exec, s[0:1]
	s_cbranch_vccz .LBB18_1707
; %bb.1659:
	s_cmp_lt_i32 s24, 5
	s_cbranch_scc1 .LBB18_1664
; %bb.1660:
	s_cmp_lt_i32 s24, 8
	s_cbranch_scc1 .LBB18_1665
	;; [unrolled: 3-line block ×3, first 2 shown]
; %bb.1662:
	s_cmp_gt_i32 s24, 9
	s_cbranch_scc0 .LBB18_1667
; %bb.1663:
	global_load_dwordx2 v[7:8], v[5:6], off
	s_mov_b64 s[0:1], 0
	s_waitcnt vmcnt(0)
	v_cvt_f32_f64_e32 v1, v[7:8]
	s_branch .LBB18_1668
.LBB18_1664:
	s_mov_b64 s[0:1], -1
                                        ; implicit-def: $vgpr1
	s_branch .LBB18_1686
.LBB18_1665:
	s_mov_b64 s[0:1], -1
                                        ; implicit-def: $vgpr1
	s_branch .LBB18_1674
.LBB18_1666:
	s_mov_b64 s[0:1], -1
                                        ; implicit-def: $vgpr1
	s_branch .LBB18_1671
.LBB18_1667:
	s_mov_b64 s[0:1], -1
                                        ; implicit-def: $vgpr1
.LBB18_1668:
	s_andn2_b64 vcc, exec, s[0:1]
	s_cbranch_vccnz .LBB18_1670
; %bb.1669:
	global_load_dword v1, v[5:6], off
.LBB18_1670:
	s_mov_b64 s[0:1], 0
.LBB18_1671:
	s_andn2_b64 vcc, exec, s[0:1]
	s_cbranch_vccnz .LBB18_1673
; %bb.1672:
	global_load_dword v1, v[5:6], off
	s_waitcnt vmcnt(0)
	v_cvt_f32_f16_e32 v1, v1
.LBB18_1673:
	s_mov_b64 s[0:1], 0
.LBB18_1674:
	s_andn2_b64 vcc, exec, s[0:1]
	s_cbranch_vccnz .LBB18_1685
; %bb.1675:
	s_cmp_lt_i32 s24, 6
	s_cbranch_scc1 .LBB18_1678
; %bb.1676:
	s_cmp_gt_i32 s24, 6
	s_cbranch_scc0 .LBB18_1679
; %bb.1677:
	global_load_dwordx2 v[7:8], v[5:6], off
	s_mov_b64 s[0:1], 0
	s_waitcnt vmcnt(0)
	v_cvt_f32_f64_e32 v1, v[7:8]
	s_branch .LBB18_1680
.LBB18_1678:
	s_mov_b64 s[0:1], -1
                                        ; implicit-def: $vgpr1
	s_branch .LBB18_1683
.LBB18_1679:
	s_mov_b64 s[0:1], -1
                                        ; implicit-def: $vgpr1
.LBB18_1680:
	s_andn2_b64 vcc, exec, s[0:1]
	s_cbranch_vccnz .LBB18_1682
; %bb.1681:
	global_load_dword v1, v[5:6], off
.LBB18_1682:
	s_mov_b64 s[0:1], 0
.LBB18_1683:
	s_andn2_b64 vcc, exec, s[0:1]
	s_cbranch_vccnz .LBB18_1685
; %bb.1684:
	global_load_ushort v1, v[5:6], off
	s_waitcnt vmcnt(0)
	v_cvt_f32_f16_e32 v1, v1
.LBB18_1685:
	s_mov_b64 s[0:1], 0
.LBB18_1686:
	s_andn2_b64 vcc, exec, s[0:1]
	s_cbranch_vccnz .LBB18_1706
; %bb.1687:
	s_cmp_lt_i32 s24, 2
	s_cbranch_scc1 .LBB18_1691
; %bb.1688:
	s_cmp_lt_i32 s24, 3
	s_cbranch_scc1 .LBB18_1692
; %bb.1689:
	s_cmp_gt_i32 s24, 3
	s_cbranch_scc0 .LBB18_1693
; %bb.1690:
	global_load_dwordx2 v[7:8], v[5:6], off
	s_mov_b64 s[0:1], 0
	s_waitcnt vmcnt(0)
	v_xor_b32_e32 v3, v7, v8
	v_ffbh_i32_e32 v1, v8
	v_ashrrev_i32_e32 v3, 31, v3
	v_add_u32_e32 v1, -1, v1
	v_add_u32_e32 v3, 32, v3
	v_min_u32_e32 v1, v1, v3
	v_lshlrev_b64 v[7:8], v1, v[7:8]
	v_sub_u32_e32 v1, 32, v1
	v_min_u32_e32 v3, 1, v7
	v_or_b32_e32 v3, v8, v3
	v_cvt_f32_i32_e32 v3, v3
	v_ldexp_f32 v1, v3, v1
	s_branch .LBB18_1694
.LBB18_1691:
	s_mov_b64 s[0:1], -1
                                        ; implicit-def: $vgpr1
	s_branch .LBB18_1700
.LBB18_1692:
	s_mov_b64 s[0:1], -1
                                        ; implicit-def: $vgpr1
	s_branch .LBB18_1697
.LBB18_1693:
	s_mov_b64 s[0:1], -1
                                        ; implicit-def: $vgpr1
.LBB18_1694:
	s_andn2_b64 vcc, exec, s[0:1]
	s_cbranch_vccnz .LBB18_1696
; %bb.1695:
	global_load_dword v1, v[5:6], off
	s_waitcnt vmcnt(0)
	v_cvt_f32_i32_e32 v1, v1
.LBB18_1696:
	s_mov_b64 s[0:1], 0
.LBB18_1697:
	s_andn2_b64 vcc, exec, s[0:1]
	s_cbranch_vccnz .LBB18_1699
; %bb.1698:
	global_load_sshort v1, v[5:6], off
	s_waitcnt vmcnt(0)
	v_cvt_f32_i32_e32 v1, v1
.LBB18_1699:
	s_mov_b64 s[0:1], 0
.LBB18_1700:
	s_andn2_b64 vcc, exec, s[0:1]
	s_cbranch_vccnz .LBB18_1706
; %bb.1701:
	s_cmp_gt_i32 s24, 0
	s_cbranch_scc0 .LBB18_1703
; %bb.1702:
	global_load_sbyte v1, v[5:6], off
	s_mov_b64 s[0:1], 0
	s_waitcnt vmcnt(0)
	v_cvt_f32_i32_e32 v1, v1
	s_branch .LBB18_1704
.LBB18_1703:
	s_mov_b64 s[0:1], -1
                                        ; implicit-def: $vgpr1
.LBB18_1704:
	s_andn2_b64 vcc, exec, s[0:1]
	s_cbranch_vccnz .LBB18_1706
; %bb.1705:
	global_load_ubyte v1, v[5:6], off
	s_waitcnt vmcnt(0)
	v_cvt_f32_ubyte0_e32 v1, v1
.LBB18_1706:
	s_mov_b64 s[12:13], -1
.LBB18_1707:
	s_andn2_b64 vcc, exec, s[12:13]
	s_cbranch_vccnz .LBB18_1810
; %bb.1708:
	s_waitcnt vmcnt(0)
	v_cmp_neq_f32_e32 vcc, 0, v1
                                        ; implicit-def: $vgpr6
	s_and_saveexec_b64 s[0:1], vcc
	s_xor_b64 s[10:11], exec, s[0:1]
	s_cbranch_execz .LBB18_1730
; %bb.1709:
	v_mov_b32_e32 v3, 0
	v_cmp_gt_f32_e32 vcc, 0, v1
	s_mov_b64 s[0:1], -1
	s_and_saveexec_b64 s[12:13], vcc
	s_cbranch_execz .LBB18_1717
; %bb.1710:
	v_trunc_f32_e32 v3, v1
	v_cmp_neq_f32_e32 vcc, v1, v3
	s_mov_b64 s[18:19], 0
	v_mov_b32_e32 v3, 0
	s_and_saveexec_b64 s[16:17], vcc
	s_cbranch_execz .LBB18_1716
; %bb.1711:
	v_cvt_f64_f32_e32 v[5:6], v1
	s_mov_b32 s20, 0
	s_mov_b32 s1, 0xc00921fb
	;; [unrolled: 1-line block ×3, first 2 shown]
	v_trunc_f64_e32 v[7:8], v[5:6]
	s_mov_b32 s21, 0x7ff00000
	v_cmp_neq_f64_e64 vcc, |v[5:6]|, s[20:21]
	v_bfrev_b32_e32 v3, 1
	s_mov_b32 s18, 0
	s_mov_b32 s19, 0x41d00000
                                        ; implicit-def: $vgpr9_vgpr10
	v_add_f64 v[7:8], v[5:6], -v[7:8]
	v_mul_f64 v[7:8], |v[7:8]|, s[0:1]
	v_cndmask_b32_e32 v6, v3, v8, vcc
	v_cndmask_b32_e32 v5, 0, v7, vcc
	v_cmp_nlt_f64_e64 s[18:19], |v[5:6]|, s[18:19]
                                        ; implicit-def: $vgpr3
                                        ; implicit-def: $vgpr7_vgpr8
	s_and_saveexec_b64 s[22:23], s[18:19]
	s_xor_b64 s[18:19], exec, s[22:23]
	s_cbranch_execz .LBB18_1713
; %bb.1712:
	v_trig_preop_f64 v[9:10], |v[5:6]|, 0
	s_mov_b32 s22, 0
	s_mov_b32 s23, 0x7b000000
	s_movk_i32 s1, 0xff80
	v_ldexp_f64 v[7:8], |v[5:6]|, s1
	v_cmp_ge_f64_e64 vcc, |v[5:6]|, s[22:23]
	v_trig_preop_f64 v[12:13], |v[5:6]|, 1
	v_and_b32_e32 v3, 0x7fffffff, v6
	v_trig_preop_f64 v[20:21], |v[5:6]|, 2
	v_mov_b32_e32 v30, 0
	s_mov_b32 s1, 0x3ff921fb
	v_cndmask_b32_e32 v8, v3, v8, vcc
	v_cndmask_b32_e32 v7, v5, v7, vcc
	v_mov_b32_e32 v3, 0x40100000
	v_mul_f64 v[14:15], v[9:10], v[7:8]
	v_mul_f64 v[16:17], v[12:13], v[7:8]
	;; [unrolled: 1-line block ×3, first 2 shown]
	v_fma_f64 v[9:10], v[9:10], v[7:8], -v[14:15]
	v_fma_f64 v[12:13], v[12:13], v[7:8], -v[16:17]
	v_fma_f64 v[7:8], v[20:21], v[7:8], -v[26:27]
	v_add_f64 v[18:19], v[16:17], v[9:10]
	v_add_f64 v[22:23], v[18:19], -v[16:17]
	v_add_f64 v[28:29], v[14:15], v[18:19]
	v_add_f64 v[24:25], v[18:19], -v[22:23]
	v_add_f64 v[9:10], v[9:10], -v[22:23]
	v_add_f64 v[22:23], v[26:27], v[12:13]
	v_add_f64 v[14:15], v[28:29], -v[14:15]
	v_add_f64 v[16:17], v[16:17], -v[24:25]
	v_ldexp_f64 v[24:25], v[28:29], -2
	v_add_f64 v[32:33], v[22:23], -v[26:27]
	v_add_f64 v[14:15], v[18:19], -v[14:15]
	v_add_f64 v[9:10], v[9:10], v[16:17]
	v_fract_f64_e32 v[16:17], v[24:25]
	v_cmp_neq_f64_e64 vcc, |v[24:25]|, s[20:21]
	v_add_f64 v[12:13], v[12:13], -v[32:33]
	s_mov_b32 s20, 0x33145c07
	s_mov_b32 s21, 0x3c91a626
	v_add_f64 v[18:19], v[22:23], v[9:10]
	v_ldexp_f64 v[16:17], v[16:17], 2
	v_add_f64 v[24:25], v[14:15], v[18:19]
	v_cndmask_b32_e32 v17, 0, v17, vcc
	v_cndmask_b32_e32 v16, 0, v16, vcc
	v_add_f64 v[34:35], v[18:19], -v[22:23]
	v_add_f64 v[28:29], v[24:25], v[16:17]
	v_add_f64 v[14:15], v[24:25], -v[14:15]
	v_add_f64 v[36:37], v[18:19], -v[34:35]
	;; [unrolled: 1-line block ×3, first 2 shown]
	v_cmp_gt_f64_e32 vcc, 0, v[28:29]
	v_add_f64 v[28:29], v[22:23], -v[32:33]
	v_add_f64 v[14:15], v[18:19], -v[14:15]
	;; [unrolled: 1-line block ×3, first 2 shown]
	v_cndmask_b32_e32 v31, 0, v3, vcc
	v_add_f64 v[16:17], v[16:17], v[30:31]
	v_add_f64 v[28:29], v[26:27], -v[28:29]
	v_add_f64 v[9:10], v[9:10], v[22:23]
	v_add_f64 v[38:39], v[24:25], v[16:17]
	;; [unrolled: 1-line block ×3, first 2 shown]
	v_cvt_i32_f64_e32 v3, v[38:39]
	v_add_f64 v[9:10], v[12:13], v[9:10]
	v_cvt_f64_i32_e32 v[31:32], v3
	v_add_f64 v[16:17], v[16:17], -v[31:32]
	v_add_f64 v[7:8], v[7:8], v[9:10]
	v_add_f64 v[12:13], v[24:25], v[16:17]
	;; [unrolled: 1-line block ×3, first 2 shown]
	v_mov_b32_e32 v14, 0x3ff00000
	v_add_f64 v[9:10], v[12:13], -v[16:17]
	v_cmp_le_f64_e32 vcc, 0.5, v[12:13]
	v_add_f64 v[9:10], v[24:25], -v[9:10]
	v_cndmask_b32_e32 v31, 0, v14, vcc
	v_addc_co_u32_e32 v3, vcc, 0, v3, vcc
	v_add_f64 v[7:8], v[7:8], v[9:10]
	v_add_f64 v[9:10], v[12:13], -v[30:31]
	v_add_f64 v[12:13], v[9:10], v[7:8]
	v_mul_f64 v[14:15], v[12:13], s[0:1]
	v_add_f64 v[9:10], v[12:13], -v[9:10]
	v_fma_f64 v[16:17], v[12:13], s[0:1], -v[14:15]
	v_add_f64 v[7:8], v[7:8], -v[9:10]
	v_fma_f64 v[9:10], v[12:13], s[20:21], v[16:17]
	v_fma_f64 v[9:10], v[7:8], s[0:1], v[9:10]
	v_add_f64 v[7:8], v[14:15], v[9:10]
	v_add_f64 v[12:13], v[7:8], -v[14:15]
	v_add_f64 v[9:10], v[9:10], -v[12:13]
.LBB18_1713:
	s_andn2_saveexec_b64 s[0:1], s[18:19]
	s_cbranch_execz .LBB18_1715
; %bb.1714:
	s_mov_b32 s18, 0x6dc9c883
	s_mov_b32 s19, 0x3fe45f30
	v_mul_f64 v[7:8], |v[5:6]|, s[18:19]
	s_mov_b32 s18, 0x54442d18
	s_mov_b32 s19, 0xbff921fb
	;; [unrolled: 1-line block ×4, first 2 shown]
	v_rndne_f64_e32 v[12:13], v[7:8]
	v_fma_f64 v[7:8], v[12:13], s[18:19], |v[5:6]|
	v_mul_f64 v[9:10], v[12:13], s[20:21]
	s_mov_b32 s18, 0x252049c0
	s_mov_b32 s19, 0xb97b839a
	v_cvt_i32_f64_e32 v3, v[12:13]
	v_fma_f64 v[18:19], v[12:13], s[20:21], v[7:8]
	v_add_f64 v[14:15], v[7:8], v[9:10]
	s_mov_b32 s21, 0x3c91a626
	v_add_f64 v[16:17], v[7:8], -v[14:15]
	v_add_f64 v[14:15], v[14:15], -v[18:19]
	v_add_f64 v[7:8], v[16:17], v[9:10]
	v_fma_f64 v[9:10], v[12:13], s[20:21], v[9:10]
	v_add_f64 v[7:8], v[14:15], v[7:8]
	v_add_f64 v[7:8], v[7:8], -v[9:10]
	v_fma_f64 v[9:10], v[12:13], s[18:19], v[7:8]
	v_add_f64 v[7:8], v[18:19], v[9:10]
	v_add_f64 v[14:15], v[7:8], -v[18:19]
	v_add_f64 v[9:10], v[9:10], -v[14:15]
.LBB18_1715:
	s_or_b64 exec, exec, s[0:1]
	v_mul_f64 v[12:13], v[7:8], v[7:8]
	v_add_f64 v[14:15], v[9:10], v[9:10]
	s_mov_b32 s0, 0xc751c08c
	s_mov_b32 s1, 0x3ef5e089
	v_and_b32_e32 v3, 1, v3
	v_cmp_eq_u32_e32 vcc, 0, v3
	s_mov_b32 s20, 0x54442d18
	s_mov_b32 s21, 0xc00921fb
	v_fma_f64 v[16:17], v[7:8], v[7:8], -v[12:13]
	s_mov_b64 s[18:19], exec
	v_sub_f32_e32 v1, 1.0, v1
	v_fma_f64 v[14:15], v[7:8], v[14:15], v[16:17]
	v_add_f64 v[12:13], v[12:13], v[14:15]
	v_mov_b32_e32 v14, 0xa9a29f71
	v_mov_b32_e32 v15, 0xbf078809
	v_fma_f64 v[14:15], v[12:13], s[0:1], v[14:15]
	s_mov_b32 s0, 0x90a8aae0
	s_mov_b32 s1, 0x3f17746f
	v_fma_f64 v[14:15], v[12:13], v[14:15], s[0:1]
	s_mov_b32 s0, 0xa6fbf144
	s_mov_b32 s1, 0xbefbb44d
	;; [unrolled: 3-line block ×12, first 2 shown]
	v_fma_f64 v[14:15], v[12:13], v[14:15], s[0:1]
	s_movk_i32 s0, 0x1f8
	v_cmp_class_f64_e64 s[0:1], v[5:6], s0
	v_mul_f64 v[12:13], v[12:13], v[14:15]
	v_mul_f64 v[14:15], v[7:8], v[12:13]
	v_add_f64 v[16:17], v[7:8], v[14:15]
	v_fma_f64 v[12:13], v[7:8], v[12:13], -v[14:15]
	v_add_f64 v[7:8], v[16:17], -v[7:8]
	v_add_f64 v[9:10], v[9:10], v[12:13]
	v_add_f64 v[7:8], v[14:15], -v[7:8]
	v_add_f64 v[7:8], v[9:10], v[7:8]
	v_add_f64 v[9:10], v[16:17], v[7:8]
	v_rcp_f64_e32 v[12:13], v[9:10]
	v_fma_f64 v[14:15], -v[9:10], v[12:13], 1.0
	v_fma_f64 v[12:13], v[14:15], v[12:13], v[12:13]
	v_fma_f64 v[14:15], -v[9:10], v[12:13], 1.0
	v_fma_f64 v[12:13], v[14:15], v[12:13], v[12:13]
	v_add_f64 v[14:15], v[9:10], -v[16:17]
	v_mul_f64 v[16:17], v[9:10], v[12:13]
	v_add_f64 v[7:8], v[7:8], -v[14:15]
	v_fma_f64 v[14:15], v[12:13], v[9:10], -v[16:17]
	v_fma_f64 v[7:8], v[12:13], v[7:8], v[14:15]
	v_add_f64 v[14:15], v[16:17], v[7:8]
	v_add_f64 v[18:19], -v[14:15], 1.0
	v_add_f64 v[16:17], v[14:15], -v[16:17]
	v_add_f64 v[20:21], -v[18:19], 1.0
	v_add_f64 v[7:8], v[16:17], -v[7:8]
	v_add_f64 v[14:15], v[20:21], -v[14:15]
	v_add_f64 v[7:8], v[7:8], v[14:15]
	v_add_f64 v[7:8], v[18:19], v[7:8]
	v_mul_f64 v[7:8], v[12:13], v[7:8]
	v_add_f64 v[7:8], v[12:13], v[7:8]
	v_and_b32_e32 v12, 0x80000000, v6
	v_mov_b32_e32 v6, 0x7ff80000
	v_xor_b32_e32 v5, 0x80000000, v8
	v_cndmask_b32_e32 v3, v7, v9, vcc
	v_cndmask_b32_e32 v7, v5, v10, vcc
	v_cndmask_b32_e64 v5, 0, v3, s[0:1]
	v_xor_b32_e32 v3, v7, v12
	v_cndmask_b32_e64 v6, v6, v3, s[0:1]
	v_div_scale_f64 v[7:8], s[0:1], v[5:6], v[5:6], s[20:21]
	v_div_scale_f64 v[14:15], vcc, s[20:21], v[5:6], s[20:21]
	v_rcp_f64_e32 v[9:10], v[7:8]
	v_fma_f64 v[12:13], -v[7:8], v[9:10], 1.0
	v_fma_f64 v[9:10], v[9:10], v[12:13], v[9:10]
	v_fma_f64 v[12:13], -v[7:8], v[9:10], 1.0
	v_fma_f64 v[9:10], v[9:10], v[12:13], v[9:10]
	v_mul_f64 v[12:13], v[14:15], v[9:10]
	v_fma_f64 v[7:8], -v[7:8], v[12:13], v[14:15]
	v_div_fmas_f64 v[7:8], v[7:8], v[9:10], v[12:13]
	v_div_fixup_f64 v[5:6], v[7:8], v[5:6], s[20:21]
	v_cvt_f32_f64_e32 v3, v[5:6]
.LBB18_1716:
	s_or_b64 exec, exec, s[16:17]
	s_orn2_b64 s[0:1], s[18:19], exec
.LBB18_1717:
	s_or_b64 exec, exec, s[12:13]
	v_mov_b32_e32 v6, 0x7fc00000
	s_and_saveexec_b64 s[12:13], s[0:1]
	s_cbranch_execz .LBB18_1729
; %bb.1718:
	s_mov_b32 s3, 0x41200000
	v_cmp_gt_f32_e32 vcc, s3, v1
	s_and_saveexec_b64 s[0:1], vcc
	s_cbranch_execz .LBB18_1722
; %bb.1719:
	s_mov_b64 s[16:17], 0
.LBB18_1720:                            ; =>This Inner Loop Header: Depth=1
	v_div_scale_f32 v5, s[18:19], v1, v1, 1.0
	v_div_scale_f32 v6, vcc, 1.0, v1, 1.0
	v_rcp_f32_e32 v7, v5
	v_fma_f32 v8, -v5, v7, 1.0
	v_fmac_f32_e32 v7, v8, v7
	v_mul_f32_e32 v8, v6, v7
	v_fma_f32 v9, -v5, v8, v6
	v_fmac_f32_e32 v8, v9, v7
	v_fma_f32 v5, -v5, v8, v6
	v_div_fmas_f32 v5, v5, v7, v8
	v_div_fixup_f32 v5, v5, v1, 1.0
	v_add_f32_e32 v1, 1.0, v1
	v_cmp_ngt_f32_e32 vcc, s3, v1
	s_or_b64 s[16:17], vcc, s[16:17]
	v_sub_f32_e32 v3, v3, v5
	s_andn2_b64 exec, exec, s[16:17]
	s_cbranch_execnz .LBB18_1720
; %bb.1721:
	s_or_b64 exec, exec, s[16:17]
.LBB18_1722:
	s_or_b64 exec, exec, s[0:1]
	s_mov_b32 s0, 0x41200000
	v_cmp_neq_f32_e32 vcc, s0, v1
                                        ; implicit-def: $vgpr6
	s_and_saveexec_b64 s[0:1], vcc
	s_xor_b64 s[16:17], exec, s[0:1]
	s_cbranch_execz .LBB18_1726
; %bb.1723:
	v_cvt_f64_f32_e32 v[5:6], v1
	s_mov_b32 s0, 0x85d8a000
	s_mov_b32 s1, 0x43763457
	v_cmp_gt_f64_e32 vcc, s[0:1], v[5:6]
	v_mov_b32_e32 v5, 0
	s_and_saveexec_b64 s[0:1], vcc
	s_cbranch_execz .LBB18_1725
; %bb.1724:
	v_mul_f32_e32 v5, v1, v1
	v_div_scale_f32 v6, s[18:19], v5, v5, 1.0
	v_div_scale_f32 v7, vcc, 1.0, v5, 1.0
	v_mov_b32_e32 v12, 0x3b820821
	v_rcp_f32_e32 v8, v6
	v_fma_f32 v9, -v6, v8, 1.0
	v_fmac_f32_e32 v8, v9, v8
	v_mul_f32_e32 v9, v7, v8
	v_fma_f32 v10, -v6, v9, v7
	v_fmac_f32_e32 v9, v10, v8
	v_fma_f32 v6, -v6, v9, v7
	v_div_fmas_f32 v6, v6, v8, v9
	v_mov_b32_e32 v7, 0x3daaaaab
	v_mov_b32_e32 v8, 0xbcaccacd
	;; [unrolled: 1-line block ×4, first 2 shown]
	v_div_fixup_f32 v5, v6, v5, 1.0
	v_fma_f32 v6, 0, v5, v7
	v_fmac_f32_e32 v8, v5, v6
	v_fmac_f32_e32 v9, v5, v8
	v_fmac_f32_e32 v10, v5, v9
	v_fmac_f32_e32 v12, v5, v10
	v_mov_b32_e32 v6, 0xbc088889
	v_fmac_f32_e32 v6, v5, v12
	v_fmac_f32_e32 v7, v5, v6
	v_mul_f32_e32 v5, v5, v7
.LBB18_1725:
	s_or_b64 exec, exec, s[0:1]
	v_div_scale_f32 v6, s[0:1], v1, v1, -0.5
	v_div_scale_f32 v7, vcc, -0.5, v1, -0.5
	s_mov_b32 s0, 0x800000
	v_cmp_gt_f32_e64 s[0:1], s0, v1
	v_cndmask_b32_e64 v9, 0, 32, s[0:1]
	s_mov_b32 s3, 0x3f317217
	v_rcp_f32_e32 v8, v6
	v_fma_f32 v10, -v6, v8, 1.0
	v_fmac_f32_e32 v8, v10, v8
	v_mul_f32_e32 v10, v7, v8
	v_fma_f32 v12, -v6, v10, v7
	v_fmac_f32_e32 v10, v12, v8
	v_fma_f32 v6, -v6, v10, v7
	v_div_fmas_f32 v6, v6, v8, v10
	v_ldexp_f32 v7, v1, v9
	v_log_f32_e32 v7, v7
	v_mul_f32_e32 v8, 0x3f317217, v7
	v_fma_f32 v8, v7, s3, -v8
	v_fmac_f32_e32 v8, 0x3377d1cf, v7
	s_mov_b32 s3, 0x7f800000
	v_fmac_f32_e32 v8, 0x3f317217, v7
	v_cmp_lt_f32_e64 vcc, |v7|, s3
	v_cndmask_b32_e32 v7, v7, v8, vcc
	v_mov_b32_e32 v8, 0x41b17218
	v_cndmask_b32_e64 v8, 0, v8, s[0:1]
	v_sub_f32_e32 v7, v7, v8
	v_div_fixup_f32 v1, v6, v1, -0.5
	v_add_f32_e32 v1, v7, v1
	v_sub_f32_e32 v1, v1, v5
	v_add_f32_e32 v6, v3, v1
                                        ; implicit-def: $vgpr3
.LBB18_1726:
	s_andn2_saveexec_b64 s[0:1], s[16:17]
; %bb.1727:
	v_add_f32_e32 v6, 0x40101cb7, v3
; %bb.1728:
	s_or_b64 exec, exec, s[0:1]
.LBB18_1729:
	s_or_b64 exec, exec, s[12:13]
                                        ; implicit-def: $vgpr1
.LBB18_1730:
	s_andn2_saveexec_b64 s[0:1], s[10:11]
; %bb.1731:
	v_xor_b32_e32 v1, 0x80000000, v1
	s_brev_b32 s3, -2
	v_mov_b32_e32 v3, 0x7f800000
	v_bfi_b32 v6, s3, v3, v1
; %bb.1732:
	s_or_b64 exec, exec, s[0:1]
	v_mul_lo_u32 v3, s2, v11
	v_mov_b32_e32 v1, s9
	s_and_b32 s20, s33, 0xff
	s_cmp_lt_i32 s20, 11
	v_ashrrev_i32_e32 v5, 31, v3
	v_add_co_u32_e32 v7, vcc, s8, v3
	v_addc_co_u32_e32 v8, vcc, v1, v5, vcc
	s_cbranch_scc1 .LBB18_1856
; %bb.1733:
	s_and_b32 s3, 0xffff, s20
	s_mov_b64 s[16:17], -1
	s_mov_b64 s[10:11], 0
	s_cmp_gt_i32 s3, 25
	s_mov_b64 s[12:13], 0
	s_mov_b64 s[0:1], 0
	s_cbranch_scc0 .LBB18_1766
; %bb.1734:
	s_cmp_gt_i32 s3, 28
	s_cbranch_scc0 .LBB18_1749
; %bb.1735:
	s_cmp_gt_i32 s3, 43
	;; [unrolled: 3-line block ×3, first 2 shown]
	s_cbranch_scc0 .LBB18_1739
; %bb.1737:
	s_mov_b64 s[0:1], -1
	s_mov_b64 s[16:17], 0
	s_cmp_eq_u32 s3, 46
	s_cbranch_scc0 .LBB18_1739
; %bb.1738:
	v_bfe_u32 v1, v0, 16, 1
	s_movk_i32 s0, 0x7fff
	v_add3_u32 v1, v0, v1, s0
	v_cmp_o_f32_e32 vcc, v0, v0
	v_mov_b32_e32 v5, 0x7fc0
	v_cndmask_b32_sdwa v1, v5, v1, vcc dst_sel:DWORD dst_unused:UNUSED_PAD src0_sel:DWORD src1_sel:WORD_1
	global_store_dword v[7:8], v1, off
	s_mov_b64 s[0:1], 0
	s_mov_b64 s[12:13], -1
.LBB18_1739:
	s_and_b64 vcc, exec, s[16:17]
	s_cbranch_vccz .LBB18_1744
; %bb.1740:
	s_cmp_eq_u32 s3, 44
	s_mov_b64 s[0:1], -1
	s_cbranch_scc0 .LBB18_1744
; %bb.1741:
	v_bfe_u32 v1, v0, 23, 8
	s_movk_i32 s0, 0xff
	v_cmp_ne_u32_e32 vcc, s0, v1
	v_mov_b32_e32 v5, 0xff
	s_and_saveexec_b64 s[12:13], vcc
; %bb.1742:
	s_mov_b32 s0, 0x3fffff
	v_and_b32_e32 v9, 0x400000, v0
	v_and_or_b32 v1, v0, s0, v1
	v_cmp_ne_u32_e32 vcc, 0, v9
	v_cmp_ne_u32_e64 s[0:1], 0, v1
	s_and_b64 s[0:1], vcc, s[0:1]
	v_lshrrev_b32_e32 v5, 23, v0
	v_cndmask_b32_e64 v1, 0, 1, s[0:1]
	v_add_u32_e32 v5, v5, v1
; %bb.1743:
	s_or_b64 exec, exec, s[12:13]
	s_mov_b64 s[0:1], 0
	s_mov_b64 s[12:13], -1
	global_store_byte v[7:8], v5, off
.LBB18_1744:
	s_mov_b64 s[16:17], 0
.LBB18_1745:
	s_and_b64 vcc, exec, s[16:17]
	s_cbranch_vccz .LBB18_1748
; %bb.1746:
	s_cmp_eq_u32 s3, 29
	s_mov_b64 s[0:1], -1
	s_cbranch_scc0 .LBB18_1748
; %bb.1747:
	v_trunc_f32_e32 v1, v0
	v_mul_f32_e32 v5, 0x2f800000, v1
	v_floor_f32_e32 v5, v5
	v_fmac_f32_e32 v1, 0xcf800000, v5
	v_cvt_u32_f32_e32 v10, v5
	v_cvt_u32_f32_e32 v9, v1
	s_mov_b64 s[0:1], 0
	s_mov_b64 s[12:13], -1
	global_store_dwordx2 v[7:8], v[9:10], off
.LBB18_1748:
	s_mov_b64 s[16:17], 0
.LBB18_1749:
	s_and_b64 vcc, exec, s[16:17]
	s_cbranch_vccz .LBB18_1765
; %bb.1750:
	s_cmp_lt_i32 s3, 27
	s_mov_b64 s[12:13], -1
	s_cbranch_scc1 .LBB18_1756
; %bb.1751:
	v_cvt_u32_f32_e32 v1, v0
	s_cmp_gt_i32 s3, 27
	s_cbranch_scc0 .LBB18_1753
; %bb.1752:
	s_mov_b64 s[12:13], 0
	global_store_dword v[7:8], v1, off
.LBB18_1753:
	s_andn2_b64 vcc, exec, s[12:13]
	s_cbranch_vccnz .LBB18_1755
; %bb.1754:
	global_store_short v[7:8], v1, off
.LBB18_1755:
	s_mov_b64 s[12:13], 0
.LBB18_1756:
	s_andn2_b64 vcc, exec, s[12:13]
	s_cbranch_vccnz .LBB18_1764
; %bb.1757:
	v_and_b32_e32 v1, 0x7fffffff, v0
	s_mov_b32 s12, 0x43800000
	v_cmp_gt_u32_e32 vcc, s12, v1
	v_mov_b32_e32 v5, 0x80
	s_and_saveexec_b64 s[12:13], vcc
	s_cbranch_execz .LBB18_1763
; %bb.1758:
	s_mov_b32 s16, 0x3bffffff
	v_cmp_lt_u32_e32 vcc, s16, v1
	s_mov_b64 s[16:17], 0
                                        ; implicit-def: $vgpr1
	s_and_saveexec_b64 s[18:19], vcc
	s_xor_b64 s[18:19], exec, s[18:19]
	s_cbranch_execz .LBB18_2214
; %bb.1759:
	v_bfe_u32 v1, v0, 20, 1
	s_mov_b32 s21, 0x487ffff
	v_add3_u32 v1, v0, v1, s21
	s_mov_b64 s[16:17], exec
	v_lshrrev_b32_e32 v1, 20, v1
	s_andn2_saveexec_b64 s[18:19], s[18:19]
	s_cbranch_execnz .LBB18_2215
.LBB18_1760:
	s_or_b64 exec, exec, s[18:19]
	v_mov_b32_e32 v5, 0
	s_and_saveexec_b64 s[18:19], s[16:17]
.LBB18_1761:
	v_lshrrev_b32_e32 v5, 24, v0
	s_movk_i32 s16, 0x80
	v_and_or_b32 v5, v5, s16, v1
.LBB18_1762:
	s_or_b64 exec, exec, s[18:19]
.LBB18_1763:
	s_or_b64 exec, exec, s[12:13]
	global_store_byte v[7:8], v5, off
.LBB18_1764:
	s_mov_b64 s[12:13], -1
.LBB18_1765:
	s_mov_b64 s[16:17], 0
.LBB18_1766:
	s_and_b64 vcc, exec, s[16:17]
	s_cbranch_vccz .LBB18_1806
; %bb.1767:
	s_cmp_gt_i32 s3, 22
	s_mov_b64 s[10:11], -1
	s_cbranch_scc0 .LBB18_1799
; %bb.1768:
	s_cmp_lt_i32 s3, 24
	s_cbranch_scc1 .LBB18_1788
; %bb.1769:
	s_cmp_gt_i32 s3, 24
	s_cbranch_scc0 .LBB18_1777
; %bb.1770:
	v_and_b32_e32 v1, 0x7fffffff, v0
	s_mov_b32 s10, 0x47800000
	v_cmp_gt_u32_e32 vcc, s10, v1
	v_mov_b32_e32 v5, 0x80
	s_and_saveexec_b64 s[10:11], vcc
	s_cbranch_execz .LBB18_1776
; %bb.1771:
	s_mov_b32 s12, 0x37ffffff
	v_cmp_lt_u32_e32 vcc, s12, v1
	s_mov_b64 s[12:13], 0
                                        ; implicit-def: $vgpr1
	s_and_saveexec_b64 s[16:17], vcc
	s_xor_b64 s[16:17], exec, s[16:17]
	s_cbranch_execz .LBB18_2217
; %bb.1772:
	v_bfe_u32 v1, v0, 21, 1
	s_mov_b32 s18, 0x88fffff
	v_add3_u32 v1, v0, v1, s18
	s_mov_b64 s[12:13], exec
	v_lshrrev_b32_e32 v1, 21, v1
	s_andn2_saveexec_b64 s[16:17], s[16:17]
	s_cbranch_execnz .LBB18_2218
.LBB18_1773:
	s_or_b64 exec, exec, s[16:17]
	v_mov_b32_e32 v5, 0
	s_and_saveexec_b64 s[16:17], s[12:13]
.LBB18_1774:
	v_lshrrev_b32_e32 v5, 24, v0
	s_movk_i32 s12, 0x80
	v_and_or_b32 v5, v5, s12, v1
.LBB18_1775:
	s_or_b64 exec, exec, s[16:17]
.LBB18_1776:
	s_or_b64 exec, exec, s[10:11]
	s_mov_b64 s[10:11], 0
	global_store_byte v[7:8], v5, off
.LBB18_1777:
	s_and_b64 vcc, exec, s[10:11]
	s_cbranch_vccz .LBB18_1787
; %bb.1778:
	v_and_b32_e32 v5, 0x7fffffff, v0
	s_mov_b32 s10, 0x43f00000
	v_cmp_gt_u32_e32 vcc, s10, v5
                                        ; implicit-def: $vgpr1
	s_and_saveexec_b64 s[10:11], vcc
	s_xor_b64 s[10:11], exec, s[10:11]
	s_cbranch_execz .LBB18_1784
; %bb.1779:
	s_mov_b32 s12, 0x3c7fffff
	v_cmp_lt_u32_e32 vcc, s12, v5
                                        ; implicit-def: $vgpr1
	s_and_saveexec_b64 s[12:13], vcc
	s_xor_b64 s[12:13], exec, s[12:13]
; %bb.1780:
	v_bfe_u32 v1, v0, 20, 1
	s_mov_b32 s16, 0x407ffff
	v_add3_u32 v1, v0, v1, s16
	v_lshrrev_b32_e32 v5, 20, v1
	v_and_b32_e32 v1, 0xff00000, v1
	s_mov_b32 s16, 0x7f00000
	v_mov_b32_e32 v9, 0x7e
	v_cmp_ne_u32_e32 vcc, s16, v1
	v_cndmask_b32_e32 v1, v9, v5, vcc
; %bb.1781:
	s_andn2_saveexec_b64 s[12:13], s[12:13]
; %bb.1782:
	s_mov_b32 s16, 0x46800000
	v_add_f32_e64 v1, |v0|, s16
; %bb.1783:
	s_or_b64 exec, exec, s[12:13]
                                        ; implicit-def: $vgpr5
.LBB18_1784:
	s_andn2_saveexec_b64 s[10:11], s[10:11]
; %bb.1785:
	s_mov_b32 s12, 0x7f800000
	v_mov_b32_e32 v1, 0x7e
	v_mov_b32_e32 v9, 0x7f
	v_cmp_lt_u32_e32 vcc, s12, v5
	v_cndmask_b32_e32 v1, v1, v9, vcc
; %bb.1786:
	s_or_b64 exec, exec, s[10:11]
	v_lshrrev_b32_e32 v5, 24, v0
	s_movk_i32 s10, 0x80
	v_and_or_b32 v1, v5, s10, v1
	global_store_byte v[7:8], v1, off
.LBB18_1787:
	s_mov_b64 s[10:11], 0
.LBB18_1788:
	s_andn2_b64 vcc, exec, s[10:11]
	s_cbranch_vccnz .LBB18_1798
; %bb.1789:
	v_and_b32_e32 v5, 0x7fffffff, v0
	s_mov_b32 s10, 0x47800000
	v_cmp_gt_u32_e32 vcc, s10, v5
                                        ; implicit-def: $vgpr1
	s_and_saveexec_b64 s[10:11], vcc
	s_xor_b64 s[10:11], exec, s[10:11]
	s_cbranch_execz .LBB18_1795
; %bb.1790:
	s_mov_b32 s12, 0x387fffff
	v_cmp_lt_u32_e32 vcc, s12, v5
                                        ; implicit-def: $vgpr1
	s_and_saveexec_b64 s[12:13], vcc
	s_xor_b64 s[12:13], exec, s[12:13]
; %bb.1791:
	v_bfe_u32 v1, v0, 21, 1
	s_mov_b32 s16, 0x80fffff
	v_add3_u32 v1, v0, v1, s16
	v_lshrrev_b32_e32 v1, 21, v1
; %bb.1792:
	s_andn2_saveexec_b64 s[12:13], s[12:13]
; %bb.1793:
	s_mov_b32 s16, 0x43000000
	v_add_f32_e64 v1, |v0|, s16
; %bb.1794:
	s_or_b64 exec, exec, s[12:13]
                                        ; implicit-def: $vgpr5
.LBB18_1795:
	s_andn2_saveexec_b64 s[10:11], s[10:11]
; %bb.1796:
	s_mov_b32 s12, 0x7f800000
	v_mov_b32_e32 v1, 0x7c
	v_mov_b32_e32 v9, 0x7f
	v_cmp_lt_u32_e32 vcc, s12, v5
	v_cndmask_b32_e32 v1, v1, v9, vcc
; %bb.1797:
	s_or_b64 exec, exec, s[10:11]
	v_lshrrev_b32_e32 v5, 24, v0
	s_movk_i32 s10, 0x80
	v_and_or_b32 v1, v5, s10, v1
	global_store_byte v[7:8], v1, off
.LBB18_1798:
	s_mov_b64 s[10:11], 0
	s_mov_b64 s[12:13], -1
.LBB18_1799:
	s_andn2_b64 vcc, exec, s[10:11]
	s_mov_b64 s[10:11], 0
	s_cbranch_vccnz .LBB18_1806
; %bb.1800:
	s_cmp_gt_i32 s3, 14
	s_mov_b64 s[16:17], -1
	s_cbranch_scc0 .LBB18_1804
; %bb.1801:
	s_cmp_eq_u32 s3, 15
	s_mov_b64 s[0:1], -1
	s_cbranch_scc0 .LBB18_1803
; %bb.1802:
	v_bfe_u32 v1, v0, 16, 1
	s_movk_i32 s0, 0x7fff
	v_add3_u32 v1, v0, v1, s0
	v_cmp_o_f32_e32 vcc, v0, v0
	v_mov_b32_e32 v5, 0x7fc0
	v_cndmask_b32_sdwa v1, v5, v1, vcc dst_sel:DWORD dst_unused:UNUSED_PAD src0_sel:DWORD src1_sel:WORD_1
	global_store_short v[7:8], v1, off
	s_mov_b64 s[0:1], 0
	s_mov_b64 s[12:13], -1
.LBB18_1803:
	s_mov_b64 s[16:17], 0
.LBB18_1804:
	s_and_b64 vcc, exec, s[16:17]
	s_cbranch_vccz .LBB18_1806
; %bb.1805:
	s_cmp_lg_u32 s3, 11
	s_mov_b64 s[10:11], -1
	s_cselect_b64 s[0:1], -1, 0
.LBB18_1806:
	s_and_b64 vcc, exec, s[0:1]
	s_cbranch_vccnz .LBB18_2216
; %bb.1807:
	s_andn2_b64 vcc, exec, s[10:11]
	s_cbranch_vccnz .LBB18_1809
.LBB18_1808:
	v_cmp_neq_f32_e32 vcc, 0, v0
	v_cndmask_b32_e64 v1, 0, 1, vcc
	s_mov_b64 s[12:13], -1
	global_store_byte v[7:8], v1, off
.LBB18_1809:
	s_mov_b64 s[0:1], 0
	s_branch .LBB18_1857
.LBB18_1810:
	s_mov_b64 s[0:1], 0
                                        ; implicit-def: $sgpr20
                                        ; implicit-def: $vgpr0_vgpr1
                                        ; implicit-def: $vgpr6
.LBB18_1811:
	s_mov_b64 s[2:3], 0
.LBB18_1812:
	s_and_b64 s[12:13], s[2:3], exec
	s_andn2_b64 s[2:3], s[6:7], exec
	s_and_b64 s[6:7], s[14:15], exec
	s_and_b64 s[0:1], s[0:1], exec
	s_or_b64 s[6:7], s[2:3], s[6:7]
.LBB18_1813:
	s_or_b64 exec, exec, s[4:5]
	s_and_saveexec_b64 s[2:3], s[6:7]
	s_cbranch_execz .LBB18_1816
; %bb.1814:
	; divergent unreachable
	s_or_b64 exec, exec, s[2:3]
	s_and_saveexec_b64 s[2:3], s[12:13]
	s_xor_b64 s[2:3], exec, s[2:3]
	s_cbranch_execnz .LBB18_1817
.LBB18_1815:
	s_or_b64 exec, exec, s[2:3]
	s_and_saveexec_b64 s[2:3], s[0:1]
	s_cbranch_execnz .LBB18_1818
	s_branch .LBB18_1855
.LBB18_1816:
	s_or_b64 exec, exec, s[2:3]
	s_and_saveexec_b64 s[2:3], s[12:13]
	s_xor_b64 s[2:3], exec, s[2:3]
	s_cbranch_execz .LBB18_1815
.LBB18_1817:
	s_waitcnt vmcnt(0)
	v_cmp_neq_f32_e32 vcc, 0, v6
	v_cndmask_b32_e64 v2, 0, 1, vcc
	global_store_byte v[0:1], v2, off
	s_or_b64 exec, exec, s[2:3]
	s_and_saveexec_b64 s[2:3], s[0:1]
	s_cbranch_execz .LBB18_1855
.LBB18_1818:
	s_sext_i32_i16 s2, s20
	s_cmp_lt_i32 s2, 5
	s_mov_b64 s[0:1], -1
	s_cbranch_scc1 .LBB18_1839
; %bb.1819:
	s_cmp_lt_i32 s2, 8
	s_cbranch_scc1 .LBB18_1829
; %bb.1820:
	s_cmp_lt_i32 s2, 9
	s_cbranch_scc1 .LBB18_1826
; %bb.1821:
	s_cmp_gt_i32 s2, 9
	s_cbranch_scc0 .LBB18_1823
; %bb.1822:
	s_waitcnt vmcnt(0)
	v_cvt_f64_f32_e32 v[2:3], v6
	v_mov_b32_e32 v4, 0
	v_mov_b32_e32 v5, v4
	s_mov_b64 s[0:1], 0
	global_store_dwordx4 v[0:1], v[2:5], off
.LBB18_1823:
	s_andn2_b64 vcc, exec, s[0:1]
	s_cbranch_vccnz .LBB18_1825
; %bb.1824:
	s_waitcnt vmcnt(0)
	v_mov_b32_e32 v7, 0
	global_store_dwordx2 v[0:1], v[6:7], off
.LBB18_1825:
	s_mov_b64 s[0:1], 0
.LBB18_1826:
	s_andn2_b64 vcc, exec, s[0:1]
	s_cbranch_vccnz .LBB18_1828
; %bb.1827:
	s_waitcnt vmcnt(0)
	v_cvt_f16_f32_e32 v2, v6
	global_store_dword v[0:1], v2, off
.LBB18_1828:
	s_mov_b64 s[0:1], 0
.LBB18_1829:
	s_andn2_b64 vcc, exec, s[0:1]
	s_cbranch_vccnz .LBB18_1838
; %bb.1830:
	s_sext_i32_i16 s2, s20
	s_cmp_lt_i32 s2, 6
	s_mov_b64 s[0:1], -1
	s_cbranch_scc1 .LBB18_1836
; %bb.1831:
	s_cmp_gt_i32 s2, 6
	s_cbranch_scc0 .LBB18_1833
; %bb.1832:
	s_waitcnt vmcnt(0)
	v_cvt_f64_f32_e32 v[2:3], v6
	s_mov_b64 s[0:1], 0
	global_store_dwordx2 v[0:1], v[2:3], off
.LBB18_1833:
	s_andn2_b64 vcc, exec, s[0:1]
	s_cbranch_vccnz .LBB18_1835
; %bb.1834:
	s_waitcnt vmcnt(0)
	global_store_dword v[0:1], v6, off
.LBB18_1835:
	s_mov_b64 s[0:1], 0
.LBB18_1836:
	s_andn2_b64 vcc, exec, s[0:1]
	s_cbranch_vccnz .LBB18_1838
; %bb.1837:
	s_waitcnt vmcnt(0)
	v_cvt_f16_f32_e32 v2, v6
	global_store_short v[0:1], v2, off
.LBB18_1838:
	s_mov_b64 s[0:1], 0
.LBB18_1839:
	s_andn2_b64 vcc, exec, s[0:1]
	s_cbranch_vccnz .LBB18_1855
; %bb.1840:
	s_sext_i32_i16 s2, s20
	s_cmp_lt_i32 s2, 2
	s_mov_b64 s[0:1], -1
	s_cbranch_scc1 .LBB18_1850
; %bb.1841:
	s_cmp_lt_i32 s2, 3
	s_cbranch_scc1 .LBB18_1847
; %bb.1842:
	s_cmp_gt_i32 s2, 3
	s_cbranch_scc0 .LBB18_1844
; %bb.1843:
	s_waitcnt vmcnt(0)
	v_trunc_f32_e32 v2, v6
	s_mov_b32 s0, 0x2f800000
	v_mul_f32_e64 v3, |v2|, s0
	v_floor_f32_e32 v3, v3
	s_mov_b32 s0, 0xcf800000
	v_cvt_u32_f32_e32 v4, v3
	v_fma_f32 v3, v3, s0, |v2|
	v_cvt_u32_f32_e32 v3, v3
	v_ashrrev_i32_e32 v5, 31, v2
	v_xor_b32_e32 v4, v4, v5
	s_mov_b64 s[0:1], 0
	v_xor_b32_e32 v2, v3, v5
	v_sub_co_u32_e32 v2, vcc, v2, v5
	v_subb_co_u32_e32 v3, vcc, v4, v5, vcc
	global_store_dwordx2 v[0:1], v[2:3], off
.LBB18_1844:
	s_andn2_b64 vcc, exec, s[0:1]
	s_cbranch_vccnz .LBB18_1846
; %bb.1845:
	s_waitcnt vmcnt(0)
	v_cvt_i32_f32_e32 v2, v6
	global_store_dword v[0:1], v2, off
.LBB18_1846:
	s_mov_b64 s[0:1], 0
.LBB18_1847:
	s_andn2_b64 vcc, exec, s[0:1]
	s_cbranch_vccnz .LBB18_1849
; %bb.1848:
	s_waitcnt vmcnt(0)
	v_cvt_i32_f32_e32 v2, v6
	global_store_short v[0:1], v2, off
.LBB18_1849:
	s_mov_b64 s[0:1], 0
.LBB18_1850:
	s_andn2_b64 vcc, exec, s[0:1]
	s_cbranch_vccnz .LBB18_1855
; %bb.1851:
	s_sext_i32_i16 s0, s20
	s_cmp_gt_i32 s0, 0
	s_mov_b64 s[0:1], -1
	s_cbranch_scc0 .LBB18_1853
; %bb.1852:
	s_waitcnt vmcnt(0)
	v_cvt_i32_f32_e32 v2, v6
	s_mov_b64 s[0:1], 0
	global_store_byte v[0:1], v2, off
.LBB18_1853:
	s_andn2_b64 vcc, exec, s[0:1]
	s_cbranch_vccnz .LBB18_1855
; %bb.1854:
	s_waitcnt vmcnt(0)
	v_trunc_f32_e32 v2, v6
	s_mov_b32 s0, 0x2f800000
	v_mul_f32_e64 v3, |v2|, s0
	v_floor_f32_e32 v3, v3
	s_mov_b32 s0, 0xcf800000
	v_fma_f32 v3, v3, s0, |v2|
	v_cvt_u32_f32_e32 v3, v3
	v_ashrrev_i32_e32 v2, 31, v2
	v_xor_b32_e32 v3, v3, v2
	v_sub_u32_e32 v2, v3, v2
	global_store_byte v[0:1], v2, off
	s_endpgm
.LBB18_1855:
	s_endpgm
.LBB18_1856:
	s_mov_b64 s[0:1], -1
	s_mov_b64 s[12:13], 0
.LBB18_1857:
	s_and_b64 vcc, exec, s[0:1]
	s_cbranch_vccz .LBB18_1896
; %bb.1858:
	s_and_b32 s3, 0xffff, s20
	s_cmp_lt_i32 s3, 5
	s_mov_b64 s[0:1], -1
	s_cbranch_scc1 .LBB18_1879
; %bb.1859:
	s_cmp_lt_i32 s3, 8
	s_cbranch_scc1 .LBB18_1869
; %bb.1860:
	s_cmp_lt_i32 s3, 9
	s_cbranch_scc1 .LBB18_1866
; %bb.1861:
	s_cmp_gt_i32 s3, 9
	s_cbranch_scc0 .LBB18_1863
; %bb.1862:
	v_cvt_f64_f32_e32 v[9:10], v0
	v_mov_b32_e32 v11, 0
	v_mov_b32_e32 v12, v11
	s_mov_b64 s[0:1], 0
	global_store_dwordx4 v[7:8], v[9:12], off
.LBB18_1863:
	s_andn2_b64 vcc, exec, s[0:1]
	s_cbranch_vccnz .LBB18_1865
; %bb.1864:
	v_mov_b32_e32 v1, 0
	global_store_dwordx2 v[7:8], v[0:1], off
.LBB18_1865:
	s_mov_b64 s[0:1], 0
.LBB18_1866:
	s_andn2_b64 vcc, exec, s[0:1]
	s_cbranch_vccnz .LBB18_1868
; %bb.1867:
	v_cvt_f16_f32_e32 v1, v0
	global_store_dword v[7:8], v1, off
.LBB18_1868:
	s_mov_b64 s[0:1], 0
.LBB18_1869:
	s_andn2_b64 vcc, exec, s[0:1]
	s_cbranch_vccnz .LBB18_1878
; %bb.1870:
	s_cmp_lt_i32 s3, 6
	s_mov_b64 s[0:1], -1
	s_cbranch_scc1 .LBB18_1876
; %bb.1871:
	s_cmp_gt_i32 s3, 6
	s_cbranch_scc0 .LBB18_1873
; %bb.1872:
	v_cvt_f64_f32_e32 v[9:10], v0
	s_mov_b64 s[0:1], 0
	global_store_dwordx2 v[7:8], v[9:10], off
.LBB18_1873:
	s_andn2_b64 vcc, exec, s[0:1]
	s_cbranch_vccnz .LBB18_1875
; %bb.1874:
	global_store_dword v[7:8], v0, off
.LBB18_1875:
	s_mov_b64 s[0:1], 0
.LBB18_1876:
	s_andn2_b64 vcc, exec, s[0:1]
	s_cbranch_vccnz .LBB18_1878
; %bb.1877:
	v_cvt_f16_f32_e32 v1, v0
	global_store_short v[7:8], v1, off
.LBB18_1878:
	s_mov_b64 s[0:1], 0
.LBB18_1879:
	s_andn2_b64 vcc, exec, s[0:1]
	s_cbranch_vccnz .LBB18_1895
; %bb.1880:
	s_cmp_lt_i32 s3, 2
	s_mov_b64 s[0:1], -1
	s_cbranch_scc1 .LBB18_1890
; %bb.1881:
	s_cmp_lt_i32 s3, 3
	s_cbranch_scc1 .LBB18_1887
; %bb.1882:
	s_cmp_gt_i32 s3, 3
	s_cbranch_scc0 .LBB18_1884
; %bb.1883:
	v_trunc_f32_e32 v1, v0
	s_mov_b32 s0, 0x2f800000
	v_mul_f32_e64 v5, |v1|, s0
	v_floor_f32_e32 v5, v5
	s_mov_b32 s0, 0xcf800000
	v_cvt_u32_f32_e32 v9, v5
	v_fma_f32 v5, v5, s0, |v1|
	v_cvt_u32_f32_e32 v5, v5
	v_ashrrev_i32_e32 v1, 31, v1
	v_xor_b32_e32 v10, v9, v1
	s_mov_b64 s[0:1], 0
	v_xor_b32_e32 v5, v5, v1
	v_sub_co_u32_e32 v9, vcc, v5, v1
	v_subb_co_u32_e32 v10, vcc, v10, v1, vcc
	global_store_dwordx2 v[7:8], v[9:10], off
.LBB18_1884:
	s_andn2_b64 vcc, exec, s[0:1]
	s_cbranch_vccnz .LBB18_1886
; %bb.1885:
	v_cvt_i32_f32_e32 v1, v0
	global_store_dword v[7:8], v1, off
.LBB18_1886:
	s_mov_b64 s[0:1], 0
.LBB18_1887:
	s_andn2_b64 vcc, exec, s[0:1]
	s_cbranch_vccnz .LBB18_1889
; %bb.1888:
	v_cvt_i32_f32_e32 v1, v0
	global_store_short v[7:8], v1, off
.LBB18_1889:
	s_mov_b64 s[0:1], 0
.LBB18_1890:
	s_andn2_b64 vcc, exec, s[0:1]
	s_cbranch_vccnz .LBB18_1895
; %bb.1891:
	s_cmp_gt_i32 s3, 0
	s_mov_b64 s[0:1], -1
	s_cbranch_scc0 .LBB18_1893
; %bb.1892:
	v_cvt_i32_f32_e32 v1, v0
	s_mov_b64 s[0:1], 0
	global_store_byte v[7:8], v1, off
.LBB18_1893:
	s_andn2_b64 vcc, exec, s[0:1]
	s_cbranch_vccnz .LBB18_1895
; %bb.1894:
	v_trunc_f32_e32 v0, v0
	s_mov_b32 s0, 0x2f800000
	v_mul_f32_e64 v1, |v0|, s0
	v_floor_f32_e32 v1, v1
	s_mov_b32 s0, 0xcf800000
	v_fma_f32 v1, v1, s0, |v0|
	v_cvt_u32_f32_e32 v1, v1
	v_ashrrev_i32_e32 v0, 31, v0
	v_xor_b32_e32 v1, v1, v0
	v_sub_u32_e32 v0, v1, v0
	global_store_byte v[7:8], v0, off
.LBB18_1895:
	s_mov_b64 s[12:13], -1
.LBB18_1896:
	s_andn2_b64 vcc, exec, s[12:13]
	s_cbranch_vccnz .LBB18_2211
; %bb.1897:
	s_lshl_b32 s18, s2, 7
	v_add_u32_e32 v5, s18, v3
	v_ashrrev_i32_e32 v1, 31, v5
	v_mov_b32_e32 v3, s9
	v_add_co_u32_e32 v0, vcc, s8, v5
	s_cmp_lt_i32 s20, 11
	v_addc_co_u32_e32 v1, vcc, v3, v1, vcc
	s_cbranch_scc1 .LBB18_1975
; %bb.1898:
	s_and_b32 s19, 0xffff, s20
	s_mov_b64 s[12:13], -1
	s_mov_b64 s[2:3], 0
	s_cmp_gt_i32 s19, 25
	s_mov_b64 s[10:11], 0
	s_mov_b64 s[0:1], 0
	s_cbranch_scc0 .LBB18_1931
; %bb.1899:
	s_cmp_gt_i32 s19, 28
	s_cbranch_scc0 .LBB18_1914
; %bb.1900:
	s_cmp_gt_i32 s19, 43
	;; [unrolled: 3-line block ×3, first 2 shown]
	s_cbranch_scc0 .LBB18_1904
; %bb.1902:
	s_mov_b64 s[0:1], -1
	s_mov_b64 s[12:13], 0
	s_cmp_eq_u32 s19, 46
	s_cbranch_scc0 .LBB18_1904
; %bb.1903:
	v_bfe_u32 v3, v2, 16, 1
	s_movk_i32 s0, 0x7fff
	v_add3_u32 v3, v2, v3, s0
	v_cmp_o_f32_e32 vcc, v2, v2
	v_mov_b32_e32 v7, 0x7fc0
	v_cndmask_b32_sdwa v3, v7, v3, vcc dst_sel:DWORD dst_unused:UNUSED_PAD src0_sel:DWORD src1_sel:WORD_1
	global_store_dword v[0:1], v3, off
	s_mov_b64 s[0:1], 0
	s_mov_b64 s[10:11], -1
.LBB18_1904:
	s_and_b64 vcc, exec, s[12:13]
	s_cbranch_vccz .LBB18_1909
; %bb.1905:
	s_cmp_eq_u32 s19, 44
	s_mov_b64 s[0:1], -1
	s_cbranch_scc0 .LBB18_1909
; %bb.1906:
	v_bfe_u32 v3, v2, 23, 8
	s_movk_i32 s0, 0xff
	v_cmp_ne_u32_e32 vcc, s0, v3
	v_mov_b32_e32 v7, 0xff
	s_and_saveexec_b64 s[10:11], vcc
; %bb.1907:
	s_mov_b32 s0, 0x3fffff
	v_and_b32_e32 v8, 0x400000, v2
	v_and_or_b32 v3, v2, s0, v3
	v_cmp_ne_u32_e32 vcc, 0, v8
	v_cmp_ne_u32_e64 s[0:1], 0, v3
	s_and_b64 s[0:1], vcc, s[0:1]
	v_lshrrev_b32_e32 v7, 23, v2
	v_cndmask_b32_e64 v3, 0, 1, s[0:1]
	v_add_u32_e32 v7, v7, v3
; %bb.1908:
	s_or_b64 exec, exec, s[10:11]
	s_mov_b64 s[0:1], 0
	s_mov_b64 s[10:11], -1
	global_store_byte v[0:1], v7, off
.LBB18_1909:
	s_mov_b64 s[12:13], 0
.LBB18_1910:
	s_and_b64 vcc, exec, s[12:13]
	s_cbranch_vccz .LBB18_1913
; %bb.1911:
	s_cmp_eq_u32 s19, 29
	s_mov_b64 s[0:1], -1
	s_cbranch_scc0 .LBB18_1913
; %bb.1912:
	v_trunc_f32_e32 v3, v2
	v_mul_f32_e32 v7, 0x2f800000, v3
	v_floor_f32_e32 v7, v7
	v_fmac_f32_e32 v3, 0xcf800000, v7
	v_cvt_u32_f32_e32 v8, v7
	v_cvt_u32_f32_e32 v7, v3
	s_mov_b64 s[0:1], 0
	s_mov_b64 s[10:11], -1
	global_store_dwordx2 v[0:1], v[7:8], off
.LBB18_1913:
	s_mov_b64 s[12:13], 0
.LBB18_1914:
	s_and_b64 vcc, exec, s[12:13]
	s_cbranch_vccz .LBB18_1930
; %bb.1915:
	s_cmp_lt_i32 s19, 27
	s_mov_b64 s[10:11], -1
	s_cbranch_scc1 .LBB18_1921
; %bb.1916:
	v_cvt_u32_f32_e32 v3, v2
	s_cmp_gt_i32 s19, 27
	s_cbranch_scc0 .LBB18_1918
; %bb.1917:
	s_mov_b64 s[10:11], 0
	global_store_dword v[0:1], v3, off
.LBB18_1918:
	s_andn2_b64 vcc, exec, s[10:11]
	s_cbranch_vccnz .LBB18_1920
; %bb.1919:
	global_store_short v[0:1], v3, off
.LBB18_1920:
	s_mov_b64 s[10:11], 0
.LBB18_1921:
	s_andn2_b64 vcc, exec, s[10:11]
	s_cbranch_vccnz .LBB18_1929
; %bb.1922:
	v_and_b32_e32 v3, 0x7fffffff, v2
	s_mov_b32 s10, 0x43800000
	v_cmp_gt_u32_e32 vcc, s10, v3
	v_mov_b32_e32 v7, 0x80
	s_and_saveexec_b64 s[10:11], vcc
	s_cbranch_execz .LBB18_1928
; %bb.1923:
	s_mov_b32 s12, 0x3bffffff
	v_cmp_lt_u32_e32 vcc, s12, v3
	s_mov_b64 s[12:13], 0
                                        ; implicit-def: $vgpr3
	s_and_saveexec_b64 s[16:17], vcc
	s_xor_b64 s[16:17], exec, s[16:17]
	s_cbranch_execz .LBB18_2219
; %bb.1924:
	v_bfe_u32 v3, v2, 20, 1
	s_mov_b32 s21, 0x487ffff
	v_add3_u32 v3, v2, v3, s21
	s_mov_b64 s[12:13], exec
	v_lshrrev_b32_e32 v3, 20, v3
	s_andn2_saveexec_b64 s[16:17], s[16:17]
	s_cbranch_execnz .LBB18_2220
.LBB18_1925:
	s_or_b64 exec, exec, s[16:17]
	v_mov_b32_e32 v7, 0
	s_and_saveexec_b64 s[16:17], s[12:13]
.LBB18_1926:
	v_lshrrev_b32_e32 v7, 24, v2
	s_movk_i32 s12, 0x80
	v_and_or_b32 v7, v7, s12, v3
.LBB18_1927:
	s_or_b64 exec, exec, s[16:17]
.LBB18_1928:
	s_or_b64 exec, exec, s[10:11]
	global_store_byte v[0:1], v7, off
.LBB18_1929:
	s_mov_b64 s[10:11], -1
.LBB18_1930:
	s_mov_b64 s[12:13], 0
.LBB18_1931:
	s_and_b64 vcc, exec, s[12:13]
	s_cbranch_vccz .LBB18_1971
; %bb.1932:
	s_cmp_gt_i32 s19, 22
	s_mov_b64 s[2:3], -1
	s_cbranch_scc0 .LBB18_1964
; %bb.1933:
	s_cmp_lt_i32 s19, 24
	s_cbranch_scc1 .LBB18_1953
; %bb.1934:
	s_cmp_gt_i32 s19, 24
	s_cbranch_scc0 .LBB18_1942
; %bb.1935:
	v_and_b32_e32 v3, 0x7fffffff, v2
	s_mov_b32 s2, 0x47800000
	v_cmp_gt_u32_e32 vcc, s2, v3
	v_mov_b32_e32 v7, 0x80
	s_and_saveexec_b64 s[2:3], vcc
	s_cbranch_execz .LBB18_1941
; %bb.1936:
	s_mov_b32 s10, 0x37ffffff
	v_cmp_lt_u32_e32 vcc, s10, v3
	s_mov_b64 s[10:11], 0
                                        ; implicit-def: $vgpr3
	s_and_saveexec_b64 s[12:13], vcc
	s_xor_b64 s[12:13], exec, s[12:13]
	s_cbranch_execz .LBB18_2222
; %bb.1937:
	v_bfe_u32 v3, v2, 21, 1
	s_mov_b32 s16, 0x88fffff
	v_add3_u32 v3, v2, v3, s16
	s_mov_b64 s[10:11], exec
	v_lshrrev_b32_e32 v3, 21, v3
	s_andn2_saveexec_b64 s[12:13], s[12:13]
	s_cbranch_execnz .LBB18_2223
.LBB18_1938:
	s_or_b64 exec, exec, s[12:13]
	v_mov_b32_e32 v7, 0
	s_and_saveexec_b64 s[12:13], s[10:11]
.LBB18_1939:
	v_lshrrev_b32_e32 v7, 24, v2
	s_movk_i32 s10, 0x80
	v_and_or_b32 v7, v7, s10, v3
.LBB18_1940:
	s_or_b64 exec, exec, s[12:13]
.LBB18_1941:
	s_or_b64 exec, exec, s[2:3]
	s_mov_b64 s[2:3], 0
	global_store_byte v[0:1], v7, off
.LBB18_1942:
	s_and_b64 vcc, exec, s[2:3]
	s_cbranch_vccz .LBB18_1952
; %bb.1943:
	v_and_b32_e32 v7, 0x7fffffff, v2
	s_mov_b32 s2, 0x43f00000
	v_cmp_gt_u32_e32 vcc, s2, v7
                                        ; implicit-def: $vgpr3
	s_and_saveexec_b64 s[2:3], vcc
	s_xor_b64 s[2:3], exec, s[2:3]
	s_cbranch_execz .LBB18_1949
; %bb.1944:
	s_mov_b32 s10, 0x3c7fffff
	v_cmp_lt_u32_e32 vcc, s10, v7
                                        ; implicit-def: $vgpr3
	s_and_saveexec_b64 s[10:11], vcc
	s_xor_b64 s[10:11], exec, s[10:11]
; %bb.1945:
	v_bfe_u32 v3, v2, 20, 1
	s_mov_b32 s12, 0x407ffff
	v_add3_u32 v3, v2, v3, s12
	v_lshrrev_b32_e32 v7, 20, v3
	v_and_b32_e32 v3, 0xff00000, v3
	s_mov_b32 s12, 0x7f00000
	v_mov_b32_e32 v8, 0x7e
	v_cmp_ne_u32_e32 vcc, s12, v3
	v_cndmask_b32_e32 v3, v8, v7, vcc
; %bb.1946:
	s_andn2_saveexec_b64 s[10:11], s[10:11]
; %bb.1947:
	s_mov_b32 s12, 0x46800000
	v_add_f32_e64 v3, |v2|, s12
; %bb.1948:
	s_or_b64 exec, exec, s[10:11]
                                        ; implicit-def: $vgpr7
.LBB18_1949:
	s_andn2_saveexec_b64 s[2:3], s[2:3]
; %bb.1950:
	s_mov_b32 s10, 0x7f800000
	v_mov_b32_e32 v3, 0x7e
	v_mov_b32_e32 v8, 0x7f
	v_cmp_lt_u32_e32 vcc, s10, v7
	v_cndmask_b32_e32 v3, v3, v8, vcc
; %bb.1951:
	s_or_b64 exec, exec, s[2:3]
	v_lshrrev_b32_e32 v7, 24, v2
	s_movk_i32 s2, 0x80
	v_and_or_b32 v3, v7, s2, v3
	global_store_byte v[0:1], v3, off
.LBB18_1952:
	s_mov_b64 s[2:3], 0
.LBB18_1953:
	s_andn2_b64 vcc, exec, s[2:3]
	s_cbranch_vccnz .LBB18_1963
; %bb.1954:
	v_and_b32_e32 v7, 0x7fffffff, v2
	s_mov_b32 s2, 0x47800000
	v_cmp_gt_u32_e32 vcc, s2, v7
                                        ; implicit-def: $vgpr3
	s_and_saveexec_b64 s[2:3], vcc
	s_xor_b64 s[2:3], exec, s[2:3]
	s_cbranch_execz .LBB18_1960
; %bb.1955:
	s_mov_b32 s10, 0x387fffff
	v_cmp_lt_u32_e32 vcc, s10, v7
                                        ; implicit-def: $vgpr3
	s_and_saveexec_b64 s[10:11], vcc
	s_xor_b64 s[10:11], exec, s[10:11]
; %bb.1956:
	v_bfe_u32 v3, v2, 21, 1
	s_mov_b32 s12, 0x80fffff
	v_add3_u32 v3, v2, v3, s12
	v_lshrrev_b32_e32 v3, 21, v3
; %bb.1957:
	s_andn2_saveexec_b64 s[10:11], s[10:11]
; %bb.1958:
	s_mov_b32 s12, 0x43000000
	v_add_f32_e64 v3, |v2|, s12
; %bb.1959:
	s_or_b64 exec, exec, s[10:11]
                                        ; implicit-def: $vgpr7
.LBB18_1960:
	s_andn2_saveexec_b64 s[2:3], s[2:3]
; %bb.1961:
	s_mov_b32 s10, 0x7f800000
	v_mov_b32_e32 v3, 0x7c
	v_mov_b32_e32 v8, 0x7f
	v_cmp_lt_u32_e32 vcc, s10, v7
	v_cndmask_b32_e32 v3, v3, v8, vcc
; %bb.1962:
	s_or_b64 exec, exec, s[2:3]
	v_lshrrev_b32_e32 v7, 24, v2
	s_movk_i32 s2, 0x80
	v_and_or_b32 v3, v7, s2, v3
	global_store_byte v[0:1], v3, off
.LBB18_1963:
	s_mov_b64 s[2:3], 0
	s_mov_b64 s[10:11], -1
.LBB18_1964:
	s_andn2_b64 vcc, exec, s[2:3]
	s_mov_b64 s[2:3], 0
	s_cbranch_vccnz .LBB18_1971
; %bb.1965:
	s_cmp_gt_i32 s19, 14
	s_mov_b64 s[12:13], -1
	s_cbranch_scc0 .LBB18_1969
; %bb.1966:
	s_cmp_eq_u32 s19, 15
	s_mov_b64 s[0:1], -1
	s_cbranch_scc0 .LBB18_1968
; %bb.1967:
	v_bfe_u32 v3, v2, 16, 1
	s_movk_i32 s0, 0x7fff
	v_add3_u32 v3, v2, v3, s0
	v_cmp_o_f32_e32 vcc, v2, v2
	v_mov_b32_e32 v7, 0x7fc0
	v_cndmask_b32_sdwa v3, v7, v3, vcc dst_sel:DWORD dst_unused:UNUSED_PAD src0_sel:DWORD src1_sel:WORD_1
	global_store_short v[0:1], v3, off
	s_mov_b64 s[0:1], 0
	s_mov_b64 s[10:11], -1
.LBB18_1968:
	s_mov_b64 s[12:13], 0
.LBB18_1969:
	s_and_b64 vcc, exec, s[12:13]
	s_cbranch_vccz .LBB18_1971
; %bb.1970:
	s_cmp_lg_u32 s19, 11
	s_mov_b64 s[2:3], -1
	s_cselect_b64 s[0:1], -1, 0
.LBB18_1971:
	s_and_b64 vcc, exec, s[0:1]
	s_cbranch_vccnz .LBB18_2221
; %bb.1972:
	s_andn2_b64 vcc, exec, s[2:3]
	s_cbranch_vccnz .LBB18_1974
.LBB18_1973:
	v_cmp_neq_f32_e32 vcc, 0, v2
	v_cndmask_b32_e64 v3, 0, 1, vcc
	s_mov_b64 s[10:11], -1
	global_store_byte v[0:1], v3, off
.LBB18_1974:
	s_mov_b64 s[0:1], 0
	s_branch .LBB18_1976
.LBB18_1975:
	s_mov_b64 s[0:1], -1
	s_mov_b64 s[10:11], 0
.LBB18_1976:
	s_and_b64 vcc, exec, s[0:1]
	s_cbranch_vccz .LBB18_2015
; %bb.1977:
	s_and_b32 s2, 0xffff, s20
	s_cmp_lt_i32 s2, 5
	s_mov_b64 s[0:1], -1
	s_cbranch_scc1 .LBB18_1998
; %bb.1978:
	s_cmp_lt_i32 s2, 8
	s_cbranch_scc1 .LBB18_1988
; %bb.1979:
	s_cmp_lt_i32 s2, 9
	s_cbranch_scc1 .LBB18_1985
; %bb.1980:
	s_cmp_gt_i32 s2, 9
	s_cbranch_scc0 .LBB18_1982
; %bb.1981:
	v_cvt_f64_f32_e32 v[7:8], v2
	v_mov_b32_e32 v9, 0
	v_mov_b32_e32 v10, v9
	s_mov_b64 s[0:1], 0
	global_store_dwordx4 v[0:1], v[7:10], off
.LBB18_1982:
	s_andn2_b64 vcc, exec, s[0:1]
	s_cbranch_vccnz .LBB18_1984
; %bb.1983:
	v_mov_b32_e32 v3, 0
	global_store_dwordx2 v[0:1], v[2:3], off
.LBB18_1984:
	s_mov_b64 s[0:1], 0
.LBB18_1985:
	s_andn2_b64 vcc, exec, s[0:1]
	s_cbranch_vccnz .LBB18_1987
; %bb.1986:
	v_cvt_f16_f32_e32 v3, v2
	global_store_dword v[0:1], v3, off
.LBB18_1987:
	s_mov_b64 s[0:1], 0
.LBB18_1988:
	s_andn2_b64 vcc, exec, s[0:1]
	s_cbranch_vccnz .LBB18_1997
; %bb.1989:
	s_cmp_lt_i32 s2, 6
	s_mov_b64 s[0:1], -1
	s_cbranch_scc1 .LBB18_1995
; %bb.1990:
	s_cmp_gt_i32 s2, 6
	s_cbranch_scc0 .LBB18_1992
; %bb.1991:
	v_cvt_f64_f32_e32 v[7:8], v2
	s_mov_b64 s[0:1], 0
	global_store_dwordx2 v[0:1], v[7:8], off
.LBB18_1992:
	s_andn2_b64 vcc, exec, s[0:1]
	s_cbranch_vccnz .LBB18_1994
; %bb.1993:
	global_store_dword v[0:1], v2, off
.LBB18_1994:
	s_mov_b64 s[0:1], 0
.LBB18_1995:
	s_andn2_b64 vcc, exec, s[0:1]
	s_cbranch_vccnz .LBB18_1997
; %bb.1996:
	v_cvt_f16_f32_e32 v3, v2
	global_store_short v[0:1], v3, off
.LBB18_1997:
	s_mov_b64 s[0:1], 0
.LBB18_1998:
	s_andn2_b64 vcc, exec, s[0:1]
	s_cbranch_vccnz .LBB18_2014
; %bb.1999:
	s_cmp_lt_i32 s2, 2
	s_mov_b64 s[0:1], -1
	s_cbranch_scc1 .LBB18_2009
; %bb.2000:
	s_cmp_lt_i32 s2, 3
	s_cbranch_scc1 .LBB18_2006
; %bb.2001:
	s_cmp_gt_i32 s2, 3
	s_cbranch_scc0 .LBB18_2003
; %bb.2002:
	v_trunc_f32_e32 v3, v2
	s_mov_b32 s0, 0x2f800000
	v_mul_f32_e64 v7, |v3|, s0
	v_floor_f32_e32 v7, v7
	s_mov_b32 s0, 0xcf800000
	v_cvt_u32_f32_e32 v8, v7
	v_fma_f32 v7, v7, s0, |v3|
	v_cvt_u32_f32_e32 v7, v7
	v_ashrrev_i32_e32 v3, 31, v3
	v_xor_b32_e32 v8, v8, v3
	s_mov_b64 s[0:1], 0
	v_xor_b32_e32 v7, v7, v3
	v_sub_co_u32_e32 v7, vcc, v7, v3
	v_subb_co_u32_e32 v8, vcc, v8, v3, vcc
	global_store_dwordx2 v[0:1], v[7:8], off
.LBB18_2003:
	s_andn2_b64 vcc, exec, s[0:1]
	s_cbranch_vccnz .LBB18_2005
; %bb.2004:
	v_cvt_i32_f32_e32 v3, v2
	global_store_dword v[0:1], v3, off
.LBB18_2005:
	s_mov_b64 s[0:1], 0
.LBB18_2006:
	s_andn2_b64 vcc, exec, s[0:1]
	s_cbranch_vccnz .LBB18_2008
; %bb.2007:
	v_cvt_i32_f32_e32 v3, v2
	global_store_short v[0:1], v3, off
.LBB18_2008:
	s_mov_b64 s[0:1], 0
.LBB18_2009:
	s_andn2_b64 vcc, exec, s[0:1]
	s_cbranch_vccnz .LBB18_2014
; %bb.2010:
	s_cmp_gt_i32 s2, 0
	s_mov_b64 s[0:1], -1
	s_cbranch_scc0 .LBB18_2012
; %bb.2011:
	v_cvt_i32_f32_e32 v3, v2
	s_mov_b64 s[0:1], 0
	global_store_byte v[0:1], v3, off
.LBB18_2012:
	s_andn2_b64 vcc, exec, s[0:1]
	s_cbranch_vccnz .LBB18_2014
; %bb.2013:
	v_trunc_f32_e32 v2, v2
	s_mov_b32 s0, 0x2f800000
	v_mul_f32_e64 v3, |v2|, s0
	v_floor_f32_e32 v3, v3
	s_mov_b32 s0, 0xcf800000
	v_fma_f32 v3, v3, s0, |v2|
	v_cvt_u32_f32_e32 v3, v3
	v_ashrrev_i32_e32 v2, 31, v2
	v_xor_b32_e32 v3, v3, v2
	v_sub_u32_e32 v2, v3, v2
	global_store_byte v[0:1], v2, off
.LBB18_2014:
	s_mov_b64 s[10:11], -1
.LBB18_2015:
	s_andn2_b64 vcc, exec, s[10:11]
	s_cbranch_vccnz .LBB18_2211
; %bb.2016:
	v_add_u32_e32 v2, s18, v5
	v_ashrrev_i32_e32 v1, 31, v2
	v_mov_b32_e32 v3, s9
	v_add_co_u32_e32 v0, vcc, s8, v2
	s_cmp_lt_i32 s20, 11
	v_addc_co_u32_e32 v1, vcc, v3, v1, vcc
	s_cbranch_scc1 .LBB18_2094
; %bb.2017:
	s_and_b32 s19, 0xffff, s20
	s_mov_b64 s[12:13], -1
	s_mov_b64 s[2:3], 0
	s_cmp_gt_i32 s19, 25
	s_mov_b64 s[10:11], 0
	s_mov_b64 s[0:1], 0
	s_cbranch_scc0 .LBB18_2050
; %bb.2018:
	s_cmp_gt_i32 s19, 28
	s_cbranch_scc0 .LBB18_2033
; %bb.2019:
	s_cmp_gt_i32 s19, 43
	;; [unrolled: 3-line block ×3, first 2 shown]
	s_cbranch_scc0 .LBB18_2023
; %bb.2021:
	s_mov_b64 s[0:1], -1
	s_mov_b64 s[12:13], 0
	s_cmp_eq_u32 s19, 46
	s_cbranch_scc0 .LBB18_2023
; %bb.2022:
	v_bfe_u32 v3, v4, 16, 1
	s_movk_i32 s0, 0x7fff
	v_add3_u32 v3, v4, v3, s0
	v_cmp_o_f32_e32 vcc, v4, v4
	v_mov_b32_e32 v5, 0x7fc0
	v_cndmask_b32_sdwa v3, v5, v3, vcc dst_sel:DWORD dst_unused:UNUSED_PAD src0_sel:DWORD src1_sel:WORD_1
	global_store_dword v[0:1], v3, off
	s_mov_b64 s[0:1], 0
	s_mov_b64 s[10:11], -1
.LBB18_2023:
	s_and_b64 vcc, exec, s[12:13]
	s_cbranch_vccz .LBB18_2028
; %bb.2024:
	s_cmp_eq_u32 s19, 44
	s_mov_b64 s[0:1], -1
	s_cbranch_scc0 .LBB18_2028
; %bb.2025:
	v_bfe_u32 v3, v4, 23, 8
	s_movk_i32 s0, 0xff
	v_cmp_ne_u32_e32 vcc, s0, v3
	v_mov_b32_e32 v5, 0xff
	s_and_saveexec_b64 s[10:11], vcc
; %bb.2026:
	s_mov_b32 s0, 0x3fffff
	v_and_b32_e32 v7, 0x400000, v4
	v_and_or_b32 v3, v4, s0, v3
	v_cmp_ne_u32_e32 vcc, 0, v7
	v_cmp_ne_u32_e64 s[0:1], 0, v3
	s_and_b64 s[0:1], vcc, s[0:1]
	v_lshrrev_b32_e32 v5, 23, v4
	v_cndmask_b32_e64 v3, 0, 1, s[0:1]
	v_add_u32_e32 v5, v5, v3
; %bb.2027:
	s_or_b64 exec, exec, s[10:11]
	s_mov_b64 s[0:1], 0
	s_mov_b64 s[10:11], -1
	global_store_byte v[0:1], v5, off
.LBB18_2028:
	s_mov_b64 s[12:13], 0
.LBB18_2029:
	s_and_b64 vcc, exec, s[12:13]
	s_cbranch_vccz .LBB18_2032
; %bb.2030:
	s_cmp_eq_u32 s19, 29
	s_mov_b64 s[0:1], -1
	s_cbranch_scc0 .LBB18_2032
; %bb.2031:
	v_trunc_f32_e32 v3, v4
	v_mul_f32_e32 v5, 0x2f800000, v3
	v_floor_f32_e32 v5, v5
	v_fmac_f32_e32 v3, 0xcf800000, v5
	v_cvt_u32_f32_e32 v8, v5
	v_cvt_u32_f32_e32 v7, v3
	s_mov_b64 s[0:1], 0
	s_mov_b64 s[10:11], -1
	global_store_dwordx2 v[0:1], v[7:8], off
.LBB18_2032:
	s_mov_b64 s[12:13], 0
.LBB18_2033:
	s_and_b64 vcc, exec, s[12:13]
	s_cbranch_vccz .LBB18_2049
; %bb.2034:
	s_cmp_lt_i32 s19, 27
	s_mov_b64 s[10:11], -1
	s_cbranch_scc1 .LBB18_2040
; %bb.2035:
	v_cvt_u32_f32_e32 v3, v4
	s_cmp_gt_i32 s19, 27
	s_cbranch_scc0 .LBB18_2037
; %bb.2036:
	s_mov_b64 s[10:11], 0
	global_store_dword v[0:1], v3, off
.LBB18_2037:
	s_andn2_b64 vcc, exec, s[10:11]
	s_cbranch_vccnz .LBB18_2039
; %bb.2038:
	global_store_short v[0:1], v3, off
.LBB18_2039:
	s_mov_b64 s[10:11], 0
.LBB18_2040:
	s_andn2_b64 vcc, exec, s[10:11]
	s_cbranch_vccnz .LBB18_2048
; %bb.2041:
	v_and_b32_e32 v3, 0x7fffffff, v4
	s_mov_b32 s10, 0x43800000
	v_cmp_gt_u32_e32 vcc, s10, v3
	v_mov_b32_e32 v5, 0x80
	s_and_saveexec_b64 s[10:11], vcc
	s_cbranch_execz .LBB18_2047
; %bb.2042:
	s_mov_b32 s12, 0x3bffffff
	v_cmp_lt_u32_e32 vcc, s12, v3
	s_mov_b64 s[12:13], 0
                                        ; implicit-def: $vgpr3
	s_and_saveexec_b64 s[16:17], vcc
	s_xor_b64 s[16:17], exec, s[16:17]
	s_cbranch_execz .LBB18_2224
; %bb.2043:
	v_bfe_u32 v3, v4, 20, 1
	s_mov_b32 s21, 0x487ffff
	v_add3_u32 v3, v4, v3, s21
	s_mov_b64 s[12:13], exec
	v_lshrrev_b32_e32 v3, 20, v3
	s_andn2_saveexec_b64 s[16:17], s[16:17]
	s_cbranch_execnz .LBB18_2225
.LBB18_2044:
	s_or_b64 exec, exec, s[16:17]
	v_mov_b32_e32 v5, 0
	s_and_saveexec_b64 s[16:17], s[12:13]
.LBB18_2045:
	v_lshrrev_b32_e32 v5, 24, v4
	s_movk_i32 s12, 0x80
	v_and_or_b32 v5, v5, s12, v3
.LBB18_2046:
	s_or_b64 exec, exec, s[16:17]
.LBB18_2047:
	s_or_b64 exec, exec, s[10:11]
	global_store_byte v[0:1], v5, off
.LBB18_2048:
	s_mov_b64 s[10:11], -1
.LBB18_2049:
	s_mov_b64 s[12:13], 0
.LBB18_2050:
	s_and_b64 vcc, exec, s[12:13]
	s_cbranch_vccz .LBB18_2090
; %bb.2051:
	s_cmp_gt_i32 s19, 22
	s_mov_b64 s[2:3], -1
	s_cbranch_scc0 .LBB18_2083
; %bb.2052:
	s_cmp_lt_i32 s19, 24
	s_cbranch_scc1 .LBB18_2072
; %bb.2053:
	s_cmp_gt_i32 s19, 24
	s_cbranch_scc0 .LBB18_2061
; %bb.2054:
	v_and_b32_e32 v3, 0x7fffffff, v4
	s_mov_b32 s2, 0x47800000
	v_cmp_gt_u32_e32 vcc, s2, v3
	v_mov_b32_e32 v5, 0x80
	s_and_saveexec_b64 s[2:3], vcc
	s_cbranch_execz .LBB18_2060
; %bb.2055:
	s_mov_b32 s10, 0x37ffffff
	v_cmp_lt_u32_e32 vcc, s10, v3
	s_mov_b64 s[10:11], 0
                                        ; implicit-def: $vgpr3
	s_and_saveexec_b64 s[12:13], vcc
	s_xor_b64 s[12:13], exec, s[12:13]
	s_cbranch_execz .LBB18_2227
; %bb.2056:
	v_bfe_u32 v3, v4, 21, 1
	s_mov_b32 s16, 0x88fffff
	v_add3_u32 v3, v4, v3, s16
	s_mov_b64 s[10:11], exec
	v_lshrrev_b32_e32 v3, 21, v3
	s_andn2_saveexec_b64 s[12:13], s[12:13]
	s_cbranch_execnz .LBB18_2228
.LBB18_2057:
	s_or_b64 exec, exec, s[12:13]
	v_mov_b32_e32 v5, 0
	s_and_saveexec_b64 s[12:13], s[10:11]
.LBB18_2058:
	v_lshrrev_b32_e32 v5, 24, v4
	s_movk_i32 s10, 0x80
	v_and_or_b32 v5, v5, s10, v3
.LBB18_2059:
	s_or_b64 exec, exec, s[12:13]
.LBB18_2060:
	s_or_b64 exec, exec, s[2:3]
	s_mov_b64 s[2:3], 0
	global_store_byte v[0:1], v5, off
.LBB18_2061:
	s_and_b64 vcc, exec, s[2:3]
	s_cbranch_vccz .LBB18_2071
; %bb.2062:
	v_and_b32_e32 v5, 0x7fffffff, v4
	s_mov_b32 s2, 0x43f00000
	v_cmp_gt_u32_e32 vcc, s2, v5
                                        ; implicit-def: $vgpr3
	s_and_saveexec_b64 s[2:3], vcc
	s_xor_b64 s[2:3], exec, s[2:3]
	s_cbranch_execz .LBB18_2068
; %bb.2063:
	s_mov_b32 s10, 0x3c7fffff
	v_cmp_lt_u32_e32 vcc, s10, v5
                                        ; implicit-def: $vgpr3
	s_and_saveexec_b64 s[10:11], vcc
	s_xor_b64 s[10:11], exec, s[10:11]
; %bb.2064:
	v_bfe_u32 v3, v4, 20, 1
	s_mov_b32 s12, 0x407ffff
	v_add3_u32 v3, v4, v3, s12
	v_lshrrev_b32_e32 v5, 20, v3
	v_and_b32_e32 v3, 0xff00000, v3
	s_mov_b32 s12, 0x7f00000
	v_mov_b32_e32 v7, 0x7e
	v_cmp_ne_u32_e32 vcc, s12, v3
	v_cndmask_b32_e32 v3, v7, v5, vcc
; %bb.2065:
	s_andn2_saveexec_b64 s[10:11], s[10:11]
; %bb.2066:
	s_mov_b32 s12, 0x46800000
	v_add_f32_e64 v3, |v4|, s12
; %bb.2067:
	s_or_b64 exec, exec, s[10:11]
                                        ; implicit-def: $vgpr5
.LBB18_2068:
	s_andn2_saveexec_b64 s[2:3], s[2:3]
; %bb.2069:
	s_mov_b32 s10, 0x7f800000
	v_mov_b32_e32 v3, 0x7e
	v_mov_b32_e32 v7, 0x7f
	v_cmp_lt_u32_e32 vcc, s10, v5
	v_cndmask_b32_e32 v3, v3, v7, vcc
; %bb.2070:
	s_or_b64 exec, exec, s[2:3]
	v_lshrrev_b32_e32 v5, 24, v4
	s_movk_i32 s2, 0x80
	v_and_or_b32 v3, v5, s2, v3
	global_store_byte v[0:1], v3, off
.LBB18_2071:
	s_mov_b64 s[2:3], 0
.LBB18_2072:
	s_andn2_b64 vcc, exec, s[2:3]
	s_cbranch_vccnz .LBB18_2082
; %bb.2073:
	v_and_b32_e32 v5, 0x7fffffff, v4
	s_mov_b32 s2, 0x47800000
	v_cmp_gt_u32_e32 vcc, s2, v5
                                        ; implicit-def: $vgpr3
	s_and_saveexec_b64 s[2:3], vcc
	s_xor_b64 s[2:3], exec, s[2:3]
	s_cbranch_execz .LBB18_2079
; %bb.2074:
	s_mov_b32 s10, 0x387fffff
	v_cmp_lt_u32_e32 vcc, s10, v5
                                        ; implicit-def: $vgpr3
	s_and_saveexec_b64 s[10:11], vcc
	s_xor_b64 s[10:11], exec, s[10:11]
; %bb.2075:
	v_bfe_u32 v3, v4, 21, 1
	s_mov_b32 s12, 0x80fffff
	v_add3_u32 v3, v4, v3, s12
	v_lshrrev_b32_e32 v3, 21, v3
; %bb.2076:
	s_andn2_saveexec_b64 s[10:11], s[10:11]
; %bb.2077:
	s_mov_b32 s12, 0x43000000
	v_add_f32_e64 v3, |v4|, s12
; %bb.2078:
	s_or_b64 exec, exec, s[10:11]
                                        ; implicit-def: $vgpr5
.LBB18_2079:
	s_andn2_saveexec_b64 s[2:3], s[2:3]
; %bb.2080:
	s_mov_b32 s10, 0x7f800000
	v_mov_b32_e32 v3, 0x7c
	v_mov_b32_e32 v7, 0x7f
	v_cmp_lt_u32_e32 vcc, s10, v5
	v_cndmask_b32_e32 v3, v3, v7, vcc
; %bb.2081:
	s_or_b64 exec, exec, s[2:3]
	v_lshrrev_b32_e32 v5, 24, v4
	s_movk_i32 s2, 0x80
	v_and_or_b32 v3, v5, s2, v3
	global_store_byte v[0:1], v3, off
.LBB18_2082:
	s_mov_b64 s[2:3], 0
	s_mov_b64 s[10:11], -1
.LBB18_2083:
	s_andn2_b64 vcc, exec, s[2:3]
	s_mov_b64 s[2:3], 0
	s_cbranch_vccnz .LBB18_2090
; %bb.2084:
	s_cmp_gt_i32 s19, 14
	s_mov_b64 s[12:13], -1
	s_cbranch_scc0 .LBB18_2088
; %bb.2085:
	s_cmp_eq_u32 s19, 15
	s_mov_b64 s[0:1], -1
	s_cbranch_scc0 .LBB18_2087
; %bb.2086:
	v_bfe_u32 v3, v4, 16, 1
	s_movk_i32 s0, 0x7fff
	v_add3_u32 v3, v4, v3, s0
	v_cmp_o_f32_e32 vcc, v4, v4
	v_mov_b32_e32 v5, 0x7fc0
	v_cndmask_b32_sdwa v3, v5, v3, vcc dst_sel:DWORD dst_unused:UNUSED_PAD src0_sel:DWORD src1_sel:WORD_1
	global_store_short v[0:1], v3, off
	s_mov_b64 s[0:1], 0
	s_mov_b64 s[10:11], -1
.LBB18_2087:
	s_mov_b64 s[12:13], 0
.LBB18_2088:
	s_and_b64 vcc, exec, s[12:13]
	s_cbranch_vccz .LBB18_2090
; %bb.2089:
	s_cmp_lg_u32 s19, 11
	s_mov_b64 s[2:3], -1
	s_cselect_b64 s[0:1], -1, 0
.LBB18_2090:
	s_and_b64 vcc, exec, s[0:1]
	s_cbranch_vccnz .LBB18_2226
; %bb.2091:
	s_andn2_b64 vcc, exec, s[2:3]
	s_cbranch_vccnz .LBB18_2093
.LBB18_2092:
	v_cmp_neq_f32_e32 vcc, 0, v4
	v_cndmask_b32_e64 v3, 0, 1, vcc
	s_mov_b64 s[10:11], -1
	global_store_byte v[0:1], v3, off
.LBB18_2093:
	s_mov_b64 s[0:1], 0
	s_branch .LBB18_2095
.LBB18_2094:
	s_mov_b64 s[0:1], -1
	s_mov_b64 s[10:11], 0
.LBB18_2095:
	s_and_b64 vcc, exec, s[0:1]
	s_cbranch_vccz .LBB18_2134
; %bb.2096:
	s_and_b32 s2, 0xffff, s20
	s_cmp_lt_i32 s2, 5
	s_mov_b64 s[0:1], -1
	s_cbranch_scc1 .LBB18_2117
; %bb.2097:
	s_cmp_lt_i32 s2, 8
	s_cbranch_scc1 .LBB18_2107
; %bb.2098:
	s_cmp_lt_i32 s2, 9
	s_cbranch_scc1 .LBB18_2104
; %bb.2099:
	s_cmp_gt_i32 s2, 9
	s_cbranch_scc0 .LBB18_2101
; %bb.2100:
	v_cvt_f64_f32_e32 v[7:8], v4
	v_mov_b32_e32 v9, 0
	v_mov_b32_e32 v10, v9
	s_mov_b64 s[0:1], 0
	global_store_dwordx4 v[0:1], v[7:10], off
.LBB18_2101:
	s_andn2_b64 vcc, exec, s[0:1]
	s_cbranch_vccnz .LBB18_2103
; %bb.2102:
	v_mov_b32_e32 v5, 0
	global_store_dwordx2 v[0:1], v[4:5], off
.LBB18_2103:
	s_mov_b64 s[0:1], 0
.LBB18_2104:
	s_andn2_b64 vcc, exec, s[0:1]
	s_cbranch_vccnz .LBB18_2106
; %bb.2105:
	v_cvt_f16_f32_e32 v3, v4
	global_store_dword v[0:1], v3, off
.LBB18_2106:
	s_mov_b64 s[0:1], 0
.LBB18_2107:
	s_andn2_b64 vcc, exec, s[0:1]
	s_cbranch_vccnz .LBB18_2116
; %bb.2108:
	s_cmp_lt_i32 s2, 6
	s_mov_b64 s[0:1], -1
	s_cbranch_scc1 .LBB18_2114
; %bb.2109:
	s_cmp_gt_i32 s2, 6
	s_cbranch_scc0 .LBB18_2111
; %bb.2110:
	v_cvt_f64_f32_e32 v[7:8], v4
	s_mov_b64 s[0:1], 0
	global_store_dwordx2 v[0:1], v[7:8], off
.LBB18_2111:
	s_andn2_b64 vcc, exec, s[0:1]
	s_cbranch_vccnz .LBB18_2113
; %bb.2112:
	global_store_dword v[0:1], v4, off
.LBB18_2113:
	s_mov_b64 s[0:1], 0
.LBB18_2114:
	s_andn2_b64 vcc, exec, s[0:1]
	s_cbranch_vccnz .LBB18_2116
; %bb.2115:
	v_cvt_f16_f32_e32 v3, v4
	global_store_short v[0:1], v3, off
.LBB18_2116:
	s_mov_b64 s[0:1], 0
.LBB18_2117:
	s_andn2_b64 vcc, exec, s[0:1]
	s_cbranch_vccnz .LBB18_2133
; %bb.2118:
	s_cmp_lt_i32 s2, 2
	s_mov_b64 s[0:1], -1
	s_cbranch_scc1 .LBB18_2128
; %bb.2119:
	s_cmp_lt_i32 s2, 3
	s_cbranch_scc1 .LBB18_2125
; %bb.2120:
	s_cmp_gt_i32 s2, 3
	s_cbranch_scc0 .LBB18_2122
; %bb.2121:
	v_trunc_f32_e32 v3, v4
	s_mov_b32 s0, 0x2f800000
	v_mul_f32_e64 v5, |v3|, s0
	v_floor_f32_e32 v5, v5
	s_mov_b32 s0, 0xcf800000
	v_cvt_u32_f32_e32 v7, v5
	v_fma_f32 v5, v5, s0, |v3|
	v_cvt_u32_f32_e32 v5, v5
	v_ashrrev_i32_e32 v3, 31, v3
	v_xor_b32_e32 v8, v7, v3
	s_mov_b64 s[0:1], 0
	v_xor_b32_e32 v5, v5, v3
	v_sub_co_u32_e32 v7, vcc, v5, v3
	v_subb_co_u32_e32 v8, vcc, v8, v3, vcc
	global_store_dwordx2 v[0:1], v[7:8], off
.LBB18_2122:
	s_andn2_b64 vcc, exec, s[0:1]
	s_cbranch_vccnz .LBB18_2124
; %bb.2123:
	v_cvt_i32_f32_e32 v3, v4
	global_store_dword v[0:1], v3, off
.LBB18_2124:
	s_mov_b64 s[0:1], 0
.LBB18_2125:
	s_andn2_b64 vcc, exec, s[0:1]
	s_cbranch_vccnz .LBB18_2127
; %bb.2126:
	v_cvt_i32_f32_e32 v3, v4
	global_store_short v[0:1], v3, off
.LBB18_2127:
	s_mov_b64 s[0:1], 0
.LBB18_2128:
	s_andn2_b64 vcc, exec, s[0:1]
	s_cbranch_vccnz .LBB18_2133
; %bb.2129:
	s_cmp_gt_i32 s2, 0
	s_mov_b64 s[0:1], -1
	s_cbranch_scc0 .LBB18_2131
; %bb.2130:
	v_cvt_i32_f32_e32 v3, v4
	s_mov_b64 s[0:1], 0
	global_store_byte v[0:1], v3, off
.LBB18_2131:
	s_andn2_b64 vcc, exec, s[0:1]
	s_cbranch_vccnz .LBB18_2133
; %bb.2132:
	v_trunc_f32_e32 v3, v4
	s_mov_b32 s0, 0x2f800000
	v_mul_f32_e64 v4, |v3|, s0
	v_floor_f32_e32 v4, v4
	s_mov_b32 s0, 0xcf800000
	v_fma_f32 v4, v4, s0, |v3|
	v_cvt_u32_f32_e32 v4, v4
	v_ashrrev_i32_e32 v3, 31, v3
	v_xor_b32_e32 v4, v4, v3
	v_sub_u32_e32 v3, v4, v3
	global_store_byte v[0:1], v3, off
.LBB18_2133:
	s_mov_b64 s[10:11], -1
.LBB18_2134:
	s_andn2_b64 vcc, exec, s[10:11]
	s_cbranch_vccnz .LBB18_2211
; %bb.2135:
	v_add_u32_e32 v0, s18, v2
	v_ashrrev_i32_e32 v1, 31, v0
	v_mov_b32_e32 v2, s9
	v_add_co_u32_e32 v0, vcc, s8, v0
	s_cmp_lt_i32 s20, 11
	v_addc_co_u32_e32 v1, vcc, v2, v1, vcc
	s_cbranch_scc1 .LBB18_2212
; %bb.2136:
	s_and_b32 s16, 0xffff, s20
	s_mov_b64 s[8:9], -1
	s_mov_b64 s[2:3], 0
	s_cmp_gt_i32 s16, 25
	s_mov_b64 s[0:1], 0
	s_cbranch_scc0 .LBB18_2169
; %bb.2137:
	s_cmp_gt_i32 s16, 28
	s_cbranch_scc0 .LBB18_2153
; %bb.2138:
	s_cmp_gt_i32 s16, 43
	;; [unrolled: 3-line block ×3, first 2 shown]
	s_cbranch_scc0 .LBB18_2143
; %bb.2140:
	s_cmp_eq_u32 s16, 46
	s_mov_b64 s[0:1], -1
	s_cbranch_scc0 .LBB18_2142
; %bb.2141:
	v_bfe_u32 v2, v6, 16, 1
	s_movk_i32 s0, 0x7fff
	v_add3_u32 v2, v6, v2, s0
	v_cmp_o_f32_e32 vcc, v6, v6
	v_mov_b32_e32 v3, 0x7fc0
	v_cndmask_b32_sdwa v2, v3, v2, vcc dst_sel:DWORD dst_unused:UNUSED_PAD src0_sel:DWORD src1_sel:WORD_1
	global_store_dword v[0:1], v2, off
	s_mov_b64 s[0:1], 0
.LBB18_2142:
	s_mov_b64 s[8:9], 0
.LBB18_2143:
	s_and_b64 vcc, exec, s[8:9]
	s_cbranch_vccz .LBB18_2148
; %bb.2144:
	s_cmp_eq_u32 s16, 44
	s_mov_b64 s[0:1], -1
	s_cbranch_scc0 .LBB18_2148
; %bb.2145:
	v_bfe_u32 v2, v6, 23, 8
	s_movk_i32 s0, 0xff
	v_cmp_ne_u32_e32 vcc, s0, v2
	v_mov_b32_e32 v3, 0xff
	s_and_saveexec_b64 s[8:9], vcc
; %bb.2146:
	s_mov_b32 s0, 0x3fffff
	v_and_b32_e32 v4, 0x400000, v6
	v_and_or_b32 v2, v6, s0, v2
	v_cmp_ne_u32_e32 vcc, 0, v4
	v_cmp_ne_u32_e64 s[0:1], 0, v2
	s_and_b64 s[0:1], vcc, s[0:1]
	v_lshrrev_b32_e32 v3, 23, v6
	v_cndmask_b32_e64 v2, 0, 1, s[0:1]
	v_add_u32_e32 v3, v3, v2
; %bb.2147:
	s_or_b64 exec, exec, s[8:9]
	s_mov_b64 s[0:1], 0
	global_store_byte v[0:1], v3, off
.LBB18_2148:
	s_mov_b64 s[8:9], 0
.LBB18_2149:
	s_and_b64 vcc, exec, s[8:9]
	s_cbranch_vccz .LBB18_2152
; %bb.2150:
	s_cmp_eq_u32 s16, 29
	s_mov_b64 s[0:1], -1
	s_cbranch_scc0 .LBB18_2152
; %bb.2151:
	v_trunc_f32_e32 v2, v6
	v_mul_f32_e32 v3, 0x2f800000, v2
	v_floor_f32_e32 v4, v3
	v_fmac_f32_e32 v2, 0xcf800000, v4
	v_cvt_u32_f32_e32 v3, v4
	v_cvt_u32_f32_e32 v2, v2
	s_mov_b64 s[0:1], 0
	global_store_dwordx2 v[0:1], v[2:3], off
.LBB18_2152:
	s_mov_b64 s[8:9], 0
.LBB18_2153:
	s_and_b64 vcc, exec, s[8:9]
	s_cbranch_vccz .LBB18_2168
; %bb.2154:
	s_cmp_lt_i32 s16, 27
	s_mov_b64 s[8:9], -1
	s_cbranch_scc1 .LBB18_2160
; %bb.2155:
	v_cvt_u32_f32_e32 v2, v6
	s_cmp_gt_i32 s16, 27
	s_cbranch_scc0 .LBB18_2157
; %bb.2156:
	global_store_dword v[0:1], v2, off
	s_mov_b64 s[8:9], 0
.LBB18_2157:
	s_andn2_b64 vcc, exec, s[8:9]
	s_cbranch_vccnz .LBB18_2159
; %bb.2158:
	global_store_short v[0:1], v2, off
.LBB18_2159:
	s_mov_b64 s[8:9], 0
.LBB18_2160:
	s_andn2_b64 vcc, exec, s[8:9]
	s_cbranch_vccnz .LBB18_2168
; %bb.2161:
	v_and_b32_e32 v2, 0x7fffffff, v6
	s_mov_b32 s8, 0x43800000
	v_cmp_gt_u32_e32 vcc, s8, v2
	v_mov_b32_e32 v3, 0x80
	s_and_saveexec_b64 s[8:9], vcc
	s_cbranch_execz .LBB18_2167
; %bb.2162:
	s_mov_b32 s10, 0x3bffffff
	v_cmp_lt_u32_e32 vcc, s10, v2
	s_mov_b64 s[10:11], 0
                                        ; implicit-def: $vgpr2
	s_and_saveexec_b64 s[12:13], vcc
	s_xor_b64 s[12:13], exec, s[12:13]
	s_cbranch_execz .LBB18_2229
; %bb.2163:
	v_bfe_u32 v2, v6, 20, 1
	s_mov_b32 s17, 0x487ffff
	v_add3_u32 v2, v6, v2, s17
	s_mov_b64 s[10:11], exec
	v_lshrrev_b32_e32 v2, 20, v2
	s_andn2_saveexec_b64 s[12:13], s[12:13]
	s_cbranch_execnz .LBB18_2230
.LBB18_2164:
	s_or_b64 exec, exec, s[12:13]
	v_mov_b32_e32 v3, 0
	s_and_saveexec_b64 s[12:13], s[10:11]
.LBB18_2165:
	v_lshrrev_b32_e32 v3, 24, v6
	s_movk_i32 s10, 0x80
	v_and_or_b32 v3, v3, s10, v2
.LBB18_2166:
	s_or_b64 exec, exec, s[12:13]
.LBB18_2167:
	s_or_b64 exec, exec, s[8:9]
	global_store_byte v[0:1], v3, off
.LBB18_2168:
	s_mov_b64 s[8:9], 0
.LBB18_2169:
	s_and_b64 vcc, exec, s[8:9]
	s_cbranch_vccz .LBB18_2209
; %bb.2170:
	s_cmp_gt_i32 s16, 22
	s_mov_b64 s[2:3], -1
	s_cbranch_scc0 .LBB18_2202
; %bb.2171:
	s_cmp_lt_i32 s16, 24
	s_cbranch_scc1 .LBB18_2191
; %bb.2172:
	s_cmp_gt_i32 s16, 24
	s_cbranch_scc0 .LBB18_2180
; %bb.2173:
	v_and_b32_e32 v2, 0x7fffffff, v6
	s_mov_b32 s2, 0x47800000
	v_cmp_gt_u32_e32 vcc, s2, v2
	v_mov_b32_e32 v3, 0x80
	s_and_saveexec_b64 s[2:3], vcc
	s_cbranch_execz .LBB18_2179
; %bb.2174:
	s_mov_b32 s8, 0x37ffffff
	v_cmp_lt_u32_e32 vcc, s8, v2
	s_mov_b64 s[8:9], 0
                                        ; implicit-def: $vgpr2
	s_and_saveexec_b64 s[10:11], vcc
	s_xor_b64 s[10:11], exec, s[10:11]
	s_cbranch_execz .LBB18_2232
; %bb.2175:
	v_bfe_u32 v2, v6, 21, 1
	s_mov_b32 s12, 0x88fffff
	v_add3_u32 v2, v6, v2, s12
	s_mov_b64 s[8:9], exec
	v_lshrrev_b32_e32 v2, 21, v2
	s_andn2_saveexec_b64 s[10:11], s[10:11]
	s_cbranch_execnz .LBB18_2233
.LBB18_2176:
	s_or_b64 exec, exec, s[10:11]
	v_mov_b32_e32 v3, 0
	s_and_saveexec_b64 s[10:11], s[8:9]
.LBB18_2177:
	v_lshrrev_b32_e32 v3, 24, v6
	s_movk_i32 s8, 0x80
	v_and_or_b32 v3, v3, s8, v2
.LBB18_2178:
	s_or_b64 exec, exec, s[10:11]
.LBB18_2179:
	s_or_b64 exec, exec, s[2:3]
	s_mov_b64 s[2:3], 0
	global_store_byte v[0:1], v3, off
.LBB18_2180:
	s_and_b64 vcc, exec, s[2:3]
	s_cbranch_vccz .LBB18_2190
; %bb.2181:
	v_and_b32_e32 v3, 0x7fffffff, v6
	s_mov_b32 s2, 0x43f00000
	v_cmp_gt_u32_e32 vcc, s2, v3
                                        ; implicit-def: $vgpr2
	s_and_saveexec_b64 s[2:3], vcc
	s_xor_b64 s[2:3], exec, s[2:3]
	s_cbranch_execz .LBB18_2187
; %bb.2182:
	s_mov_b32 s8, 0x3c7fffff
	v_cmp_lt_u32_e32 vcc, s8, v3
                                        ; implicit-def: $vgpr2
	s_and_saveexec_b64 s[8:9], vcc
	s_xor_b64 s[8:9], exec, s[8:9]
; %bb.2183:
	v_bfe_u32 v2, v6, 20, 1
	s_mov_b32 s10, 0x407ffff
	v_add3_u32 v2, v6, v2, s10
	v_lshrrev_b32_e32 v3, 20, v2
	v_and_b32_e32 v2, 0xff00000, v2
	s_mov_b32 s10, 0x7f00000
	v_mov_b32_e32 v4, 0x7e
	v_cmp_ne_u32_e32 vcc, s10, v2
	v_cndmask_b32_e32 v2, v4, v3, vcc
; %bb.2184:
	s_andn2_saveexec_b64 s[8:9], s[8:9]
; %bb.2185:
	s_mov_b32 s10, 0x46800000
	v_add_f32_e64 v2, |v6|, s10
; %bb.2186:
	s_or_b64 exec, exec, s[8:9]
                                        ; implicit-def: $vgpr3
.LBB18_2187:
	s_andn2_saveexec_b64 s[2:3], s[2:3]
; %bb.2188:
	s_mov_b32 s8, 0x7f800000
	v_mov_b32_e32 v2, 0x7e
	v_mov_b32_e32 v4, 0x7f
	v_cmp_lt_u32_e32 vcc, s8, v3
	v_cndmask_b32_e32 v2, v2, v4, vcc
; %bb.2189:
	s_or_b64 exec, exec, s[2:3]
	v_lshrrev_b32_e32 v3, 24, v6
	s_movk_i32 s2, 0x80
	v_and_or_b32 v2, v3, s2, v2
	global_store_byte v[0:1], v2, off
.LBB18_2190:
	s_mov_b64 s[2:3], 0
.LBB18_2191:
	s_andn2_b64 vcc, exec, s[2:3]
	s_cbranch_vccnz .LBB18_2201
; %bb.2192:
	v_and_b32_e32 v3, 0x7fffffff, v6
	s_mov_b32 s2, 0x47800000
	v_cmp_gt_u32_e32 vcc, s2, v3
                                        ; implicit-def: $vgpr2
	s_and_saveexec_b64 s[2:3], vcc
	s_xor_b64 s[2:3], exec, s[2:3]
	s_cbranch_execz .LBB18_2198
; %bb.2193:
	s_mov_b32 s8, 0x387fffff
	v_cmp_lt_u32_e32 vcc, s8, v3
                                        ; implicit-def: $vgpr2
	s_and_saveexec_b64 s[8:9], vcc
	s_xor_b64 s[8:9], exec, s[8:9]
; %bb.2194:
	v_bfe_u32 v2, v6, 21, 1
	s_mov_b32 s10, 0x80fffff
	v_add3_u32 v2, v6, v2, s10
	v_lshrrev_b32_e32 v2, 21, v2
; %bb.2195:
	s_andn2_saveexec_b64 s[8:9], s[8:9]
; %bb.2196:
	s_mov_b32 s10, 0x43000000
	v_add_f32_e64 v2, |v6|, s10
; %bb.2197:
	s_or_b64 exec, exec, s[8:9]
                                        ; implicit-def: $vgpr3
.LBB18_2198:
	s_andn2_saveexec_b64 s[2:3], s[2:3]
; %bb.2199:
	s_mov_b32 s8, 0x7f800000
	v_mov_b32_e32 v2, 0x7c
	v_mov_b32_e32 v4, 0x7f
	v_cmp_lt_u32_e32 vcc, s8, v3
	v_cndmask_b32_e32 v2, v2, v4, vcc
; %bb.2200:
	s_or_b64 exec, exec, s[2:3]
	v_lshrrev_b32_e32 v3, 24, v6
	s_movk_i32 s2, 0x80
	v_and_or_b32 v2, v3, s2, v2
	global_store_byte v[0:1], v2, off
.LBB18_2201:
	s_mov_b64 s[2:3], 0
.LBB18_2202:
	s_andn2_b64 vcc, exec, s[2:3]
	s_mov_b64 s[2:3], 0
	s_cbranch_vccnz .LBB18_2209
; %bb.2203:
	s_cmp_gt_i32 s16, 14
	s_mov_b64 s[8:9], -1
	s_cbranch_scc0 .LBB18_2207
; %bb.2204:
	s_cmp_eq_u32 s16, 15
	s_mov_b64 s[0:1], -1
	s_cbranch_scc0 .LBB18_2206
; %bb.2205:
	v_bfe_u32 v2, v6, 16, 1
	s_movk_i32 s0, 0x7fff
	v_add3_u32 v2, v6, v2, s0
	v_cmp_o_f32_e32 vcc, v6, v6
	v_mov_b32_e32 v3, 0x7fc0
	v_cndmask_b32_sdwa v2, v3, v2, vcc dst_sel:DWORD dst_unused:UNUSED_PAD src0_sel:DWORD src1_sel:WORD_1
	global_store_short v[0:1], v2, off
	s_mov_b64 s[0:1], 0
.LBB18_2206:
	s_mov_b64 s[8:9], 0
.LBB18_2207:
	s_and_b64 vcc, exec, s[8:9]
	s_cbranch_vccz .LBB18_2209
; %bb.2208:
	s_cmp_lg_u32 s16, 11
	s_mov_b64 s[2:3], -1
	s_cselect_b64 s[0:1], -1, 0
.LBB18_2209:
	s_and_b64 vcc, exec, s[0:1]
	s_cbranch_vccnz .LBB18_2231
.LBB18_2210:
	s_mov_b64 s[0:1], 0
	s_branch .LBB18_1812
.LBB18_2211:
	s_mov_b64 s[0:1], 0
                                        ; implicit-def: $sgpr20
                                        ; implicit-def: $vgpr0_vgpr1
	s_branch .LBB18_1811
.LBB18_2212:
	s_mov_b64 s[2:3], 0
	s_mov_b64 s[0:1], -1
	s_branch .LBB18_1812
.LBB18_2213:
	s_trap 2
	s_or_b64 s[14:15], s[14:15], exec
	s_cbranch_execz .LBB18_1656
	s_branch .LBB18_1657
.LBB18_2214:
	s_andn2_saveexec_b64 s[18:19], s[18:19]
	s_cbranch_execz .LBB18_1760
.LBB18_2215:
	s_mov_b32 s21, 0x46000000
	v_add_f32_e64 v1, |v0|, s21
	v_and_b32_e32 v1, 0xff, v1
	v_cmp_ne_u32_e32 vcc, 0, v1
	s_andn2_b64 s[16:17], s[16:17], exec
	s_and_b64 s[22:23], vcc, exec
	s_or_b64 s[16:17], s[16:17], s[22:23]
	s_or_b64 exec, exec, s[18:19]
	v_mov_b32_e32 v5, 0
	s_and_saveexec_b64 s[18:19], s[16:17]
	s_cbranch_execnz .LBB18_1761
	s_branch .LBB18_1762
.LBB18_2216:
	s_trap 2
	s_or_b64 s[14:15], s[14:15], exec
	s_cbranch_execz .LBB18_1808
	s_branch .LBB18_1809
.LBB18_2217:
	s_andn2_saveexec_b64 s[16:17], s[16:17]
	s_cbranch_execz .LBB18_1773
.LBB18_2218:
	s_mov_b32 s18, 0x42800000
	v_add_f32_e64 v1, |v0|, s18
	v_and_b32_e32 v1, 0xff, v1
	v_cmp_ne_u32_e32 vcc, 0, v1
	s_andn2_b64 s[12:13], s[12:13], exec
	s_and_b64 s[18:19], vcc, exec
	s_or_b64 s[12:13], s[12:13], s[18:19]
	s_or_b64 exec, exec, s[16:17]
	v_mov_b32_e32 v5, 0
	s_and_saveexec_b64 s[16:17], s[12:13]
	s_cbranch_execnz .LBB18_1774
	s_branch .LBB18_1775
.LBB18_2219:
	s_andn2_saveexec_b64 s[16:17], s[16:17]
	s_cbranch_execz .LBB18_1925
.LBB18_2220:
	s_mov_b32 s21, 0x46000000
	v_add_f32_e64 v3, |v2|, s21
	v_and_b32_e32 v3, 0xff, v3
	v_cmp_ne_u32_e32 vcc, 0, v3
	s_andn2_b64 s[12:13], s[12:13], exec
	s_and_b64 s[22:23], vcc, exec
	s_or_b64 s[12:13], s[12:13], s[22:23]
	s_or_b64 exec, exec, s[16:17]
	v_mov_b32_e32 v7, 0
	s_and_saveexec_b64 s[16:17], s[12:13]
	s_cbranch_execnz .LBB18_1926
	s_branch .LBB18_1927
.LBB18_2221:
	s_trap 2
	s_or_b64 s[14:15], s[14:15], exec
	s_cbranch_execz .LBB18_1973
	s_branch .LBB18_1974
.LBB18_2222:
	s_andn2_saveexec_b64 s[12:13], s[12:13]
	s_cbranch_execz .LBB18_1938
.LBB18_2223:
	s_mov_b32 s16, 0x42800000
	v_add_f32_e64 v3, |v2|, s16
	v_and_b32_e32 v3, 0xff, v3
	v_cmp_ne_u32_e32 vcc, 0, v3
	s_andn2_b64 s[10:11], s[10:11], exec
	s_and_b64 s[16:17], vcc, exec
	s_or_b64 s[10:11], s[10:11], s[16:17]
	s_or_b64 exec, exec, s[12:13]
	v_mov_b32_e32 v7, 0
	s_and_saveexec_b64 s[12:13], s[10:11]
	s_cbranch_execnz .LBB18_1939
	s_branch .LBB18_1940
.LBB18_2224:
	s_andn2_saveexec_b64 s[16:17], s[16:17]
	s_cbranch_execz .LBB18_2044
.LBB18_2225:
	s_mov_b32 s21, 0x46000000
	v_add_f32_e64 v3, |v4|, s21
	v_and_b32_e32 v3, 0xff, v3
	v_cmp_ne_u32_e32 vcc, 0, v3
	s_andn2_b64 s[12:13], s[12:13], exec
	s_and_b64 s[22:23], vcc, exec
	s_or_b64 s[12:13], s[12:13], s[22:23]
	s_or_b64 exec, exec, s[16:17]
	v_mov_b32_e32 v5, 0
	s_and_saveexec_b64 s[16:17], s[12:13]
	s_cbranch_execnz .LBB18_2045
	s_branch .LBB18_2046
.LBB18_2226:
	s_trap 2
	s_or_b64 s[14:15], s[14:15], exec
	s_cbranch_execz .LBB18_2092
	s_branch .LBB18_2093
.LBB18_2227:
	s_andn2_saveexec_b64 s[12:13], s[12:13]
	s_cbranch_execz .LBB18_2057
.LBB18_2228:
	s_mov_b32 s16, 0x42800000
	v_add_f32_e64 v3, |v4|, s16
	v_and_b32_e32 v3, 0xff, v3
	v_cmp_ne_u32_e32 vcc, 0, v3
	s_andn2_b64 s[10:11], s[10:11], exec
	s_and_b64 s[16:17], vcc, exec
	s_or_b64 s[10:11], s[10:11], s[16:17]
	s_or_b64 exec, exec, s[12:13]
	v_mov_b32_e32 v5, 0
	s_and_saveexec_b64 s[12:13], s[10:11]
	s_cbranch_execnz .LBB18_2058
	s_branch .LBB18_2059
.LBB18_2229:
	s_andn2_saveexec_b64 s[12:13], s[12:13]
	s_cbranch_execz .LBB18_2164
.LBB18_2230:
	s_mov_b32 s17, 0x46000000
	v_add_f32_e64 v2, |v6|, s17
	v_and_b32_e32 v2, 0xff, v2
	v_cmp_ne_u32_e32 vcc, 0, v2
	s_andn2_b64 s[10:11], s[10:11], exec
	s_and_b64 s[18:19], vcc, exec
	s_or_b64 s[10:11], s[10:11], s[18:19]
	s_or_b64 exec, exec, s[12:13]
	v_mov_b32_e32 v3, 0
	s_and_saveexec_b64 s[12:13], s[10:11]
	s_cbranch_execnz .LBB18_2165
	s_branch .LBB18_2166
.LBB18_2231:
	s_mov_b64 s[2:3], 0
	s_or_b64 s[14:15], s[14:15], exec
	s_trap 2
	s_branch .LBB18_2210
.LBB18_2232:
	s_andn2_saveexec_b64 s[10:11], s[10:11]
	s_cbranch_execz .LBB18_2176
.LBB18_2233:
	s_mov_b32 s12, 0x42800000
	v_add_f32_e64 v2, |v6|, s12
	v_and_b32_e32 v2, 0xff, v2
	v_cmp_ne_u32_e32 vcc, 0, v2
	s_andn2_b64 s[8:9], s[8:9], exec
	s_and_b64 s[12:13], vcc, exec
	s_or_b64 s[8:9], s[8:9], s[12:13]
	s_or_b64 exec, exec, s[10:11]
	v_mov_b32_e32 v3, 0
	s_and_saveexec_b64 s[10:11], s[8:9]
	s_cbranch_execnz .LBB18_2177
	s_branch .LBB18_2178
	.section	.rodata,"a",@progbits
	.p2align	6, 0x0
	.amdhsa_kernel _ZN2at6native32elementwise_kernel_manual_unrollILi128ELi4EZNS0_15gpu_kernel_implIZZZNS0_19digamma_kernel_cudaERNS_18TensorIteratorBaseEENKUlvE_clEvENKUlvE0_clEvEUlfE_EEvS4_RKT_EUlibE_EEviT1_
		.amdhsa_group_segment_fixed_size 0
		.amdhsa_private_segment_fixed_size 0
		.amdhsa_kernarg_size 40
		.amdhsa_user_sgpr_count 6
		.amdhsa_user_sgpr_private_segment_buffer 1
		.amdhsa_user_sgpr_dispatch_ptr 0
		.amdhsa_user_sgpr_queue_ptr 0
		.amdhsa_user_sgpr_kernarg_segment_ptr 1
		.amdhsa_user_sgpr_dispatch_id 0
		.amdhsa_user_sgpr_flat_scratch_init 0
		.amdhsa_user_sgpr_private_segment_size 0
		.amdhsa_uses_dynamic_stack 0
		.amdhsa_system_sgpr_private_segment_wavefront_offset 0
		.amdhsa_system_sgpr_workgroup_id_x 1
		.amdhsa_system_sgpr_workgroup_id_y 0
		.amdhsa_system_sgpr_workgroup_id_z 0
		.amdhsa_system_sgpr_workgroup_info 0
		.amdhsa_system_vgpr_workitem_id 0
		.amdhsa_next_free_vgpr 40
		.amdhsa_next_free_sgpr 46
		.amdhsa_reserve_vcc 1
		.amdhsa_reserve_flat_scratch 0
		.amdhsa_float_round_mode_32 0
		.amdhsa_float_round_mode_16_64 0
		.amdhsa_float_denorm_mode_32 3
		.amdhsa_float_denorm_mode_16_64 3
		.amdhsa_dx10_clamp 1
		.amdhsa_ieee_mode 1
		.amdhsa_fp16_overflow 0
		.amdhsa_exception_fp_ieee_invalid_op 0
		.amdhsa_exception_fp_denorm_src 0
		.amdhsa_exception_fp_ieee_div_zero 0
		.amdhsa_exception_fp_ieee_overflow 0
		.amdhsa_exception_fp_ieee_underflow 0
		.amdhsa_exception_fp_ieee_inexact 0
		.amdhsa_exception_int_div_zero 0
	.end_amdhsa_kernel
	.section	.text._ZN2at6native32elementwise_kernel_manual_unrollILi128ELi4EZNS0_15gpu_kernel_implIZZZNS0_19digamma_kernel_cudaERNS_18TensorIteratorBaseEENKUlvE_clEvENKUlvE0_clEvEUlfE_EEvS4_RKT_EUlibE_EEviT1_,"axG",@progbits,_ZN2at6native32elementwise_kernel_manual_unrollILi128ELi4EZNS0_15gpu_kernel_implIZZZNS0_19digamma_kernel_cudaERNS_18TensorIteratorBaseEENKUlvE_clEvENKUlvE0_clEvEUlfE_EEvS4_RKT_EUlibE_EEviT1_,comdat
.Lfunc_end18:
	.size	_ZN2at6native32elementwise_kernel_manual_unrollILi128ELi4EZNS0_15gpu_kernel_implIZZZNS0_19digamma_kernel_cudaERNS_18TensorIteratorBaseEENKUlvE_clEvENKUlvE0_clEvEUlfE_EEvS4_RKT_EUlibE_EEviT1_, .Lfunc_end18-_ZN2at6native32elementwise_kernel_manual_unrollILi128ELi4EZNS0_15gpu_kernel_implIZZZNS0_19digamma_kernel_cudaERNS_18TensorIteratorBaseEENKUlvE_clEvENKUlvE0_clEvEUlfE_EEvS4_RKT_EUlibE_EEviT1_
                                        ; -- End function
	.set _ZN2at6native32elementwise_kernel_manual_unrollILi128ELi4EZNS0_15gpu_kernel_implIZZZNS0_19digamma_kernel_cudaERNS_18TensorIteratorBaseEENKUlvE_clEvENKUlvE0_clEvEUlfE_EEvS4_RKT_EUlibE_EEviT1_.num_vgpr, 40
	.set _ZN2at6native32elementwise_kernel_manual_unrollILi128ELi4EZNS0_15gpu_kernel_implIZZZNS0_19digamma_kernel_cudaERNS_18TensorIteratorBaseEENKUlvE_clEvENKUlvE0_clEvEUlfE_EEvS4_RKT_EUlibE_EEviT1_.num_agpr, 0
	.set _ZN2at6native32elementwise_kernel_manual_unrollILi128ELi4EZNS0_15gpu_kernel_implIZZZNS0_19digamma_kernel_cudaERNS_18TensorIteratorBaseEENKUlvE_clEvENKUlvE0_clEvEUlfE_EEvS4_RKT_EUlibE_EEviT1_.numbered_sgpr, 46
	.set _ZN2at6native32elementwise_kernel_manual_unrollILi128ELi4EZNS0_15gpu_kernel_implIZZZNS0_19digamma_kernel_cudaERNS_18TensorIteratorBaseEENKUlvE_clEvENKUlvE0_clEvEUlfE_EEvS4_RKT_EUlibE_EEviT1_.num_named_barrier, 0
	.set _ZN2at6native32elementwise_kernel_manual_unrollILi128ELi4EZNS0_15gpu_kernel_implIZZZNS0_19digamma_kernel_cudaERNS_18TensorIteratorBaseEENKUlvE_clEvENKUlvE0_clEvEUlfE_EEvS4_RKT_EUlibE_EEviT1_.private_seg_size, 0
	.set _ZN2at6native32elementwise_kernel_manual_unrollILi128ELi4EZNS0_15gpu_kernel_implIZZZNS0_19digamma_kernel_cudaERNS_18TensorIteratorBaseEENKUlvE_clEvENKUlvE0_clEvEUlfE_EEvS4_RKT_EUlibE_EEviT1_.uses_vcc, 1
	.set _ZN2at6native32elementwise_kernel_manual_unrollILi128ELi4EZNS0_15gpu_kernel_implIZZZNS0_19digamma_kernel_cudaERNS_18TensorIteratorBaseEENKUlvE_clEvENKUlvE0_clEvEUlfE_EEvS4_RKT_EUlibE_EEviT1_.uses_flat_scratch, 0
	.set _ZN2at6native32elementwise_kernel_manual_unrollILi128ELi4EZNS0_15gpu_kernel_implIZZZNS0_19digamma_kernel_cudaERNS_18TensorIteratorBaseEENKUlvE_clEvENKUlvE0_clEvEUlfE_EEvS4_RKT_EUlibE_EEviT1_.has_dyn_sized_stack, 0
	.set _ZN2at6native32elementwise_kernel_manual_unrollILi128ELi4EZNS0_15gpu_kernel_implIZZZNS0_19digamma_kernel_cudaERNS_18TensorIteratorBaseEENKUlvE_clEvENKUlvE0_clEvEUlfE_EEvS4_RKT_EUlibE_EEviT1_.has_recursion, 0
	.set _ZN2at6native32elementwise_kernel_manual_unrollILi128ELi4EZNS0_15gpu_kernel_implIZZZNS0_19digamma_kernel_cudaERNS_18TensorIteratorBaseEENKUlvE_clEvENKUlvE0_clEvEUlfE_EEvS4_RKT_EUlibE_EEviT1_.has_indirect_call, 0
	.section	.AMDGPU.csdata,"",@progbits
; Kernel info:
; codeLenInByte = 51272
; TotalNumSgprs: 50
; NumVgprs: 40
; ScratchSize: 0
; MemoryBound: 1
; FloatMode: 240
; IeeeMode: 1
; LDSByteSize: 0 bytes/workgroup (compile time only)
; SGPRBlocks: 6
; VGPRBlocks: 9
; NumSGPRsForWavesPerEU: 50
; NumVGPRsForWavesPerEU: 40
; Occupancy: 6
; WaveLimiterHint : 0
; COMPUTE_PGM_RSRC2:SCRATCH_EN: 0
; COMPUTE_PGM_RSRC2:USER_SGPR: 6
; COMPUTE_PGM_RSRC2:TRAP_HANDLER: 0
; COMPUTE_PGM_RSRC2:TGID_X_EN: 1
; COMPUTE_PGM_RSRC2:TGID_Y_EN: 0
; COMPUTE_PGM_RSRC2:TGID_Z_EN: 0
; COMPUTE_PGM_RSRC2:TIDIG_COMP_CNT: 0
	.section	.text._ZN2at6native32elementwise_kernel_manual_unrollILi128ELi4EZNS0_15gpu_kernel_implIZZZNS0_19digamma_kernel_cudaERNS_18TensorIteratorBaseEENKUlvE_clEvENKUlvE0_clEvEUlfE_EEvS4_RKT_EUlibE0_EEviT1_,"axG",@progbits,_ZN2at6native32elementwise_kernel_manual_unrollILi128ELi4EZNS0_15gpu_kernel_implIZZZNS0_19digamma_kernel_cudaERNS_18TensorIteratorBaseEENKUlvE_clEvENKUlvE0_clEvEUlfE_EEvS4_RKT_EUlibE0_EEviT1_,comdat
	.globl	_ZN2at6native32elementwise_kernel_manual_unrollILi128ELi4EZNS0_15gpu_kernel_implIZZZNS0_19digamma_kernel_cudaERNS_18TensorIteratorBaseEENKUlvE_clEvENKUlvE0_clEvEUlfE_EEvS4_RKT_EUlibE0_EEviT1_ ; -- Begin function _ZN2at6native32elementwise_kernel_manual_unrollILi128ELi4EZNS0_15gpu_kernel_implIZZZNS0_19digamma_kernel_cudaERNS_18TensorIteratorBaseEENKUlvE_clEvENKUlvE0_clEvEUlfE_EEvS4_RKT_EUlibE0_EEviT1_
	.p2align	8
	.type	_ZN2at6native32elementwise_kernel_manual_unrollILi128ELi4EZNS0_15gpu_kernel_implIZZZNS0_19digamma_kernel_cudaERNS_18TensorIteratorBaseEENKUlvE_clEvENKUlvE0_clEvEUlfE_EEvS4_RKT_EUlibE0_EEviT1_,@function
_ZN2at6native32elementwise_kernel_manual_unrollILi128ELi4EZNS0_15gpu_kernel_implIZZZNS0_19digamma_kernel_cudaERNS_18TensorIteratorBaseEENKUlvE_clEvENKUlvE0_clEvEUlfE_EEvS4_RKT_EUlibE0_EEviT1_: ; @_ZN2at6native32elementwise_kernel_manual_unrollILi128ELi4EZNS0_15gpu_kernel_implIZZZNS0_19digamma_kernel_cudaERNS_18TensorIteratorBaseEENKUlvE_clEvENKUlvE0_clEvEUlfE_EEvS4_RKT_EUlibE0_EEviT1_
; %bb.0:
	s_load_dword s70, s[4:5], 0x0
	s_load_dword s33, s[4:5], 0x8
	s_add_u32 s34, s4, 8
	s_addc_u32 s35, s5, 0
	v_lshl_or_b32 v8, s6, 9, v0
	v_or_b32_e32 v15, 0x180, v8
	s_waitcnt lgkmcnt(0)
	s_add_i32 s72, s33, -1
	s_cmp_gt_u32 s72, 1
	v_cmp_le_i32_e32 vcc, s70, v15
	s_cselect_b64 s[40:41], -1, 0
	s_mov_b64 s[6:7], 0
	s_mov_b64 s[28:29], 0
	s_and_saveexec_b64 s[0:1], vcc
	s_xor_b64 s[42:43], exec, s[0:1]
	s_cbranch_execz .LBB19_1182
; %bb.1:
	v_mov_b32_e32 v0, 0
	global_load_ushort v0, v0, s[34:35] offset:345
	s_load_dwordx4 s[36:39], s[34:35], 0x4
	s_load_dwordx2 s[44:45], s[34:35], 0x14
	s_load_dwordx4 s[28:31], s[34:35], 0xc4
	s_load_dwordx4 s[24:27], s[34:35], 0x148
	s_cmp_lg_u32 s33, 0
	s_cselect_b64 s[50:51], -1, 0
	s_add_u32 s48, s34, 0xc4
	s_addc_u32 s49, s35, 0
	s_min_u32 s75, s72, 15
	s_cmp_gt_u32 s33, 1
	s_cselect_b64 s[46:47], -1, 0
	v_cmp_gt_i32_e32 vcc, s70, v8
	s_mov_b64 s[2:3], -1
	s_mov_b64 s[60:61], 0
	s_mov_b64 s[54:55], 0
	;; [unrolled: 1-line block ×3, first 2 shown]
	s_waitcnt vmcnt(0)
	v_readfirstlane_b32 s73, v0
	s_and_b32 s0, 0xffff, s73
	s_lshr_b32 s74, s0, 8
	s_and_saveexec_b64 s[56:57], vcc
	s_cbranch_execz .LBB19_290
; %bb.2:
	s_andn2_b64 vcc, exec, s[40:41]
	s_cbranch_vccnz .LBB19_7
; %bb.3:
	s_andn2_b64 vcc, exec, s[50:51]
	s_cbranch_vccnz .LBB19_8
; %bb.4:
	s_add_i32 s59, s75, 1
	s_cmp_eq_u32 s72, 2
	s_cbranch_scc1 .LBB19_9
; %bb.5:
	s_and_b32 s58, s59, 28
	v_mov_b32_e32 v2, 0
	s_mov_b32 s62, 0
	s_mov_b64 s[52:53], s[34:35]
	s_mov_b64 s[54:55], s[48:49]
	v_mov_b32_e32 v0, 0
	v_mov_b32_e32 v1, v8
.LBB19_6:                               ; =>This Inner Loop Header: Depth=1
	s_load_dwordx8 s[16:23], s[52:53], 0x4
	s_load_dwordx4 s[0:3], s[52:53], 0x24
	s_load_dwordx8 s[8:15], s[54:55], 0x0
	s_add_u32 s52, s52, 48
	s_addc_u32 s53, s53, 0
	s_waitcnt lgkmcnt(0)
	v_mul_hi_u32 v3, s17, v1
	s_add_i32 s62, s62, 4
	s_add_u32 s54, s54, 32
	s_addc_u32 s55, s55, 0
	v_add_u32_e32 v3, v1, v3
	v_lshrrev_b32_e32 v3, s18, v3
	v_mul_lo_u32 v4, v3, s16
	v_mul_hi_u32 v5, s20, v3
	s_cmp_lg_u32 s58, s62
	v_sub_u32_e32 v1, v1, v4
	v_add_u32_e32 v4, v3, v5
	v_mul_lo_u32 v5, v1, s8
	v_mul_lo_u32 v6, v1, s9
	v_lshrrev_b32_e32 v1, s21, v4
	v_mul_lo_u32 v4, v1, s19
	v_mul_hi_u32 v7, s23, v1
	v_sub_u32_e32 v3, v3, v4
	v_add_u32_e32 v4, v1, v7
	v_lshrrev_b32_e32 v4, s0, v4
	v_mul_hi_u32 v9, s2, v4
	v_mul_lo_u32 v10, v4, s22
	v_mul_lo_u32 v7, v3, s10
	;; [unrolled: 1-line block ×3, first 2 shown]
	v_sub_u32_e32 v10, v1, v10
	v_add_u32_e32 v1, v4, v9
	v_lshrrev_b32_e32 v1, s3, v1
	v_mul_lo_u32 v9, v1, s1
	v_mul_lo_u32 v11, v10, s12
	;; [unrolled: 1-line block ×3, first 2 shown]
	v_add3_u32 v0, v5, v0, v7
	v_sub_u32_e32 v4, v4, v9
	v_mul_lo_u32 v9, v4, s14
	v_mul_lo_u32 v4, v4, s15
	v_add3_u32 v2, v6, v2, v3
	v_add3_u32 v0, v11, v0, v9
	;; [unrolled: 1-line block ×3, first 2 shown]
	s_cbranch_scc1 .LBB19_6
	s_branch .LBB19_10
.LBB19_7:
                                        ; implicit-def: $vgpr0
                                        ; implicit-def: $vgpr2
	s_branch .LBB19_14
.LBB19_8:
	v_mov_b32_e32 v0, 0
	v_mov_b32_e32 v2, 0
	s_branch .LBB19_13
.LBB19_9:
	s_mov_b32 s58, 0
	v_mov_b32_e32 v0, 0
	v_mov_b32_e32 v2, 0
	;; [unrolled: 1-line block ×3, first 2 shown]
.LBB19_10:
	s_and_b32 s8, s59, 3
	s_cmp_eq_u32 s8, 0
	s_cbranch_scc1 .LBB19_13
; %bb.11:
	s_lshl_b32 s0, s58, 3
	s_add_u32 s0, s34, s0
	s_addc_u32 s1, s35, 0
	s_add_u32 s0, s0, 0xc4
	s_addc_u32 s1, s1, 0
	s_mul_i32 s2, s58, 12
	s_add_u32 s2, s34, s2
	s_addc_u32 s3, s35, 0
.LBB19_12:                              ; =>This Inner Loop Header: Depth=1
	s_load_dwordx2 s[10:11], s[2:3], 0x4
	s_load_dword s9, s[2:3], 0xc
	s_load_dwordx2 s[12:13], s[0:1], 0x0
	s_add_u32 s2, s2, 12
	s_addc_u32 s3, s3, 0
	s_waitcnt lgkmcnt(0)
	v_mul_hi_u32 v3, s11, v1
	s_add_u32 s0, s0, 8
	s_addc_u32 s1, s1, 0
	s_add_i32 s8, s8, -1
	v_add_u32_e32 v3, v1, v3
	v_lshrrev_b32_e32 v4, s9, v3
	v_mul_lo_u32 v3, v4, s10
	s_cmp_lg_u32 s8, 0
	v_sub_u32_e32 v3, v1, v3
	v_mad_u64_u32 v[0:1], s[10:11], v3, s12, v[0:1]
	v_mad_u64_u32 v[2:3], s[10:11], v3, s13, v[2:3]
	v_mov_b32_e32 v1, v4
	s_cbranch_scc1 .LBB19_12
.LBB19_13:
	s_cbranch_execnz .LBB19_16
.LBB19_14:
	s_waitcnt lgkmcnt(0)
	v_mul_hi_u32 v0, s37, v8
	s_andn2_b64 vcc, exec, s[46:47]
	v_add_u32_e32 v0, v8, v0
	v_lshrrev_b32_e32 v1, s38, v0
	v_mul_lo_u32 v0, v1, s36
	v_sub_u32_e32 v2, v8, v0
	v_mul_lo_u32 v0, v2, s28
	v_mul_lo_u32 v2, v2, s29
	s_cbranch_vccnz .LBB19_16
; %bb.15:
	v_mul_hi_u32 v3, s44, v1
	v_add_u32_e32 v3, v1, v3
	v_lshrrev_b32_e32 v3, s45, v3
	v_mul_lo_u32 v3, v3, s39
	v_sub_u32_e32 v3, v1, v3
	v_mad_u64_u32 v[0:1], s[0:1], v3, s30, v[0:1]
	v_mad_u64_u32 v[2:3], s[0:1], v3, s31, v[2:3]
.LBB19_16:
	s_waitcnt lgkmcnt(0)
	v_mov_b32_e32 v3, s27
	s_and_b32 s12, 0xffff, s74
	v_add_co_u32_e32 v1, vcc, s26, v2
	s_cmp_lt_i32 s12, 11
	v_addc_co_u32_e32 v2, vcc, 0, v3, vcc
	s_cbranch_scc1 .LBB19_23
; %bb.17:
	s_cmp_gt_i32 s12, 25
	s_cbranch_scc0 .LBB19_56
; %bb.18:
	s_cmp_gt_i32 s12, 28
	s_cbranch_scc0 .LBB19_59
	;; [unrolled: 3-line block ×4, first 2 shown]
; %bb.21:
	s_cmp_eq_u32 s12, 46
	s_mov_b64 s[8:9], 0
	s_cbranch_scc0 .LBB19_65
; %bb.22:
	global_load_dword v3, v[1:2], off
	s_mov_b64 s[0:1], -1
	s_mov_b64 s[2:3], 0
	s_waitcnt vmcnt(0)
	v_lshlrev_b32_e32 v7, 16, v3
	s_branch .LBB19_67
.LBB19_23:
	s_mov_b64 s[2:3], 0
                                        ; implicit-def: $vgpr7
	s_mov_b64 s[0:1], 0
	s_cbranch_execnz .LBB19_240
.LBB19_24:
	s_andn2_b64 vcc, exec, s[0:1]
	s_cbranch_vccnz .LBB19_287
.LBB19_25:
	s_waitcnt vmcnt(0)
	v_cmp_neq_f32_e32 vcc, 0, v7
                                        ; implicit-def: $vgpr1
	s_and_saveexec_b64 s[0:1], vcc
	s_xor_b64 s[8:9], exec, s[0:1]
	s_cbranch_execz .LBB19_47
; %bb.26:
	v_mov_b32_e32 v2, 0
	v_cmp_gt_f32_e32 vcc, 0, v7
	s_mov_b64 s[0:1], -1
	s_and_saveexec_b64 s[10:11], vcc
	s_cbranch_execz .LBB19_34
; %bb.27:
	v_trunc_f32_e32 v1, v7
	v_cmp_neq_f32_e32 vcc, v7, v1
	s_mov_b64 s[14:15], 0
	v_mov_b32_e32 v2, 0
	s_and_saveexec_b64 s[12:13], vcc
	s_cbranch_execz .LBB19_33
; %bb.28:
	v_cvt_f64_f32_e32 v[1:2], v7
	s_mov_b32 s0, 0
	s_mov_b32 s15, 0xc00921fb
	;; [unrolled: 1-line block ×3, first 2 shown]
	v_trunc_f64_e32 v[3:4], v[1:2]
	s_mov_b32 s1, 0x7ff00000
	v_cmp_neq_f64_e64 vcc, |v[1:2]|, s[0:1]
	v_bfrev_b32_e32 v5, 1
	s_mov_b32 s16, 0
	s_mov_b32 s17, 0x41d00000
                                        ; implicit-def: $vgpr9
	v_add_f64 v[3:4], v[1:2], -v[3:4]
	v_mul_f64 v[3:4], |v[3:4]|, s[14:15]
	v_cndmask_b32_e32 v2, v5, v4, vcc
	v_cndmask_b32_e32 v1, 0, v3, vcc
	v_cmp_nlt_f64_e64 s[16:17], |v[1:2]|, s[16:17]
                                        ; implicit-def: $vgpr3_vgpr4
                                        ; implicit-def: $vgpr5_vgpr6
	s_and_saveexec_b64 s[18:19], s[16:17]
	s_xor_b64 s[16:17], exec, s[18:19]
	s_cbranch_execz .LBB19_30
; %bb.29:
	v_trig_preop_f64 v[3:4], |v[1:2]|, 0
	s_mov_b32 s18, 0
	s_mov_b32 s19, 0x7b000000
	s_movk_i32 s15, 0xff80
	v_ldexp_f64 v[9:10], |v[1:2]|, s15
	v_cmp_ge_f64_e64 vcc, |v[1:2]|, s[18:19]
	v_trig_preop_f64 v[5:6], |v[1:2]|, 1
	v_and_b32_e32 v11, 0x7fffffff, v2
	v_trig_preop_f64 v[17:18], |v[1:2]|, 2
	v_mov_b32_e32 v28, 0x40100000
	v_mov_b32_e32 v27, 0
	s_mov_b32 s15, 0x3ff921fb
	v_cndmask_b32_e32 v10, v11, v10, vcc
	v_cndmask_b32_e32 v9, v1, v9, vcc
	v_mul_f64 v[11:12], v[3:4], v[9:10]
	v_mul_f64 v[13:14], v[5:6], v[9:10]
	;; [unrolled: 1-line block ×3, first 2 shown]
	v_fma_f64 v[3:4], v[3:4], v[9:10], -v[11:12]
	v_fma_f64 v[5:6], v[5:6], v[9:10], -v[13:14]
	;; [unrolled: 1-line block ×3, first 2 shown]
	v_add_f64 v[15:16], v[13:14], v[3:4]
	v_add_f64 v[19:20], v[15:16], -v[13:14]
	v_add_f64 v[25:26], v[11:12], v[15:16]
	v_add_f64 v[21:22], v[15:16], -v[19:20]
	v_add_f64 v[3:4], v[3:4], -v[19:20]
	v_add_f64 v[19:20], v[23:24], v[5:6]
	v_add_f64 v[11:12], v[25:26], -v[11:12]
	v_add_f64 v[13:14], v[13:14], -v[21:22]
	v_ldexp_f64 v[21:22], v[25:26], -2
	v_add_f64 v[29:30], v[19:20], -v[23:24]
	v_add_f64 v[11:12], v[15:16], -v[11:12]
	v_add_f64 v[3:4], v[3:4], v[13:14]
	v_fract_f64_e32 v[13:14], v[21:22]
	v_cmp_neq_f64_e64 vcc, |v[21:22]|, s[0:1]
	v_add_f64 v[5:6], v[5:6], -v[29:30]
	v_add_f64 v[15:16], v[19:20], v[3:4]
	v_ldexp_f64 v[13:14], v[13:14], 2
	v_add_f64 v[21:22], v[11:12], v[15:16]
	v_cndmask_b32_e32 v14, 0, v14, vcc
	v_cndmask_b32_e32 v13, 0, v13, vcc
	v_add_f64 v[31:32], v[15:16], -v[19:20]
	v_add_f64 v[25:26], v[21:22], v[13:14]
	v_add_f64 v[11:12], v[21:22], -v[11:12]
	v_add_f64 v[33:34], v[15:16], -v[31:32]
	;; [unrolled: 1-line block ×3, first 2 shown]
	v_cmp_gt_f64_e32 vcc, 0, v[25:26]
	v_add_f64 v[25:26], v[19:20], -v[29:30]
	v_add_f64 v[11:12], v[15:16], -v[11:12]
	;; [unrolled: 1-line block ×3, first 2 shown]
	v_cndmask_b32_e32 v28, 0, v28, vcc
	v_add_f64 v[13:14], v[13:14], v[27:28]
	v_add_f64 v[25:26], v[23:24], -v[25:26]
	v_add_f64 v[3:4], v[3:4], v[19:20]
	v_add_f64 v[35:36], v[21:22], v[13:14]
	;; [unrolled: 1-line block ×3, first 2 shown]
	v_cvt_i32_f64_e32 v30, v[35:36]
	v_add_f64 v[3:4], v[5:6], v[3:4]
	v_cvt_f64_i32_e32 v[28:29], v30
	v_add_f64 v[13:14], v[13:14], -v[28:29]
	v_add_f64 v[3:4], v[9:10], v[3:4]
	v_add_f64 v[5:6], v[21:22], v[13:14]
	;; [unrolled: 1-line block ×3, first 2 shown]
	v_mov_b32_e32 v12, 0x3ff00000
	v_add_f64 v[9:10], v[5:6], -v[13:14]
	v_cmp_le_f64_e32 vcc, 0.5, v[5:6]
	v_add_f64 v[10:11], v[21:22], -v[9:10]
	v_cndmask_b32_e32 v28, 0, v12, vcc
	v_add_f64 v[5:6], v[5:6], -v[27:28]
	v_addc_co_u32_e64 v9, s[0:1], 0, v30, vcc
	s_mov_b32 s0, 0x33145c07
	s_mov_b32 s1, 0x3c91a626
	v_add_f64 v[3:4], v[3:4], v[10:11]
	v_add_f64 v[10:11], v[5:6], v[3:4]
	v_mul_f64 v[12:13], v[10:11], s[14:15]
	v_add_f64 v[5:6], v[10:11], -v[5:6]
	v_fma_f64 v[14:15], v[10:11], s[14:15], -v[12:13]
	v_add_f64 v[3:4], v[3:4], -v[5:6]
	v_fma_f64 v[5:6], v[10:11], s[0:1], v[14:15]
	v_fma_f64 v[5:6], v[3:4], s[14:15], v[5:6]
	v_add_f64 v[3:4], v[12:13], v[5:6]
	v_add_f64 v[10:11], v[3:4], -v[12:13]
	v_add_f64 v[5:6], v[5:6], -v[10:11]
.LBB19_30:
	s_andn2_saveexec_b64 s[0:1], s[16:17]
	s_cbranch_execz .LBB19_32
; %bb.31:
	s_mov_b32 s14, 0x6dc9c883
	s_mov_b32 s15, 0x3fe45f30
	v_mul_f64 v[3:4], |v[1:2]|, s[14:15]
	s_mov_b32 s14, 0x54442d18
	s_mov_b32 s15, 0xbff921fb
	;; [unrolled: 1-line block ×4, first 2 shown]
	v_rndne_f64_e32 v[9:10], v[3:4]
	v_fma_f64 v[3:4], v[9:10], s[14:15], |v[1:2]|
	v_mul_f64 v[5:6], v[9:10], s[16:17]
	s_mov_b32 s14, 0x252049c0
	s_mov_b32 s15, 0xb97b839a
	v_fma_f64 v[15:16], v[9:10], s[16:17], v[3:4]
	v_add_f64 v[11:12], v[3:4], v[5:6]
	s_mov_b32 s17, 0x3c91a626
	v_add_f64 v[13:14], v[3:4], -v[11:12]
	v_add_f64 v[11:12], v[11:12], -v[15:16]
	v_add_f64 v[3:4], v[13:14], v[5:6]
	v_fma_f64 v[5:6], v[9:10], s[16:17], v[5:6]
	v_add_f64 v[3:4], v[11:12], v[3:4]
	v_add_f64 v[3:4], v[3:4], -v[5:6]
	v_fma_f64 v[5:6], v[9:10], s[14:15], v[3:4]
	v_cvt_i32_f64_e32 v9, v[9:10]
	v_add_f64 v[3:4], v[15:16], v[5:6]
	v_add_f64 v[11:12], v[3:4], -v[15:16]
	v_add_f64 v[5:6], v[5:6], -v[11:12]
.LBB19_32:
	s_or_b64 exec, exec, s[0:1]
	v_mul_f64 v[10:11], v[3:4], v[3:4]
	v_add_f64 v[12:13], v[5:6], v[5:6]
	s_mov_b32 s0, 0xc751c08c
	s_mov_b32 s1, 0x3ef5e089
	v_and_b32_e32 v9, 1, v9
	v_cmp_eq_u32_e32 vcc, 0, v9
	s_mov_b32 s16, 0x54442d18
	s_mov_b32 s17, 0xc00921fb
	v_fma_f64 v[14:15], v[3:4], v[3:4], -v[10:11]
	s_mov_b64 s[14:15], exec
	v_sub_f32_e32 v7, 1.0, v7
	v_fma_f64 v[12:13], v[3:4], v[12:13], v[14:15]
	v_add_f64 v[10:11], v[10:11], v[12:13]
	v_mov_b32_e32 v12, 0xa9a29f71
	v_mov_b32_e32 v13, 0xbf078809
	v_fma_f64 v[12:13], v[10:11], s[0:1], v[12:13]
	s_mov_b32 s0, 0x90a8aae0
	s_mov_b32 s1, 0x3f17746f
	v_fma_f64 v[12:13], v[10:11], v[12:13], s[0:1]
	s_mov_b32 s0, 0xa6fbf144
	s_mov_b32 s1, 0xbefbb44d
	;; [unrolled: 3-line block ×12, first 2 shown]
	v_fma_f64 v[12:13], v[10:11], v[12:13], s[0:1]
	s_movk_i32 s0, 0x1f8
	v_cmp_class_f64_e64 s[0:1], v[1:2], s0
	v_mul_f64 v[10:11], v[10:11], v[12:13]
	v_mul_f64 v[12:13], v[3:4], v[10:11]
	v_add_f64 v[14:15], v[3:4], v[12:13]
	v_fma_f64 v[10:11], v[3:4], v[10:11], -v[12:13]
	v_add_f64 v[3:4], v[14:15], -v[3:4]
	v_add_f64 v[5:6], v[5:6], v[10:11]
	v_add_f64 v[3:4], v[12:13], -v[3:4]
	v_add_f64 v[3:4], v[5:6], v[3:4]
	v_add_f64 v[5:6], v[14:15], v[3:4]
	v_rcp_f64_e32 v[10:11], v[5:6]
	v_fma_f64 v[12:13], -v[5:6], v[10:11], 1.0
	v_fma_f64 v[10:11], v[12:13], v[10:11], v[10:11]
	v_fma_f64 v[12:13], -v[5:6], v[10:11], 1.0
	v_fma_f64 v[10:11], v[12:13], v[10:11], v[10:11]
	v_add_f64 v[12:13], v[5:6], -v[14:15]
	v_mul_f64 v[14:15], v[5:6], v[10:11]
	v_add_f64 v[3:4], v[3:4], -v[12:13]
	v_fma_f64 v[12:13], v[10:11], v[5:6], -v[14:15]
	v_fma_f64 v[3:4], v[10:11], v[3:4], v[12:13]
	v_add_f64 v[12:13], v[14:15], v[3:4]
	v_add_f64 v[16:17], -v[12:13], 1.0
	v_add_f64 v[14:15], v[12:13], -v[14:15]
	v_add_f64 v[18:19], -v[16:17], 1.0
	v_add_f64 v[3:4], v[14:15], -v[3:4]
	v_add_f64 v[12:13], v[18:19], -v[12:13]
	v_add_f64 v[3:4], v[3:4], v[12:13]
	v_add_f64 v[3:4], v[16:17], v[3:4]
	v_mul_f64 v[3:4], v[10:11], v[3:4]
	v_add_f64 v[3:4], v[10:11], v[3:4]
	v_and_b32_e32 v10, 0x80000000, v2
	v_mov_b32_e32 v2, 0x7ff80000
	v_xor_b32_e32 v1, 0x80000000, v4
	v_cndmask_b32_e32 v3, v3, v5, vcc
	v_cndmask_b32_e32 v4, v1, v6, vcc
	v_cndmask_b32_e64 v1, 0, v3, s[0:1]
	v_xor_b32_e32 v3, v4, v10
	v_cndmask_b32_e64 v2, v2, v3, s[0:1]
	v_div_scale_f64 v[3:4], s[0:1], v[1:2], v[1:2], s[16:17]
	v_div_scale_f64 v[11:12], vcc, s[16:17], v[1:2], s[16:17]
	v_rcp_f64_e32 v[5:6], v[3:4]
	v_fma_f64 v[9:10], -v[3:4], v[5:6], 1.0
	v_fma_f64 v[5:6], v[5:6], v[9:10], v[5:6]
	v_fma_f64 v[9:10], -v[3:4], v[5:6], 1.0
	v_fma_f64 v[5:6], v[5:6], v[9:10], v[5:6]
	v_mul_f64 v[9:10], v[11:12], v[5:6]
	v_fma_f64 v[3:4], -v[3:4], v[9:10], v[11:12]
	v_div_fmas_f64 v[3:4], v[3:4], v[5:6], v[9:10]
	v_div_fixup_f64 v[1:2], v[3:4], v[1:2], s[16:17]
	v_cvt_f32_f64_e32 v2, v[1:2]
.LBB19_33:
	s_or_b64 exec, exec, s[12:13]
	s_orn2_b64 s[0:1], s[14:15], exec
.LBB19_34:
	s_or_b64 exec, exec, s[10:11]
	v_mov_b32_e32 v1, 0x7fc00000
	s_and_saveexec_b64 s[10:11], s[0:1]
	s_cbranch_execz .LBB19_46
; %bb.35:
	s_mov_b32 s14, 0x41200000
	v_cmp_gt_f32_e32 vcc, s14, v7
	s_and_saveexec_b64 s[0:1], vcc
	s_cbranch_execz .LBB19_39
; %bb.36:
	s_mov_b64 s[12:13], 0
.LBB19_37:                              ; =>This Inner Loop Header: Depth=1
	v_div_scale_f32 v1, s[16:17], v7, v7, 1.0
	v_div_scale_f32 v3, vcc, 1.0, v7, 1.0
	v_rcp_f32_e32 v4, v1
	v_fma_f32 v5, -v1, v4, 1.0
	v_fmac_f32_e32 v4, v5, v4
	v_mul_f32_e32 v5, v3, v4
	v_fma_f32 v6, -v1, v5, v3
	v_fmac_f32_e32 v5, v6, v4
	v_fma_f32 v1, -v1, v5, v3
	v_div_fmas_f32 v1, v1, v4, v5
	v_div_fixup_f32 v1, v1, v7, 1.0
	v_add_f32_e32 v7, 1.0, v7
	v_cmp_ngt_f32_e32 vcc, s14, v7
	s_or_b64 s[12:13], vcc, s[12:13]
	v_sub_f32_e32 v2, v2, v1
	s_andn2_b64 exec, exec, s[12:13]
	s_cbranch_execnz .LBB19_37
; %bb.38:
	s_or_b64 exec, exec, s[12:13]
.LBB19_39:
	s_or_b64 exec, exec, s[0:1]
	s_mov_b32 s0, 0x41200000
	v_cmp_neq_f32_e32 vcc, s0, v7
                                        ; implicit-def: $vgpr1
	s_and_saveexec_b64 s[0:1], vcc
	s_xor_b64 s[12:13], exec, s[0:1]
	s_cbranch_execz .LBB19_43
; %bb.40:
	v_cvt_f64_f32_e32 v[3:4], v7
	s_mov_b32 s0, 0x85d8a000
	s_mov_b32 s1, 0x43763457
	v_mov_b32_e32 v1, 0
	v_cmp_gt_f64_e32 vcc, s[0:1], v[3:4]
	s_and_saveexec_b64 s[0:1], vcc
	s_cbranch_execz .LBB19_42
; %bb.41:
	v_mul_f32_e32 v1, v7, v7
	v_div_scale_f32 v3, s[14:15], v1, v1, 1.0
	v_div_scale_f32 v4, vcc, 1.0, v1, 1.0
	v_mov_b32_e32 v10, 0x3b820821
	v_rcp_f32_e32 v5, v3
	v_fma_f32 v6, -v3, v5, 1.0
	v_fmac_f32_e32 v5, v6, v5
	v_mul_f32_e32 v6, v4, v5
	v_fma_f32 v9, -v3, v6, v4
	v_fmac_f32_e32 v6, v9, v5
	v_fma_f32 v3, -v3, v6, v4
	v_div_fmas_f32 v3, v3, v5, v6
	v_mov_b32_e32 v4, 0x3daaaaab
	v_mov_b32_e32 v5, 0xbcaccacd
	;; [unrolled: 1-line block ×4, first 2 shown]
	v_div_fixup_f32 v1, v3, v1, 1.0
	v_fma_f32 v3, 0, v1, v4
	v_fmac_f32_e32 v5, v1, v3
	v_fmac_f32_e32 v6, v1, v5
	;; [unrolled: 1-line block ×4, first 2 shown]
	v_mov_b32_e32 v3, 0xbc088889
	v_fmac_f32_e32 v3, v1, v10
	v_fmac_f32_e32 v4, v1, v3
	v_mul_f32_e32 v1, v1, v4
.LBB19_42:
	s_or_b64 exec, exec, s[0:1]
	v_div_scale_f32 v3, s[0:1], v7, v7, -0.5
	v_div_scale_f32 v4, vcc, -0.5, v7, -0.5
	s_mov_b32 s0, 0x800000
	v_cmp_gt_f32_e64 s[0:1], s0, v7
	v_cndmask_b32_e64 v6, 0, 32, s[0:1]
	s_mov_b32 s14, 0x3f317217
	v_rcp_f32_e32 v5, v3
	v_fma_f32 v9, -v3, v5, 1.0
	v_fmac_f32_e32 v5, v9, v5
	v_mul_f32_e32 v9, v4, v5
	v_fma_f32 v10, -v3, v9, v4
	v_fmac_f32_e32 v9, v10, v5
	v_fma_f32 v3, -v3, v9, v4
	v_div_fmas_f32 v3, v3, v5, v9
	v_ldexp_f32 v4, v7, v6
	v_log_f32_e32 v4, v4
	v_mul_f32_e32 v5, 0x3f317217, v4
	v_fma_f32 v5, v4, s14, -v5
	v_fmac_f32_e32 v5, 0x3377d1cf, v4
	s_mov_b32 s14, 0x7f800000
	v_fmac_f32_e32 v5, 0x3f317217, v4
	v_cmp_lt_f32_e64 vcc, |v4|, s14
	v_cndmask_b32_e32 v4, v4, v5, vcc
	v_mov_b32_e32 v5, 0x41b17218
	v_cndmask_b32_e64 v5, 0, v5, s[0:1]
	v_sub_f32_e32 v4, v4, v5
	v_div_fixup_f32 v3, v3, v7, -0.5
	v_add_f32_e32 v3, v4, v3
	v_sub_f32_e32 v1, v3, v1
	v_add_f32_e32 v1, v2, v1
                                        ; implicit-def: $vgpr2
.LBB19_43:
	s_andn2_saveexec_b64 s[0:1], s[12:13]
; %bb.44:
	v_add_f32_e32 v1, 0x40101cb7, v2
; %bb.45:
	s_or_b64 exec, exec, s[0:1]
.LBB19_46:
	s_or_b64 exec, exec, s[10:11]
                                        ; implicit-def: $vgpr7
.LBB19_47:
	s_andn2_saveexec_b64 s[0:1], s[8:9]
; %bb.48:
	v_xor_b32_e32 v1, 0x80000000, v7
	s_brev_b32 s8, -2
	v_mov_b32_e32 v2, 0x7f800000
	v_bfi_b32 v1, s8, v2, v1
; %bb.49:
	s_or_b64 exec, exec, s[0:1]
	v_mov_b32_e32 v2, s25
	s_and_b32 s14, s73, 0xff
	v_add_co_u32_e32 v3, vcc, s24, v0
	s_cmp_lt_i32 s14, 11
	v_addc_co_u32_e32 v4, vcc, 0, v2, vcc
	s_cbranch_scc1 .LBB19_57
; %bb.50:
	s_and_b32 s15, 0xffff, s14
	s_cmp_gt_i32 s15, 25
	s_cbranch_scc0 .LBB19_60
; %bb.51:
	s_cmp_gt_i32 s15, 28
	s_cbranch_scc0 .LBB19_62
; %bb.52:
	;; [unrolled: 3-line block ×4, first 2 shown]
	s_mov_b64 s[10:11], 0
	s_mov_b64 s[0:1], -1
	s_cmp_eq_u32 s15, 46
	s_mov_b64 s[8:9], 0
	s_cbranch_scc0 .LBB19_71
; %bb.55:
	v_bfe_u32 v0, v1, 16, 1
	s_movk_i32 s0, 0x7fff
	v_add3_u32 v0, v1, v0, s0
	v_cmp_o_f32_e32 vcc, v1, v1
	v_mov_b32_e32 v2, 0x7fc0
	v_cndmask_b32_sdwa v0, v2, v0, vcc dst_sel:DWORD dst_unused:UNUSED_PAD src0_sel:DWORD src1_sel:WORD_1
	global_store_dword v[3:4], v0, off
	s_mov_b64 s[8:9], -1
	s_mov_b64 s[0:1], 0
	s_branch .LBB19_71
.LBB19_56:
	s_mov_b64 s[2:3], 0
	s_mov_b64 s[0:1], 0
                                        ; implicit-def: $vgpr7
	s_cbranch_execnz .LBB19_205
	s_branch .LBB19_239
.LBB19_57:
	s_mov_b64 s[0:1], 0
	s_mov_b64 s[8:9], 0
	s_cbranch_execnz .LBB19_140
.LBB19_58:
	s_andn2_b64 vcc, exec, s[8:9]
	s_cbranch_vccnz .LBB19_288
	s_branch .LBB19_178
.LBB19_59:
	s_mov_b64 s[8:9], -1
	s_mov_b64 s[2:3], 0
	s_mov_b64 s[0:1], 0
                                        ; implicit-def: $vgpr7
	s_branch .LBB19_186
.LBB19_60:
	s_mov_b64 s[10:11], -1
	s_mov_b64 s[0:1], 0
	s_mov_b64 s[8:9], 0
	s_branch .LBB19_98
.LBB19_61:
	s_mov_b64 s[8:9], -1
	s_mov_b64 s[2:3], 0
	s_mov_b64 s[0:1], 0
                                        ; implicit-def: $vgpr7
	s_branch .LBB19_181
.LBB19_62:
	s_mov_b64 s[10:11], -1
	s_mov_b64 s[0:1], 0
	s_mov_b64 s[8:9], 0
	s_branch .LBB19_81
.LBB19_63:
	s_mov_b64 s[8:9], -1
	s_mov_b64 s[2:3], 0
	s_branch .LBB19_66
.LBB19_64:
	s_mov_b64 s[10:11], -1
	s_mov_b64 s[0:1], 0
	s_mov_b64 s[8:9], 0
	s_branch .LBB19_77
.LBB19_65:
	s_mov_b64 s[2:3], -1
.LBB19_66:
	s_mov_b64 s[0:1], 0
                                        ; implicit-def: $vgpr7
.LBB19_67:
	s_and_b64 vcc, exec, s[8:9]
	s_cbranch_vccz .LBB19_180
; %bb.68:
	s_cmp_eq_u32 s12, 44
	s_cbranch_scc0 .LBB19_179
; %bb.69:
	global_load_ubyte v3, v[1:2], off
	s_movk_i32 s2, 0xff
	v_mov_b32_e32 v4, 0x7f800001
	v_mov_b32_e32 v5, 0x400000
	s_mov_b64 s[0:1], -1
	s_waitcnt vmcnt(0)
	v_lshlrev_b32_e32 v6, 23, v3
	v_cmp_ne_u32_e32 vcc, s2, v3
	v_cndmask_b32_e32 v4, v4, v6, vcc
	v_cmp_ne_u32_e32 vcc, 0, v3
	v_cndmask_b32_e32 v7, v5, v4, vcc
	s_mov_b64 s[2:3], 0
	s_branch .LBB19_180
.LBB19_70:
	s_mov_b64 s[10:11], -1
	s_mov_b64 s[0:1], 0
	s_mov_b64 s[8:9], 0
.LBB19_71:
	s_and_b64 vcc, exec, s[10:11]
	s_cbranch_vccz .LBB19_76
; %bb.72:
	s_cmp_eq_u32 s15, 44
	s_mov_b64 s[0:1], -1
	s_cbranch_scc0 .LBB19_76
; %bb.73:
	v_bfe_u32 v0, v1, 23, 8
	s_movk_i32 s0, 0xff
	v_cmp_ne_u32_e32 vcc, s0, v0
	v_mov_b32_e32 v2, 0xff
	s_and_saveexec_b64 s[8:9], vcc
; %bb.74:
	s_mov_b32 s0, 0x3fffff
	v_and_b32_e32 v5, 0x400000, v1
	v_and_or_b32 v0, v1, s0, v0
	v_cmp_ne_u32_e32 vcc, 0, v5
	v_cmp_ne_u32_e64 s[0:1], 0, v0
	s_and_b64 s[0:1], vcc, s[0:1]
	v_lshrrev_b32_e32 v2, 23, v1
	v_cndmask_b32_e64 v0, 0, 1, s[0:1]
	v_add_u32_e32 v2, v2, v0
; %bb.75:
	s_or_b64 exec, exec, s[8:9]
	s_mov_b64 s[8:9], -1
	s_mov_b64 s[0:1], 0
	global_store_byte v[3:4], v2, off
.LBB19_76:
	s_mov_b64 s[10:11], 0
.LBB19_77:
	s_and_b64 vcc, exec, s[10:11]
	s_cbranch_vccz .LBB19_80
; %bb.78:
	s_cmp_eq_u32 s15, 29
	s_mov_b64 s[0:1], -1
	s_cbranch_scc0 .LBB19_80
; %bb.79:
	v_trunc_f32_e32 v0, v1
	v_mul_f32_e32 v2, 0x2f800000, v0
	v_floor_f32_e32 v2, v2
	v_fmac_f32_e32 v0, 0xcf800000, v2
	v_cvt_u32_f32_e32 v6, v2
	v_cvt_u32_f32_e32 v5, v0
	s_mov_b64 s[8:9], -1
	s_mov_b64 s[0:1], 0
	s_mov_b64 s[10:11], 0
	global_store_dwordx2 v[3:4], v[5:6], off
	s_branch .LBB19_81
.LBB19_80:
	s_mov_b64 s[10:11], 0
.LBB19_81:
	s_and_b64 vcc, exec, s[10:11]
	s_cbranch_vccz .LBB19_97
; %bb.82:
	s_cmp_lt_i32 s15, 27
	s_mov_b64 s[8:9], -1
	s_cbranch_scc1 .LBB19_88
; %bb.83:
	v_cvt_u32_f32_e32 v0, v1
	s_cmp_gt_i32 s15, 27
	s_cbranch_scc0 .LBB19_85
; %bb.84:
	s_mov_b64 s[8:9], 0
	global_store_dword v[3:4], v0, off
.LBB19_85:
	s_andn2_b64 vcc, exec, s[8:9]
	s_cbranch_vccnz .LBB19_87
; %bb.86:
	global_store_short v[3:4], v0, off
.LBB19_87:
	s_mov_b64 s[8:9], 0
.LBB19_88:
	s_andn2_b64 vcc, exec, s[8:9]
	s_cbranch_vccnz .LBB19_96
; %bb.89:
	v_and_b32_e32 v0, 0x7fffffff, v1
	s_mov_b32 s8, 0x43800000
	v_cmp_gt_u32_e32 vcc, s8, v0
	v_mov_b32_e32 v2, 0x80
	s_and_saveexec_b64 s[8:9], vcc
	s_cbranch_execz .LBB19_95
; %bb.90:
	s_mov_b32 s10, 0x3bffffff
	v_cmp_lt_u32_e32 vcc, s10, v0
	s_mov_b64 s[10:11], 0
                                        ; implicit-def: $vgpr0
	s_and_saveexec_b64 s[12:13], vcc
	s_xor_b64 s[12:13], exec, s[12:13]
	s_cbranch_execz .LBB19_355
; %bb.91:
	v_bfe_u32 v0, v1, 20, 1
	s_mov_b32 s16, 0x487ffff
	v_add3_u32 v0, v1, v0, s16
	s_mov_b64 s[10:11], exec
	v_lshrrev_b32_e32 v0, 20, v0
	s_andn2_saveexec_b64 s[12:13], s[12:13]
	s_cbranch_execnz .LBB19_356
.LBB19_92:
	s_or_b64 exec, exec, s[12:13]
	v_mov_b32_e32 v2, 0
	s_and_saveexec_b64 s[12:13], s[10:11]
.LBB19_93:
	v_lshrrev_b32_e32 v2, 24, v1
	s_movk_i32 s10, 0x80
	v_and_or_b32 v2, v2, s10, v0
.LBB19_94:
	s_or_b64 exec, exec, s[12:13]
.LBB19_95:
	s_or_b64 exec, exec, s[8:9]
	global_store_byte v[3:4], v2, off
.LBB19_96:
	s_mov_b64 s[8:9], -1
.LBB19_97:
	s_mov_b64 s[10:11], 0
.LBB19_98:
	s_and_b64 vcc, exec, s[10:11]
	s_cbranch_vccz .LBB19_139
; %bb.99:
	s_cmp_gt_i32 s15, 22
	s_mov_b64 s[10:11], -1
	s_cbranch_scc0 .LBB19_131
; %bb.100:
	s_cmp_lt_i32 s15, 24
	s_mov_b64 s[8:9], -1
	s_cbranch_scc1 .LBB19_120
; %bb.101:
	s_cmp_gt_i32 s15, 24
	s_cbranch_scc0 .LBB19_109
; %bb.102:
	v_and_b32_e32 v0, 0x7fffffff, v1
	s_mov_b32 s8, 0x47800000
	v_cmp_gt_u32_e32 vcc, s8, v0
	v_mov_b32_e32 v2, 0x80
	s_and_saveexec_b64 s[8:9], vcc
	s_cbranch_execz .LBB19_108
; %bb.103:
	s_mov_b32 s10, 0x37ffffff
	v_cmp_lt_u32_e32 vcc, s10, v0
	s_mov_b64 s[10:11], 0
                                        ; implicit-def: $vgpr0
	s_and_saveexec_b64 s[12:13], vcc
	s_xor_b64 s[12:13], exec, s[12:13]
	s_cbranch_execz .LBB19_359
; %bb.104:
	v_bfe_u32 v0, v1, 21, 1
	s_mov_b32 s16, 0x88fffff
	v_add3_u32 v0, v1, v0, s16
	s_mov_b64 s[10:11], exec
	v_lshrrev_b32_e32 v0, 21, v0
	s_andn2_saveexec_b64 s[12:13], s[12:13]
	s_cbranch_execnz .LBB19_360
.LBB19_105:
	s_or_b64 exec, exec, s[12:13]
	v_mov_b32_e32 v2, 0
	s_and_saveexec_b64 s[12:13], s[10:11]
.LBB19_106:
	v_lshrrev_b32_e32 v2, 24, v1
	s_movk_i32 s10, 0x80
	v_and_or_b32 v2, v2, s10, v0
.LBB19_107:
	s_or_b64 exec, exec, s[12:13]
.LBB19_108:
	s_or_b64 exec, exec, s[8:9]
	s_mov_b64 s[8:9], 0
	global_store_byte v[3:4], v2, off
.LBB19_109:
	s_and_b64 vcc, exec, s[8:9]
	s_cbranch_vccz .LBB19_119
; %bb.110:
	v_and_b32_e32 v2, 0x7fffffff, v1
	s_mov_b32 s8, 0x43f00000
	v_cmp_gt_u32_e32 vcc, s8, v2
                                        ; implicit-def: $vgpr0
	s_and_saveexec_b64 s[8:9], vcc
	s_xor_b64 s[8:9], exec, s[8:9]
	s_cbranch_execz .LBB19_116
; %bb.111:
	s_mov_b32 s10, 0x3c7fffff
	v_cmp_lt_u32_e32 vcc, s10, v2
                                        ; implicit-def: $vgpr0
	s_and_saveexec_b64 s[10:11], vcc
	s_xor_b64 s[10:11], exec, s[10:11]
; %bb.112:
	v_bfe_u32 v0, v1, 20, 1
	s_mov_b32 s12, 0x407ffff
	v_add3_u32 v0, v1, v0, s12
	v_lshrrev_b32_e32 v2, 20, v0
	v_and_b32_e32 v0, 0xff00000, v0
	s_mov_b32 s12, 0x7f00000
	v_mov_b32_e32 v5, 0x7e
	v_cmp_ne_u32_e32 vcc, s12, v0
	v_cndmask_b32_e32 v0, v5, v2, vcc
; %bb.113:
	s_andn2_saveexec_b64 s[10:11], s[10:11]
; %bb.114:
	s_mov_b32 s12, 0x46800000
	v_add_f32_e64 v0, |v1|, s12
; %bb.115:
	s_or_b64 exec, exec, s[10:11]
                                        ; implicit-def: $vgpr2
.LBB19_116:
	s_andn2_saveexec_b64 s[8:9], s[8:9]
; %bb.117:
	s_mov_b32 s10, 0x7f800000
	v_mov_b32_e32 v0, 0x7e
	v_mov_b32_e32 v5, 0x7f
	v_cmp_lt_u32_e32 vcc, s10, v2
	v_cndmask_b32_e32 v0, v0, v5, vcc
; %bb.118:
	s_or_b64 exec, exec, s[8:9]
	v_lshrrev_b32_e32 v2, 24, v1
	s_movk_i32 s8, 0x80
	v_and_or_b32 v0, v2, s8, v0
	global_store_byte v[3:4], v0, off
.LBB19_119:
	s_mov_b64 s[8:9], 0
.LBB19_120:
	s_andn2_b64 vcc, exec, s[8:9]
	s_cbranch_vccnz .LBB19_130
; %bb.121:
	v_and_b32_e32 v2, 0x7fffffff, v1
	s_mov_b32 s8, 0x47800000
	v_cmp_gt_u32_e32 vcc, s8, v2
                                        ; implicit-def: $vgpr0
	s_and_saveexec_b64 s[8:9], vcc
	s_xor_b64 s[8:9], exec, s[8:9]
	s_cbranch_execz .LBB19_127
; %bb.122:
	s_mov_b32 s10, 0x387fffff
	v_cmp_lt_u32_e32 vcc, s10, v2
                                        ; implicit-def: $vgpr0
	s_and_saveexec_b64 s[10:11], vcc
	s_xor_b64 s[10:11], exec, s[10:11]
; %bb.123:
	v_bfe_u32 v0, v1, 21, 1
	s_mov_b32 s12, 0x80fffff
	v_add3_u32 v0, v1, v0, s12
	v_lshrrev_b32_e32 v0, 21, v0
; %bb.124:
	s_andn2_saveexec_b64 s[10:11], s[10:11]
; %bb.125:
	s_mov_b32 s12, 0x43000000
	v_add_f32_e64 v0, |v1|, s12
; %bb.126:
	s_or_b64 exec, exec, s[10:11]
                                        ; implicit-def: $vgpr2
.LBB19_127:
	s_andn2_saveexec_b64 s[8:9], s[8:9]
; %bb.128:
	s_mov_b32 s10, 0x7f800000
	v_mov_b32_e32 v0, 0x7c
	v_mov_b32_e32 v5, 0x7f
	v_cmp_lt_u32_e32 vcc, s10, v2
	v_cndmask_b32_e32 v0, v0, v5, vcc
; %bb.129:
	s_or_b64 exec, exec, s[8:9]
	v_lshrrev_b32_e32 v2, 24, v1
	s_movk_i32 s8, 0x80
	v_and_or_b32 v0, v2, s8, v0
	global_store_byte v[3:4], v0, off
.LBB19_130:
	s_mov_b64 s[10:11], 0
	s_mov_b64 s[8:9], -1
.LBB19_131:
	s_andn2_b64 vcc, exec, s[10:11]
	s_cbranch_vccnz .LBB19_139
; %bb.132:
	s_cmp_gt_i32 s15, 14
	s_mov_b64 s[10:11], -1
	s_cbranch_scc0 .LBB19_136
; %bb.133:
	s_cmp_eq_u32 s15, 15
	s_mov_b64 s[0:1], -1
	s_cbranch_scc0 .LBB19_135
; %bb.134:
	v_bfe_u32 v0, v1, 16, 1
	s_movk_i32 s0, 0x7fff
	v_add3_u32 v0, v1, v0, s0
	v_cmp_o_f32_e32 vcc, v1, v1
	v_mov_b32_e32 v2, 0x7fc0
	v_cndmask_b32_sdwa v0, v2, v0, vcc dst_sel:DWORD dst_unused:UNUSED_PAD src0_sel:DWORD src1_sel:WORD_1
	global_store_short v[3:4], v0, off
	s_mov_b64 s[8:9], -1
	s_mov_b64 s[0:1], 0
.LBB19_135:
	s_mov_b64 s[10:11], 0
.LBB19_136:
	s_and_b64 vcc, exec, s[10:11]
	s_cbranch_vccz .LBB19_139
; %bb.137:
	s_cmp_eq_u32 s15, 11
	s_mov_b64 s[0:1], -1
	s_cbranch_scc0 .LBB19_139
; %bb.138:
	v_cmp_neq_f32_e32 vcc, 0, v1
	v_cndmask_b32_e64 v0, 0, 1, vcc
	s_mov_b64 s[8:9], -1
	s_mov_b64 s[0:1], 0
	global_store_byte v[3:4], v0, off
.LBB19_139:
	s_branch .LBB19_58
.LBB19_140:
	s_and_b32 s10, 0xffff, s14
	s_cmp_lt_i32 s10, 5
	s_mov_b64 s[8:9], -1
	s_cbranch_scc1 .LBB19_161
; %bb.141:
	s_cmp_lt_i32 s10, 8
	s_cbranch_scc1 .LBB19_151
; %bb.142:
	s_cmp_lt_i32 s10, 9
	s_cbranch_scc1 .LBB19_148
; %bb.143:
	s_cmp_gt_i32 s10, 9
	s_cbranch_scc0 .LBB19_145
; %bb.144:
	v_cvt_f64_f32_e32 v[9:10], v1
	v_mov_b32_e32 v11, 0
	v_mov_b32_e32 v12, v11
	s_mov_b64 s[8:9], 0
	global_store_dwordx4 v[3:4], v[9:12], off
.LBB19_145:
	s_andn2_b64 vcc, exec, s[8:9]
	s_cbranch_vccnz .LBB19_147
; %bb.146:
	v_mov_b32_e32 v2, 0
	global_store_dwordx2 v[3:4], v[1:2], off
.LBB19_147:
	s_mov_b64 s[8:9], 0
.LBB19_148:
	s_andn2_b64 vcc, exec, s[8:9]
	s_cbranch_vccnz .LBB19_150
; %bb.149:
	v_cvt_f16_f32_e32 v0, v1
	global_store_dword v[3:4], v0, off
.LBB19_150:
	s_mov_b64 s[8:9], 0
.LBB19_151:
	s_andn2_b64 vcc, exec, s[8:9]
	s_cbranch_vccnz .LBB19_160
; %bb.152:
	s_cmp_lt_i32 s10, 6
	s_mov_b64 s[8:9], -1
	s_cbranch_scc1 .LBB19_158
; %bb.153:
	s_cmp_gt_i32 s10, 6
	s_cbranch_scc0 .LBB19_155
; %bb.154:
	v_cvt_f64_f32_e32 v[5:6], v1
	s_mov_b64 s[8:9], 0
	global_store_dwordx2 v[3:4], v[5:6], off
.LBB19_155:
	s_andn2_b64 vcc, exec, s[8:9]
	s_cbranch_vccnz .LBB19_157
; %bb.156:
	global_store_dword v[3:4], v1, off
.LBB19_157:
	s_mov_b64 s[8:9], 0
.LBB19_158:
	s_andn2_b64 vcc, exec, s[8:9]
	s_cbranch_vccnz .LBB19_160
; %bb.159:
	v_cvt_f16_f32_e32 v0, v1
	global_store_short v[3:4], v0, off
.LBB19_160:
	s_mov_b64 s[8:9], 0
.LBB19_161:
	s_andn2_b64 vcc, exec, s[8:9]
	s_cbranch_vccnz .LBB19_177
; %bb.162:
	s_cmp_lt_i32 s10, 2
	s_mov_b64 s[8:9], -1
	s_cbranch_scc1 .LBB19_172
; %bb.163:
	s_cmp_lt_i32 s10, 3
	s_cbranch_scc1 .LBB19_169
; %bb.164:
	s_cmp_gt_i32 s10, 3
	s_cbranch_scc0 .LBB19_166
; %bb.165:
	v_trunc_f32_e32 v0, v1
	s_mov_b32 s8, 0x2f800000
	v_mul_f32_e64 v2, |v0|, s8
	v_floor_f32_e32 v2, v2
	s_mov_b32 s8, 0xcf800000
	v_cvt_u32_f32_e32 v5, v2
	v_fma_f32 v2, v2, s8, |v0|
	v_cvt_u32_f32_e32 v2, v2
	v_ashrrev_i32_e32 v0, 31, v0
	v_xor_b32_e32 v6, v5, v0
	s_mov_b64 s[8:9], 0
	v_xor_b32_e32 v2, v2, v0
	v_sub_co_u32_e32 v5, vcc, v2, v0
	v_subb_co_u32_e32 v6, vcc, v6, v0, vcc
	global_store_dwordx2 v[3:4], v[5:6], off
.LBB19_166:
	s_andn2_b64 vcc, exec, s[8:9]
	s_cbranch_vccnz .LBB19_168
; %bb.167:
	v_cvt_i32_f32_e32 v0, v1
	global_store_dword v[3:4], v0, off
.LBB19_168:
	s_mov_b64 s[8:9], 0
.LBB19_169:
	s_andn2_b64 vcc, exec, s[8:9]
	s_cbranch_vccnz .LBB19_171
; %bb.170:
	v_cvt_i32_f32_e32 v0, v1
	global_store_short v[3:4], v0, off
.LBB19_171:
	s_mov_b64 s[8:9], 0
.LBB19_172:
	s_andn2_b64 vcc, exec, s[8:9]
	s_cbranch_vccnz .LBB19_177
; %bb.173:
	s_cmp_gt_i32 s10, 0
	s_mov_b64 s[8:9], -1
	s_cbranch_scc0 .LBB19_175
; %bb.174:
	v_cvt_i32_f32_e32 v0, v1
	s_mov_b64 s[8:9], 0
	global_store_byte v[3:4], v0, off
.LBB19_175:
	s_andn2_b64 vcc, exec, s[8:9]
	s_cbranch_vccnz .LBB19_177
; %bb.176:
	v_trunc_f32_e32 v0, v1
	s_mov_b32 s8, 0x2f800000
	v_mul_f32_e64 v1, |v0|, s8
	v_floor_f32_e32 v1, v1
	s_mov_b32 s8, 0xcf800000
	v_fma_f32 v1, v1, s8, |v0|
	v_cvt_u32_f32_e32 v1, v1
	v_ashrrev_i32_e32 v0, 31, v0
	v_xor_b32_e32 v1, v1, v0
	v_sub_u32_e32 v0, v1, v0
	global_store_byte v[3:4], v0, off
.LBB19_177:
.LBB19_178:
	v_add_u32_e32 v8, 0x80, v8
	s_mov_b64 s[8:9], -1
	s_branch .LBB19_289
.LBB19_179:
	s_mov_b64 s[2:3], -1
                                        ; implicit-def: $vgpr7
.LBB19_180:
	s_mov_b64 s[8:9], 0
.LBB19_181:
	s_and_b64 vcc, exec, s[8:9]
	s_cbranch_vccz .LBB19_185
; %bb.182:
	s_cmp_eq_u32 s12, 29
	s_cbranch_scc0 .LBB19_184
; %bb.183:
	global_load_dwordx2 v[3:4], v[1:2], off
	s_mov_b64 s[0:1], -1
	s_mov_b64 s[2:3], 0
	s_mov_b64 s[8:9], 0
	s_waitcnt vmcnt(0)
	v_ffbh_u32_e32 v5, v4
	v_min_u32_e32 v5, 32, v5
	v_lshlrev_b64 v[3:4], v5, v[3:4]
	v_min_u32_e32 v3, 1, v3
	v_or_b32_e32 v3, v4, v3
	v_cvt_f32_u32_e32 v3, v3
	v_sub_u32_e32 v4, 32, v5
	v_ldexp_f32 v7, v3, v4
	s_branch .LBB19_186
.LBB19_184:
	s_mov_b64 s[2:3], -1
                                        ; implicit-def: $vgpr7
.LBB19_185:
	s_mov_b64 s[8:9], 0
.LBB19_186:
	s_and_b64 vcc, exec, s[8:9]
	s_cbranch_vccz .LBB19_204
; %bb.187:
	s_cmp_lt_i32 s12, 27
	s_cbranch_scc1 .LBB19_190
; %bb.188:
	s_cmp_gt_i32 s12, 27
	s_cbranch_scc0 .LBB19_191
; %bb.189:
	global_load_dword v3, v[1:2], off
	s_mov_b64 s[0:1], 0
	s_waitcnt vmcnt(0)
	v_cvt_f32_u32_e32 v7, v3
	s_branch .LBB19_192
.LBB19_190:
	s_mov_b64 s[0:1], -1
                                        ; implicit-def: $vgpr7
	s_branch .LBB19_195
.LBB19_191:
	s_mov_b64 s[0:1], -1
                                        ; implicit-def: $vgpr7
.LBB19_192:
	s_andn2_b64 vcc, exec, s[0:1]
	s_cbranch_vccnz .LBB19_194
; %bb.193:
	global_load_ushort v3, v[1:2], off
	s_waitcnt vmcnt(0)
	v_cvt_f32_u32_e32 v7, v3
.LBB19_194:
	s_mov_b64 s[0:1], 0
.LBB19_195:
	s_andn2_b64 vcc, exec, s[0:1]
	s_cbranch_vccnz .LBB19_203
; %bb.196:
	global_load_ubyte v3, v[1:2], off
	s_movk_i32 s0, 0x7f
	s_waitcnt vmcnt(0)
	v_cmp_lt_i16_e32 vcc, s0, v3
	s_mov_b64 s[0:1], 0
	s_and_saveexec_b64 s[8:9], vcc
	s_xor_b64 s[8:9], exec, s[8:9]
	s_cbranch_execz .LBB19_216
; %bb.197:
	s_movk_i32 s0, 0x80
	v_cmp_eq_u16_e32 vcc, s0, v3
	s_mov_b64 s[0:1], -1
	s_and_saveexec_b64 s[10:11], vcc
; %bb.198:
	s_xor_b64 s[0:1], exec, -1
; %bb.199:
	s_or_b64 exec, exec, s[10:11]
	s_and_b64 s[0:1], s[0:1], exec
	s_or_saveexec_b64 s[8:9], s[8:9]
	v_mov_b32_e32 v7, 0x7f800001
	s_xor_b64 exec, exec, s[8:9]
	s_cbranch_execnz .LBB19_217
.LBB19_200:
	s_or_b64 exec, exec, s[8:9]
	s_and_saveexec_b64 s[8:9], s[0:1]
	s_cbranch_execz .LBB19_202
.LBB19_201:
	v_lshlrev_b32_e32 v4, 24, v3
	v_and_b32_e32 v3, 0xffff, v3
	v_and_b32_e32 v5, 7, v3
	v_ffbh_u32_e32 v7, v5
	v_min_u32_e32 v7, 32, v7
	v_subrev_u32_e32 v9, 28, v7
	v_bfe_u32 v6, v3, 3, 4
	v_lshlrev_b32_e32 v3, v9, v3
	v_sub_u32_e32 v7, 29, v7
	v_and_b32_e32 v3, 7, v3
	v_cmp_eq_u32_e32 vcc, 0, v6
	v_cndmask_b32_e32 v6, v6, v7, vcc
	v_cndmask_b32_e32 v3, v5, v3, vcc
	v_mov_b32_e32 v5, 0x3b800000
	v_lshlrev_b32_e32 v3, 20, v3
	v_and_b32_e32 v4, 0x80000000, v4
	v_lshl_add_u32 v5, v6, 23, v5
	v_or3_b32 v7, v4, v5, v3
.LBB19_202:
	s_or_b64 exec, exec, s[8:9]
.LBB19_203:
	s_mov_b64 s[0:1], -1
.LBB19_204:
	s_branch .LBB19_239
.LBB19_205:
	s_cmp_gt_i32 s12, 22
	s_cbranch_scc0 .LBB19_215
; %bb.206:
	s_cmp_lt_i32 s12, 24
	s_cbranch_scc1 .LBB19_218
; %bb.207:
	s_cmp_gt_i32 s12, 24
	s_cbranch_scc0 .LBB19_219
; %bb.208:
	global_load_ubyte v3, v[1:2], off
	s_movk_i32 s0, 0x7f
	s_waitcnt vmcnt(0)
	v_cmp_lt_i16_e32 vcc, s0, v3
	s_mov_b64 s[0:1], 0
	s_and_saveexec_b64 s[8:9], vcc
	s_xor_b64 s[8:9], exec, s[8:9]
	s_cbranch_execz .LBB19_231
; %bb.209:
	s_movk_i32 s0, 0x80
	v_cmp_eq_u16_e32 vcc, s0, v3
	s_mov_b64 s[0:1], -1
	s_and_saveexec_b64 s[10:11], vcc
; %bb.210:
	s_xor_b64 s[0:1], exec, -1
; %bb.211:
	s_or_b64 exec, exec, s[10:11]
	s_and_b64 s[0:1], s[0:1], exec
	s_or_saveexec_b64 s[8:9], s[8:9]
	v_mov_b32_e32 v7, 0x7f800001
	s_xor_b64 exec, exec, s[8:9]
	s_cbranch_execnz .LBB19_232
.LBB19_212:
	s_or_b64 exec, exec, s[8:9]
	s_and_saveexec_b64 s[8:9], s[0:1]
	s_cbranch_execz .LBB19_214
.LBB19_213:
	v_lshlrev_b32_e32 v4, 24, v3
	v_and_b32_e32 v3, 0xffff, v3
	v_and_b32_e32 v5, 3, v3
	v_ffbh_u32_e32 v7, v5
	v_min_u32_e32 v7, 32, v7
	v_subrev_u32_e32 v9, 29, v7
	v_bfe_u32 v6, v3, 2, 5
	v_lshlrev_b32_e32 v3, v9, v3
	v_sub_u32_e32 v7, 30, v7
	v_and_b32_e32 v3, 3, v3
	v_cmp_eq_u32_e32 vcc, 0, v6
	v_cndmask_b32_e32 v6, v6, v7, vcc
	v_cndmask_b32_e32 v3, v5, v3, vcc
	v_mov_b32_e32 v5, 0x37800000
	v_lshlrev_b32_e32 v3, 21, v3
	v_and_b32_e32 v4, 0x80000000, v4
	v_lshl_add_u32 v5, v6, 23, v5
	v_or3_b32 v7, v4, v5, v3
.LBB19_214:
	s_or_b64 exec, exec, s[8:9]
	s_mov_b64 s[0:1], 0
	s_branch .LBB19_220
.LBB19_215:
	s_mov_b64 s[8:9], -1
                                        ; implicit-def: $vgpr7
	s_branch .LBB19_226
.LBB19_216:
	s_or_saveexec_b64 s[8:9], s[8:9]
	v_mov_b32_e32 v7, 0x7f800001
	s_xor_b64 exec, exec, s[8:9]
	s_cbranch_execz .LBB19_200
.LBB19_217:
	v_cmp_ne_u16_e32 vcc, 0, v3
	s_andn2_b64 s[0:1], s[0:1], exec
	s_and_b64 s[10:11], vcc, exec
	v_mov_b32_e32 v7, 0
	s_or_b64 s[0:1], s[0:1], s[10:11]
	s_or_b64 exec, exec, s[8:9]
	s_and_saveexec_b64 s[8:9], s[0:1]
	s_cbranch_execnz .LBB19_201
	s_branch .LBB19_202
.LBB19_218:
	s_mov_b64 s[0:1], -1
                                        ; implicit-def: $vgpr7
	s_branch .LBB19_223
.LBB19_219:
	s_mov_b64 s[0:1], -1
                                        ; implicit-def: $vgpr7
.LBB19_220:
	s_and_b64 vcc, exec, s[0:1]
	s_cbranch_vccz .LBB19_222
; %bb.221:
	global_load_ubyte v3, v[1:2], off
	s_mov_b32 s0, 0x7f800000
	s_waitcnt vmcnt(0)
	v_lshlrev_b32_e32 v3, 24, v3
	v_and_b32_e32 v4, 0x7f000000, v3
	v_ffbh_u32_e32 v5, v4
	v_min_u32_e32 v5, 32, v5
	v_sub_u32_e64 v5, v5, 4 clamp
	v_lshlrev_b32_e32 v7, v5, v4
	v_lshlrev_b32_e32 v5, 23, v5
	v_lshrrev_b32_e32 v7, 4, v7
	v_add_u32_e32 v6, 0x1000000, v4
	v_sub_u32_e32 v5, v7, v5
	v_ashrrev_i32_e32 v6, 8, v6
	v_add_u32_e32 v5, 0x3c000000, v5
	v_and_or_b32 v5, v6, s0, v5
	v_cmp_ne_u32_e32 vcc, 0, v4
	v_cndmask_b32_e32 v4, 0, v5, vcc
	s_brev_b32 s0, 1
	v_and_or_b32 v7, v3, s0, v4
.LBB19_222:
	s_mov_b64 s[0:1], 0
.LBB19_223:
	s_andn2_b64 vcc, exec, s[0:1]
	s_cbranch_vccnz .LBB19_225
; %bb.224:
	global_load_ubyte v3, v[1:2], off
	s_movk_i32 s0, 0x7f00
	s_brev_b32 s1, 16
	s_waitcnt vmcnt(0)
	v_lshlrev_b16_e32 v4, 8, v3
	v_lshlrev_b32_e32 v3, 25, v3
	v_lshrrev_b32_e32 v5, 4, v3
	v_and_or_b32 v6, v4, s0, 0.5
	v_or_b32_e32 v5, 0x70000000, v5
	v_add_f32_e32 v6, -0.5, v6
	v_mul_f32_e32 v5, 0x7800000, v5
	v_cmp_gt_u32_e32 vcc, s1, v3
	v_bfe_i32 v4, v4, 0, 16
	v_cndmask_b32_e32 v3, v5, v6, vcc
	s_brev_b32 s0, 1
	v_and_or_b32 v7, v4, s0, v3
.LBB19_225:
	s_mov_b64 s[8:9], 0
	s_mov_b64 s[0:1], -1
.LBB19_226:
	s_andn2_b64 vcc, exec, s[8:9]
	s_cbranch_vccnz .LBB19_239
; %bb.227:
	s_cmp_gt_i32 s12, 14
	s_cbranch_scc0 .LBB19_230
; %bb.228:
	s_cmp_eq_u32 s12, 15
	s_cbranch_scc0 .LBB19_233
; %bb.229:
	global_load_ushort v3, v[1:2], off
	s_mov_b64 s[0:1], -1
	s_mov_b64 s[2:3], 0
	s_waitcnt vmcnt(0)
	v_lshlrev_b32_e32 v7, 16, v3
	s_branch .LBB19_234
.LBB19_230:
	s_mov_b64 s[8:9], -1
                                        ; implicit-def: $vgpr7
	s_branch .LBB19_235
.LBB19_231:
	s_or_saveexec_b64 s[8:9], s[8:9]
	v_mov_b32_e32 v7, 0x7f800001
	s_xor_b64 exec, exec, s[8:9]
	s_cbranch_execz .LBB19_212
.LBB19_232:
	v_cmp_ne_u16_e32 vcc, 0, v3
	s_andn2_b64 s[0:1], s[0:1], exec
	s_and_b64 s[10:11], vcc, exec
	v_mov_b32_e32 v7, 0
	s_or_b64 s[0:1], s[0:1], s[10:11]
	s_or_b64 exec, exec, s[8:9]
	s_and_saveexec_b64 s[8:9], s[0:1]
	s_cbranch_execnz .LBB19_213
	s_branch .LBB19_214
.LBB19_233:
	s_mov_b64 s[2:3], -1
                                        ; implicit-def: $vgpr7
.LBB19_234:
	s_mov_b64 s[8:9], 0
.LBB19_235:
	s_and_b64 vcc, exec, s[8:9]
	s_cbranch_vccz .LBB19_239
; %bb.236:
	s_cmp_eq_u32 s12, 11
	s_cbranch_scc0 .LBB19_238
; %bb.237:
	global_load_ubyte v3, v[1:2], off
	s_mov_b64 s[0:1], -1
	s_mov_b64 s[2:3], 0
	s_waitcnt vmcnt(0)
	v_cmp_ne_u16_e32 vcc, 0, v3
	v_cndmask_b32_e64 v7, 0, 1.0, vcc
	s_branch .LBB19_239
.LBB19_238:
	s_mov_b64 s[2:3], -1
                                        ; implicit-def: $vgpr7
.LBB19_239:
	s_branch .LBB19_24
.LBB19_240:
	s_cmp_lt_i32 s12, 5
	s_cbranch_scc1 .LBB19_245
; %bb.241:
	s_cmp_lt_i32 s12, 8
	s_cbranch_scc1 .LBB19_246
; %bb.242:
	;; [unrolled: 3-line block ×3, first 2 shown]
	s_cmp_gt_i32 s12, 9
	s_cbranch_scc0 .LBB19_248
; %bb.244:
	global_load_dwordx2 v[3:4], v[1:2], off
	s_mov_b64 s[0:1], 0
	s_waitcnt vmcnt(0)
	v_cvt_f32_f64_e32 v7, v[3:4]
	s_branch .LBB19_249
.LBB19_245:
                                        ; implicit-def: $vgpr7
	s_branch .LBB19_267
.LBB19_246:
	s_mov_b64 s[0:1], -1
                                        ; implicit-def: $vgpr7
	s_branch .LBB19_255
.LBB19_247:
	s_mov_b64 s[0:1], -1
                                        ; implicit-def: $vgpr7
	s_branch .LBB19_252
.LBB19_248:
	s_mov_b64 s[0:1], -1
                                        ; implicit-def: $vgpr7
.LBB19_249:
	s_andn2_b64 vcc, exec, s[0:1]
	s_cbranch_vccnz .LBB19_251
; %bb.250:
	global_load_dword v7, v[1:2], off
.LBB19_251:
	s_mov_b64 s[0:1], 0
.LBB19_252:
	s_andn2_b64 vcc, exec, s[0:1]
	s_cbranch_vccnz .LBB19_254
; %bb.253:
	global_load_dword v3, v[1:2], off
	s_waitcnt vmcnt(0)
	v_cvt_f32_f16_e32 v7, v3
.LBB19_254:
	s_mov_b64 s[0:1], 0
.LBB19_255:
	s_andn2_b64 vcc, exec, s[0:1]
	s_cbranch_vccnz .LBB19_266
; %bb.256:
	s_cmp_lt_i32 s12, 6
	s_cbranch_scc1 .LBB19_259
; %bb.257:
	s_cmp_gt_i32 s12, 6
	s_cbranch_scc0 .LBB19_260
; %bb.258:
	global_load_dwordx2 v[3:4], v[1:2], off
	s_mov_b64 s[0:1], 0
	s_waitcnt vmcnt(0)
	v_cvt_f32_f64_e32 v7, v[3:4]
	s_branch .LBB19_261
.LBB19_259:
	s_mov_b64 s[0:1], -1
                                        ; implicit-def: $vgpr7
	s_branch .LBB19_264
.LBB19_260:
	s_mov_b64 s[0:1], -1
                                        ; implicit-def: $vgpr7
.LBB19_261:
	s_andn2_b64 vcc, exec, s[0:1]
	s_cbranch_vccnz .LBB19_263
; %bb.262:
	global_load_dword v7, v[1:2], off
.LBB19_263:
	s_mov_b64 s[0:1], 0
.LBB19_264:
	s_andn2_b64 vcc, exec, s[0:1]
	s_cbranch_vccnz .LBB19_266
; %bb.265:
	global_load_ushort v3, v[1:2], off
	s_waitcnt vmcnt(0)
	v_cvt_f32_f16_e32 v7, v3
.LBB19_266:
	s_cbranch_execnz .LBB19_286
.LBB19_267:
	s_cmp_lt_i32 s12, 2
	s_cbranch_scc1 .LBB19_271
; %bb.268:
	s_cmp_lt_i32 s12, 3
	s_cbranch_scc1 .LBB19_272
; %bb.269:
	s_cmp_gt_i32 s12, 3
	s_cbranch_scc0 .LBB19_273
; %bb.270:
	global_load_dwordx2 v[3:4], v[1:2], off
	s_mov_b64 s[0:1], 0
	s_waitcnt vmcnt(0)
	v_xor_b32_e32 v6, v3, v4
	v_ffbh_i32_e32 v5, v4
	v_ashrrev_i32_e32 v6, 31, v6
	v_add_u32_e32 v5, -1, v5
	v_add_u32_e32 v6, 32, v6
	v_min_u32_e32 v5, v5, v6
	v_lshlrev_b64 v[3:4], v5, v[3:4]
	v_min_u32_e32 v3, 1, v3
	v_or_b32_e32 v3, v4, v3
	v_cvt_f32_i32_e32 v3, v3
	v_sub_u32_e32 v4, 32, v5
	v_ldexp_f32 v7, v3, v4
	s_branch .LBB19_274
.LBB19_271:
	s_mov_b64 s[0:1], -1
                                        ; implicit-def: $vgpr7
	s_branch .LBB19_280
.LBB19_272:
	s_mov_b64 s[0:1], -1
                                        ; implicit-def: $vgpr7
	s_branch .LBB19_277
.LBB19_273:
	s_mov_b64 s[0:1], -1
                                        ; implicit-def: $vgpr7
.LBB19_274:
	s_andn2_b64 vcc, exec, s[0:1]
	s_cbranch_vccnz .LBB19_276
; %bb.275:
	global_load_dword v3, v[1:2], off
	s_waitcnt vmcnt(0)
	v_cvt_f32_i32_e32 v7, v3
.LBB19_276:
	s_mov_b64 s[0:1], 0
.LBB19_277:
	s_andn2_b64 vcc, exec, s[0:1]
	s_cbranch_vccnz .LBB19_279
; %bb.278:
	global_load_sshort v3, v[1:2], off
	s_waitcnt vmcnt(0)
	v_cvt_f32_i32_e32 v7, v3
.LBB19_279:
	s_mov_b64 s[0:1], 0
.LBB19_280:
	s_andn2_b64 vcc, exec, s[0:1]
	s_cbranch_vccnz .LBB19_286
; %bb.281:
	s_cmp_gt_i32 s12, 0
	s_cbranch_scc0 .LBB19_283
; %bb.282:
	global_load_sbyte v3, v[1:2], off
	s_mov_b64 s[0:1], 0
	s_waitcnt vmcnt(0)
	v_cvt_f32_i32_e32 v7, v3
	s_branch .LBB19_284
.LBB19_283:
	s_mov_b64 s[0:1], -1
                                        ; implicit-def: $vgpr7
.LBB19_284:
	s_andn2_b64 vcc, exec, s[0:1]
	s_cbranch_vccnz .LBB19_286
; %bb.285:
	global_load_ubyte v1, v[1:2], off
	s_waitcnt vmcnt(0)
	v_cvt_f32_ubyte0_e32 v7, v1
.LBB19_286:
	s_branch .LBB19_25
.LBB19_287:
	s_mov_b64 s[0:1], 0
.LBB19_288:
	s_mov_b64 s[8:9], 0
                                        ; implicit-def: $vgpr8
.LBB19_289:
	s_and_b64 s[52:53], s[0:1], exec
	s_and_b64 s[54:55], s[2:3], exec
	s_orn2_b64 s[2:3], s[8:9], exec
.LBB19_290:
	s_or_b64 exec, exec, s[56:57]
	s_mov_b64 s[10:11], 0
	s_mov_b64 s[0:1], 0
                                        ; implicit-def: $vgpr1_vgpr2
                                        ; implicit-def: $vgpr0
                                        ; implicit-def: $vgpr7
	s_and_saveexec_b64 s[56:57], s[2:3]
	s_cbranch_execz .LBB19_297
; %bb.291:
	v_cmp_gt_i32_e32 vcc, s70, v8
	s_mov_b64 s[0:1], -1
	s_mov_b64 s[58:59], s[54:55]
	s_mov_b64 s[60:61], s[52:53]
	s_and_saveexec_b64 s[62:63], vcc
	s_cbranch_execz .LBB19_590
; %bb.292:
	s_andn2_b64 vcc, exec, s[40:41]
	s_cbranch_vccnz .LBB19_300
; %bb.293:
	s_andn2_b64 vcc, exec, s[50:51]
	s_cbranch_vccnz .LBB19_301
; %bb.294:
	s_add_i32 s65, s75, 1
	s_cmp_eq_u32 s72, 2
	s_cbranch_scc1 .LBB19_302
; %bb.295:
	s_and_b32 s64, s65, 28
	v_mov_b32_e32 v2, 0
	s_mov_b32 s66, 0
	s_mov_b64 s[58:59], s[34:35]
	s_mov_b64 s[60:61], s[48:49]
	v_mov_b32_e32 v0, 0
	v_mov_b32_e32 v1, v8
.LBB19_296:                             ; =>This Inner Loop Header: Depth=1
	s_load_dwordx8 s[16:23], s[58:59], 0x4
	s_load_dwordx4 s[0:3], s[58:59], 0x24
	s_load_dwordx8 s[8:15], s[60:61], 0x0
	s_add_u32 s58, s58, 48
	s_addc_u32 s59, s59, 0
	s_waitcnt lgkmcnt(0)
	v_mul_hi_u32 v3, s17, v1
	s_add_i32 s66, s66, 4
	s_add_u32 s60, s60, 32
	s_addc_u32 s61, s61, 0
	v_add_u32_e32 v3, v1, v3
	v_lshrrev_b32_e32 v3, s18, v3
	v_mul_lo_u32 v4, v3, s16
	v_mul_hi_u32 v5, s20, v3
	s_cmp_eq_u32 s64, s66
	v_sub_u32_e32 v1, v1, v4
	v_add_u32_e32 v4, v3, v5
	v_mul_lo_u32 v5, v1, s8
	v_mul_lo_u32 v6, v1, s9
	v_lshrrev_b32_e32 v1, s21, v4
	v_mul_lo_u32 v4, v1, s19
	s_waitcnt vmcnt(0)
	v_mul_hi_u32 v7, s23, v1
	v_sub_u32_e32 v3, v3, v4
	v_add_u32_e32 v4, v1, v7
	v_lshrrev_b32_e32 v4, s0, v4
	v_mul_hi_u32 v9, s2, v4
	v_mul_lo_u32 v10, v4, s22
	v_mul_lo_u32 v7, v3, s10
	;; [unrolled: 1-line block ×3, first 2 shown]
	v_sub_u32_e32 v10, v1, v10
	v_add_u32_e32 v1, v4, v9
	v_lshrrev_b32_e32 v1, s3, v1
	v_mul_lo_u32 v9, v1, s1
	v_mul_lo_u32 v11, v10, s12
	;; [unrolled: 1-line block ×3, first 2 shown]
	v_add3_u32 v0, v5, v0, v7
	v_sub_u32_e32 v4, v4, v9
	v_mul_lo_u32 v9, v4, s14
	v_mul_lo_u32 v4, v4, s15
	v_add3_u32 v2, v6, v2, v3
	v_add3_u32 v0, v11, v0, v9
	;; [unrolled: 1-line block ×3, first 2 shown]
	s_cbranch_scc0 .LBB19_296
	s_branch .LBB19_303
.LBB19_297:
	s_or_b64 exec, exec, s[56:57]
	s_mov_b64 s[2:3], 0
	s_and_saveexec_b64 s[8:9], s[54:55]
	s_cbranch_execnz .LBB19_990
.LBB19_298:
	s_or_b64 exec, exec, s[8:9]
	s_and_saveexec_b64 s[8:9], s[60:61]
	s_xor_b64 s[8:9], exec, s[8:9]
	s_cbranch_execz .LBB19_991
.LBB19_299:
	global_load_ubyte v3, v[1:2], off
	s_or_b64 s[0:1], s[0:1], exec
	s_waitcnt vmcnt(0)
	v_cmp_ne_u16_e32 vcc, 0, v3
	v_cndmask_b32_e64 v7, 0, 1.0, vcc
	s_or_b64 exec, exec, s[8:9]
	s_and_saveexec_b64 s[8:9], s[10:11]
	s_cbranch_execz .LBB19_1037
	s_branch .LBB19_992
.LBB19_300:
                                        ; implicit-def: $vgpr0
                                        ; implicit-def: $vgpr2
	s_andn2_b64 vcc, exec, s[0:1]
	s_cbranch_vccz .LBB19_307
	s_branch .LBB19_309
.LBB19_301:
	v_mov_b32_e32 v0, 0
	v_mov_b32_e32 v2, 0
	s_branch .LBB19_306
.LBB19_302:
	s_mov_b32 s64, 0
	v_mov_b32_e32 v0, 0
	v_mov_b32_e32 v2, 0
	;; [unrolled: 1-line block ×3, first 2 shown]
.LBB19_303:
	s_and_b32 s8, s65, 3
	s_cmp_eq_u32 s8, 0
	s_cbranch_scc1 .LBB19_306
; %bb.304:
	s_lshl_b32 s0, s64, 3
	s_add_u32 s0, s34, s0
	s_addc_u32 s1, s35, 0
	s_add_u32 s0, s0, 0xc4
	s_addc_u32 s1, s1, 0
	s_mul_i32 s2, s64, 12
	s_add_u32 s2, s34, s2
	s_addc_u32 s3, s35, 0
.LBB19_305:                             ; =>This Inner Loop Header: Depth=1
	s_load_dwordx2 s[10:11], s[2:3], 0x4
	s_load_dword s9, s[2:3], 0xc
	s_load_dwordx2 s[12:13], s[0:1], 0x0
	s_add_u32 s2, s2, 12
	s_addc_u32 s3, s3, 0
	s_waitcnt lgkmcnt(0)
	v_mul_hi_u32 v3, s11, v1
	s_add_u32 s0, s0, 8
	s_addc_u32 s1, s1, 0
	s_add_i32 s8, s8, -1
	v_add_u32_e32 v3, v1, v3
	v_lshrrev_b32_e32 v4, s9, v3
	v_mul_lo_u32 v3, v4, s10
	s_cmp_lg_u32 s8, 0
	v_sub_u32_e32 v3, v1, v3
	v_mad_u64_u32 v[0:1], s[10:11], v3, s12, v[0:1]
	v_mad_u64_u32 v[2:3], s[10:11], v3, s13, v[2:3]
	v_mov_b32_e32 v1, v4
	s_cbranch_scc1 .LBB19_305
.LBB19_306:
	s_cbranch_execnz .LBB19_309
.LBB19_307:
	s_waitcnt lgkmcnt(0)
	v_mul_hi_u32 v0, s37, v8
	s_andn2_b64 vcc, exec, s[46:47]
	v_add_u32_e32 v0, v8, v0
	v_lshrrev_b32_e32 v1, s38, v0
	v_mul_lo_u32 v0, v1, s36
	v_sub_u32_e32 v2, v8, v0
	v_mul_lo_u32 v0, v2, s28
	v_mul_lo_u32 v2, v2, s29
	s_cbranch_vccnz .LBB19_309
; %bb.308:
	v_mul_hi_u32 v3, s44, v1
	v_add_u32_e32 v3, v1, v3
	v_lshrrev_b32_e32 v3, s45, v3
	v_mul_lo_u32 v3, v3, s39
	v_sub_u32_e32 v3, v1, v3
	v_mad_u64_u32 v[0:1], s[0:1], v3, s30, v[0:1]
	v_mad_u64_u32 v[2:3], s[0:1], v3, s31, v[2:3]
.LBB19_309:
	s_waitcnt lgkmcnt(0)
	v_mov_b32_e32 v3, s27
	s_and_b32 s12, 0xffff, s74
	v_add_co_u32_e32 v1, vcc, s26, v2
	s_cmp_lt_i32 s12, 11
	v_addc_co_u32_e32 v2, vcc, 0, v3, vcc
	s_cbranch_scc1 .LBB19_316
; %bb.310:
	s_cmp_gt_i32 s12, 25
	s_cbranch_scc0 .LBB19_349
; %bb.311:
	s_cmp_gt_i32 s12, 28
	s_cbranch_scc0 .LBB19_351
	;; [unrolled: 3-line block ×4, first 2 shown]
; %bb.314:
	s_cmp_eq_u32 s12, 46
	s_mov_b64 s[8:9], 0
	s_cbranch_scc0 .LBB19_361
; %bb.315:
	global_load_dword v3, v[1:2], off
	s_mov_b64 s[0:1], -1
	s_mov_b64 s[2:3], 0
	s_waitcnt vmcnt(0)
	v_lshlrev_b32_e32 v7, 16, v3
	s_branch .LBB19_362
.LBB19_316:
	s_mov_b64 s[0:1], 0
                                        ; implicit-def: $vgpr7
	s_mov_b64 s[2:3], s[54:55]
	s_cbranch_execnz .LBB19_539
.LBB19_317:
	s_andn2_b64 vcc, exec, s[0:1]
	s_cbranch_vccnz .LBB19_587
.LBB19_318:
	s_waitcnt vmcnt(0)
	v_cmp_neq_f32_e32 vcc, 0, v7
                                        ; implicit-def: $vgpr1
	s_and_saveexec_b64 s[0:1], vcc
	s_xor_b64 s[8:9], exec, s[0:1]
	s_cbranch_execz .LBB19_340
; %bb.319:
	v_mov_b32_e32 v2, 0
	v_cmp_gt_f32_e32 vcc, 0, v7
	s_mov_b64 s[0:1], -1
	s_and_saveexec_b64 s[10:11], vcc
	s_cbranch_execz .LBB19_327
; %bb.320:
	v_trunc_f32_e32 v1, v7
	v_cmp_neq_f32_e32 vcc, v7, v1
	s_mov_b64 s[14:15], 0
	v_mov_b32_e32 v2, 0
	s_and_saveexec_b64 s[12:13], vcc
	s_cbranch_execz .LBB19_326
; %bb.321:
	v_cvt_f64_f32_e32 v[1:2], v7
	s_mov_b32 s0, 0
	s_mov_b32 s15, 0xc00921fb
	;; [unrolled: 1-line block ×3, first 2 shown]
	v_trunc_f64_e32 v[3:4], v[1:2]
	s_mov_b32 s1, 0x7ff00000
	v_cmp_neq_f64_e64 vcc, |v[1:2]|, s[0:1]
	v_bfrev_b32_e32 v5, 1
	s_mov_b32 s16, 0
	s_mov_b32 s17, 0x41d00000
                                        ; implicit-def: $vgpr9
	v_add_f64 v[3:4], v[1:2], -v[3:4]
	v_mul_f64 v[3:4], |v[3:4]|, s[14:15]
	v_cndmask_b32_e32 v2, v5, v4, vcc
	v_cndmask_b32_e32 v1, 0, v3, vcc
	v_cmp_nlt_f64_e64 s[16:17], |v[1:2]|, s[16:17]
                                        ; implicit-def: $vgpr3_vgpr4
                                        ; implicit-def: $vgpr5_vgpr6
	s_and_saveexec_b64 s[18:19], s[16:17]
	s_xor_b64 s[16:17], exec, s[18:19]
	s_cbranch_execz .LBB19_323
; %bb.322:
	v_trig_preop_f64 v[3:4], |v[1:2]|, 0
	s_mov_b32 s18, 0
	s_mov_b32 s19, 0x7b000000
	s_movk_i32 s15, 0xff80
	v_ldexp_f64 v[9:10], |v[1:2]|, s15
	v_cmp_ge_f64_e64 vcc, |v[1:2]|, s[18:19]
	v_trig_preop_f64 v[5:6], |v[1:2]|, 1
	v_and_b32_e32 v11, 0x7fffffff, v2
	v_trig_preop_f64 v[17:18], |v[1:2]|, 2
	v_mov_b32_e32 v28, 0x40100000
	v_mov_b32_e32 v27, 0
	s_mov_b32 s15, 0x3ff921fb
	v_cndmask_b32_e32 v10, v11, v10, vcc
	v_cndmask_b32_e32 v9, v1, v9, vcc
	v_mul_f64 v[11:12], v[3:4], v[9:10]
	v_mul_f64 v[13:14], v[5:6], v[9:10]
	;; [unrolled: 1-line block ×3, first 2 shown]
	v_fma_f64 v[3:4], v[3:4], v[9:10], -v[11:12]
	v_fma_f64 v[5:6], v[5:6], v[9:10], -v[13:14]
	;; [unrolled: 1-line block ×3, first 2 shown]
	v_add_f64 v[15:16], v[13:14], v[3:4]
	v_add_f64 v[19:20], v[15:16], -v[13:14]
	v_add_f64 v[25:26], v[11:12], v[15:16]
	v_add_f64 v[21:22], v[15:16], -v[19:20]
	v_add_f64 v[3:4], v[3:4], -v[19:20]
	v_add_f64 v[19:20], v[23:24], v[5:6]
	v_add_f64 v[11:12], v[25:26], -v[11:12]
	v_add_f64 v[13:14], v[13:14], -v[21:22]
	v_ldexp_f64 v[21:22], v[25:26], -2
	v_add_f64 v[29:30], v[19:20], -v[23:24]
	v_add_f64 v[11:12], v[15:16], -v[11:12]
	v_add_f64 v[3:4], v[3:4], v[13:14]
	v_fract_f64_e32 v[13:14], v[21:22]
	v_cmp_neq_f64_e64 vcc, |v[21:22]|, s[0:1]
	v_add_f64 v[5:6], v[5:6], -v[29:30]
	v_add_f64 v[15:16], v[19:20], v[3:4]
	v_ldexp_f64 v[13:14], v[13:14], 2
	v_add_f64 v[21:22], v[11:12], v[15:16]
	v_cndmask_b32_e32 v14, 0, v14, vcc
	v_cndmask_b32_e32 v13, 0, v13, vcc
	v_add_f64 v[31:32], v[15:16], -v[19:20]
	v_add_f64 v[25:26], v[21:22], v[13:14]
	v_add_f64 v[11:12], v[21:22], -v[11:12]
	v_add_f64 v[33:34], v[15:16], -v[31:32]
	;; [unrolled: 1-line block ×3, first 2 shown]
	v_cmp_gt_f64_e32 vcc, 0, v[25:26]
	v_add_f64 v[25:26], v[19:20], -v[29:30]
	v_add_f64 v[11:12], v[15:16], -v[11:12]
	;; [unrolled: 1-line block ×3, first 2 shown]
	v_cndmask_b32_e32 v28, 0, v28, vcc
	v_add_f64 v[13:14], v[13:14], v[27:28]
	v_add_f64 v[25:26], v[23:24], -v[25:26]
	v_add_f64 v[3:4], v[3:4], v[19:20]
	v_add_f64 v[35:36], v[21:22], v[13:14]
	;; [unrolled: 1-line block ×3, first 2 shown]
	v_cvt_i32_f64_e32 v30, v[35:36]
	v_add_f64 v[3:4], v[5:6], v[3:4]
	v_cvt_f64_i32_e32 v[28:29], v30
	v_add_f64 v[13:14], v[13:14], -v[28:29]
	v_add_f64 v[3:4], v[9:10], v[3:4]
	v_add_f64 v[5:6], v[21:22], v[13:14]
	;; [unrolled: 1-line block ×3, first 2 shown]
	v_mov_b32_e32 v12, 0x3ff00000
	v_add_f64 v[9:10], v[5:6], -v[13:14]
	v_cmp_le_f64_e32 vcc, 0.5, v[5:6]
	v_add_f64 v[10:11], v[21:22], -v[9:10]
	v_cndmask_b32_e32 v28, 0, v12, vcc
	v_add_f64 v[5:6], v[5:6], -v[27:28]
	v_addc_co_u32_e64 v9, s[0:1], 0, v30, vcc
	s_mov_b32 s0, 0x33145c07
	s_mov_b32 s1, 0x3c91a626
	v_add_f64 v[3:4], v[3:4], v[10:11]
	v_add_f64 v[10:11], v[5:6], v[3:4]
	v_mul_f64 v[12:13], v[10:11], s[14:15]
	v_add_f64 v[5:6], v[10:11], -v[5:6]
	v_fma_f64 v[14:15], v[10:11], s[14:15], -v[12:13]
	v_add_f64 v[3:4], v[3:4], -v[5:6]
	v_fma_f64 v[5:6], v[10:11], s[0:1], v[14:15]
	v_fma_f64 v[5:6], v[3:4], s[14:15], v[5:6]
	v_add_f64 v[3:4], v[12:13], v[5:6]
	v_add_f64 v[10:11], v[3:4], -v[12:13]
	v_add_f64 v[5:6], v[5:6], -v[10:11]
.LBB19_323:
	s_andn2_saveexec_b64 s[0:1], s[16:17]
	s_cbranch_execz .LBB19_325
; %bb.324:
	s_mov_b32 s14, 0x6dc9c883
	s_mov_b32 s15, 0x3fe45f30
	v_mul_f64 v[3:4], |v[1:2]|, s[14:15]
	s_mov_b32 s14, 0x54442d18
	s_mov_b32 s15, 0xbff921fb
	;; [unrolled: 1-line block ×4, first 2 shown]
	v_rndne_f64_e32 v[9:10], v[3:4]
	v_fma_f64 v[3:4], v[9:10], s[14:15], |v[1:2]|
	v_mul_f64 v[5:6], v[9:10], s[16:17]
	s_mov_b32 s14, 0x252049c0
	s_mov_b32 s15, 0xb97b839a
	v_fma_f64 v[15:16], v[9:10], s[16:17], v[3:4]
	v_add_f64 v[11:12], v[3:4], v[5:6]
	s_mov_b32 s17, 0x3c91a626
	v_add_f64 v[13:14], v[3:4], -v[11:12]
	v_add_f64 v[11:12], v[11:12], -v[15:16]
	v_add_f64 v[3:4], v[13:14], v[5:6]
	v_fma_f64 v[5:6], v[9:10], s[16:17], v[5:6]
	v_add_f64 v[3:4], v[11:12], v[3:4]
	v_add_f64 v[3:4], v[3:4], -v[5:6]
	v_fma_f64 v[5:6], v[9:10], s[14:15], v[3:4]
	v_cvt_i32_f64_e32 v9, v[9:10]
	v_add_f64 v[3:4], v[15:16], v[5:6]
	v_add_f64 v[11:12], v[3:4], -v[15:16]
	v_add_f64 v[5:6], v[5:6], -v[11:12]
.LBB19_325:
	s_or_b64 exec, exec, s[0:1]
	v_mul_f64 v[10:11], v[3:4], v[3:4]
	v_add_f64 v[12:13], v[5:6], v[5:6]
	s_mov_b32 s0, 0xc751c08c
	s_mov_b32 s1, 0x3ef5e089
	v_and_b32_e32 v9, 1, v9
	v_cmp_eq_u32_e32 vcc, 0, v9
	s_mov_b32 s16, 0x54442d18
	s_mov_b32 s17, 0xc00921fb
	v_fma_f64 v[14:15], v[3:4], v[3:4], -v[10:11]
	s_mov_b64 s[14:15], exec
	v_sub_f32_e32 v7, 1.0, v7
	v_fma_f64 v[12:13], v[3:4], v[12:13], v[14:15]
	v_add_f64 v[10:11], v[10:11], v[12:13]
	v_mov_b32_e32 v12, 0xa9a29f71
	v_mov_b32_e32 v13, 0xbf078809
	v_fma_f64 v[12:13], v[10:11], s[0:1], v[12:13]
	s_mov_b32 s0, 0x90a8aae0
	s_mov_b32 s1, 0x3f17746f
	v_fma_f64 v[12:13], v[10:11], v[12:13], s[0:1]
	s_mov_b32 s0, 0xa6fbf144
	s_mov_b32 s1, 0xbefbb44d
	;; [unrolled: 3-line block ×12, first 2 shown]
	v_fma_f64 v[12:13], v[10:11], v[12:13], s[0:1]
	s_movk_i32 s0, 0x1f8
	v_cmp_class_f64_e64 s[0:1], v[1:2], s0
	v_mul_f64 v[10:11], v[10:11], v[12:13]
	v_mul_f64 v[12:13], v[3:4], v[10:11]
	v_add_f64 v[14:15], v[3:4], v[12:13]
	v_fma_f64 v[10:11], v[3:4], v[10:11], -v[12:13]
	v_add_f64 v[3:4], v[14:15], -v[3:4]
	v_add_f64 v[5:6], v[5:6], v[10:11]
	v_add_f64 v[3:4], v[12:13], -v[3:4]
	v_add_f64 v[3:4], v[5:6], v[3:4]
	v_add_f64 v[5:6], v[14:15], v[3:4]
	v_rcp_f64_e32 v[10:11], v[5:6]
	v_fma_f64 v[12:13], -v[5:6], v[10:11], 1.0
	v_fma_f64 v[10:11], v[12:13], v[10:11], v[10:11]
	v_fma_f64 v[12:13], -v[5:6], v[10:11], 1.0
	v_fma_f64 v[10:11], v[12:13], v[10:11], v[10:11]
	v_add_f64 v[12:13], v[5:6], -v[14:15]
	v_mul_f64 v[14:15], v[5:6], v[10:11]
	v_add_f64 v[3:4], v[3:4], -v[12:13]
	v_fma_f64 v[12:13], v[10:11], v[5:6], -v[14:15]
	v_fma_f64 v[3:4], v[10:11], v[3:4], v[12:13]
	v_add_f64 v[12:13], v[14:15], v[3:4]
	v_add_f64 v[16:17], -v[12:13], 1.0
	v_add_f64 v[14:15], v[12:13], -v[14:15]
	v_add_f64 v[18:19], -v[16:17], 1.0
	v_add_f64 v[3:4], v[14:15], -v[3:4]
	v_add_f64 v[12:13], v[18:19], -v[12:13]
	v_add_f64 v[3:4], v[3:4], v[12:13]
	v_add_f64 v[3:4], v[16:17], v[3:4]
	v_mul_f64 v[3:4], v[10:11], v[3:4]
	v_add_f64 v[3:4], v[10:11], v[3:4]
	v_and_b32_e32 v10, 0x80000000, v2
	v_mov_b32_e32 v2, 0x7ff80000
	v_xor_b32_e32 v1, 0x80000000, v4
	v_cndmask_b32_e32 v3, v3, v5, vcc
	v_cndmask_b32_e32 v4, v1, v6, vcc
	v_cndmask_b32_e64 v1, 0, v3, s[0:1]
	v_xor_b32_e32 v3, v4, v10
	v_cndmask_b32_e64 v2, v2, v3, s[0:1]
	v_div_scale_f64 v[3:4], s[0:1], v[1:2], v[1:2], s[16:17]
	v_div_scale_f64 v[11:12], vcc, s[16:17], v[1:2], s[16:17]
	v_rcp_f64_e32 v[5:6], v[3:4]
	v_fma_f64 v[9:10], -v[3:4], v[5:6], 1.0
	v_fma_f64 v[5:6], v[5:6], v[9:10], v[5:6]
	v_fma_f64 v[9:10], -v[3:4], v[5:6], 1.0
	v_fma_f64 v[5:6], v[5:6], v[9:10], v[5:6]
	v_mul_f64 v[9:10], v[11:12], v[5:6]
	v_fma_f64 v[3:4], -v[3:4], v[9:10], v[11:12]
	v_div_fmas_f64 v[3:4], v[3:4], v[5:6], v[9:10]
	v_div_fixup_f64 v[1:2], v[3:4], v[1:2], s[16:17]
	v_cvt_f32_f64_e32 v2, v[1:2]
.LBB19_326:
	s_or_b64 exec, exec, s[12:13]
	s_orn2_b64 s[0:1], s[14:15], exec
.LBB19_327:
	s_or_b64 exec, exec, s[10:11]
	v_mov_b32_e32 v1, 0x7fc00000
	s_and_saveexec_b64 s[10:11], s[0:1]
	s_cbranch_execz .LBB19_339
; %bb.328:
	s_mov_b32 s14, 0x41200000
	v_cmp_gt_f32_e32 vcc, s14, v7
	s_and_saveexec_b64 s[0:1], vcc
	s_cbranch_execz .LBB19_332
; %bb.329:
	s_mov_b64 s[12:13], 0
.LBB19_330:                             ; =>This Inner Loop Header: Depth=1
	v_div_scale_f32 v1, s[16:17], v7, v7, 1.0
	v_div_scale_f32 v3, vcc, 1.0, v7, 1.0
	v_rcp_f32_e32 v4, v1
	v_fma_f32 v5, -v1, v4, 1.0
	v_fmac_f32_e32 v4, v5, v4
	v_mul_f32_e32 v5, v3, v4
	v_fma_f32 v6, -v1, v5, v3
	v_fmac_f32_e32 v5, v6, v4
	v_fma_f32 v1, -v1, v5, v3
	v_div_fmas_f32 v1, v1, v4, v5
	v_div_fixup_f32 v1, v1, v7, 1.0
	v_add_f32_e32 v7, 1.0, v7
	v_cmp_ngt_f32_e32 vcc, s14, v7
	s_or_b64 s[12:13], vcc, s[12:13]
	v_sub_f32_e32 v2, v2, v1
	s_andn2_b64 exec, exec, s[12:13]
	s_cbranch_execnz .LBB19_330
; %bb.331:
	s_or_b64 exec, exec, s[12:13]
.LBB19_332:
	s_or_b64 exec, exec, s[0:1]
	s_mov_b32 s0, 0x41200000
	v_cmp_neq_f32_e32 vcc, s0, v7
                                        ; implicit-def: $vgpr1
	s_and_saveexec_b64 s[0:1], vcc
	s_xor_b64 s[12:13], exec, s[0:1]
	s_cbranch_execz .LBB19_336
; %bb.333:
	v_cvt_f64_f32_e32 v[3:4], v7
	s_mov_b32 s0, 0x85d8a000
	s_mov_b32 s1, 0x43763457
	v_mov_b32_e32 v1, 0
	v_cmp_gt_f64_e32 vcc, s[0:1], v[3:4]
	s_and_saveexec_b64 s[0:1], vcc
	s_cbranch_execz .LBB19_335
; %bb.334:
	v_mul_f32_e32 v1, v7, v7
	v_div_scale_f32 v3, s[14:15], v1, v1, 1.0
	v_div_scale_f32 v4, vcc, 1.0, v1, 1.0
	v_mov_b32_e32 v10, 0x3b820821
	v_rcp_f32_e32 v5, v3
	v_fma_f32 v6, -v3, v5, 1.0
	v_fmac_f32_e32 v5, v6, v5
	v_mul_f32_e32 v6, v4, v5
	v_fma_f32 v9, -v3, v6, v4
	v_fmac_f32_e32 v6, v9, v5
	v_fma_f32 v3, -v3, v6, v4
	v_div_fmas_f32 v3, v3, v5, v6
	v_mov_b32_e32 v4, 0x3daaaaab
	v_mov_b32_e32 v5, 0xbcaccacd
	;; [unrolled: 1-line block ×4, first 2 shown]
	v_div_fixup_f32 v1, v3, v1, 1.0
	v_fma_f32 v3, 0, v1, v4
	v_fmac_f32_e32 v5, v1, v3
	v_fmac_f32_e32 v6, v1, v5
	;; [unrolled: 1-line block ×4, first 2 shown]
	v_mov_b32_e32 v3, 0xbc088889
	v_fmac_f32_e32 v3, v1, v10
	v_fmac_f32_e32 v4, v1, v3
	v_mul_f32_e32 v1, v1, v4
.LBB19_335:
	s_or_b64 exec, exec, s[0:1]
	v_div_scale_f32 v3, s[0:1], v7, v7, -0.5
	v_div_scale_f32 v4, vcc, -0.5, v7, -0.5
	s_mov_b32 s0, 0x800000
	v_cmp_gt_f32_e64 s[0:1], s0, v7
	v_cndmask_b32_e64 v6, 0, 32, s[0:1]
	s_mov_b32 s14, 0x3f317217
	v_rcp_f32_e32 v5, v3
	v_fma_f32 v9, -v3, v5, 1.0
	v_fmac_f32_e32 v5, v9, v5
	v_mul_f32_e32 v9, v4, v5
	v_fma_f32 v10, -v3, v9, v4
	v_fmac_f32_e32 v9, v10, v5
	v_fma_f32 v3, -v3, v9, v4
	v_div_fmas_f32 v3, v3, v5, v9
	v_ldexp_f32 v4, v7, v6
	v_log_f32_e32 v4, v4
	v_mul_f32_e32 v5, 0x3f317217, v4
	v_fma_f32 v5, v4, s14, -v5
	v_fmac_f32_e32 v5, 0x3377d1cf, v4
	s_mov_b32 s14, 0x7f800000
	v_fmac_f32_e32 v5, 0x3f317217, v4
	v_cmp_lt_f32_e64 vcc, |v4|, s14
	v_cndmask_b32_e32 v4, v4, v5, vcc
	v_mov_b32_e32 v5, 0x41b17218
	v_cndmask_b32_e64 v5, 0, v5, s[0:1]
	v_sub_f32_e32 v4, v4, v5
	v_div_fixup_f32 v3, v3, v7, -0.5
	v_add_f32_e32 v3, v4, v3
	v_sub_f32_e32 v1, v3, v1
	v_add_f32_e32 v1, v2, v1
                                        ; implicit-def: $vgpr2
.LBB19_336:
	s_andn2_saveexec_b64 s[0:1], s[12:13]
; %bb.337:
	v_add_f32_e32 v1, 0x40101cb7, v2
; %bb.338:
	s_or_b64 exec, exec, s[0:1]
.LBB19_339:
	s_or_b64 exec, exec, s[10:11]
                                        ; implicit-def: $vgpr7
.LBB19_340:
	s_andn2_saveexec_b64 s[0:1], s[8:9]
; %bb.341:
	v_xor_b32_e32 v1, 0x80000000, v7
	s_brev_b32 s8, -2
	v_mov_b32_e32 v2, 0x7f800000
	v_bfi_b32 v1, s8, v2, v1
; %bb.342:
	s_or_b64 exec, exec, s[0:1]
	v_mov_b32_e32 v2, s25
	s_and_b32 s14, s73, 0xff
	v_add_co_u32_e32 v3, vcc, s24, v0
	s_cmp_lt_i32 s14, 11
	v_addc_co_u32_e32 v4, vcc, 0, v2, vcc
	s_cbranch_scc1 .LBB19_350
; %bb.343:
	s_and_b32 s15, 0xffff, s14
	s_cmp_gt_i32 s15, 25
	s_cbranch_scc0 .LBB19_352
; %bb.344:
	s_cmp_gt_i32 s15, 28
	s_cbranch_scc0 .LBB19_354
; %bb.345:
	;; [unrolled: 3-line block ×4, first 2 shown]
	s_mov_b64 s[10:11], 0
	s_mov_b64 s[0:1], -1
	s_cmp_eq_u32 s15, 46
	s_mov_b64 s[8:9], 0
	s_cbranch_scc0 .LBB19_366
; %bb.348:
	v_bfe_u32 v0, v1, 16, 1
	s_movk_i32 s0, 0x7fff
	v_add3_u32 v0, v1, v0, s0
	v_cmp_o_f32_e32 vcc, v1, v1
	v_mov_b32_e32 v2, 0x7fc0
	v_cndmask_b32_sdwa v0, v2, v0, vcc dst_sel:DWORD dst_unused:UNUSED_PAD src0_sel:DWORD src1_sel:WORD_1
	global_store_dword v[3:4], v0, off
	s_mov_b64 s[8:9], -1
	s_mov_b64 s[0:1], 0
	s_branch .LBB19_366
.LBB19_349:
	s_mov_b64 s[8:9], -1
	s_mov_b64 s[0:1], 0
	s_mov_b64 s[2:3], s[54:55]
                                        ; implicit-def: $vgpr7
	s_branch .LBB19_503
.LBB19_350:
	s_mov_b64 s[10:11], -1
	s_mov_b64 s[8:9], 0
	s_mov_b64 s[0:1], s[52:53]
	s_branch .LBB19_435
.LBB19_351:
	s_mov_b64 s[8:9], -1
	s_mov_b64 s[0:1], 0
	s_mov_b64 s[2:3], s[54:55]
                                        ; implicit-def: $vgpr7
	s_branch .LBB19_484
.LBB19_352:
	s_mov_b64 s[10:11], -1
	s_mov_b64 s[8:9], 0
	s_mov_b64 s[0:1], s[52:53]
	s_branch .LBB19_393
.LBB19_353:
	s_mov_b64 s[8:9], -1
	s_mov_b64 s[0:1], 0
	s_mov_b64 s[2:3], s[54:55]
                                        ; implicit-def: $vgpr7
	s_branch .LBB19_479
.LBB19_354:
	s_mov_b64 s[10:11], -1
	s_mov_b64 s[8:9], 0
	s_mov_b64 s[0:1], s[52:53]
	s_branch .LBB19_376
.LBB19_355:
	s_andn2_saveexec_b64 s[12:13], s[12:13]
	s_cbranch_execz .LBB19_92
.LBB19_356:
	s_mov_b32 s16, 0x46000000
	v_add_f32_e64 v0, |v1|, s16
	v_and_b32_e32 v0, 0xff, v0
	v_cmp_ne_u32_e32 vcc, 0, v0
	s_andn2_b64 s[10:11], s[10:11], exec
	s_and_b64 s[16:17], vcc, exec
	s_or_b64 s[10:11], s[10:11], s[16:17]
	s_or_b64 exec, exec, s[12:13]
	v_mov_b32_e32 v2, 0
	s_and_saveexec_b64 s[12:13], s[10:11]
	s_cbranch_execnz .LBB19_93
	s_branch .LBB19_94
.LBB19_357:
	s_mov_b64 s[8:9], -1
	s_mov_b64 s[0:1], 0
	s_mov_b64 s[2:3], s[54:55]
                                        ; implicit-def: $vgpr7
	s_branch .LBB19_362
.LBB19_358:
	s_mov_b64 s[10:11], -1
	s_mov_b64 s[8:9], 0
	s_mov_b64 s[0:1], s[52:53]
	s_branch .LBB19_372
.LBB19_359:
	s_andn2_saveexec_b64 s[12:13], s[12:13]
	s_cbranch_execz .LBB19_105
.LBB19_360:
	s_mov_b32 s16, 0x42800000
	v_add_f32_e64 v0, |v1|, s16
	v_and_b32_e32 v0, 0xff, v0
	v_cmp_ne_u32_e32 vcc, 0, v0
	s_andn2_b64 s[10:11], s[10:11], exec
	s_and_b64 s[16:17], vcc, exec
	s_or_b64 s[10:11], s[10:11], s[16:17]
	s_or_b64 exec, exec, s[12:13]
	v_mov_b32_e32 v2, 0
	s_and_saveexec_b64 s[12:13], s[10:11]
	s_cbranch_execnz .LBB19_106
	s_branch .LBB19_107
.LBB19_361:
	s_mov_b64 s[2:3], -1
                                        ; implicit-def: $vgpr7
	s_mov_b64 s[0:1], 0
.LBB19_362:
	s_and_b64 vcc, exec, s[8:9]
	s_cbranch_vccz .LBB19_478
; %bb.363:
	s_cmp_eq_u32 s12, 44
	s_cbranch_scc0 .LBB19_477
; %bb.364:
	global_load_ubyte v3, v[1:2], off
	s_movk_i32 s2, 0xff
	v_mov_b32_e32 v4, 0x7f800001
	v_mov_b32_e32 v5, 0x400000
	s_mov_b64 s[0:1], -1
	s_waitcnt vmcnt(0)
	v_lshlrev_b32_e32 v6, 23, v3
	v_cmp_ne_u32_e32 vcc, s2, v3
	v_cndmask_b32_e32 v4, v4, v6, vcc
	v_cmp_ne_u32_e32 vcc, 0, v3
	v_cndmask_b32_e32 v7, v5, v4, vcc
	s_mov_b64 s[2:3], 0
	s_branch .LBB19_478
.LBB19_365:
	s_mov_b64 s[10:11], -1
	s_mov_b64 s[8:9], 0
	s_mov_b64 s[0:1], s[52:53]
.LBB19_366:
	s_and_b64 vcc, exec, s[10:11]
	s_cbranch_vccz .LBB19_371
; %bb.367:
	s_cmp_eq_u32 s15, 44
	s_mov_b64 s[0:1], -1
	s_cbranch_scc0 .LBB19_371
; %bb.368:
	v_bfe_u32 v0, v1, 23, 8
	s_movk_i32 s0, 0xff
	v_cmp_ne_u32_e32 vcc, s0, v0
	v_mov_b32_e32 v2, 0xff
	s_and_saveexec_b64 s[8:9], vcc
; %bb.369:
	s_mov_b32 s0, 0x3fffff
	v_and_b32_e32 v5, 0x400000, v1
	v_and_or_b32 v0, v1, s0, v0
	v_cmp_ne_u32_e32 vcc, 0, v5
	v_cmp_ne_u32_e64 s[0:1], 0, v0
	s_and_b64 s[0:1], vcc, s[0:1]
	v_lshrrev_b32_e32 v2, 23, v1
	v_cndmask_b32_e64 v0, 0, 1, s[0:1]
	v_add_u32_e32 v2, v2, v0
; %bb.370:
	s_or_b64 exec, exec, s[8:9]
	s_mov_b64 s[8:9], -1
	s_mov_b64 s[0:1], 0
	global_store_byte v[3:4], v2, off
.LBB19_371:
	s_mov_b64 s[10:11], 0
.LBB19_372:
	s_and_b64 vcc, exec, s[10:11]
	s_cbranch_vccz .LBB19_375
; %bb.373:
	s_cmp_eq_u32 s15, 29
	s_mov_b64 s[0:1], -1
	s_cbranch_scc0 .LBB19_375
; %bb.374:
	v_trunc_f32_e32 v0, v1
	v_mul_f32_e32 v2, 0x2f800000, v0
	v_floor_f32_e32 v2, v2
	v_fmac_f32_e32 v0, 0xcf800000, v2
	v_cvt_u32_f32_e32 v6, v2
	v_cvt_u32_f32_e32 v5, v0
	s_mov_b64 s[8:9], -1
	s_mov_b64 s[0:1], 0
	s_mov_b64 s[10:11], 0
	global_store_dwordx2 v[3:4], v[5:6], off
	s_branch .LBB19_376
.LBB19_375:
	s_mov_b64 s[10:11], 0
.LBB19_376:
	s_and_b64 vcc, exec, s[10:11]
	s_cbranch_vccz .LBB19_392
; %bb.377:
	s_cmp_lt_i32 s15, 27
	s_mov_b64 s[8:9], -1
	s_cbranch_scc1 .LBB19_383
; %bb.378:
	v_cvt_u32_f32_e32 v0, v1
	s_cmp_gt_i32 s15, 27
	s_cbranch_scc0 .LBB19_380
; %bb.379:
	s_mov_b64 s[8:9], 0
	global_store_dword v[3:4], v0, off
.LBB19_380:
	s_andn2_b64 vcc, exec, s[8:9]
	s_cbranch_vccnz .LBB19_382
; %bb.381:
	global_store_short v[3:4], v0, off
.LBB19_382:
	s_mov_b64 s[8:9], 0
.LBB19_383:
	s_andn2_b64 vcc, exec, s[8:9]
	s_cbranch_vccnz .LBB19_391
; %bb.384:
	v_and_b32_e32 v0, 0x7fffffff, v1
	s_mov_b32 s8, 0x43800000
	v_cmp_gt_u32_e32 vcc, s8, v0
	v_mov_b32_e32 v2, 0x80
	s_and_saveexec_b64 s[8:9], vcc
	s_cbranch_execz .LBB19_390
; %bb.385:
	s_mov_b32 s10, 0x3bffffff
	v_cmp_lt_u32_e32 vcc, s10, v0
	s_mov_b64 s[10:11], 0
                                        ; implicit-def: $vgpr0
	s_and_saveexec_b64 s[12:13], vcc
	s_xor_b64 s[12:13], exec, s[12:13]
	s_cbranch_execz .LBB19_618
; %bb.386:
	v_bfe_u32 v0, v1, 20, 1
	s_mov_b32 s16, 0x487ffff
	v_add3_u32 v0, v1, v0, s16
	s_mov_b64 s[10:11], exec
	v_lshrrev_b32_e32 v0, 20, v0
	s_andn2_saveexec_b64 s[12:13], s[12:13]
	s_cbranch_execnz .LBB19_619
.LBB19_387:
	s_or_b64 exec, exec, s[12:13]
	v_mov_b32_e32 v2, 0
	s_and_saveexec_b64 s[12:13], s[10:11]
.LBB19_388:
	v_lshrrev_b32_e32 v2, 24, v1
	s_movk_i32 s10, 0x80
	v_and_or_b32 v2, v2, s10, v0
.LBB19_389:
	s_or_b64 exec, exec, s[12:13]
.LBB19_390:
	s_or_b64 exec, exec, s[8:9]
	global_store_byte v[3:4], v2, off
.LBB19_391:
	s_mov_b64 s[8:9], -1
.LBB19_392:
	s_mov_b64 s[10:11], 0
.LBB19_393:
	s_and_b64 vcc, exec, s[10:11]
	s_cbranch_vccz .LBB19_434
; %bb.394:
	s_cmp_gt_i32 s15, 22
	s_mov_b64 s[10:11], -1
	s_cbranch_scc0 .LBB19_426
; %bb.395:
	s_cmp_lt_i32 s15, 24
	s_mov_b64 s[8:9], -1
	s_cbranch_scc1 .LBB19_415
; %bb.396:
	s_cmp_gt_i32 s15, 24
	s_cbranch_scc0 .LBB19_404
; %bb.397:
	v_and_b32_e32 v0, 0x7fffffff, v1
	s_mov_b32 s8, 0x47800000
	v_cmp_gt_u32_e32 vcc, s8, v0
	v_mov_b32_e32 v2, 0x80
	s_and_saveexec_b64 s[8:9], vcc
	s_cbranch_execz .LBB19_403
; %bb.398:
	s_mov_b32 s10, 0x37ffffff
	v_cmp_lt_u32_e32 vcc, s10, v0
	s_mov_b64 s[10:11], 0
                                        ; implicit-def: $vgpr0
	s_and_saveexec_b64 s[12:13], vcc
	s_xor_b64 s[12:13], exec, s[12:13]
	s_cbranch_execz .LBB19_621
; %bb.399:
	v_bfe_u32 v0, v1, 21, 1
	s_mov_b32 s16, 0x88fffff
	v_add3_u32 v0, v1, v0, s16
	s_mov_b64 s[10:11], exec
	v_lshrrev_b32_e32 v0, 21, v0
	s_andn2_saveexec_b64 s[12:13], s[12:13]
	s_cbranch_execnz .LBB19_622
.LBB19_400:
	s_or_b64 exec, exec, s[12:13]
	v_mov_b32_e32 v2, 0
	s_and_saveexec_b64 s[12:13], s[10:11]
.LBB19_401:
	v_lshrrev_b32_e32 v2, 24, v1
	s_movk_i32 s10, 0x80
	v_and_or_b32 v2, v2, s10, v0
.LBB19_402:
	s_or_b64 exec, exec, s[12:13]
.LBB19_403:
	s_or_b64 exec, exec, s[8:9]
	s_mov_b64 s[8:9], 0
	global_store_byte v[3:4], v2, off
.LBB19_404:
	s_and_b64 vcc, exec, s[8:9]
	s_cbranch_vccz .LBB19_414
; %bb.405:
	v_and_b32_e32 v2, 0x7fffffff, v1
	s_mov_b32 s8, 0x43f00000
	v_cmp_gt_u32_e32 vcc, s8, v2
                                        ; implicit-def: $vgpr0
	s_and_saveexec_b64 s[8:9], vcc
	s_xor_b64 s[8:9], exec, s[8:9]
	s_cbranch_execz .LBB19_411
; %bb.406:
	s_mov_b32 s10, 0x3c7fffff
	v_cmp_lt_u32_e32 vcc, s10, v2
                                        ; implicit-def: $vgpr0
	s_and_saveexec_b64 s[10:11], vcc
	s_xor_b64 s[10:11], exec, s[10:11]
; %bb.407:
	v_bfe_u32 v0, v1, 20, 1
	s_mov_b32 s12, 0x407ffff
	v_add3_u32 v0, v1, v0, s12
	v_lshrrev_b32_e32 v2, 20, v0
	v_and_b32_e32 v0, 0xff00000, v0
	s_mov_b32 s12, 0x7f00000
	v_mov_b32_e32 v5, 0x7e
	v_cmp_ne_u32_e32 vcc, s12, v0
	v_cndmask_b32_e32 v0, v5, v2, vcc
; %bb.408:
	s_andn2_saveexec_b64 s[10:11], s[10:11]
; %bb.409:
	s_mov_b32 s12, 0x46800000
	v_add_f32_e64 v0, |v1|, s12
; %bb.410:
	s_or_b64 exec, exec, s[10:11]
                                        ; implicit-def: $vgpr2
.LBB19_411:
	s_andn2_saveexec_b64 s[8:9], s[8:9]
; %bb.412:
	s_mov_b32 s10, 0x7f800000
	v_mov_b32_e32 v0, 0x7e
	v_mov_b32_e32 v5, 0x7f
	v_cmp_lt_u32_e32 vcc, s10, v2
	v_cndmask_b32_e32 v0, v0, v5, vcc
; %bb.413:
	s_or_b64 exec, exec, s[8:9]
	v_lshrrev_b32_e32 v2, 24, v1
	s_movk_i32 s8, 0x80
	v_and_or_b32 v0, v2, s8, v0
	global_store_byte v[3:4], v0, off
.LBB19_414:
	s_mov_b64 s[8:9], 0
.LBB19_415:
	s_andn2_b64 vcc, exec, s[8:9]
	s_cbranch_vccnz .LBB19_425
; %bb.416:
	v_and_b32_e32 v2, 0x7fffffff, v1
	s_mov_b32 s8, 0x47800000
	v_cmp_gt_u32_e32 vcc, s8, v2
                                        ; implicit-def: $vgpr0
	s_and_saveexec_b64 s[8:9], vcc
	s_xor_b64 s[8:9], exec, s[8:9]
	s_cbranch_execz .LBB19_422
; %bb.417:
	s_mov_b32 s10, 0x387fffff
	v_cmp_lt_u32_e32 vcc, s10, v2
                                        ; implicit-def: $vgpr0
	s_and_saveexec_b64 s[10:11], vcc
	s_xor_b64 s[10:11], exec, s[10:11]
; %bb.418:
	v_bfe_u32 v0, v1, 21, 1
	s_mov_b32 s12, 0x80fffff
	v_add3_u32 v0, v1, v0, s12
	v_lshrrev_b32_e32 v0, 21, v0
; %bb.419:
	s_andn2_saveexec_b64 s[10:11], s[10:11]
; %bb.420:
	s_mov_b32 s12, 0x43000000
	v_add_f32_e64 v0, |v1|, s12
; %bb.421:
	s_or_b64 exec, exec, s[10:11]
                                        ; implicit-def: $vgpr2
.LBB19_422:
	s_andn2_saveexec_b64 s[8:9], s[8:9]
; %bb.423:
	s_mov_b32 s10, 0x7f800000
	v_mov_b32_e32 v0, 0x7c
	v_mov_b32_e32 v5, 0x7f
	v_cmp_lt_u32_e32 vcc, s10, v2
	v_cndmask_b32_e32 v0, v0, v5, vcc
; %bb.424:
	s_or_b64 exec, exec, s[8:9]
	v_lshrrev_b32_e32 v2, 24, v1
	s_movk_i32 s8, 0x80
	v_and_or_b32 v0, v2, s8, v0
	global_store_byte v[3:4], v0, off
.LBB19_425:
	s_mov_b64 s[10:11], 0
	s_mov_b64 s[8:9], -1
.LBB19_426:
	s_andn2_b64 vcc, exec, s[10:11]
	s_cbranch_vccnz .LBB19_434
; %bb.427:
	s_cmp_gt_i32 s15, 14
	s_mov_b64 s[10:11], -1
	s_cbranch_scc0 .LBB19_431
; %bb.428:
	s_cmp_eq_u32 s15, 15
	s_mov_b64 s[0:1], -1
	s_cbranch_scc0 .LBB19_430
; %bb.429:
	v_bfe_u32 v0, v1, 16, 1
	s_movk_i32 s0, 0x7fff
	v_add3_u32 v0, v1, v0, s0
	v_cmp_o_f32_e32 vcc, v1, v1
	v_mov_b32_e32 v2, 0x7fc0
	v_cndmask_b32_sdwa v0, v2, v0, vcc dst_sel:DWORD dst_unused:UNUSED_PAD src0_sel:DWORD src1_sel:WORD_1
	global_store_short v[3:4], v0, off
	s_mov_b64 s[8:9], -1
	s_mov_b64 s[0:1], 0
.LBB19_430:
	s_mov_b64 s[10:11], 0
.LBB19_431:
	s_and_b64 vcc, exec, s[10:11]
	s_cbranch_vccz .LBB19_434
; %bb.432:
	s_cmp_eq_u32 s15, 11
	s_mov_b64 s[0:1], -1
	s_cbranch_scc0 .LBB19_434
; %bb.433:
	v_cmp_neq_f32_e32 vcc, 0, v1
	v_cndmask_b32_e64 v0, 0, 1, vcc
	s_mov_b64 s[8:9], -1
	s_mov_b64 s[0:1], 0
	global_store_byte v[3:4], v0, off
.LBB19_434:
	s_mov_b64 s[10:11], 0
.LBB19_435:
	s_and_b64 vcc, exec, s[10:11]
	s_cbranch_vccz .LBB19_474
; %bb.436:
	s_and_b32 s10, 0xffff, s14
	s_cmp_lt_i32 s10, 5
	s_mov_b64 s[8:9], -1
	s_cbranch_scc1 .LBB19_457
; %bb.437:
	s_cmp_lt_i32 s10, 8
	s_cbranch_scc1 .LBB19_447
; %bb.438:
	s_cmp_lt_i32 s10, 9
	s_cbranch_scc1 .LBB19_444
; %bb.439:
	s_cmp_gt_i32 s10, 9
	s_cbranch_scc0 .LBB19_441
; %bb.440:
	v_cvt_f64_f32_e32 v[9:10], v1
	v_mov_b32_e32 v11, 0
	v_mov_b32_e32 v12, v11
	s_mov_b64 s[8:9], 0
	global_store_dwordx4 v[3:4], v[9:12], off
.LBB19_441:
	s_andn2_b64 vcc, exec, s[8:9]
	s_cbranch_vccnz .LBB19_443
; %bb.442:
	v_mov_b32_e32 v2, 0
	global_store_dwordx2 v[3:4], v[1:2], off
.LBB19_443:
	s_mov_b64 s[8:9], 0
.LBB19_444:
	s_andn2_b64 vcc, exec, s[8:9]
	s_cbranch_vccnz .LBB19_446
; %bb.445:
	v_cvt_f16_f32_e32 v0, v1
	global_store_dword v[3:4], v0, off
.LBB19_446:
	s_mov_b64 s[8:9], 0
.LBB19_447:
	s_andn2_b64 vcc, exec, s[8:9]
	s_cbranch_vccnz .LBB19_456
; %bb.448:
	s_cmp_lt_i32 s10, 6
	s_mov_b64 s[8:9], -1
	s_cbranch_scc1 .LBB19_454
; %bb.449:
	s_cmp_gt_i32 s10, 6
	s_cbranch_scc0 .LBB19_451
; %bb.450:
	v_cvt_f64_f32_e32 v[5:6], v1
	s_mov_b64 s[8:9], 0
	global_store_dwordx2 v[3:4], v[5:6], off
.LBB19_451:
	s_andn2_b64 vcc, exec, s[8:9]
	s_cbranch_vccnz .LBB19_453
; %bb.452:
	global_store_dword v[3:4], v1, off
.LBB19_453:
	s_mov_b64 s[8:9], 0
.LBB19_454:
	s_andn2_b64 vcc, exec, s[8:9]
	s_cbranch_vccnz .LBB19_456
; %bb.455:
	v_cvt_f16_f32_e32 v0, v1
	global_store_short v[3:4], v0, off
.LBB19_456:
	s_mov_b64 s[8:9], 0
.LBB19_457:
	s_andn2_b64 vcc, exec, s[8:9]
	s_cbranch_vccnz .LBB19_473
; %bb.458:
	s_cmp_lt_i32 s10, 2
	s_mov_b64 s[8:9], -1
	s_cbranch_scc1 .LBB19_468
; %bb.459:
	s_cmp_lt_i32 s10, 3
	s_cbranch_scc1 .LBB19_465
; %bb.460:
	s_cmp_gt_i32 s10, 3
	s_cbranch_scc0 .LBB19_462
; %bb.461:
	v_trunc_f32_e32 v0, v1
	s_mov_b32 s8, 0x2f800000
	v_mul_f32_e64 v2, |v0|, s8
	v_floor_f32_e32 v2, v2
	s_mov_b32 s8, 0xcf800000
	v_cvt_u32_f32_e32 v5, v2
	v_fma_f32 v2, v2, s8, |v0|
	v_cvt_u32_f32_e32 v2, v2
	v_ashrrev_i32_e32 v0, 31, v0
	v_xor_b32_e32 v6, v5, v0
	s_mov_b64 s[8:9], 0
	v_xor_b32_e32 v2, v2, v0
	v_sub_co_u32_e32 v5, vcc, v2, v0
	v_subb_co_u32_e32 v6, vcc, v6, v0, vcc
	global_store_dwordx2 v[3:4], v[5:6], off
.LBB19_462:
	s_andn2_b64 vcc, exec, s[8:9]
	s_cbranch_vccnz .LBB19_464
; %bb.463:
	v_cvt_i32_f32_e32 v0, v1
	global_store_dword v[3:4], v0, off
.LBB19_464:
	s_mov_b64 s[8:9], 0
.LBB19_465:
	s_andn2_b64 vcc, exec, s[8:9]
	s_cbranch_vccnz .LBB19_467
; %bb.466:
	v_cvt_i32_f32_e32 v0, v1
	global_store_short v[3:4], v0, off
.LBB19_467:
	s_mov_b64 s[8:9], 0
.LBB19_468:
	s_andn2_b64 vcc, exec, s[8:9]
	s_cbranch_vccnz .LBB19_473
; %bb.469:
	s_cmp_gt_i32 s10, 0
	s_mov_b64 s[8:9], -1
	s_cbranch_scc0 .LBB19_471
; %bb.470:
	v_cvt_i32_f32_e32 v0, v1
	s_mov_b64 s[8:9], 0
	global_store_byte v[3:4], v0, off
.LBB19_471:
	s_andn2_b64 vcc, exec, s[8:9]
	s_cbranch_vccnz .LBB19_473
; %bb.472:
	v_trunc_f32_e32 v0, v1
	s_mov_b32 s8, 0x2f800000
	v_mul_f32_e64 v1, |v0|, s8
	v_floor_f32_e32 v1, v1
	s_mov_b32 s8, 0xcf800000
	v_fma_f32 v1, v1, s8, |v0|
	v_cvt_u32_f32_e32 v1, v1
	v_ashrrev_i32_e32 v0, 31, v0
	v_xor_b32_e32 v1, v1, v0
	v_sub_u32_e32 v0, v1, v0
	global_store_byte v[3:4], v0, off
.LBB19_473:
	s_mov_b64 s[8:9], -1
.LBB19_474:
	s_andn2_b64 vcc, exec, s[8:9]
	s_cbranch_vccnz .LBB19_476
; %bb.475:
	v_add_u32_e32 v8, 0x80, v8
	s_mov_b64 s[8:9], -1
	s_branch .LBB19_589
.LBB19_476:
	s_mov_b64 s[8:9], 0
	s_branch .LBB19_588
.LBB19_477:
	s_mov_b64 s[2:3], -1
                                        ; implicit-def: $vgpr7
.LBB19_478:
	s_mov_b64 s[8:9], 0
.LBB19_479:
	s_and_b64 vcc, exec, s[8:9]
	s_cbranch_vccz .LBB19_483
; %bb.480:
	s_cmp_eq_u32 s12, 29
	s_cbranch_scc0 .LBB19_482
; %bb.481:
	global_load_dwordx2 v[3:4], v[1:2], off
	s_mov_b64 s[0:1], -1
	s_mov_b64 s[2:3], 0
	s_mov_b64 s[8:9], 0
	s_waitcnt vmcnt(0)
	v_ffbh_u32_e32 v5, v4
	v_min_u32_e32 v5, 32, v5
	v_lshlrev_b64 v[3:4], v5, v[3:4]
	v_min_u32_e32 v3, 1, v3
	v_or_b32_e32 v3, v4, v3
	v_cvt_f32_u32_e32 v3, v3
	v_sub_u32_e32 v4, 32, v5
	v_ldexp_f32 v7, v3, v4
	s_branch .LBB19_484
.LBB19_482:
	s_mov_b64 s[2:3], -1
                                        ; implicit-def: $vgpr7
.LBB19_483:
	s_mov_b64 s[8:9], 0
.LBB19_484:
	s_and_b64 vcc, exec, s[8:9]
	s_cbranch_vccz .LBB19_502
; %bb.485:
	s_cmp_lt_i32 s12, 27
	s_cbranch_scc1 .LBB19_488
; %bb.486:
	s_cmp_gt_i32 s12, 27
	s_cbranch_scc0 .LBB19_489
; %bb.487:
	global_load_dword v3, v[1:2], off
	s_mov_b64 s[0:1], 0
	s_waitcnt vmcnt(0)
	v_cvt_f32_u32_e32 v7, v3
	s_branch .LBB19_490
.LBB19_488:
	s_mov_b64 s[0:1], -1
                                        ; implicit-def: $vgpr7
	s_branch .LBB19_493
.LBB19_489:
	s_mov_b64 s[0:1], -1
                                        ; implicit-def: $vgpr7
.LBB19_490:
	s_andn2_b64 vcc, exec, s[0:1]
	s_cbranch_vccnz .LBB19_492
; %bb.491:
	global_load_ushort v3, v[1:2], off
	s_waitcnt vmcnt(0)
	v_cvt_f32_u32_e32 v7, v3
.LBB19_492:
	s_mov_b64 s[0:1], 0
.LBB19_493:
	s_andn2_b64 vcc, exec, s[0:1]
	s_cbranch_vccnz .LBB19_501
; %bb.494:
	global_load_ubyte v3, v[1:2], off
	s_movk_i32 s0, 0x7f
	s_waitcnt vmcnt(0)
	v_cmp_lt_i16_e32 vcc, s0, v3
	s_mov_b64 s[0:1], 0
	s_and_saveexec_b64 s[8:9], vcc
	s_xor_b64 s[8:9], exec, s[8:9]
	s_cbranch_execz .LBB19_515
; %bb.495:
	s_movk_i32 s0, 0x80
	v_cmp_eq_u16_e32 vcc, s0, v3
	s_mov_b64 s[0:1], -1
	s_and_saveexec_b64 s[10:11], vcc
; %bb.496:
	s_xor_b64 s[0:1], exec, -1
; %bb.497:
	s_or_b64 exec, exec, s[10:11]
	s_and_b64 s[0:1], s[0:1], exec
	s_or_saveexec_b64 s[8:9], s[8:9]
	v_mov_b32_e32 v7, 0x7f800001
	s_xor_b64 exec, exec, s[8:9]
	s_cbranch_execnz .LBB19_516
.LBB19_498:
	s_or_b64 exec, exec, s[8:9]
	s_and_saveexec_b64 s[8:9], s[0:1]
	s_cbranch_execz .LBB19_500
.LBB19_499:
	v_lshlrev_b32_e32 v4, 24, v3
	v_and_b32_e32 v3, 0xffff, v3
	v_and_b32_e32 v5, 7, v3
	v_ffbh_u32_e32 v7, v5
	v_min_u32_e32 v7, 32, v7
	v_subrev_u32_e32 v9, 28, v7
	v_bfe_u32 v6, v3, 3, 4
	v_lshlrev_b32_e32 v3, v9, v3
	v_sub_u32_e32 v7, 29, v7
	v_and_b32_e32 v3, 7, v3
	v_cmp_eq_u32_e32 vcc, 0, v6
	v_cndmask_b32_e32 v6, v6, v7, vcc
	v_cndmask_b32_e32 v3, v5, v3, vcc
	v_mov_b32_e32 v5, 0x3b800000
	v_lshlrev_b32_e32 v3, 20, v3
	v_and_b32_e32 v4, 0x80000000, v4
	v_lshl_add_u32 v5, v6, 23, v5
	v_or3_b32 v7, v4, v5, v3
.LBB19_500:
	s_or_b64 exec, exec, s[8:9]
.LBB19_501:
	s_mov_b64 s[0:1], -1
.LBB19_502:
	s_mov_b64 s[8:9], 0
.LBB19_503:
	s_and_b64 vcc, exec, s[8:9]
	s_cbranch_vccz .LBB19_538
; %bb.504:
	s_cmp_gt_i32 s12, 22
	s_cbranch_scc0 .LBB19_514
; %bb.505:
	s_cmp_lt_i32 s12, 24
	s_cbranch_scc1 .LBB19_517
; %bb.506:
	s_cmp_gt_i32 s12, 24
	s_cbranch_scc0 .LBB19_518
; %bb.507:
	global_load_ubyte v3, v[1:2], off
	s_movk_i32 s0, 0x7f
	s_waitcnt vmcnt(0)
	v_cmp_lt_i16_e32 vcc, s0, v3
	s_mov_b64 s[0:1], 0
	s_and_saveexec_b64 s[8:9], vcc
	s_xor_b64 s[8:9], exec, s[8:9]
	s_cbranch_execz .LBB19_530
; %bb.508:
	s_movk_i32 s0, 0x80
	v_cmp_eq_u16_e32 vcc, s0, v3
	s_mov_b64 s[0:1], -1
	s_and_saveexec_b64 s[10:11], vcc
; %bb.509:
	s_xor_b64 s[0:1], exec, -1
; %bb.510:
	s_or_b64 exec, exec, s[10:11]
	s_and_b64 s[0:1], s[0:1], exec
	s_or_saveexec_b64 s[8:9], s[8:9]
	v_mov_b32_e32 v7, 0x7f800001
	s_xor_b64 exec, exec, s[8:9]
	s_cbranch_execnz .LBB19_531
.LBB19_511:
	s_or_b64 exec, exec, s[8:9]
	s_and_saveexec_b64 s[8:9], s[0:1]
	s_cbranch_execz .LBB19_513
.LBB19_512:
	v_lshlrev_b32_e32 v4, 24, v3
	v_and_b32_e32 v3, 0xffff, v3
	v_and_b32_e32 v5, 3, v3
	v_ffbh_u32_e32 v7, v5
	v_min_u32_e32 v7, 32, v7
	v_subrev_u32_e32 v9, 29, v7
	v_bfe_u32 v6, v3, 2, 5
	v_lshlrev_b32_e32 v3, v9, v3
	v_sub_u32_e32 v7, 30, v7
	v_and_b32_e32 v3, 3, v3
	v_cmp_eq_u32_e32 vcc, 0, v6
	v_cndmask_b32_e32 v6, v6, v7, vcc
	v_cndmask_b32_e32 v3, v5, v3, vcc
	v_mov_b32_e32 v5, 0x37800000
	v_lshlrev_b32_e32 v3, 21, v3
	v_and_b32_e32 v4, 0x80000000, v4
	v_lshl_add_u32 v5, v6, 23, v5
	v_or3_b32 v7, v4, v5, v3
.LBB19_513:
	s_or_b64 exec, exec, s[8:9]
	s_mov_b64 s[0:1], 0
	s_branch .LBB19_519
.LBB19_514:
	s_mov_b64 s[8:9], -1
                                        ; implicit-def: $vgpr7
	s_branch .LBB19_525
.LBB19_515:
	s_or_saveexec_b64 s[8:9], s[8:9]
	v_mov_b32_e32 v7, 0x7f800001
	s_xor_b64 exec, exec, s[8:9]
	s_cbranch_execz .LBB19_498
.LBB19_516:
	v_cmp_ne_u16_e32 vcc, 0, v3
	s_andn2_b64 s[0:1], s[0:1], exec
	s_and_b64 s[10:11], vcc, exec
	v_mov_b32_e32 v7, 0
	s_or_b64 s[0:1], s[0:1], s[10:11]
	s_or_b64 exec, exec, s[8:9]
	s_and_saveexec_b64 s[8:9], s[0:1]
	s_cbranch_execnz .LBB19_499
	s_branch .LBB19_500
.LBB19_517:
	s_mov_b64 s[0:1], -1
                                        ; implicit-def: $vgpr7
	s_branch .LBB19_522
.LBB19_518:
	s_mov_b64 s[0:1], -1
                                        ; implicit-def: $vgpr7
.LBB19_519:
	s_and_b64 vcc, exec, s[0:1]
	s_cbranch_vccz .LBB19_521
; %bb.520:
	global_load_ubyte v3, v[1:2], off
	s_mov_b32 s0, 0x7f800000
	s_waitcnt vmcnt(0)
	v_lshlrev_b32_e32 v3, 24, v3
	v_and_b32_e32 v4, 0x7f000000, v3
	v_ffbh_u32_e32 v5, v4
	v_min_u32_e32 v5, 32, v5
	v_sub_u32_e64 v5, v5, 4 clamp
	v_lshlrev_b32_e32 v7, v5, v4
	v_lshlrev_b32_e32 v5, 23, v5
	v_lshrrev_b32_e32 v7, 4, v7
	v_add_u32_e32 v6, 0x1000000, v4
	v_sub_u32_e32 v5, v7, v5
	v_ashrrev_i32_e32 v6, 8, v6
	v_add_u32_e32 v5, 0x3c000000, v5
	v_and_or_b32 v5, v6, s0, v5
	v_cmp_ne_u32_e32 vcc, 0, v4
	v_cndmask_b32_e32 v4, 0, v5, vcc
	s_brev_b32 s0, 1
	v_and_or_b32 v7, v3, s0, v4
.LBB19_521:
	s_mov_b64 s[0:1], 0
.LBB19_522:
	s_andn2_b64 vcc, exec, s[0:1]
	s_cbranch_vccnz .LBB19_524
; %bb.523:
	global_load_ubyte v3, v[1:2], off
	s_movk_i32 s0, 0x7f00
	s_brev_b32 s1, 16
	s_waitcnt vmcnt(0)
	v_lshlrev_b16_e32 v4, 8, v3
	v_lshlrev_b32_e32 v3, 25, v3
	v_lshrrev_b32_e32 v5, 4, v3
	v_and_or_b32 v6, v4, s0, 0.5
	v_or_b32_e32 v5, 0x70000000, v5
	v_add_f32_e32 v6, -0.5, v6
	v_mul_f32_e32 v5, 0x7800000, v5
	v_cmp_gt_u32_e32 vcc, s1, v3
	v_bfe_i32 v4, v4, 0, 16
	v_cndmask_b32_e32 v3, v5, v6, vcc
	s_brev_b32 s0, 1
	v_and_or_b32 v7, v4, s0, v3
.LBB19_524:
	s_mov_b64 s[8:9], 0
	s_mov_b64 s[0:1], -1
.LBB19_525:
	s_andn2_b64 vcc, exec, s[8:9]
	s_cbranch_vccnz .LBB19_538
; %bb.526:
	s_cmp_gt_i32 s12, 14
	s_cbranch_scc0 .LBB19_529
; %bb.527:
	s_cmp_eq_u32 s12, 15
	s_cbranch_scc0 .LBB19_532
; %bb.528:
	global_load_ushort v3, v[1:2], off
	s_mov_b64 s[0:1], -1
	s_mov_b64 s[2:3], 0
	s_waitcnt vmcnt(0)
	v_lshlrev_b32_e32 v7, 16, v3
	s_branch .LBB19_533
.LBB19_529:
	s_mov_b64 s[8:9], -1
                                        ; implicit-def: $vgpr7
	s_branch .LBB19_534
.LBB19_530:
	s_or_saveexec_b64 s[8:9], s[8:9]
	v_mov_b32_e32 v7, 0x7f800001
	s_xor_b64 exec, exec, s[8:9]
	s_cbranch_execz .LBB19_511
.LBB19_531:
	v_cmp_ne_u16_e32 vcc, 0, v3
	s_andn2_b64 s[0:1], s[0:1], exec
	s_and_b64 s[10:11], vcc, exec
	v_mov_b32_e32 v7, 0
	s_or_b64 s[0:1], s[0:1], s[10:11]
	s_or_b64 exec, exec, s[8:9]
	s_and_saveexec_b64 s[8:9], s[0:1]
	s_cbranch_execnz .LBB19_512
	s_branch .LBB19_513
.LBB19_532:
	s_mov_b64 s[2:3], -1
                                        ; implicit-def: $vgpr7
.LBB19_533:
	s_mov_b64 s[8:9], 0
.LBB19_534:
	s_and_b64 vcc, exec, s[8:9]
	s_cbranch_vccz .LBB19_538
; %bb.535:
	s_cmp_eq_u32 s12, 11
	s_cbranch_scc0 .LBB19_537
; %bb.536:
	global_load_ubyte v3, v[1:2], off
	s_mov_b64 s[0:1], -1
	s_mov_b64 s[2:3], 0
	s_waitcnt vmcnt(0)
	v_cmp_ne_u16_e32 vcc, 0, v3
	v_cndmask_b32_e64 v7, 0, 1.0, vcc
	s_branch .LBB19_538
.LBB19_537:
	s_mov_b64 s[2:3], -1
                                        ; implicit-def: $vgpr7
.LBB19_538:
	s_branch .LBB19_317
.LBB19_539:
	s_cmp_lt_i32 s12, 5
	s_cbranch_scc1 .LBB19_544
; %bb.540:
	s_cmp_lt_i32 s12, 8
	s_cbranch_scc1 .LBB19_545
; %bb.541:
	;; [unrolled: 3-line block ×3, first 2 shown]
	s_cmp_gt_i32 s12, 9
	s_cbranch_scc0 .LBB19_547
; %bb.543:
	global_load_dwordx2 v[3:4], v[1:2], off
	s_mov_b64 s[0:1], 0
	s_waitcnt vmcnt(0)
	v_cvt_f32_f64_e32 v7, v[3:4]
	s_branch .LBB19_548
.LBB19_544:
	s_mov_b64 s[0:1], -1
                                        ; implicit-def: $vgpr7
	s_branch .LBB19_566
.LBB19_545:
	s_mov_b64 s[0:1], -1
                                        ; implicit-def: $vgpr7
	s_branch .LBB19_554
.LBB19_546:
	s_mov_b64 s[0:1], -1
                                        ; implicit-def: $vgpr7
	s_branch .LBB19_551
.LBB19_547:
	s_mov_b64 s[0:1], -1
                                        ; implicit-def: $vgpr7
.LBB19_548:
	s_andn2_b64 vcc, exec, s[0:1]
	s_cbranch_vccnz .LBB19_550
; %bb.549:
	global_load_dword v7, v[1:2], off
.LBB19_550:
	s_mov_b64 s[0:1], 0
.LBB19_551:
	s_andn2_b64 vcc, exec, s[0:1]
	s_cbranch_vccnz .LBB19_553
; %bb.552:
	global_load_dword v3, v[1:2], off
	s_waitcnt vmcnt(0)
	v_cvt_f32_f16_e32 v7, v3
.LBB19_553:
	s_mov_b64 s[0:1], 0
.LBB19_554:
	s_andn2_b64 vcc, exec, s[0:1]
	s_cbranch_vccnz .LBB19_565
; %bb.555:
	s_cmp_lt_i32 s12, 6
	s_cbranch_scc1 .LBB19_558
; %bb.556:
	s_cmp_gt_i32 s12, 6
	s_cbranch_scc0 .LBB19_559
; %bb.557:
	global_load_dwordx2 v[3:4], v[1:2], off
	s_mov_b64 s[0:1], 0
	s_waitcnt vmcnt(0)
	v_cvt_f32_f64_e32 v7, v[3:4]
	s_branch .LBB19_560
.LBB19_558:
	s_mov_b64 s[0:1], -1
                                        ; implicit-def: $vgpr7
	s_branch .LBB19_563
.LBB19_559:
	s_mov_b64 s[0:1], -1
                                        ; implicit-def: $vgpr7
.LBB19_560:
	s_andn2_b64 vcc, exec, s[0:1]
	s_cbranch_vccnz .LBB19_562
; %bb.561:
	global_load_dword v7, v[1:2], off
.LBB19_562:
	s_mov_b64 s[0:1], 0
.LBB19_563:
	s_andn2_b64 vcc, exec, s[0:1]
	s_cbranch_vccnz .LBB19_565
; %bb.564:
	global_load_ushort v3, v[1:2], off
	s_waitcnt vmcnt(0)
	v_cvt_f32_f16_e32 v7, v3
.LBB19_565:
	s_mov_b64 s[0:1], 0
.LBB19_566:
	s_andn2_b64 vcc, exec, s[0:1]
	s_cbranch_vccnz .LBB19_586
; %bb.567:
	s_cmp_lt_i32 s12, 2
	s_cbranch_scc1 .LBB19_571
; %bb.568:
	s_cmp_lt_i32 s12, 3
	s_cbranch_scc1 .LBB19_572
; %bb.569:
	s_cmp_gt_i32 s12, 3
	s_cbranch_scc0 .LBB19_573
; %bb.570:
	global_load_dwordx2 v[3:4], v[1:2], off
	s_mov_b64 s[0:1], 0
	s_waitcnt vmcnt(0)
	v_xor_b32_e32 v6, v3, v4
	v_ffbh_i32_e32 v5, v4
	v_ashrrev_i32_e32 v6, 31, v6
	v_add_u32_e32 v5, -1, v5
	v_add_u32_e32 v6, 32, v6
	v_min_u32_e32 v5, v5, v6
	v_lshlrev_b64 v[3:4], v5, v[3:4]
	v_min_u32_e32 v3, 1, v3
	v_or_b32_e32 v3, v4, v3
	v_cvt_f32_i32_e32 v3, v3
	v_sub_u32_e32 v4, 32, v5
	v_ldexp_f32 v7, v3, v4
	s_branch .LBB19_574
.LBB19_571:
	s_mov_b64 s[0:1], -1
                                        ; implicit-def: $vgpr7
	s_branch .LBB19_580
.LBB19_572:
	s_mov_b64 s[0:1], -1
                                        ; implicit-def: $vgpr7
	s_branch .LBB19_577
.LBB19_573:
	s_mov_b64 s[0:1], -1
                                        ; implicit-def: $vgpr7
.LBB19_574:
	s_andn2_b64 vcc, exec, s[0:1]
	s_cbranch_vccnz .LBB19_576
; %bb.575:
	global_load_dword v3, v[1:2], off
	s_waitcnt vmcnt(0)
	v_cvt_f32_i32_e32 v7, v3
.LBB19_576:
	s_mov_b64 s[0:1], 0
.LBB19_577:
	s_andn2_b64 vcc, exec, s[0:1]
	s_cbranch_vccnz .LBB19_579
; %bb.578:
	global_load_sshort v3, v[1:2], off
	s_waitcnt vmcnt(0)
	v_cvt_f32_i32_e32 v7, v3
.LBB19_579:
	s_mov_b64 s[0:1], 0
.LBB19_580:
	s_andn2_b64 vcc, exec, s[0:1]
	s_cbranch_vccnz .LBB19_586
; %bb.581:
	s_cmp_gt_i32 s12, 0
	s_cbranch_scc0 .LBB19_583
; %bb.582:
	global_load_sbyte v3, v[1:2], off
	s_mov_b64 s[0:1], 0
	s_waitcnt vmcnt(0)
	v_cvt_f32_i32_e32 v7, v3
	s_branch .LBB19_584
.LBB19_583:
	s_mov_b64 s[0:1], -1
                                        ; implicit-def: $vgpr7
.LBB19_584:
	s_andn2_b64 vcc, exec, s[0:1]
	s_cbranch_vccnz .LBB19_586
; %bb.585:
	global_load_ubyte v1, v[1:2], off
	s_waitcnt vmcnt(0)
	v_cvt_f32_ubyte0_e32 v7, v1
.LBB19_586:
	s_branch .LBB19_318
.LBB19_587:
	s_mov_b64 s[8:9], 0
	s_mov_b64 s[0:1], s[52:53]
.LBB19_588:
                                        ; implicit-def: $vgpr8
.LBB19_589:
	s_andn2_b64 s[10:11], s[52:53], exec
	s_and_b64 s[0:1], s[0:1], exec
	s_or_b64 s[60:61], s[10:11], s[0:1]
	s_andn2_b64 s[0:1], s[54:55], exec
	s_and_b64 s[2:3], s[2:3], exec
	s_or_b64 s[58:59], s[0:1], s[2:3]
	s_orn2_b64 s[0:1], s[8:9], exec
.LBB19_590:
	s_or_b64 exec, exec, s[62:63]
	s_mov_b64 s[2:3], 0
	s_mov_b64 s[8:9], 0
	;; [unrolled: 1-line block ×3, first 2 shown]
                                        ; implicit-def: $vgpr1_vgpr2
                                        ; implicit-def: $vgpr0
                                        ; implicit-def: $vgpr7
	s_and_saveexec_b64 s[62:63], s[0:1]
	s_cbranch_execz .LBB19_989
; %bb.591:
	v_cmp_gt_i32_e32 vcc, s70, v8
	s_mov_b64 s[2:3], -1
	s_mov_b64 s[66:67], s[58:59]
	s_mov_b64 s[68:69], s[60:61]
	s_and_saveexec_b64 s[64:65], vcc
	s_cbranch_execz .LBB19_889
; %bb.592:
	s_andn2_b64 vcc, exec, s[40:41]
	s_cbranch_vccnz .LBB19_597
; %bb.593:
	s_andn2_b64 vcc, exec, s[50:51]
	s_cbranch_vccnz .LBB19_598
; %bb.594:
	s_add_i32 s76, s75, 1
	s_cmp_eq_u32 s72, 2
	s_cbranch_scc1 .LBB19_599
; %bb.595:
	s_and_b32 s71, s76, 28
	v_mov_b32_e32 v2, 0
	s_mov_b32 s77, 0
	s_mov_b64 s[66:67], s[34:35]
	s_mov_b64 s[68:69], s[48:49]
	v_mov_b32_e32 v0, 0
	v_mov_b32_e32 v1, v8
.LBB19_596:                             ; =>This Inner Loop Header: Depth=1
	s_load_dwordx8 s[16:23], s[66:67], 0x4
	s_load_dwordx4 s[0:3], s[66:67], 0x24
	s_load_dwordx8 s[8:15], s[68:69], 0x0
	s_add_u32 s66, s66, 48
	s_addc_u32 s67, s67, 0
	s_waitcnt lgkmcnt(0)
	v_mul_hi_u32 v3, s17, v1
	s_add_i32 s77, s77, 4
	s_add_u32 s68, s68, 32
	s_addc_u32 s69, s69, 0
	v_add_u32_e32 v3, v1, v3
	v_lshrrev_b32_e32 v3, s18, v3
	v_mul_lo_u32 v4, v3, s16
	v_mul_hi_u32 v5, s20, v3
	s_cmp_eq_u32 s71, s77
	v_sub_u32_e32 v1, v1, v4
	v_add_u32_e32 v4, v3, v5
	v_mul_lo_u32 v5, v1, s8
	v_mul_lo_u32 v6, v1, s9
	v_lshrrev_b32_e32 v1, s21, v4
	v_mul_lo_u32 v4, v1, s19
	s_waitcnt vmcnt(0)
	v_mul_hi_u32 v7, s23, v1
	v_sub_u32_e32 v3, v3, v4
	v_add_u32_e32 v4, v1, v7
	v_lshrrev_b32_e32 v4, s0, v4
	v_mul_hi_u32 v9, s2, v4
	v_mul_lo_u32 v10, v4, s22
	v_mul_lo_u32 v7, v3, s10
	;; [unrolled: 1-line block ×3, first 2 shown]
	v_sub_u32_e32 v10, v1, v10
	v_add_u32_e32 v1, v4, v9
	v_lshrrev_b32_e32 v1, s3, v1
	v_mul_lo_u32 v9, v1, s1
	v_mul_lo_u32 v11, v10, s12
	;; [unrolled: 1-line block ×3, first 2 shown]
	v_add3_u32 v0, v5, v0, v7
	v_sub_u32_e32 v4, v4, v9
	v_mul_lo_u32 v9, v4, s14
	v_mul_lo_u32 v4, v4, s15
	v_add3_u32 v2, v6, v2, v3
	v_add3_u32 v0, v11, v0, v9
	v_add3_u32 v2, v10, v2, v4
	s_cbranch_scc0 .LBB19_596
	s_branch .LBB19_600
.LBB19_597:
	s_mov_b64 s[0:1], -1
                                        ; implicit-def: $vgpr0
                                        ; implicit-def: $vgpr2
	s_branch .LBB19_604
.LBB19_598:
	v_mov_b32_e32 v0, 0
	v_mov_b32_e32 v2, 0
	s_branch .LBB19_603
.LBB19_599:
	s_mov_b32 s71, 0
	v_mov_b32_e32 v0, 0
	v_mov_b32_e32 v2, 0
	;; [unrolled: 1-line block ×3, first 2 shown]
.LBB19_600:
	s_and_b32 s8, s76, 3
	s_cmp_eq_u32 s8, 0
	s_cbranch_scc1 .LBB19_603
; %bb.601:
	s_lshl_b32 s0, s71, 3
	s_add_u32 s0, s34, s0
	s_addc_u32 s1, s35, 0
	s_add_u32 s0, s0, 0xc4
	s_addc_u32 s1, s1, 0
	s_mul_i32 s2, s71, 12
	s_add_u32 s2, s34, s2
	s_addc_u32 s3, s35, 0
.LBB19_602:                             ; =>This Inner Loop Header: Depth=1
	s_load_dwordx2 s[10:11], s[2:3], 0x4
	s_load_dword s9, s[2:3], 0xc
	s_load_dwordx2 s[12:13], s[0:1], 0x0
	s_add_u32 s2, s2, 12
	s_addc_u32 s3, s3, 0
	s_waitcnt lgkmcnt(0)
	v_mul_hi_u32 v3, s11, v1
	s_add_u32 s0, s0, 8
	s_addc_u32 s1, s1, 0
	s_add_i32 s8, s8, -1
	v_add_u32_e32 v3, v1, v3
	v_lshrrev_b32_e32 v4, s9, v3
	v_mul_lo_u32 v3, v4, s10
	s_cmp_lg_u32 s8, 0
	v_sub_u32_e32 v3, v1, v3
	v_mad_u64_u32 v[0:1], s[10:11], v3, s12, v[0:1]
	v_mad_u64_u32 v[2:3], s[10:11], v3, s13, v[2:3]
	v_mov_b32_e32 v1, v4
	s_cbranch_scc1 .LBB19_602
.LBB19_603:
	s_mov_b64 s[0:1], 0
.LBB19_604:
	s_andn2_b64 vcc, exec, s[0:1]
	s_cbranch_vccnz .LBB19_607
; %bb.605:
	s_waitcnt lgkmcnt(0)
	v_mul_hi_u32 v0, s37, v8
	s_andn2_b64 vcc, exec, s[46:47]
	v_add_u32_e32 v0, v8, v0
	v_lshrrev_b32_e32 v1, s38, v0
	v_mul_lo_u32 v0, v1, s36
	v_sub_u32_e32 v2, v8, v0
	v_mul_lo_u32 v0, v2, s28
	v_mul_lo_u32 v2, v2, s29
	s_cbranch_vccnz .LBB19_607
; %bb.606:
	v_mul_hi_u32 v3, s44, v1
	v_add_u32_e32 v3, v1, v3
	v_lshrrev_b32_e32 v3, s45, v3
	v_mul_lo_u32 v3, v3, s39
	v_sub_u32_e32 v3, v1, v3
	v_mad_u64_u32 v[0:1], s[0:1], v3, s30, v[0:1]
	v_mad_u64_u32 v[2:3], s[0:1], v3, s31, v[2:3]
.LBB19_607:
	s_waitcnt lgkmcnt(0)
	v_mov_b32_e32 v3, s27
	s_and_b32 s12, 0xffff, s74
	v_add_co_u32_e32 v1, vcc, s26, v2
	s_cmp_lt_i32 s12, 11
	v_addc_co_u32_e32 v2, vcc, 0, v3, vcc
	s_cbranch_scc1 .LBB19_614
; %bb.608:
	s_cmp_gt_i32 s12, 25
	s_cbranch_scc0 .LBB19_615
; %bb.609:
	s_cmp_gt_i32 s12, 28
	s_cbranch_scc0 .LBB19_616
	;; [unrolled: 3-line block ×4, first 2 shown]
; %bb.612:
	s_cmp_eq_u32 s12, 46
	s_mov_b64 s[8:9], 0
	s_cbranch_scc0 .LBB19_623
; %bb.613:
	global_load_dword v3, v[1:2], off
	s_mov_b64 s[0:1], -1
	s_mov_b64 s[2:3], 0
	s_waitcnt vmcnt(0)
	v_lshlrev_b32_e32 v7, 16, v3
	s_branch .LBB19_624
.LBB19_614:
	s_mov_b64 s[8:9], -1
	s_mov_b64 s[0:1], 0
                                        ; implicit-def: $vgpr7
	s_mov_b64 s[2:3], s[58:59]
	s_branch .LBB19_689
.LBB19_615:
	s_mov_b64 s[8:9], -1
	s_mov_b64 s[0:1], 0
	s_mov_b64 s[2:3], s[58:59]
                                        ; implicit-def: $vgpr7
	s_branch .LBB19_653
.LBB19_616:
	s_mov_b64 s[8:9], -1
	s_mov_b64 s[0:1], 0
	s_mov_b64 s[2:3], s[58:59]
                                        ; implicit-def: $vgpr7
	s_branch .LBB19_634
.LBB19_617:
	s_mov_b64 s[8:9], -1
	s_mov_b64 s[0:1], 0
	s_mov_b64 s[2:3], s[58:59]
                                        ; implicit-def: $vgpr7
	s_branch .LBB19_629
.LBB19_618:
	s_andn2_saveexec_b64 s[12:13], s[12:13]
	s_cbranch_execz .LBB19_387
.LBB19_619:
	s_mov_b32 s16, 0x46000000
	v_add_f32_e64 v0, |v1|, s16
	v_and_b32_e32 v0, 0xff, v0
	v_cmp_ne_u32_e32 vcc, 0, v0
	s_andn2_b64 s[10:11], s[10:11], exec
	s_and_b64 s[16:17], vcc, exec
	s_or_b64 s[10:11], s[10:11], s[16:17]
	s_or_b64 exec, exec, s[12:13]
	v_mov_b32_e32 v2, 0
	s_and_saveexec_b64 s[12:13], s[10:11]
	s_cbranch_execnz .LBB19_388
	s_branch .LBB19_389
.LBB19_620:
	s_mov_b64 s[8:9], -1
	s_mov_b64 s[0:1], 0
	s_mov_b64 s[2:3], s[58:59]
                                        ; implicit-def: $vgpr7
	s_branch .LBB19_624
.LBB19_621:
	s_andn2_saveexec_b64 s[12:13], s[12:13]
	s_cbranch_execz .LBB19_400
.LBB19_622:
	s_mov_b32 s16, 0x42800000
	v_add_f32_e64 v0, |v1|, s16
	v_and_b32_e32 v0, 0xff, v0
	v_cmp_ne_u32_e32 vcc, 0, v0
	s_andn2_b64 s[10:11], s[10:11], exec
	s_and_b64 s[16:17], vcc, exec
	s_or_b64 s[10:11], s[10:11], s[16:17]
	s_or_b64 exec, exec, s[12:13]
	v_mov_b32_e32 v2, 0
	s_and_saveexec_b64 s[12:13], s[10:11]
	s_cbranch_execnz .LBB19_401
	s_branch .LBB19_402
.LBB19_623:
	s_mov_b64 s[2:3], -1
                                        ; implicit-def: $vgpr7
	s_mov_b64 s[0:1], 0
.LBB19_624:
	s_and_b64 vcc, exec, s[8:9]
	s_cbranch_vccz .LBB19_628
; %bb.625:
	s_cmp_eq_u32 s12, 44
	s_cbranch_scc0 .LBB19_627
; %bb.626:
	global_load_ubyte v3, v[1:2], off
	s_movk_i32 s2, 0xff
	v_mov_b32_e32 v4, 0x7f800001
	v_mov_b32_e32 v5, 0x400000
	s_mov_b64 s[0:1], -1
	s_waitcnt vmcnt(0)
	v_lshlrev_b32_e32 v6, 23, v3
	v_cmp_ne_u32_e32 vcc, s2, v3
	v_cndmask_b32_e32 v4, v4, v6, vcc
	v_cmp_ne_u32_e32 vcc, 0, v3
	v_cndmask_b32_e32 v7, v5, v4, vcc
	s_mov_b64 s[2:3], 0
	s_branch .LBB19_628
.LBB19_627:
	s_mov_b64 s[2:3], -1
                                        ; implicit-def: $vgpr7
.LBB19_628:
	s_mov_b64 s[8:9], 0
.LBB19_629:
	s_and_b64 vcc, exec, s[8:9]
	s_cbranch_vccz .LBB19_633
; %bb.630:
	s_cmp_eq_u32 s12, 29
	s_cbranch_scc0 .LBB19_632
; %bb.631:
	global_load_dwordx2 v[3:4], v[1:2], off
	s_mov_b64 s[0:1], -1
	s_mov_b64 s[2:3], 0
	s_mov_b64 s[8:9], 0
	s_waitcnt vmcnt(0)
	v_ffbh_u32_e32 v5, v4
	v_min_u32_e32 v5, 32, v5
	v_lshlrev_b64 v[3:4], v5, v[3:4]
	v_min_u32_e32 v3, 1, v3
	v_or_b32_e32 v3, v4, v3
	v_cvt_f32_u32_e32 v3, v3
	v_sub_u32_e32 v4, 32, v5
	v_ldexp_f32 v7, v3, v4
	s_branch .LBB19_634
.LBB19_632:
	s_mov_b64 s[2:3], -1
                                        ; implicit-def: $vgpr7
.LBB19_633:
	s_mov_b64 s[8:9], 0
.LBB19_634:
	s_and_b64 vcc, exec, s[8:9]
	s_cbranch_vccz .LBB19_652
; %bb.635:
	s_cmp_lt_i32 s12, 27
	s_cbranch_scc1 .LBB19_638
; %bb.636:
	s_cmp_gt_i32 s12, 27
	s_cbranch_scc0 .LBB19_639
; %bb.637:
	global_load_dword v3, v[1:2], off
	s_mov_b64 s[0:1], 0
	s_waitcnt vmcnt(0)
	v_cvt_f32_u32_e32 v7, v3
	s_branch .LBB19_640
.LBB19_638:
	s_mov_b64 s[0:1], -1
                                        ; implicit-def: $vgpr7
	s_branch .LBB19_643
.LBB19_639:
	s_mov_b64 s[0:1], -1
                                        ; implicit-def: $vgpr7
.LBB19_640:
	s_andn2_b64 vcc, exec, s[0:1]
	s_cbranch_vccnz .LBB19_642
; %bb.641:
	global_load_ushort v3, v[1:2], off
	s_waitcnt vmcnt(0)
	v_cvt_f32_u32_e32 v7, v3
.LBB19_642:
	s_mov_b64 s[0:1], 0
.LBB19_643:
	s_andn2_b64 vcc, exec, s[0:1]
	s_cbranch_vccnz .LBB19_651
; %bb.644:
	global_load_ubyte v3, v[1:2], off
	s_movk_i32 s0, 0x7f
	s_waitcnt vmcnt(0)
	v_cmp_lt_i16_e32 vcc, s0, v3
	s_mov_b64 s[0:1], 0
	s_and_saveexec_b64 s[8:9], vcc
	s_xor_b64 s[8:9], exec, s[8:9]
	s_cbranch_execz .LBB19_665
; %bb.645:
	s_movk_i32 s0, 0x80
	v_cmp_eq_u16_e32 vcc, s0, v3
	s_mov_b64 s[0:1], -1
	s_and_saveexec_b64 s[10:11], vcc
; %bb.646:
	s_xor_b64 s[0:1], exec, -1
; %bb.647:
	s_or_b64 exec, exec, s[10:11]
	s_and_b64 s[0:1], s[0:1], exec
	s_or_saveexec_b64 s[8:9], s[8:9]
	v_mov_b32_e32 v7, 0x7f800001
	s_xor_b64 exec, exec, s[8:9]
	s_cbranch_execnz .LBB19_666
.LBB19_648:
	s_or_b64 exec, exec, s[8:9]
	s_and_saveexec_b64 s[8:9], s[0:1]
	s_cbranch_execz .LBB19_650
.LBB19_649:
	v_lshlrev_b32_e32 v4, 24, v3
	v_and_b32_e32 v3, 0xffff, v3
	v_and_b32_e32 v5, 7, v3
	v_ffbh_u32_e32 v7, v5
	v_min_u32_e32 v7, 32, v7
	v_subrev_u32_e32 v9, 28, v7
	v_bfe_u32 v6, v3, 3, 4
	v_lshlrev_b32_e32 v3, v9, v3
	v_sub_u32_e32 v7, 29, v7
	v_and_b32_e32 v3, 7, v3
	v_cmp_eq_u32_e32 vcc, 0, v6
	v_cndmask_b32_e32 v6, v6, v7, vcc
	v_cndmask_b32_e32 v3, v5, v3, vcc
	v_mov_b32_e32 v5, 0x3b800000
	v_lshlrev_b32_e32 v3, 20, v3
	v_and_b32_e32 v4, 0x80000000, v4
	v_lshl_add_u32 v5, v6, 23, v5
	v_or3_b32 v7, v4, v5, v3
.LBB19_650:
	s_or_b64 exec, exec, s[8:9]
.LBB19_651:
	s_mov_b64 s[0:1], -1
.LBB19_652:
	s_mov_b64 s[8:9], 0
.LBB19_653:
	s_and_b64 vcc, exec, s[8:9]
	s_cbranch_vccz .LBB19_688
; %bb.654:
	s_cmp_gt_i32 s12, 22
	s_cbranch_scc0 .LBB19_664
; %bb.655:
	s_cmp_lt_i32 s12, 24
	s_cbranch_scc1 .LBB19_667
; %bb.656:
	s_cmp_gt_i32 s12, 24
	s_cbranch_scc0 .LBB19_668
; %bb.657:
	global_load_ubyte v3, v[1:2], off
	s_movk_i32 s0, 0x7f
	s_waitcnt vmcnt(0)
	v_cmp_lt_i16_e32 vcc, s0, v3
	s_mov_b64 s[0:1], 0
	s_and_saveexec_b64 s[8:9], vcc
	s_xor_b64 s[8:9], exec, s[8:9]
	s_cbranch_execz .LBB19_680
; %bb.658:
	s_movk_i32 s0, 0x80
	v_cmp_eq_u16_e32 vcc, s0, v3
	s_mov_b64 s[0:1], -1
	s_and_saveexec_b64 s[10:11], vcc
; %bb.659:
	s_xor_b64 s[0:1], exec, -1
; %bb.660:
	s_or_b64 exec, exec, s[10:11]
	s_and_b64 s[0:1], s[0:1], exec
	s_or_saveexec_b64 s[8:9], s[8:9]
	v_mov_b32_e32 v7, 0x7f800001
	s_xor_b64 exec, exec, s[8:9]
	s_cbranch_execnz .LBB19_681
.LBB19_661:
	s_or_b64 exec, exec, s[8:9]
	s_and_saveexec_b64 s[8:9], s[0:1]
	s_cbranch_execz .LBB19_663
.LBB19_662:
	v_lshlrev_b32_e32 v4, 24, v3
	v_and_b32_e32 v3, 0xffff, v3
	v_and_b32_e32 v5, 3, v3
	v_ffbh_u32_e32 v7, v5
	v_min_u32_e32 v7, 32, v7
	v_subrev_u32_e32 v9, 29, v7
	v_bfe_u32 v6, v3, 2, 5
	v_lshlrev_b32_e32 v3, v9, v3
	v_sub_u32_e32 v7, 30, v7
	v_and_b32_e32 v3, 3, v3
	v_cmp_eq_u32_e32 vcc, 0, v6
	v_cndmask_b32_e32 v6, v6, v7, vcc
	v_cndmask_b32_e32 v3, v5, v3, vcc
	v_mov_b32_e32 v5, 0x37800000
	v_lshlrev_b32_e32 v3, 21, v3
	v_and_b32_e32 v4, 0x80000000, v4
	v_lshl_add_u32 v5, v6, 23, v5
	v_or3_b32 v7, v4, v5, v3
.LBB19_663:
	s_or_b64 exec, exec, s[8:9]
	s_mov_b64 s[0:1], 0
	s_branch .LBB19_669
.LBB19_664:
	s_mov_b64 s[8:9], -1
                                        ; implicit-def: $vgpr7
	s_branch .LBB19_675
.LBB19_665:
	s_or_saveexec_b64 s[8:9], s[8:9]
	v_mov_b32_e32 v7, 0x7f800001
	s_xor_b64 exec, exec, s[8:9]
	s_cbranch_execz .LBB19_648
.LBB19_666:
	v_cmp_ne_u16_e32 vcc, 0, v3
	s_andn2_b64 s[0:1], s[0:1], exec
	s_and_b64 s[10:11], vcc, exec
	v_mov_b32_e32 v7, 0
	s_or_b64 s[0:1], s[0:1], s[10:11]
	s_or_b64 exec, exec, s[8:9]
	s_and_saveexec_b64 s[8:9], s[0:1]
	s_cbranch_execnz .LBB19_649
	s_branch .LBB19_650
.LBB19_667:
	s_mov_b64 s[0:1], -1
                                        ; implicit-def: $vgpr7
	s_branch .LBB19_672
.LBB19_668:
	s_mov_b64 s[0:1], -1
                                        ; implicit-def: $vgpr7
.LBB19_669:
	s_and_b64 vcc, exec, s[0:1]
	s_cbranch_vccz .LBB19_671
; %bb.670:
	global_load_ubyte v3, v[1:2], off
	s_mov_b32 s0, 0x7f800000
	s_waitcnt vmcnt(0)
	v_lshlrev_b32_e32 v3, 24, v3
	v_and_b32_e32 v4, 0x7f000000, v3
	v_ffbh_u32_e32 v5, v4
	v_min_u32_e32 v5, 32, v5
	v_sub_u32_e64 v5, v5, 4 clamp
	v_lshlrev_b32_e32 v7, v5, v4
	v_lshlrev_b32_e32 v5, 23, v5
	v_lshrrev_b32_e32 v7, 4, v7
	v_add_u32_e32 v6, 0x1000000, v4
	v_sub_u32_e32 v5, v7, v5
	v_ashrrev_i32_e32 v6, 8, v6
	v_add_u32_e32 v5, 0x3c000000, v5
	v_and_or_b32 v5, v6, s0, v5
	v_cmp_ne_u32_e32 vcc, 0, v4
	v_cndmask_b32_e32 v4, 0, v5, vcc
	s_brev_b32 s0, 1
	v_and_or_b32 v7, v3, s0, v4
.LBB19_671:
	s_mov_b64 s[0:1], 0
.LBB19_672:
	s_andn2_b64 vcc, exec, s[0:1]
	s_cbranch_vccnz .LBB19_674
; %bb.673:
	global_load_ubyte v3, v[1:2], off
	s_movk_i32 s0, 0x7f00
	s_brev_b32 s1, 16
	s_waitcnt vmcnt(0)
	v_lshlrev_b16_e32 v4, 8, v3
	v_lshlrev_b32_e32 v3, 25, v3
	v_lshrrev_b32_e32 v5, 4, v3
	v_and_or_b32 v6, v4, s0, 0.5
	v_or_b32_e32 v5, 0x70000000, v5
	v_add_f32_e32 v6, -0.5, v6
	v_mul_f32_e32 v5, 0x7800000, v5
	v_cmp_gt_u32_e32 vcc, s1, v3
	v_bfe_i32 v4, v4, 0, 16
	v_cndmask_b32_e32 v3, v5, v6, vcc
	s_brev_b32 s0, 1
	v_and_or_b32 v7, v4, s0, v3
.LBB19_674:
	s_mov_b64 s[8:9], 0
	s_mov_b64 s[0:1], -1
.LBB19_675:
	s_andn2_b64 vcc, exec, s[8:9]
	s_cbranch_vccnz .LBB19_688
; %bb.676:
	s_cmp_gt_i32 s12, 14
	s_cbranch_scc0 .LBB19_679
; %bb.677:
	s_cmp_eq_u32 s12, 15
	s_cbranch_scc0 .LBB19_682
; %bb.678:
	global_load_ushort v3, v[1:2], off
	s_mov_b64 s[0:1], -1
	s_mov_b64 s[2:3], 0
	s_waitcnt vmcnt(0)
	v_lshlrev_b32_e32 v7, 16, v3
	s_branch .LBB19_683
.LBB19_679:
	s_mov_b64 s[8:9], -1
                                        ; implicit-def: $vgpr7
	s_branch .LBB19_684
.LBB19_680:
	s_or_saveexec_b64 s[8:9], s[8:9]
	v_mov_b32_e32 v7, 0x7f800001
	s_xor_b64 exec, exec, s[8:9]
	s_cbranch_execz .LBB19_661
.LBB19_681:
	v_cmp_ne_u16_e32 vcc, 0, v3
	s_andn2_b64 s[0:1], s[0:1], exec
	s_and_b64 s[10:11], vcc, exec
	v_mov_b32_e32 v7, 0
	s_or_b64 s[0:1], s[0:1], s[10:11]
	s_or_b64 exec, exec, s[8:9]
	s_and_saveexec_b64 s[8:9], s[0:1]
	s_cbranch_execnz .LBB19_662
	s_branch .LBB19_663
.LBB19_682:
	s_mov_b64 s[2:3], -1
                                        ; implicit-def: $vgpr7
.LBB19_683:
	s_mov_b64 s[8:9], 0
.LBB19_684:
	s_and_b64 vcc, exec, s[8:9]
	s_cbranch_vccz .LBB19_688
; %bb.685:
	s_cmp_eq_u32 s12, 11
	s_cbranch_scc0 .LBB19_687
; %bb.686:
	global_load_ubyte v3, v[1:2], off
	s_mov_b64 s[0:1], -1
	s_mov_b64 s[2:3], 0
	s_waitcnt vmcnt(0)
	v_cmp_ne_u16_e32 vcc, 0, v3
	v_cndmask_b32_e64 v7, 0, 1.0, vcc
	s_branch .LBB19_688
.LBB19_687:
	s_mov_b64 s[2:3], -1
                                        ; implicit-def: $vgpr7
.LBB19_688:
	s_mov_b64 s[8:9], 0
.LBB19_689:
	s_and_b64 vcc, exec, s[8:9]
	s_cbranch_vccz .LBB19_738
; %bb.690:
	s_cmp_lt_i32 s12, 5
	s_cbranch_scc1 .LBB19_695
; %bb.691:
	s_cmp_lt_i32 s12, 8
	s_cbranch_scc1 .LBB19_696
	;; [unrolled: 3-line block ×3, first 2 shown]
; %bb.693:
	s_cmp_gt_i32 s12, 9
	s_cbranch_scc0 .LBB19_698
; %bb.694:
	global_load_dwordx2 v[3:4], v[1:2], off
	s_mov_b64 s[0:1], 0
	s_waitcnt vmcnt(0)
	v_cvt_f32_f64_e32 v7, v[3:4]
	s_branch .LBB19_699
.LBB19_695:
	s_mov_b64 s[0:1], -1
                                        ; implicit-def: $vgpr7
	s_branch .LBB19_717
.LBB19_696:
	s_mov_b64 s[0:1], -1
                                        ; implicit-def: $vgpr7
	s_branch .LBB19_705
.LBB19_697:
	s_mov_b64 s[0:1], -1
                                        ; implicit-def: $vgpr7
	s_branch .LBB19_702
.LBB19_698:
	s_mov_b64 s[0:1], -1
                                        ; implicit-def: $vgpr7
.LBB19_699:
	s_andn2_b64 vcc, exec, s[0:1]
	s_cbranch_vccnz .LBB19_701
; %bb.700:
	global_load_dword v7, v[1:2], off
.LBB19_701:
	s_mov_b64 s[0:1], 0
.LBB19_702:
	s_andn2_b64 vcc, exec, s[0:1]
	s_cbranch_vccnz .LBB19_704
; %bb.703:
	global_load_dword v3, v[1:2], off
	s_waitcnt vmcnt(0)
	v_cvt_f32_f16_e32 v7, v3
.LBB19_704:
	s_mov_b64 s[0:1], 0
.LBB19_705:
	s_andn2_b64 vcc, exec, s[0:1]
	s_cbranch_vccnz .LBB19_716
; %bb.706:
	s_cmp_lt_i32 s12, 6
	s_cbranch_scc1 .LBB19_709
; %bb.707:
	s_cmp_gt_i32 s12, 6
	s_cbranch_scc0 .LBB19_710
; %bb.708:
	global_load_dwordx2 v[3:4], v[1:2], off
	s_mov_b64 s[0:1], 0
	s_waitcnt vmcnt(0)
	v_cvt_f32_f64_e32 v7, v[3:4]
	s_branch .LBB19_711
.LBB19_709:
	s_mov_b64 s[0:1], -1
                                        ; implicit-def: $vgpr7
	s_branch .LBB19_714
.LBB19_710:
	s_mov_b64 s[0:1], -1
                                        ; implicit-def: $vgpr7
.LBB19_711:
	s_andn2_b64 vcc, exec, s[0:1]
	s_cbranch_vccnz .LBB19_713
; %bb.712:
	global_load_dword v7, v[1:2], off
.LBB19_713:
	s_mov_b64 s[0:1], 0
.LBB19_714:
	s_andn2_b64 vcc, exec, s[0:1]
	s_cbranch_vccnz .LBB19_716
; %bb.715:
	global_load_ushort v3, v[1:2], off
	s_waitcnt vmcnt(0)
	v_cvt_f32_f16_e32 v7, v3
.LBB19_716:
	s_mov_b64 s[0:1], 0
.LBB19_717:
	s_andn2_b64 vcc, exec, s[0:1]
	s_cbranch_vccnz .LBB19_737
; %bb.718:
	s_cmp_lt_i32 s12, 2
	s_cbranch_scc1 .LBB19_722
; %bb.719:
	s_cmp_lt_i32 s12, 3
	s_cbranch_scc1 .LBB19_723
; %bb.720:
	s_cmp_gt_i32 s12, 3
	s_cbranch_scc0 .LBB19_724
; %bb.721:
	global_load_dwordx2 v[3:4], v[1:2], off
	s_mov_b64 s[0:1], 0
	s_waitcnt vmcnt(0)
	v_xor_b32_e32 v6, v3, v4
	v_ffbh_i32_e32 v5, v4
	v_ashrrev_i32_e32 v6, 31, v6
	v_add_u32_e32 v5, -1, v5
	v_add_u32_e32 v6, 32, v6
	v_min_u32_e32 v5, v5, v6
	v_lshlrev_b64 v[3:4], v5, v[3:4]
	v_min_u32_e32 v3, 1, v3
	v_or_b32_e32 v3, v4, v3
	v_cvt_f32_i32_e32 v3, v3
	v_sub_u32_e32 v4, 32, v5
	v_ldexp_f32 v7, v3, v4
	s_branch .LBB19_725
.LBB19_722:
	s_mov_b64 s[0:1], -1
                                        ; implicit-def: $vgpr7
	s_branch .LBB19_731
.LBB19_723:
	s_mov_b64 s[0:1], -1
                                        ; implicit-def: $vgpr7
	s_branch .LBB19_728
.LBB19_724:
	s_mov_b64 s[0:1], -1
                                        ; implicit-def: $vgpr7
.LBB19_725:
	s_andn2_b64 vcc, exec, s[0:1]
	s_cbranch_vccnz .LBB19_727
; %bb.726:
	global_load_dword v3, v[1:2], off
	s_waitcnt vmcnt(0)
	v_cvt_f32_i32_e32 v7, v3
.LBB19_727:
	s_mov_b64 s[0:1], 0
.LBB19_728:
	s_andn2_b64 vcc, exec, s[0:1]
	s_cbranch_vccnz .LBB19_730
; %bb.729:
	global_load_sshort v3, v[1:2], off
	s_waitcnt vmcnt(0)
	v_cvt_f32_i32_e32 v7, v3
.LBB19_730:
	s_mov_b64 s[0:1], 0
.LBB19_731:
	s_andn2_b64 vcc, exec, s[0:1]
	s_cbranch_vccnz .LBB19_737
; %bb.732:
	s_cmp_gt_i32 s12, 0
	s_cbranch_scc0 .LBB19_734
; %bb.733:
	global_load_sbyte v3, v[1:2], off
	s_mov_b64 s[0:1], 0
	s_waitcnt vmcnt(0)
	v_cvt_f32_i32_e32 v7, v3
	s_branch .LBB19_735
.LBB19_734:
	s_mov_b64 s[0:1], -1
                                        ; implicit-def: $vgpr7
.LBB19_735:
	s_andn2_b64 vcc, exec, s[0:1]
	s_cbranch_vccnz .LBB19_737
; %bb.736:
	global_load_ubyte v1, v[1:2], off
	s_waitcnt vmcnt(0)
	v_cvt_f32_ubyte0_e32 v7, v1
.LBB19_737:
	s_mov_b64 s[0:1], -1
.LBB19_738:
	s_andn2_b64 vcc, exec, s[0:1]
	s_cbranch_vccnz .LBB19_770
; %bb.739:
	s_waitcnt vmcnt(0)
	v_cmp_neq_f32_e32 vcc, 0, v7
                                        ; implicit-def: $vgpr1
	s_and_saveexec_b64 s[0:1], vcc
	s_xor_b64 s[8:9], exec, s[0:1]
	s_cbranch_execz .LBB19_761
; %bb.740:
	v_mov_b32_e32 v2, 0
	v_cmp_gt_f32_e32 vcc, 0, v7
	s_mov_b64 s[0:1], -1
	s_and_saveexec_b64 s[10:11], vcc
	s_cbranch_execz .LBB19_748
; %bb.741:
	v_trunc_f32_e32 v1, v7
	v_cmp_neq_f32_e32 vcc, v7, v1
	s_mov_b64 s[14:15], 0
	v_mov_b32_e32 v2, 0
	s_and_saveexec_b64 s[12:13], vcc
	s_cbranch_execz .LBB19_747
; %bb.742:
	v_cvt_f64_f32_e32 v[1:2], v7
	s_mov_b32 s0, 0
	s_mov_b32 s15, 0xc00921fb
	;; [unrolled: 1-line block ×3, first 2 shown]
	v_trunc_f64_e32 v[3:4], v[1:2]
	s_mov_b32 s1, 0x7ff00000
	v_cmp_neq_f64_e64 vcc, |v[1:2]|, s[0:1]
	v_bfrev_b32_e32 v5, 1
	s_mov_b32 s16, 0
	s_mov_b32 s17, 0x41d00000
                                        ; implicit-def: $vgpr9
	v_add_f64 v[3:4], v[1:2], -v[3:4]
	v_mul_f64 v[3:4], |v[3:4]|, s[14:15]
	v_cndmask_b32_e32 v2, v5, v4, vcc
	v_cndmask_b32_e32 v1, 0, v3, vcc
	v_cmp_nlt_f64_e64 s[16:17], |v[1:2]|, s[16:17]
                                        ; implicit-def: $vgpr3_vgpr4
                                        ; implicit-def: $vgpr5_vgpr6
	s_and_saveexec_b64 s[18:19], s[16:17]
	s_xor_b64 s[16:17], exec, s[18:19]
	s_cbranch_execz .LBB19_744
; %bb.743:
	v_trig_preop_f64 v[3:4], |v[1:2]|, 0
	s_mov_b32 s18, 0
	s_mov_b32 s19, 0x7b000000
	s_movk_i32 s15, 0xff80
	v_ldexp_f64 v[9:10], |v[1:2]|, s15
	v_cmp_ge_f64_e64 vcc, |v[1:2]|, s[18:19]
	v_trig_preop_f64 v[5:6], |v[1:2]|, 1
	v_and_b32_e32 v11, 0x7fffffff, v2
	v_trig_preop_f64 v[17:18], |v[1:2]|, 2
	v_mov_b32_e32 v28, 0x40100000
	v_mov_b32_e32 v27, 0
	s_mov_b32 s15, 0x3ff921fb
	v_cndmask_b32_e32 v10, v11, v10, vcc
	v_cndmask_b32_e32 v9, v1, v9, vcc
	v_mul_f64 v[11:12], v[3:4], v[9:10]
	v_mul_f64 v[13:14], v[5:6], v[9:10]
	;; [unrolled: 1-line block ×3, first 2 shown]
	v_fma_f64 v[3:4], v[3:4], v[9:10], -v[11:12]
	v_fma_f64 v[5:6], v[5:6], v[9:10], -v[13:14]
	;; [unrolled: 1-line block ×3, first 2 shown]
	v_add_f64 v[15:16], v[13:14], v[3:4]
	v_add_f64 v[19:20], v[15:16], -v[13:14]
	v_add_f64 v[25:26], v[11:12], v[15:16]
	v_add_f64 v[21:22], v[15:16], -v[19:20]
	v_add_f64 v[3:4], v[3:4], -v[19:20]
	v_add_f64 v[19:20], v[23:24], v[5:6]
	v_add_f64 v[11:12], v[25:26], -v[11:12]
	v_add_f64 v[13:14], v[13:14], -v[21:22]
	v_ldexp_f64 v[21:22], v[25:26], -2
	v_add_f64 v[29:30], v[19:20], -v[23:24]
	v_add_f64 v[11:12], v[15:16], -v[11:12]
	v_add_f64 v[3:4], v[3:4], v[13:14]
	v_fract_f64_e32 v[13:14], v[21:22]
	v_cmp_neq_f64_e64 vcc, |v[21:22]|, s[0:1]
	v_add_f64 v[5:6], v[5:6], -v[29:30]
	v_add_f64 v[15:16], v[19:20], v[3:4]
	v_ldexp_f64 v[13:14], v[13:14], 2
	v_add_f64 v[21:22], v[11:12], v[15:16]
	v_cndmask_b32_e32 v14, 0, v14, vcc
	v_cndmask_b32_e32 v13, 0, v13, vcc
	v_add_f64 v[31:32], v[15:16], -v[19:20]
	v_add_f64 v[25:26], v[21:22], v[13:14]
	v_add_f64 v[11:12], v[21:22], -v[11:12]
	v_add_f64 v[33:34], v[15:16], -v[31:32]
	;; [unrolled: 1-line block ×3, first 2 shown]
	v_cmp_gt_f64_e32 vcc, 0, v[25:26]
	v_add_f64 v[25:26], v[19:20], -v[29:30]
	v_add_f64 v[11:12], v[15:16], -v[11:12]
	;; [unrolled: 1-line block ×3, first 2 shown]
	v_cndmask_b32_e32 v28, 0, v28, vcc
	v_add_f64 v[13:14], v[13:14], v[27:28]
	v_add_f64 v[25:26], v[23:24], -v[25:26]
	v_add_f64 v[3:4], v[3:4], v[19:20]
	v_add_f64 v[35:36], v[21:22], v[13:14]
	;; [unrolled: 1-line block ×3, first 2 shown]
	v_cvt_i32_f64_e32 v30, v[35:36]
	v_add_f64 v[3:4], v[5:6], v[3:4]
	v_cvt_f64_i32_e32 v[28:29], v30
	v_add_f64 v[13:14], v[13:14], -v[28:29]
	v_add_f64 v[3:4], v[9:10], v[3:4]
	v_add_f64 v[5:6], v[21:22], v[13:14]
	;; [unrolled: 1-line block ×3, first 2 shown]
	v_mov_b32_e32 v12, 0x3ff00000
	v_add_f64 v[9:10], v[5:6], -v[13:14]
	v_cmp_le_f64_e32 vcc, 0.5, v[5:6]
	v_add_f64 v[10:11], v[21:22], -v[9:10]
	v_cndmask_b32_e32 v28, 0, v12, vcc
	v_add_f64 v[5:6], v[5:6], -v[27:28]
	v_addc_co_u32_e64 v9, s[0:1], 0, v30, vcc
	s_mov_b32 s0, 0x33145c07
	s_mov_b32 s1, 0x3c91a626
	v_add_f64 v[3:4], v[3:4], v[10:11]
	v_add_f64 v[10:11], v[5:6], v[3:4]
	v_mul_f64 v[12:13], v[10:11], s[14:15]
	v_add_f64 v[5:6], v[10:11], -v[5:6]
	v_fma_f64 v[14:15], v[10:11], s[14:15], -v[12:13]
	v_add_f64 v[3:4], v[3:4], -v[5:6]
	v_fma_f64 v[5:6], v[10:11], s[0:1], v[14:15]
	v_fma_f64 v[5:6], v[3:4], s[14:15], v[5:6]
	v_add_f64 v[3:4], v[12:13], v[5:6]
	v_add_f64 v[10:11], v[3:4], -v[12:13]
	v_add_f64 v[5:6], v[5:6], -v[10:11]
.LBB19_744:
	s_andn2_saveexec_b64 s[0:1], s[16:17]
	s_cbranch_execz .LBB19_746
; %bb.745:
	s_mov_b32 s14, 0x6dc9c883
	s_mov_b32 s15, 0x3fe45f30
	v_mul_f64 v[3:4], |v[1:2]|, s[14:15]
	s_mov_b32 s14, 0x54442d18
	s_mov_b32 s15, 0xbff921fb
	;; [unrolled: 1-line block ×4, first 2 shown]
	v_rndne_f64_e32 v[9:10], v[3:4]
	v_fma_f64 v[3:4], v[9:10], s[14:15], |v[1:2]|
	v_mul_f64 v[5:6], v[9:10], s[16:17]
	s_mov_b32 s14, 0x252049c0
	s_mov_b32 s15, 0xb97b839a
	v_fma_f64 v[15:16], v[9:10], s[16:17], v[3:4]
	v_add_f64 v[11:12], v[3:4], v[5:6]
	s_mov_b32 s17, 0x3c91a626
	v_add_f64 v[13:14], v[3:4], -v[11:12]
	v_add_f64 v[11:12], v[11:12], -v[15:16]
	v_add_f64 v[3:4], v[13:14], v[5:6]
	v_fma_f64 v[5:6], v[9:10], s[16:17], v[5:6]
	v_add_f64 v[3:4], v[11:12], v[3:4]
	v_add_f64 v[3:4], v[3:4], -v[5:6]
	v_fma_f64 v[5:6], v[9:10], s[14:15], v[3:4]
	v_cvt_i32_f64_e32 v9, v[9:10]
	v_add_f64 v[3:4], v[15:16], v[5:6]
	v_add_f64 v[11:12], v[3:4], -v[15:16]
	v_add_f64 v[5:6], v[5:6], -v[11:12]
.LBB19_746:
	s_or_b64 exec, exec, s[0:1]
	v_mul_f64 v[10:11], v[3:4], v[3:4]
	v_add_f64 v[12:13], v[5:6], v[5:6]
	s_mov_b32 s0, 0xc751c08c
	s_mov_b32 s1, 0x3ef5e089
	v_and_b32_e32 v9, 1, v9
	v_cmp_eq_u32_e32 vcc, 0, v9
	s_mov_b32 s16, 0x54442d18
	s_mov_b32 s17, 0xc00921fb
	v_fma_f64 v[14:15], v[3:4], v[3:4], -v[10:11]
	s_mov_b64 s[14:15], exec
	v_sub_f32_e32 v7, 1.0, v7
	v_fma_f64 v[12:13], v[3:4], v[12:13], v[14:15]
	v_add_f64 v[10:11], v[10:11], v[12:13]
	v_mov_b32_e32 v12, 0xa9a29f71
	v_mov_b32_e32 v13, 0xbf078809
	v_fma_f64 v[12:13], v[10:11], s[0:1], v[12:13]
	s_mov_b32 s0, 0x90a8aae0
	s_mov_b32 s1, 0x3f17746f
	v_fma_f64 v[12:13], v[10:11], v[12:13], s[0:1]
	s_mov_b32 s0, 0xa6fbf144
	s_mov_b32 s1, 0xbefbb44d
	;; [unrolled: 3-line block ×12, first 2 shown]
	v_fma_f64 v[12:13], v[10:11], v[12:13], s[0:1]
	s_movk_i32 s0, 0x1f8
	v_cmp_class_f64_e64 s[0:1], v[1:2], s0
	v_mul_f64 v[10:11], v[10:11], v[12:13]
	v_mul_f64 v[12:13], v[3:4], v[10:11]
	v_add_f64 v[14:15], v[3:4], v[12:13]
	v_fma_f64 v[10:11], v[3:4], v[10:11], -v[12:13]
	v_add_f64 v[3:4], v[14:15], -v[3:4]
	v_add_f64 v[5:6], v[5:6], v[10:11]
	v_add_f64 v[3:4], v[12:13], -v[3:4]
	v_add_f64 v[3:4], v[5:6], v[3:4]
	v_add_f64 v[5:6], v[14:15], v[3:4]
	v_rcp_f64_e32 v[10:11], v[5:6]
	v_fma_f64 v[12:13], -v[5:6], v[10:11], 1.0
	v_fma_f64 v[10:11], v[12:13], v[10:11], v[10:11]
	v_fma_f64 v[12:13], -v[5:6], v[10:11], 1.0
	v_fma_f64 v[10:11], v[12:13], v[10:11], v[10:11]
	v_add_f64 v[12:13], v[5:6], -v[14:15]
	v_mul_f64 v[14:15], v[5:6], v[10:11]
	v_add_f64 v[3:4], v[3:4], -v[12:13]
	v_fma_f64 v[12:13], v[10:11], v[5:6], -v[14:15]
	v_fma_f64 v[3:4], v[10:11], v[3:4], v[12:13]
	v_add_f64 v[12:13], v[14:15], v[3:4]
	v_add_f64 v[16:17], -v[12:13], 1.0
	v_add_f64 v[14:15], v[12:13], -v[14:15]
	v_add_f64 v[18:19], -v[16:17], 1.0
	v_add_f64 v[3:4], v[14:15], -v[3:4]
	v_add_f64 v[12:13], v[18:19], -v[12:13]
	v_add_f64 v[3:4], v[3:4], v[12:13]
	v_add_f64 v[3:4], v[16:17], v[3:4]
	v_mul_f64 v[3:4], v[10:11], v[3:4]
	v_add_f64 v[3:4], v[10:11], v[3:4]
	v_and_b32_e32 v10, 0x80000000, v2
	v_mov_b32_e32 v2, 0x7ff80000
	v_xor_b32_e32 v1, 0x80000000, v4
	v_cndmask_b32_e32 v3, v3, v5, vcc
	v_cndmask_b32_e32 v4, v1, v6, vcc
	v_cndmask_b32_e64 v1, 0, v3, s[0:1]
	v_xor_b32_e32 v3, v4, v10
	v_cndmask_b32_e64 v2, v2, v3, s[0:1]
	v_div_scale_f64 v[3:4], s[0:1], v[1:2], v[1:2], s[16:17]
	v_div_scale_f64 v[11:12], vcc, s[16:17], v[1:2], s[16:17]
	v_rcp_f64_e32 v[5:6], v[3:4]
	v_fma_f64 v[9:10], -v[3:4], v[5:6], 1.0
	v_fma_f64 v[5:6], v[5:6], v[9:10], v[5:6]
	v_fma_f64 v[9:10], -v[3:4], v[5:6], 1.0
	v_fma_f64 v[5:6], v[5:6], v[9:10], v[5:6]
	v_mul_f64 v[9:10], v[11:12], v[5:6]
	v_fma_f64 v[3:4], -v[3:4], v[9:10], v[11:12]
	v_div_fmas_f64 v[3:4], v[3:4], v[5:6], v[9:10]
	v_div_fixup_f64 v[1:2], v[3:4], v[1:2], s[16:17]
	v_cvt_f32_f64_e32 v2, v[1:2]
.LBB19_747:
	s_or_b64 exec, exec, s[12:13]
	s_orn2_b64 s[0:1], s[14:15], exec
.LBB19_748:
	s_or_b64 exec, exec, s[10:11]
	v_mov_b32_e32 v1, 0x7fc00000
	s_and_saveexec_b64 s[10:11], s[0:1]
	s_cbranch_execz .LBB19_760
; %bb.749:
	s_mov_b32 s14, 0x41200000
	v_cmp_gt_f32_e32 vcc, s14, v7
	s_and_saveexec_b64 s[0:1], vcc
	s_cbranch_execz .LBB19_753
; %bb.750:
	s_mov_b64 s[12:13], 0
.LBB19_751:                             ; =>This Inner Loop Header: Depth=1
	v_div_scale_f32 v1, s[16:17], v7, v7, 1.0
	v_div_scale_f32 v3, vcc, 1.0, v7, 1.0
	v_rcp_f32_e32 v4, v1
	v_fma_f32 v5, -v1, v4, 1.0
	v_fmac_f32_e32 v4, v5, v4
	v_mul_f32_e32 v5, v3, v4
	v_fma_f32 v6, -v1, v5, v3
	v_fmac_f32_e32 v5, v6, v4
	v_fma_f32 v1, -v1, v5, v3
	v_div_fmas_f32 v1, v1, v4, v5
	v_div_fixup_f32 v1, v1, v7, 1.0
	v_add_f32_e32 v7, 1.0, v7
	v_cmp_ngt_f32_e32 vcc, s14, v7
	s_or_b64 s[12:13], vcc, s[12:13]
	v_sub_f32_e32 v2, v2, v1
	s_andn2_b64 exec, exec, s[12:13]
	s_cbranch_execnz .LBB19_751
; %bb.752:
	s_or_b64 exec, exec, s[12:13]
.LBB19_753:
	s_or_b64 exec, exec, s[0:1]
	s_mov_b32 s0, 0x41200000
	v_cmp_neq_f32_e32 vcc, s0, v7
                                        ; implicit-def: $vgpr1
	s_and_saveexec_b64 s[0:1], vcc
	s_xor_b64 s[12:13], exec, s[0:1]
	s_cbranch_execz .LBB19_757
; %bb.754:
	v_cvt_f64_f32_e32 v[3:4], v7
	s_mov_b32 s0, 0x85d8a000
	s_mov_b32 s1, 0x43763457
	v_mov_b32_e32 v1, 0
	v_cmp_gt_f64_e32 vcc, s[0:1], v[3:4]
	s_and_saveexec_b64 s[0:1], vcc
	s_cbranch_execz .LBB19_756
; %bb.755:
	v_mul_f32_e32 v1, v7, v7
	v_div_scale_f32 v3, s[14:15], v1, v1, 1.0
	v_div_scale_f32 v4, vcc, 1.0, v1, 1.0
	v_mov_b32_e32 v10, 0x3b820821
	v_rcp_f32_e32 v5, v3
	v_fma_f32 v6, -v3, v5, 1.0
	v_fmac_f32_e32 v5, v6, v5
	v_mul_f32_e32 v6, v4, v5
	v_fma_f32 v9, -v3, v6, v4
	v_fmac_f32_e32 v6, v9, v5
	v_fma_f32 v3, -v3, v6, v4
	v_div_fmas_f32 v3, v3, v5, v6
	v_mov_b32_e32 v4, 0x3daaaaab
	v_mov_b32_e32 v5, 0xbcaccacd
	;; [unrolled: 1-line block ×4, first 2 shown]
	v_div_fixup_f32 v1, v3, v1, 1.0
	v_fma_f32 v3, 0, v1, v4
	v_fmac_f32_e32 v5, v1, v3
	v_fmac_f32_e32 v6, v1, v5
	;; [unrolled: 1-line block ×4, first 2 shown]
	v_mov_b32_e32 v3, 0xbc088889
	v_fmac_f32_e32 v3, v1, v10
	v_fmac_f32_e32 v4, v1, v3
	v_mul_f32_e32 v1, v1, v4
.LBB19_756:
	s_or_b64 exec, exec, s[0:1]
	v_div_scale_f32 v3, s[0:1], v7, v7, -0.5
	v_div_scale_f32 v4, vcc, -0.5, v7, -0.5
	s_mov_b32 s0, 0x800000
	v_cmp_gt_f32_e64 s[0:1], s0, v7
	v_cndmask_b32_e64 v6, 0, 32, s[0:1]
	s_mov_b32 s14, 0x3f317217
	v_rcp_f32_e32 v5, v3
	v_fma_f32 v9, -v3, v5, 1.0
	v_fmac_f32_e32 v5, v9, v5
	v_mul_f32_e32 v9, v4, v5
	v_fma_f32 v10, -v3, v9, v4
	v_fmac_f32_e32 v9, v10, v5
	v_fma_f32 v3, -v3, v9, v4
	v_div_fmas_f32 v3, v3, v5, v9
	v_ldexp_f32 v4, v7, v6
	v_log_f32_e32 v4, v4
	v_mul_f32_e32 v5, 0x3f317217, v4
	v_fma_f32 v5, v4, s14, -v5
	v_fmac_f32_e32 v5, 0x3377d1cf, v4
	s_mov_b32 s14, 0x7f800000
	v_fmac_f32_e32 v5, 0x3f317217, v4
	v_cmp_lt_f32_e64 vcc, |v4|, s14
	v_cndmask_b32_e32 v4, v4, v5, vcc
	v_mov_b32_e32 v5, 0x41b17218
	v_cndmask_b32_e64 v5, 0, v5, s[0:1]
	v_sub_f32_e32 v4, v4, v5
	v_div_fixup_f32 v3, v3, v7, -0.5
	v_add_f32_e32 v3, v4, v3
	v_sub_f32_e32 v1, v3, v1
	v_add_f32_e32 v1, v2, v1
                                        ; implicit-def: $vgpr2
.LBB19_757:
	s_andn2_saveexec_b64 s[0:1], s[12:13]
; %bb.758:
	v_add_f32_e32 v1, 0x40101cb7, v2
; %bb.759:
	s_or_b64 exec, exec, s[0:1]
.LBB19_760:
	s_or_b64 exec, exec, s[10:11]
                                        ; implicit-def: $vgpr7
.LBB19_761:
	s_andn2_saveexec_b64 s[0:1], s[8:9]
; %bb.762:
	v_xor_b32_e32 v1, 0x80000000, v7
	s_brev_b32 s8, -2
	v_mov_b32_e32 v2, 0x7f800000
	v_bfi_b32 v1, s8, v2, v1
; %bb.763:
	s_or_b64 exec, exec, s[0:1]
	v_mov_b32_e32 v2, s25
	s_and_b32 s14, s73, 0xff
	v_add_co_u32_e32 v3, vcc, s24, v0
	s_cmp_lt_i32 s14, 11
	v_addc_co_u32_e32 v4, vcc, 0, v2, vcc
	s_cbranch_scc1 .LBB19_771
; %bb.764:
	s_and_b32 s15, 0xffff, s14
	s_cmp_gt_i32 s15, 25
	s_cbranch_scc0 .LBB19_772
; %bb.765:
	s_cmp_gt_i32 s15, 28
	s_cbranch_scc0 .LBB19_773
; %bb.766:
	;; [unrolled: 3-line block ×4, first 2 shown]
	s_mov_b64 s[10:11], 0
	s_mov_b64 s[0:1], -1
	s_cmp_eq_u32 s15, 46
	s_mov_b64 s[8:9], 0
	s_cbranch_scc0 .LBB19_776
; %bb.769:
	v_bfe_u32 v0, v1, 16, 1
	s_movk_i32 s0, 0x7fff
	v_add3_u32 v0, v1, v0, s0
	v_cmp_o_f32_e32 vcc, v1, v1
	v_mov_b32_e32 v2, 0x7fc0
	v_cndmask_b32_sdwa v0, v2, v0, vcc dst_sel:DWORD dst_unused:UNUSED_PAD src0_sel:DWORD src1_sel:WORD_1
	global_store_dword v[3:4], v0, off
	s_mov_b64 s[8:9], -1
	s_mov_b64 s[0:1], 0
	s_branch .LBB19_776
.LBB19_770:
	s_mov_b64 s[8:9], 0
	s_mov_b64 s[0:1], s[60:61]
	s_branch .LBB19_887
.LBB19_771:
	s_mov_b64 s[10:11], -1
	s_mov_b64 s[8:9], 0
	s_mov_b64 s[0:1], s[60:61]
	s_branch .LBB19_845
.LBB19_772:
	s_mov_b64 s[10:11], -1
	s_mov_b64 s[8:9], 0
	s_mov_b64 s[0:1], s[60:61]
	s_branch .LBB19_803
.LBB19_773:
	s_mov_b64 s[10:11], -1
	s_mov_b64 s[8:9], 0
	s_mov_b64 s[0:1], s[60:61]
	s_branch .LBB19_786
.LBB19_774:
	s_mov_b64 s[10:11], -1
	s_mov_b64 s[8:9], 0
	s_mov_b64 s[0:1], s[60:61]
	s_branch .LBB19_782
.LBB19_775:
	s_mov_b64 s[10:11], -1
	s_mov_b64 s[8:9], 0
	s_mov_b64 s[0:1], s[60:61]
.LBB19_776:
	s_and_b64 vcc, exec, s[10:11]
	s_cbranch_vccz .LBB19_781
; %bb.777:
	s_cmp_eq_u32 s15, 44
	s_mov_b64 s[0:1], -1
	s_cbranch_scc0 .LBB19_781
; %bb.778:
	v_bfe_u32 v0, v1, 23, 8
	s_movk_i32 s0, 0xff
	v_cmp_ne_u32_e32 vcc, s0, v0
	v_mov_b32_e32 v2, 0xff
	s_and_saveexec_b64 s[8:9], vcc
; %bb.779:
	s_mov_b32 s0, 0x3fffff
	v_and_b32_e32 v5, 0x400000, v1
	v_and_or_b32 v0, v1, s0, v0
	v_cmp_ne_u32_e32 vcc, 0, v5
	v_cmp_ne_u32_e64 s[0:1], 0, v0
	s_and_b64 s[0:1], vcc, s[0:1]
	v_lshrrev_b32_e32 v2, 23, v1
	v_cndmask_b32_e64 v0, 0, 1, s[0:1]
	v_add_u32_e32 v2, v2, v0
; %bb.780:
	s_or_b64 exec, exec, s[8:9]
	s_mov_b64 s[8:9], -1
	s_mov_b64 s[0:1], 0
	global_store_byte v[3:4], v2, off
.LBB19_781:
	s_mov_b64 s[10:11], 0
.LBB19_782:
	s_and_b64 vcc, exec, s[10:11]
	s_cbranch_vccz .LBB19_785
; %bb.783:
	s_cmp_eq_u32 s15, 29
	s_mov_b64 s[0:1], -1
	s_cbranch_scc0 .LBB19_785
; %bb.784:
	v_trunc_f32_e32 v0, v1
	v_mul_f32_e32 v2, 0x2f800000, v0
	v_floor_f32_e32 v2, v2
	v_fmac_f32_e32 v0, 0xcf800000, v2
	v_cvt_u32_f32_e32 v6, v2
	v_cvt_u32_f32_e32 v5, v0
	s_mov_b64 s[8:9], -1
	s_mov_b64 s[0:1], 0
	s_mov_b64 s[10:11], 0
	global_store_dwordx2 v[3:4], v[5:6], off
	s_branch .LBB19_786
.LBB19_785:
	s_mov_b64 s[10:11], 0
.LBB19_786:
	s_and_b64 vcc, exec, s[10:11]
	s_cbranch_vccz .LBB19_802
; %bb.787:
	s_cmp_lt_i32 s15, 27
	s_mov_b64 s[8:9], -1
	s_cbranch_scc1 .LBB19_793
; %bb.788:
	v_cvt_u32_f32_e32 v0, v1
	s_cmp_gt_i32 s15, 27
	s_cbranch_scc0 .LBB19_790
; %bb.789:
	s_mov_b64 s[8:9], 0
	global_store_dword v[3:4], v0, off
.LBB19_790:
	s_andn2_b64 vcc, exec, s[8:9]
	s_cbranch_vccnz .LBB19_792
; %bb.791:
	global_store_short v[3:4], v0, off
.LBB19_792:
	s_mov_b64 s[8:9], 0
.LBB19_793:
	s_andn2_b64 vcc, exec, s[8:9]
	s_cbranch_vccnz .LBB19_801
; %bb.794:
	v_and_b32_e32 v0, 0x7fffffff, v1
	s_mov_b32 s8, 0x43800000
	v_cmp_gt_u32_e32 vcc, s8, v0
	v_mov_b32_e32 v2, 0x80
	s_and_saveexec_b64 s[8:9], vcc
	s_cbranch_execz .LBB19_800
; %bb.795:
	s_mov_b32 s10, 0x3bffffff
	v_cmp_lt_u32_e32 vcc, s10, v0
	s_mov_b64 s[10:11], 0
                                        ; implicit-def: $vgpr0
	s_and_saveexec_b64 s[12:13], vcc
	s_xor_b64 s[12:13], exec, s[12:13]
	s_cbranch_execz .LBB19_917
; %bb.796:
	v_bfe_u32 v0, v1, 20, 1
	s_mov_b32 s16, 0x487ffff
	v_add3_u32 v0, v1, v0, s16
	s_mov_b64 s[10:11], exec
	v_lshrrev_b32_e32 v0, 20, v0
	s_andn2_saveexec_b64 s[12:13], s[12:13]
	s_cbranch_execnz .LBB19_918
.LBB19_797:
	s_or_b64 exec, exec, s[12:13]
	v_mov_b32_e32 v2, 0
	s_and_saveexec_b64 s[12:13], s[10:11]
.LBB19_798:
	v_lshrrev_b32_e32 v2, 24, v1
	s_movk_i32 s10, 0x80
	v_and_or_b32 v2, v2, s10, v0
.LBB19_799:
	s_or_b64 exec, exec, s[12:13]
.LBB19_800:
	s_or_b64 exec, exec, s[8:9]
	global_store_byte v[3:4], v2, off
.LBB19_801:
	s_mov_b64 s[8:9], -1
.LBB19_802:
	s_mov_b64 s[10:11], 0
.LBB19_803:
	s_and_b64 vcc, exec, s[10:11]
	s_cbranch_vccz .LBB19_844
; %bb.804:
	s_cmp_gt_i32 s15, 22
	s_mov_b64 s[10:11], -1
	s_cbranch_scc0 .LBB19_836
; %bb.805:
	s_cmp_lt_i32 s15, 24
	s_mov_b64 s[8:9], -1
	s_cbranch_scc1 .LBB19_825
; %bb.806:
	s_cmp_gt_i32 s15, 24
	s_cbranch_scc0 .LBB19_814
; %bb.807:
	v_and_b32_e32 v0, 0x7fffffff, v1
	s_mov_b32 s8, 0x47800000
	v_cmp_gt_u32_e32 vcc, s8, v0
	v_mov_b32_e32 v2, 0x80
	s_and_saveexec_b64 s[8:9], vcc
	s_cbranch_execz .LBB19_813
; %bb.808:
	s_mov_b32 s10, 0x37ffffff
	v_cmp_lt_u32_e32 vcc, s10, v0
	s_mov_b64 s[10:11], 0
                                        ; implicit-def: $vgpr0
	s_and_saveexec_b64 s[12:13], vcc
	s_xor_b64 s[12:13], exec, s[12:13]
	s_cbranch_execz .LBB19_920
; %bb.809:
	v_bfe_u32 v0, v1, 21, 1
	s_mov_b32 s16, 0x88fffff
	v_add3_u32 v0, v1, v0, s16
	s_mov_b64 s[10:11], exec
	v_lshrrev_b32_e32 v0, 21, v0
	s_andn2_saveexec_b64 s[12:13], s[12:13]
	s_cbranch_execnz .LBB19_921
.LBB19_810:
	s_or_b64 exec, exec, s[12:13]
	v_mov_b32_e32 v2, 0
	s_and_saveexec_b64 s[12:13], s[10:11]
.LBB19_811:
	v_lshrrev_b32_e32 v2, 24, v1
	s_movk_i32 s10, 0x80
	v_and_or_b32 v2, v2, s10, v0
.LBB19_812:
	s_or_b64 exec, exec, s[12:13]
.LBB19_813:
	s_or_b64 exec, exec, s[8:9]
	s_mov_b64 s[8:9], 0
	global_store_byte v[3:4], v2, off
.LBB19_814:
	s_and_b64 vcc, exec, s[8:9]
	s_cbranch_vccz .LBB19_824
; %bb.815:
	v_and_b32_e32 v2, 0x7fffffff, v1
	s_mov_b32 s8, 0x43f00000
	v_cmp_gt_u32_e32 vcc, s8, v2
                                        ; implicit-def: $vgpr0
	s_and_saveexec_b64 s[8:9], vcc
	s_xor_b64 s[8:9], exec, s[8:9]
	s_cbranch_execz .LBB19_821
; %bb.816:
	s_mov_b32 s10, 0x3c7fffff
	v_cmp_lt_u32_e32 vcc, s10, v2
                                        ; implicit-def: $vgpr0
	s_and_saveexec_b64 s[10:11], vcc
	s_xor_b64 s[10:11], exec, s[10:11]
; %bb.817:
	v_bfe_u32 v0, v1, 20, 1
	s_mov_b32 s12, 0x407ffff
	v_add3_u32 v0, v1, v0, s12
	v_lshrrev_b32_e32 v2, 20, v0
	v_and_b32_e32 v0, 0xff00000, v0
	s_mov_b32 s12, 0x7f00000
	v_mov_b32_e32 v5, 0x7e
	v_cmp_ne_u32_e32 vcc, s12, v0
	v_cndmask_b32_e32 v0, v5, v2, vcc
; %bb.818:
	s_andn2_saveexec_b64 s[10:11], s[10:11]
; %bb.819:
	s_mov_b32 s12, 0x46800000
	v_add_f32_e64 v0, |v1|, s12
; %bb.820:
	s_or_b64 exec, exec, s[10:11]
                                        ; implicit-def: $vgpr2
.LBB19_821:
	s_andn2_saveexec_b64 s[8:9], s[8:9]
; %bb.822:
	s_mov_b32 s10, 0x7f800000
	v_mov_b32_e32 v0, 0x7e
	v_mov_b32_e32 v5, 0x7f
	v_cmp_lt_u32_e32 vcc, s10, v2
	v_cndmask_b32_e32 v0, v0, v5, vcc
; %bb.823:
	s_or_b64 exec, exec, s[8:9]
	v_lshrrev_b32_e32 v2, 24, v1
	s_movk_i32 s8, 0x80
	v_and_or_b32 v0, v2, s8, v0
	global_store_byte v[3:4], v0, off
.LBB19_824:
	s_mov_b64 s[8:9], 0
.LBB19_825:
	s_andn2_b64 vcc, exec, s[8:9]
	s_cbranch_vccnz .LBB19_835
; %bb.826:
	v_and_b32_e32 v2, 0x7fffffff, v1
	s_mov_b32 s8, 0x47800000
	v_cmp_gt_u32_e32 vcc, s8, v2
                                        ; implicit-def: $vgpr0
	s_and_saveexec_b64 s[8:9], vcc
	s_xor_b64 s[8:9], exec, s[8:9]
	s_cbranch_execz .LBB19_832
; %bb.827:
	s_mov_b32 s10, 0x387fffff
	v_cmp_lt_u32_e32 vcc, s10, v2
                                        ; implicit-def: $vgpr0
	s_and_saveexec_b64 s[10:11], vcc
	s_xor_b64 s[10:11], exec, s[10:11]
; %bb.828:
	v_bfe_u32 v0, v1, 21, 1
	s_mov_b32 s12, 0x80fffff
	v_add3_u32 v0, v1, v0, s12
	v_lshrrev_b32_e32 v0, 21, v0
; %bb.829:
	s_andn2_saveexec_b64 s[10:11], s[10:11]
; %bb.830:
	s_mov_b32 s12, 0x43000000
	v_add_f32_e64 v0, |v1|, s12
; %bb.831:
	s_or_b64 exec, exec, s[10:11]
                                        ; implicit-def: $vgpr2
.LBB19_832:
	s_andn2_saveexec_b64 s[8:9], s[8:9]
; %bb.833:
	s_mov_b32 s10, 0x7f800000
	v_mov_b32_e32 v0, 0x7c
	v_mov_b32_e32 v5, 0x7f
	v_cmp_lt_u32_e32 vcc, s10, v2
	v_cndmask_b32_e32 v0, v0, v5, vcc
; %bb.834:
	s_or_b64 exec, exec, s[8:9]
	v_lshrrev_b32_e32 v2, 24, v1
	s_movk_i32 s8, 0x80
	v_and_or_b32 v0, v2, s8, v0
	global_store_byte v[3:4], v0, off
.LBB19_835:
	s_mov_b64 s[10:11], 0
	s_mov_b64 s[8:9], -1
.LBB19_836:
	s_andn2_b64 vcc, exec, s[10:11]
	s_cbranch_vccnz .LBB19_844
; %bb.837:
	s_cmp_gt_i32 s15, 14
	s_mov_b64 s[10:11], -1
	s_cbranch_scc0 .LBB19_841
; %bb.838:
	s_cmp_eq_u32 s15, 15
	s_mov_b64 s[0:1], -1
	s_cbranch_scc0 .LBB19_840
; %bb.839:
	v_bfe_u32 v0, v1, 16, 1
	s_movk_i32 s0, 0x7fff
	v_add3_u32 v0, v1, v0, s0
	v_cmp_o_f32_e32 vcc, v1, v1
	v_mov_b32_e32 v2, 0x7fc0
	v_cndmask_b32_sdwa v0, v2, v0, vcc dst_sel:DWORD dst_unused:UNUSED_PAD src0_sel:DWORD src1_sel:WORD_1
	global_store_short v[3:4], v0, off
	s_mov_b64 s[8:9], -1
	s_mov_b64 s[0:1], 0
.LBB19_840:
	s_mov_b64 s[10:11], 0
.LBB19_841:
	s_and_b64 vcc, exec, s[10:11]
	s_cbranch_vccz .LBB19_844
; %bb.842:
	s_cmp_eq_u32 s15, 11
	s_mov_b64 s[0:1], -1
	s_cbranch_scc0 .LBB19_844
; %bb.843:
	v_cmp_neq_f32_e32 vcc, 0, v1
	v_cndmask_b32_e64 v0, 0, 1, vcc
	s_mov_b64 s[8:9], -1
	s_mov_b64 s[0:1], 0
	global_store_byte v[3:4], v0, off
.LBB19_844:
	s_mov_b64 s[10:11], 0
.LBB19_845:
	s_and_b64 vcc, exec, s[10:11]
	s_cbranch_vccz .LBB19_884
; %bb.846:
	s_and_b32 s10, 0xffff, s14
	s_cmp_lt_i32 s10, 5
	s_mov_b64 s[8:9], -1
	s_cbranch_scc1 .LBB19_867
; %bb.847:
	s_cmp_lt_i32 s10, 8
	s_cbranch_scc1 .LBB19_857
; %bb.848:
	s_cmp_lt_i32 s10, 9
	s_cbranch_scc1 .LBB19_854
; %bb.849:
	s_cmp_gt_i32 s10, 9
	s_cbranch_scc0 .LBB19_851
; %bb.850:
	v_cvt_f64_f32_e32 v[9:10], v1
	v_mov_b32_e32 v11, 0
	v_mov_b32_e32 v12, v11
	s_mov_b64 s[8:9], 0
	global_store_dwordx4 v[3:4], v[9:12], off
.LBB19_851:
	s_andn2_b64 vcc, exec, s[8:9]
	s_cbranch_vccnz .LBB19_853
; %bb.852:
	v_mov_b32_e32 v2, 0
	global_store_dwordx2 v[3:4], v[1:2], off
.LBB19_853:
	s_mov_b64 s[8:9], 0
.LBB19_854:
	s_andn2_b64 vcc, exec, s[8:9]
	s_cbranch_vccnz .LBB19_856
; %bb.855:
	v_cvt_f16_f32_e32 v0, v1
	global_store_dword v[3:4], v0, off
.LBB19_856:
	s_mov_b64 s[8:9], 0
.LBB19_857:
	s_andn2_b64 vcc, exec, s[8:9]
	s_cbranch_vccnz .LBB19_866
; %bb.858:
	s_cmp_lt_i32 s10, 6
	s_mov_b64 s[8:9], -1
	s_cbranch_scc1 .LBB19_864
; %bb.859:
	s_cmp_gt_i32 s10, 6
	s_cbranch_scc0 .LBB19_861
; %bb.860:
	v_cvt_f64_f32_e32 v[5:6], v1
	s_mov_b64 s[8:9], 0
	global_store_dwordx2 v[3:4], v[5:6], off
.LBB19_861:
	s_andn2_b64 vcc, exec, s[8:9]
	s_cbranch_vccnz .LBB19_863
; %bb.862:
	global_store_dword v[3:4], v1, off
.LBB19_863:
	s_mov_b64 s[8:9], 0
.LBB19_864:
	s_andn2_b64 vcc, exec, s[8:9]
	s_cbranch_vccnz .LBB19_866
; %bb.865:
	v_cvt_f16_f32_e32 v0, v1
	global_store_short v[3:4], v0, off
.LBB19_866:
	s_mov_b64 s[8:9], 0
.LBB19_867:
	s_andn2_b64 vcc, exec, s[8:9]
	s_cbranch_vccnz .LBB19_883
; %bb.868:
	s_cmp_lt_i32 s10, 2
	s_mov_b64 s[8:9], -1
	s_cbranch_scc1 .LBB19_878
; %bb.869:
	s_cmp_lt_i32 s10, 3
	s_cbranch_scc1 .LBB19_875
; %bb.870:
	s_cmp_gt_i32 s10, 3
	s_cbranch_scc0 .LBB19_872
; %bb.871:
	v_trunc_f32_e32 v0, v1
	s_mov_b32 s8, 0x2f800000
	v_mul_f32_e64 v2, |v0|, s8
	v_floor_f32_e32 v2, v2
	s_mov_b32 s8, 0xcf800000
	v_cvt_u32_f32_e32 v5, v2
	v_fma_f32 v2, v2, s8, |v0|
	v_cvt_u32_f32_e32 v2, v2
	v_ashrrev_i32_e32 v0, 31, v0
	v_xor_b32_e32 v6, v5, v0
	s_mov_b64 s[8:9], 0
	v_xor_b32_e32 v2, v2, v0
	v_sub_co_u32_e32 v5, vcc, v2, v0
	v_subb_co_u32_e32 v6, vcc, v6, v0, vcc
	global_store_dwordx2 v[3:4], v[5:6], off
.LBB19_872:
	s_andn2_b64 vcc, exec, s[8:9]
	s_cbranch_vccnz .LBB19_874
; %bb.873:
	v_cvt_i32_f32_e32 v0, v1
	global_store_dword v[3:4], v0, off
.LBB19_874:
	s_mov_b64 s[8:9], 0
.LBB19_875:
	s_andn2_b64 vcc, exec, s[8:9]
	s_cbranch_vccnz .LBB19_877
; %bb.876:
	v_cvt_i32_f32_e32 v0, v1
	global_store_short v[3:4], v0, off
.LBB19_877:
	s_mov_b64 s[8:9], 0
.LBB19_878:
	s_andn2_b64 vcc, exec, s[8:9]
	s_cbranch_vccnz .LBB19_883
; %bb.879:
	s_cmp_gt_i32 s10, 0
	s_mov_b64 s[8:9], -1
	s_cbranch_scc0 .LBB19_881
; %bb.880:
	v_cvt_i32_f32_e32 v0, v1
	s_mov_b64 s[8:9], 0
	global_store_byte v[3:4], v0, off
.LBB19_881:
	s_andn2_b64 vcc, exec, s[8:9]
	s_cbranch_vccnz .LBB19_883
; %bb.882:
	v_trunc_f32_e32 v0, v1
	s_mov_b32 s8, 0x2f800000
	v_mul_f32_e64 v1, |v0|, s8
	v_floor_f32_e32 v1, v1
	s_mov_b32 s8, 0xcf800000
	v_fma_f32 v1, v1, s8, |v0|
	v_cvt_u32_f32_e32 v1, v1
	v_ashrrev_i32_e32 v0, 31, v0
	v_xor_b32_e32 v1, v1, v0
	v_sub_u32_e32 v0, v1, v0
	global_store_byte v[3:4], v0, off
.LBB19_883:
	s_mov_b64 s[8:9], -1
.LBB19_884:
	s_andn2_b64 vcc, exec, s[8:9]
	s_cbranch_vccnz .LBB19_886
; %bb.885:
	v_add_u32_e32 v8, 0x80, v8
	s_mov_b64 s[8:9], -1
	s_branch .LBB19_888
.LBB19_886:
	s_mov_b64 s[8:9], 0
.LBB19_887:
                                        ; implicit-def: $vgpr8
.LBB19_888:
	s_andn2_b64 s[10:11], s[60:61], exec
	s_and_b64 s[0:1], s[0:1], exec
	s_or_b64 s[68:69], s[10:11], s[0:1]
	s_andn2_b64 s[0:1], s[58:59], exec
	s_and_b64 s[2:3], s[2:3], exec
	s_or_b64 s[66:67], s[0:1], s[2:3]
	s_orn2_b64 s[2:3], s[8:9], exec
.LBB19_889:
	s_or_b64 exec, exec, s[64:65]
	s_mov_b64 s[0:1], 0
	s_mov_b64 s[8:9], 0
	;; [unrolled: 1-line block ×3, first 2 shown]
                                        ; implicit-def: $vgpr1_vgpr2
                                        ; implicit-def: $vgpr0
                                        ; implicit-def: $vgpr7
	s_and_saveexec_b64 s[64:65], s[2:3]
	s_cbranch_execz .LBB19_988
; %bb.890:
	v_cmp_gt_i32_e32 vcc, s70, v8
	s_mov_b64 s[2:3], 0
	s_mov_b64 s[12:13], s[66:67]
                                        ; implicit-def: $vgpr1_vgpr2
                                        ; implicit-def: $vgpr0
                                        ; implicit-def: $vgpr7
	s_and_saveexec_b64 s[70:71], vcc
	s_cbranch_execz .LBB19_987
; %bb.891:
	s_andn2_b64 vcc, exec, s[40:41]
	s_cbranch_vccnz .LBB19_896
; %bb.892:
	s_andn2_b64 vcc, exec, s[50:51]
	s_cbranch_vccnz .LBB19_897
; %bb.893:
	s_add_i32 s76, s75, 1
	s_cmp_eq_u32 s72, 2
	s_cbranch_scc1 .LBB19_898
; %bb.894:
	s_and_b32 s75, s76, 28
	v_mov_b32_e32 v2, 0
	s_mov_b32 s77, 0
	s_mov_b64 s[50:51], s[34:35]
	v_mov_b32_e32 v0, 0
	v_mov_b32_e32 v1, v8
.LBB19_895:                             ; =>This Inner Loop Header: Depth=1
	s_load_dwordx8 s[16:23], s[50:51], 0x4
	s_load_dwordx4 s[0:3], s[50:51], 0x24
	s_load_dwordx8 s[8:15], s[48:49], 0x0
	s_add_u32 s50, s50, 48
	s_addc_u32 s51, s51, 0
	s_waitcnt lgkmcnt(0)
	v_mul_hi_u32 v3, s17, v1
	s_add_i32 s77, s77, 4
	s_add_u32 s48, s48, 32
	s_addc_u32 s49, s49, 0
	v_add_u32_e32 v3, v1, v3
	v_lshrrev_b32_e32 v3, s18, v3
	v_mul_lo_u32 v4, v3, s16
	v_mul_hi_u32 v5, s20, v3
	s_cmp_eq_u32 s75, s77
	v_sub_u32_e32 v1, v1, v4
	v_add_u32_e32 v4, v3, v5
	v_mul_lo_u32 v5, v1, s8
	v_mul_lo_u32 v6, v1, s9
	v_lshrrev_b32_e32 v1, s21, v4
	v_mul_lo_u32 v4, v1, s19
	s_waitcnt vmcnt(0)
	v_mul_hi_u32 v7, s23, v1
	v_sub_u32_e32 v3, v3, v4
	v_add_u32_e32 v4, v1, v7
	v_lshrrev_b32_e32 v4, s0, v4
	v_mul_hi_u32 v9, s2, v4
	v_mul_lo_u32 v10, v4, s22
	v_mul_lo_u32 v7, v3, s10
	;; [unrolled: 1-line block ×3, first 2 shown]
	v_sub_u32_e32 v10, v1, v10
	v_add_u32_e32 v1, v4, v9
	v_lshrrev_b32_e32 v1, s3, v1
	v_mul_lo_u32 v9, v1, s1
	v_mul_lo_u32 v11, v10, s12
	v_mul_lo_u32 v10, v10, s13
	v_add3_u32 v0, v5, v0, v7
	v_sub_u32_e32 v4, v4, v9
	v_mul_lo_u32 v9, v4, s14
	v_mul_lo_u32 v4, v4, s15
	v_add3_u32 v2, v6, v2, v3
	v_add3_u32 v0, v11, v0, v9
	;; [unrolled: 1-line block ×3, first 2 shown]
	s_cbranch_scc0 .LBB19_895
	s_branch .LBB19_899
.LBB19_896:
	s_mov_b64 s[0:1], -1
                                        ; implicit-def: $vgpr0
                                        ; implicit-def: $vgpr2
	s_branch .LBB19_903
.LBB19_897:
	v_mov_b32_e32 v0, 0
	v_mov_b32_e32 v2, 0
	s_branch .LBB19_902
.LBB19_898:
	s_mov_b32 s75, 0
	v_mov_b32_e32 v0, 0
	v_mov_b32_e32 v2, 0
	;; [unrolled: 1-line block ×3, first 2 shown]
.LBB19_899:
	s_and_b32 s8, s76, 3
	s_cmp_eq_u32 s8, 0
	s_cbranch_scc1 .LBB19_902
; %bb.900:
	s_lshl_b32 s0, s75, 3
	s_add_u32 s0, s34, s0
	s_addc_u32 s1, s35, 0
	s_add_u32 s0, s0, 0xc4
	s_addc_u32 s1, s1, 0
	s_mul_i32 s2, s75, 12
	s_add_u32 s2, s34, s2
	s_addc_u32 s3, s35, 0
.LBB19_901:                             ; =>This Inner Loop Header: Depth=1
	s_load_dwordx2 s[10:11], s[2:3], 0x4
	s_load_dword s9, s[2:3], 0xc
	s_load_dwordx2 s[12:13], s[0:1], 0x0
	s_add_u32 s2, s2, 12
	s_addc_u32 s3, s3, 0
	s_waitcnt lgkmcnt(0)
	v_mul_hi_u32 v3, s11, v1
	s_add_u32 s0, s0, 8
	s_addc_u32 s1, s1, 0
	s_add_i32 s8, s8, -1
	v_add_u32_e32 v3, v1, v3
	v_lshrrev_b32_e32 v4, s9, v3
	v_mul_lo_u32 v3, v4, s10
	s_cmp_lg_u32 s8, 0
	v_sub_u32_e32 v3, v1, v3
	v_mad_u64_u32 v[0:1], s[10:11], v3, s12, v[0:1]
	v_mad_u64_u32 v[2:3], s[10:11], v3, s13, v[2:3]
	v_mov_b32_e32 v1, v4
	s_cbranch_scc1 .LBB19_901
.LBB19_902:
	s_mov_b64 s[0:1], 0
.LBB19_903:
	s_andn2_b64 vcc, exec, s[0:1]
	s_cbranch_vccnz .LBB19_906
; %bb.904:
	s_waitcnt lgkmcnt(0)
	v_mul_hi_u32 v0, s37, v8
	s_andn2_b64 vcc, exec, s[46:47]
	v_add_u32_e32 v0, v8, v0
	v_lshrrev_b32_e32 v1, s38, v0
	v_mul_lo_u32 v0, v1, s36
	v_sub_u32_e32 v2, v8, v0
	v_mul_lo_u32 v0, v2, s28
	v_mul_lo_u32 v2, v2, s29
	s_cbranch_vccnz .LBB19_906
; %bb.905:
	v_mul_hi_u32 v3, s44, v1
	v_add_u32_e32 v3, v1, v3
	v_lshrrev_b32_e32 v3, s45, v3
	v_mul_lo_u32 v3, v3, s39
	v_sub_u32_e32 v3, v1, v3
	v_mad_u64_u32 v[0:1], s[0:1], v3, s30, v[0:1]
	v_mad_u64_u32 v[2:3], s[0:1], v3, s31, v[2:3]
.LBB19_906:
	s_waitcnt lgkmcnt(0)
	v_mov_b32_e32 v3, s27
	s_and_b32 s14, 0xffff, s74
	v_add_co_u32_e32 v1, vcc, s26, v2
	s_cmp_lt_i32 s14, 11
	v_addc_co_u32_e32 v2, vcc, 0, v3, vcc
	s_cbranch_scc1 .LBB19_913
; %bb.907:
	s_cmp_gt_i32 s14, 25
	s_mov_b64 s[2:3], 0
	s_cbranch_scc0 .LBB19_914
; %bb.908:
	s_cmp_gt_i32 s14, 28
	s_cbranch_scc0 .LBB19_915
; %bb.909:
	s_cmp_gt_i32 s14, 43
	;; [unrolled: 3-line block ×3, first 2 shown]
	s_cbranch_scc0 .LBB19_919
; %bb.911:
	s_cmp_eq_u32 s14, 46
	s_mov_b64 s[10:11], 0
	s_cbranch_scc0 .LBB19_922
; %bb.912:
	global_load_dword v3, v[1:2], off
	s_mov_b64 s[0:1], 0
	s_mov_b64 s[8:9], -1
	s_waitcnt vmcnt(0)
	v_lshlrev_b32_e32 v7, 16, v3
	s_branch .LBB19_923
.LBB19_913:
	s_mov_b64 s[12:13], -1
	s_mov_b64 s[8:9], 0
	s_mov_b64 s[2:3], 0
	;; [unrolled: 1-line block ×3, first 2 shown]
                                        ; implicit-def: $vgpr7
	s_branch .LBB19_986
.LBB19_914:
	s_mov_b64 s[10:11], -1
	s_mov_b64 s[8:9], 0
	s_mov_b64 s[0:1], s[66:67]
                                        ; implicit-def: $vgpr7
	s_branch .LBB19_952
.LBB19_915:
	s_mov_b64 s[10:11], -1
	s_mov_b64 s[8:9], 0
	s_mov_b64 s[0:1], s[66:67]
                                        ; implicit-def: $vgpr7
	s_branch .LBB19_933
.LBB19_916:
	s_mov_b64 s[10:11], -1
	s_mov_b64 s[8:9], 0
	s_mov_b64 s[0:1], s[66:67]
                                        ; implicit-def: $vgpr7
	s_branch .LBB19_928
.LBB19_917:
	s_andn2_saveexec_b64 s[12:13], s[12:13]
	s_cbranch_execz .LBB19_797
.LBB19_918:
	s_mov_b32 s16, 0x46000000
	v_add_f32_e64 v0, |v1|, s16
	v_and_b32_e32 v0, 0xff, v0
	v_cmp_ne_u32_e32 vcc, 0, v0
	s_andn2_b64 s[10:11], s[10:11], exec
	s_and_b64 s[16:17], vcc, exec
	s_or_b64 s[10:11], s[10:11], s[16:17]
	s_or_b64 exec, exec, s[12:13]
	v_mov_b32_e32 v2, 0
	s_and_saveexec_b64 s[12:13], s[10:11]
	s_cbranch_execnz .LBB19_798
	s_branch .LBB19_799
.LBB19_919:
	s_mov_b64 s[10:11], -1
	s_mov_b64 s[8:9], 0
	s_mov_b64 s[0:1], s[66:67]
                                        ; implicit-def: $vgpr7
	s_branch .LBB19_923
.LBB19_920:
	s_andn2_saveexec_b64 s[12:13], s[12:13]
	s_cbranch_execz .LBB19_810
.LBB19_921:
	s_mov_b32 s16, 0x42800000
	v_add_f32_e64 v0, |v1|, s16
	v_and_b32_e32 v0, 0xff, v0
	v_cmp_ne_u32_e32 vcc, 0, v0
	s_andn2_b64 s[10:11], s[10:11], exec
	s_and_b64 s[16:17], vcc, exec
	s_or_b64 s[10:11], s[10:11], s[16:17]
	s_or_b64 exec, exec, s[12:13]
	v_mov_b32_e32 v2, 0
	s_and_saveexec_b64 s[12:13], s[10:11]
	s_cbranch_execnz .LBB19_811
	s_branch .LBB19_812
.LBB19_922:
	s_mov_b64 s[0:1], -1
                                        ; implicit-def: $vgpr7
	s_mov_b64 s[8:9], 0
.LBB19_923:
	s_and_b64 vcc, exec, s[10:11]
	s_cbranch_vccz .LBB19_927
; %bb.924:
	s_cmp_eq_u32 s14, 44
	s_cbranch_scc0 .LBB19_926
; %bb.925:
	global_load_ubyte v3, v[1:2], off
	s_movk_i32 s8, 0xff
	v_mov_b32_e32 v4, 0x7f800001
	v_mov_b32_e32 v5, 0x400000
	s_mov_b64 s[0:1], 0
	s_waitcnt vmcnt(0)
	v_lshlrev_b32_e32 v6, 23, v3
	v_cmp_ne_u32_e32 vcc, s8, v3
	v_cndmask_b32_e32 v4, v4, v6, vcc
	v_cmp_ne_u32_e32 vcc, 0, v3
	v_cndmask_b32_e32 v7, v5, v4, vcc
	s_mov_b64 s[8:9], -1
	s_branch .LBB19_927
.LBB19_926:
	s_mov_b64 s[0:1], -1
                                        ; implicit-def: $vgpr7
.LBB19_927:
	s_mov_b64 s[10:11], 0
.LBB19_928:
	s_and_b64 vcc, exec, s[10:11]
	s_cbranch_vccz .LBB19_932
; %bb.929:
	s_cmp_eq_u32 s14, 29
	s_cbranch_scc0 .LBB19_931
; %bb.930:
	global_load_dwordx2 v[3:4], v[1:2], off
	s_mov_b64 s[0:1], 0
	s_mov_b64 s[8:9], -1
	s_mov_b64 s[10:11], 0
	s_waitcnt vmcnt(0)
	v_ffbh_u32_e32 v5, v4
	v_min_u32_e32 v5, 32, v5
	v_lshlrev_b64 v[3:4], v5, v[3:4]
	v_min_u32_e32 v3, 1, v3
	v_or_b32_e32 v3, v4, v3
	v_cvt_f32_u32_e32 v3, v3
	v_sub_u32_e32 v4, 32, v5
	v_ldexp_f32 v7, v3, v4
	s_branch .LBB19_933
.LBB19_931:
	s_mov_b64 s[0:1], -1
                                        ; implicit-def: $vgpr7
.LBB19_932:
	s_mov_b64 s[10:11], 0
.LBB19_933:
	s_and_b64 vcc, exec, s[10:11]
	s_cbranch_vccz .LBB19_951
; %bb.934:
	s_cmp_lt_i32 s14, 27
	s_cbranch_scc1 .LBB19_937
; %bb.935:
	s_cmp_gt_i32 s14, 27
	s_cbranch_scc0 .LBB19_938
; %bb.936:
	global_load_dword v3, v[1:2], off
	s_mov_b64 s[8:9], 0
	s_waitcnt vmcnt(0)
	v_cvt_f32_u32_e32 v7, v3
	s_branch .LBB19_939
.LBB19_937:
	s_mov_b64 s[8:9], -1
                                        ; implicit-def: $vgpr7
	s_branch .LBB19_942
.LBB19_938:
	s_mov_b64 s[8:9], -1
                                        ; implicit-def: $vgpr7
.LBB19_939:
	s_andn2_b64 vcc, exec, s[8:9]
	s_cbranch_vccnz .LBB19_941
; %bb.940:
	global_load_ushort v3, v[1:2], off
	s_waitcnt vmcnt(0)
	v_cvt_f32_u32_e32 v7, v3
.LBB19_941:
	s_mov_b64 s[8:9], 0
.LBB19_942:
	s_andn2_b64 vcc, exec, s[8:9]
	s_cbranch_vccnz .LBB19_950
; %bb.943:
	global_load_ubyte v3, v[1:2], off
	s_movk_i32 s8, 0x7f
	s_waitcnt vmcnt(0)
	v_cmp_lt_i16_e32 vcc, s8, v3
	s_mov_b64 s[8:9], 0
	s_and_saveexec_b64 s[10:11], vcc
	s_xor_b64 s[10:11], exec, s[10:11]
	s_cbranch_execz .LBB19_964
; %bb.944:
	s_movk_i32 s8, 0x80
	v_cmp_eq_u16_e32 vcc, s8, v3
	s_mov_b64 s[8:9], -1
	s_and_saveexec_b64 s[12:13], vcc
; %bb.945:
	s_xor_b64 s[8:9], exec, -1
; %bb.946:
	s_or_b64 exec, exec, s[12:13]
	s_and_b64 s[8:9], s[8:9], exec
	s_or_saveexec_b64 s[10:11], s[10:11]
	v_mov_b32_e32 v7, 0x7f800001
	s_xor_b64 exec, exec, s[10:11]
	s_cbranch_execnz .LBB19_965
.LBB19_947:
	s_or_b64 exec, exec, s[10:11]
	s_and_saveexec_b64 s[10:11], s[8:9]
	s_cbranch_execz .LBB19_949
.LBB19_948:
	v_lshlrev_b32_e32 v4, 24, v3
	v_and_b32_e32 v3, 0xffff, v3
	v_and_b32_e32 v5, 7, v3
	v_ffbh_u32_e32 v7, v5
	v_min_u32_e32 v7, 32, v7
	v_subrev_u32_e32 v8, 28, v7
	v_bfe_u32 v6, v3, 3, 4
	v_lshlrev_b32_e32 v3, v8, v3
	v_sub_u32_e32 v7, 29, v7
	v_and_b32_e32 v3, 7, v3
	v_cmp_eq_u32_e32 vcc, 0, v6
	v_cndmask_b32_e32 v6, v6, v7, vcc
	v_cndmask_b32_e32 v3, v5, v3, vcc
	v_mov_b32_e32 v5, 0x3b800000
	v_lshlrev_b32_e32 v3, 20, v3
	v_and_b32_e32 v4, 0x80000000, v4
	v_lshl_add_u32 v5, v6, 23, v5
	v_or3_b32 v7, v4, v5, v3
.LBB19_949:
	s_or_b64 exec, exec, s[10:11]
.LBB19_950:
	s_mov_b64 s[8:9], -1
.LBB19_951:
	s_mov_b64 s[10:11], 0
.LBB19_952:
	s_and_b64 vcc, exec, s[10:11]
	s_cbranch_vccz .LBB19_985
; %bb.953:
	s_cmp_gt_i32 s14, 22
	s_cbranch_scc0 .LBB19_963
; %bb.954:
	s_cmp_lt_i32 s14, 24
	s_cbranch_scc1 .LBB19_966
; %bb.955:
	s_cmp_gt_i32 s14, 24
	s_cbranch_scc0 .LBB19_967
; %bb.956:
	global_load_ubyte v3, v[1:2], off
	s_movk_i32 s2, 0x7f
	s_waitcnt vmcnt(0)
	v_cmp_lt_i16_e32 vcc, s2, v3
	s_mov_b64 s[2:3], 0
	s_and_saveexec_b64 s[8:9], vcc
	s_xor_b64 s[8:9], exec, s[8:9]
	s_cbranch_execz .LBB19_979
; %bb.957:
	s_movk_i32 s2, 0x80
	v_cmp_eq_u16_e32 vcc, s2, v3
	s_mov_b64 s[2:3], -1
	s_and_saveexec_b64 s[10:11], vcc
; %bb.958:
	s_xor_b64 s[2:3], exec, -1
; %bb.959:
	s_or_b64 exec, exec, s[10:11]
	s_and_b64 s[2:3], s[2:3], exec
	s_or_saveexec_b64 s[8:9], s[8:9]
	v_mov_b32_e32 v7, 0x7f800001
	s_xor_b64 exec, exec, s[8:9]
	s_cbranch_execnz .LBB19_980
.LBB19_960:
	s_or_b64 exec, exec, s[8:9]
	s_and_saveexec_b64 s[8:9], s[2:3]
	s_cbranch_execz .LBB19_962
.LBB19_961:
	v_lshlrev_b32_e32 v4, 24, v3
	v_and_b32_e32 v3, 0xffff, v3
	v_and_b32_e32 v5, 3, v3
	v_ffbh_u32_e32 v7, v5
	v_min_u32_e32 v7, 32, v7
	v_subrev_u32_e32 v8, 29, v7
	v_bfe_u32 v6, v3, 2, 5
	v_lshlrev_b32_e32 v3, v8, v3
	v_sub_u32_e32 v7, 30, v7
	v_and_b32_e32 v3, 3, v3
	v_cmp_eq_u32_e32 vcc, 0, v6
	v_cndmask_b32_e32 v6, v6, v7, vcc
	v_cndmask_b32_e32 v3, v5, v3, vcc
	v_mov_b32_e32 v5, 0x37800000
	v_lshlrev_b32_e32 v3, 21, v3
	v_and_b32_e32 v4, 0x80000000, v4
	v_lshl_add_u32 v5, v6, 23, v5
	v_or3_b32 v7, v4, v5, v3
.LBB19_962:
	s_or_b64 exec, exec, s[8:9]
	s_mov_b64 s[2:3], 0
	s_branch .LBB19_968
.LBB19_963:
	s_mov_b64 s[2:3], -1
                                        ; implicit-def: $vgpr7
	s_branch .LBB19_974
.LBB19_964:
	s_or_saveexec_b64 s[10:11], s[10:11]
	v_mov_b32_e32 v7, 0x7f800001
	s_xor_b64 exec, exec, s[10:11]
	s_cbranch_execz .LBB19_947
.LBB19_965:
	v_cmp_ne_u16_e32 vcc, 0, v3
	s_andn2_b64 s[8:9], s[8:9], exec
	s_and_b64 s[12:13], vcc, exec
	v_mov_b32_e32 v7, 0
	s_or_b64 s[8:9], s[8:9], s[12:13]
	s_or_b64 exec, exec, s[10:11]
	s_and_saveexec_b64 s[10:11], s[8:9]
	s_cbranch_execnz .LBB19_948
	s_branch .LBB19_949
.LBB19_966:
	s_mov_b64 s[2:3], -1
                                        ; implicit-def: $vgpr7
	s_branch .LBB19_971
.LBB19_967:
	s_mov_b64 s[2:3], -1
                                        ; implicit-def: $vgpr7
.LBB19_968:
	s_and_b64 vcc, exec, s[2:3]
	s_cbranch_vccz .LBB19_970
; %bb.969:
	global_load_ubyte v3, v[1:2], off
	s_mov_b32 s2, 0x7f800000
	s_waitcnt vmcnt(0)
	v_lshlrev_b32_e32 v3, 24, v3
	v_and_b32_e32 v4, 0x7f000000, v3
	v_ffbh_u32_e32 v5, v4
	v_min_u32_e32 v5, 32, v5
	v_sub_u32_e64 v5, v5, 4 clamp
	v_lshlrev_b32_e32 v7, v5, v4
	v_lshlrev_b32_e32 v5, 23, v5
	v_lshrrev_b32_e32 v7, 4, v7
	v_add_u32_e32 v6, 0x1000000, v4
	v_sub_u32_e32 v5, v7, v5
	v_ashrrev_i32_e32 v6, 8, v6
	v_add_u32_e32 v5, 0x3c000000, v5
	v_and_or_b32 v5, v6, s2, v5
	v_cmp_ne_u32_e32 vcc, 0, v4
	v_cndmask_b32_e32 v4, 0, v5, vcc
	s_brev_b32 s2, 1
	v_and_or_b32 v7, v3, s2, v4
.LBB19_970:
	s_mov_b64 s[2:3], 0
.LBB19_971:
	s_andn2_b64 vcc, exec, s[2:3]
	s_cbranch_vccnz .LBB19_973
; %bb.972:
	global_load_ubyte v3, v[1:2], off
	s_movk_i32 s2, 0x7f00
	s_brev_b32 s3, 16
	s_waitcnt vmcnt(0)
	v_lshlrev_b16_e32 v4, 8, v3
	v_lshlrev_b32_e32 v3, 25, v3
	v_lshrrev_b32_e32 v5, 4, v3
	v_and_or_b32 v6, v4, s2, 0.5
	v_or_b32_e32 v5, 0x70000000, v5
	v_add_f32_e32 v6, -0.5, v6
	v_mul_f32_e32 v5, 0x7800000, v5
	v_cmp_gt_u32_e32 vcc, s3, v3
	v_bfe_i32 v4, v4, 0, 16
	v_cndmask_b32_e32 v3, v5, v6, vcc
	s_brev_b32 s2, 1
	v_and_or_b32 v7, v4, s2, v3
.LBB19_973:
	s_mov_b64 s[2:3], 0
	s_mov_b64 s[8:9], -1
.LBB19_974:
	s_andn2_b64 vcc, exec, s[2:3]
	s_mov_b64 s[2:3], 0
	s_cbranch_vccnz .LBB19_985
; %bb.975:
	s_cmp_gt_i32 s14, 14
	s_cbranch_scc0 .LBB19_978
; %bb.976:
	s_cmp_eq_u32 s14, 15
	s_cbranch_scc0 .LBB19_981
; %bb.977:
	global_load_ushort v3, v[1:2], off
	s_mov_b64 s[0:1], 0
	s_mov_b64 s[8:9], -1
	s_waitcnt vmcnt(0)
	v_lshlrev_b32_e32 v7, 16, v3
	s_branch .LBB19_982
.LBB19_978:
	s_mov_b64 s[10:11], -1
                                        ; implicit-def: $vgpr7
	s_branch .LBB19_983
.LBB19_979:
	s_or_saveexec_b64 s[8:9], s[8:9]
	v_mov_b32_e32 v7, 0x7f800001
	s_xor_b64 exec, exec, s[8:9]
	s_cbranch_execz .LBB19_960
.LBB19_980:
	v_cmp_ne_u16_e32 vcc, 0, v3
	s_andn2_b64 s[2:3], s[2:3], exec
	s_and_b64 s[10:11], vcc, exec
	v_mov_b32_e32 v7, 0
	s_or_b64 s[2:3], s[2:3], s[10:11]
	s_or_b64 exec, exec, s[8:9]
	s_and_saveexec_b64 s[8:9], s[2:3]
	s_cbranch_execnz .LBB19_961
	s_branch .LBB19_962
.LBB19_981:
	s_mov_b64 s[0:1], -1
                                        ; implicit-def: $vgpr7
.LBB19_982:
	s_mov_b64 s[10:11], 0
.LBB19_983:
	s_and_b64 vcc, exec, s[10:11]
	s_cbranch_vccz .LBB19_985
; %bb.984:
	s_cmp_lg_u32 s14, 11
	s_cselect_b64 s[10:11], -1, 0
	s_andn2_b64 s[0:1], s[0:1], exec
	s_and_b64 s[10:11], s[10:11], exec
	s_mov_b64 s[2:3], -1
	s_or_b64 s[0:1], s[0:1], s[10:11]
.LBB19_985:
	s_mov_b64 s[12:13], 0
.LBB19_986:
	s_and_b64 s[10:11], s[8:9], exec
	s_and_b64 s[8:9], s[12:13], exec
	s_andn2_b64 s[12:13], s[66:67], exec
	s_and_b64 s[0:1], s[0:1], exec
	s_and_b64 s[2:3], s[2:3], exec
	s_or_b64 s[12:13], s[12:13], s[0:1]
.LBB19_987:
	s_or_b64 exec, exec, s[70:71]
	s_and_b64 s[0:1], s[2:3], exec
	s_andn2_b64 s[2:3], s[66:67], exec
	s_and_b64 s[12:13], s[12:13], exec
	s_and_b64 s[10:11], s[10:11], exec
	;; [unrolled: 1-line block ×3, first 2 shown]
	s_or_b64 s[66:67], s[2:3], s[12:13]
.LBB19_988:
	s_or_b64 exec, exec, s[64:65]
	s_andn2_b64 s[2:3], s[60:61], exec
	s_and_b64 s[12:13], s[68:69], exec
	s_or_b64 s[60:61], s[2:3], s[12:13]
	s_and_b64 s[2:3], s[0:1], exec
	s_andn2_b64 s[0:1], s[58:59], exec
	s_and_b64 s[12:13], s[66:67], exec
	s_and_b64 s[10:11], s[10:11], exec
	;; [unrolled: 1-line block ×3, first 2 shown]
	s_or_b64 s[58:59], s[0:1], s[12:13]
.LBB19_989:
	s_or_b64 exec, exec, s[62:63]
	s_andn2_b64 s[0:1], s[52:53], exec
	s_and_b64 s[12:13], s[60:61], exec
	s_or_b64 s[52:53], s[0:1], s[12:13]
	s_and_b64 s[0:1], s[10:11], exec
	s_and_b64 s[10:11], s[8:9], exec
	;; [unrolled: 1-line block ×3, first 2 shown]
	s_andn2_b64 s[2:3], s[54:55], exec
	s_and_b64 s[8:9], s[58:59], exec
	s_or_b64 s[54:55], s[2:3], s[8:9]
	s_or_b64 exec, exec, s[56:57]
	s_mov_b64 s[2:3], 0
	s_and_saveexec_b64 s[8:9], s[54:55]
	s_cbranch_execz .LBB19_298
.LBB19_990:
	s_mov_b64 s[2:3], exec
	s_andn2_b64 s[60:61], s[60:61], exec
	s_trap 2
	s_or_b64 exec, exec, s[8:9]
	s_and_saveexec_b64 s[8:9], s[60:61]
	s_xor_b64 s[8:9], exec, s[8:9]
	s_cbranch_execnz .LBB19_299
.LBB19_991:
	s_or_b64 exec, exec, s[8:9]
	s_and_saveexec_b64 s[8:9], s[10:11]
	s_cbranch_execz .LBB19_1037
.LBB19_992:
	s_sext_i32_i16 s10, s74
	s_cmp_lt_i32 s10, 5
	s_cbranch_scc1 .LBB19_997
; %bb.993:
	s_cmp_lt_i32 s10, 8
	s_cbranch_scc1 .LBB19_998
; %bb.994:
	;; [unrolled: 3-line block ×3, first 2 shown]
	s_cmp_gt_i32 s10, 9
	s_cbranch_scc0 .LBB19_1000
; %bb.996:
	global_load_dwordx2 v[3:4], v[1:2], off
	s_mov_b64 s[10:11], 0
	s_waitcnt vmcnt(0)
	v_cvt_f32_f64_e32 v7, v[3:4]
	s_branch .LBB19_1001
.LBB19_997:
                                        ; implicit-def: $vgpr7
	s_branch .LBB19_1018
.LBB19_998:
                                        ; implicit-def: $vgpr7
	s_branch .LBB19_1007
.LBB19_999:
	s_mov_b64 s[10:11], -1
                                        ; implicit-def: $vgpr7
	s_branch .LBB19_1004
.LBB19_1000:
	s_mov_b64 s[10:11], -1
                                        ; implicit-def: $vgpr7
.LBB19_1001:
	s_andn2_b64 vcc, exec, s[10:11]
	s_cbranch_vccnz .LBB19_1003
; %bb.1002:
	global_load_dword v7, v[1:2], off
.LBB19_1003:
	s_mov_b64 s[10:11], 0
.LBB19_1004:
	s_andn2_b64 vcc, exec, s[10:11]
	s_cbranch_vccnz .LBB19_1006
; %bb.1005:
	global_load_dword v3, v[1:2], off
	s_waitcnt vmcnt(0)
	v_cvt_f32_f16_e32 v7, v3
.LBB19_1006:
	s_cbranch_execnz .LBB19_1017
.LBB19_1007:
	s_sext_i32_i16 s10, s74
	s_cmp_lt_i32 s10, 6
	s_cbranch_scc1 .LBB19_1010
; %bb.1008:
	s_cmp_gt_i32 s10, 6
	s_cbranch_scc0 .LBB19_1011
; %bb.1009:
	global_load_dwordx2 v[3:4], v[1:2], off
	s_mov_b64 s[10:11], 0
	s_waitcnt vmcnt(0)
	v_cvt_f32_f64_e32 v7, v[3:4]
	s_branch .LBB19_1012
.LBB19_1010:
	s_mov_b64 s[10:11], -1
                                        ; implicit-def: $vgpr7
	s_branch .LBB19_1015
.LBB19_1011:
	s_mov_b64 s[10:11], -1
                                        ; implicit-def: $vgpr7
.LBB19_1012:
	s_andn2_b64 vcc, exec, s[10:11]
	s_cbranch_vccnz .LBB19_1014
; %bb.1013:
	global_load_dword v7, v[1:2], off
.LBB19_1014:
	s_mov_b64 s[10:11], 0
.LBB19_1015:
	s_andn2_b64 vcc, exec, s[10:11]
	s_cbranch_vccnz .LBB19_1017
; %bb.1016:
	global_load_ushort v3, v[1:2], off
	s_waitcnt vmcnt(0)
	v_cvt_f32_f16_e32 v7, v3
.LBB19_1017:
	s_cbranch_execnz .LBB19_1036
.LBB19_1018:
	s_sext_i32_i16 s10, s74
	s_cmp_lt_i32 s10, 2
	s_cbranch_scc1 .LBB19_1022
; %bb.1019:
	s_cmp_lt_i32 s10, 3
	s_cbranch_scc1 .LBB19_1023
; %bb.1020:
	s_cmp_gt_i32 s10, 3
	s_cbranch_scc0 .LBB19_1024
; %bb.1021:
	global_load_dwordx2 v[3:4], v[1:2], off
	s_mov_b64 s[10:11], 0
	s_waitcnt vmcnt(0)
	v_xor_b32_e32 v6, v3, v4
	v_ffbh_i32_e32 v5, v4
	v_ashrrev_i32_e32 v6, 31, v6
	v_add_u32_e32 v5, -1, v5
	v_add_u32_e32 v6, 32, v6
	v_min_u32_e32 v5, v5, v6
	v_lshlrev_b64 v[3:4], v5, v[3:4]
	v_min_u32_e32 v3, 1, v3
	v_or_b32_e32 v3, v4, v3
	v_cvt_f32_i32_e32 v3, v3
	v_sub_u32_e32 v4, 32, v5
	v_ldexp_f32 v7, v3, v4
	s_branch .LBB19_1025
.LBB19_1022:
                                        ; implicit-def: $vgpr7
	s_branch .LBB19_1031
.LBB19_1023:
	s_mov_b64 s[10:11], -1
                                        ; implicit-def: $vgpr7
	s_branch .LBB19_1028
.LBB19_1024:
	s_mov_b64 s[10:11], -1
                                        ; implicit-def: $vgpr7
.LBB19_1025:
	s_andn2_b64 vcc, exec, s[10:11]
	s_cbranch_vccnz .LBB19_1027
; %bb.1026:
	global_load_dword v3, v[1:2], off
	s_waitcnt vmcnt(0)
	v_cvt_f32_i32_e32 v7, v3
.LBB19_1027:
	s_mov_b64 s[10:11], 0
.LBB19_1028:
	s_andn2_b64 vcc, exec, s[10:11]
	s_cbranch_vccnz .LBB19_1030
; %bb.1029:
	global_load_sshort v3, v[1:2], off
	s_waitcnt vmcnt(0)
	v_cvt_f32_i32_e32 v7, v3
.LBB19_1030:
	s_cbranch_execnz .LBB19_1036
.LBB19_1031:
	s_sext_i32_i16 s10, s74
	s_cmp_gt_i32 s10, 0
	s_cbranch_scc0 .LBB19_1033
; %bb.1032:
	global_load_sbyte v3, v[1:2], off
	s_mov_b64 s[10:11], 0
	s_waitcnt vmcnt(0)
	v_cvt_f32_i32_e32 v7, v3
	s_branch .LBB19_1034
.LBB19_1033:
	s_mov_b64 s[10:11], -1
                                        ; implicit-def: $vgpr7
.LBB19_1034:
	s_andn2_b64 vcc, exec, s[10:11]
	s_cbranch_vccnz .LBB19_1036
; %bb.1035:
	global_load_ubyte v1, v[1:2], off
	s_waitcnt vmcnt(0)
	v_cvt_f32_ubyte0_e32 v7, v1
.LBB19_1036:
	s_or_b64 s[0:1], s[0:1], exec
.LBB19_1037:
	s_or_b64 exec, exec, s[8:9]
	s_mov_b64 s[12:13], 0
	s_mov_b64 s[10:11], 0
                                        ; implicit-def: $sgpr18
                                        ; implicit-def: $vgpr3_vgpr4
                                        ; implicit-def: $vgpr1
	s_and_saveexec_b64 s[8:9], s[0:1]
	s_cbranch_execz .LBB19_1079
; %bb.1038:
	s_waitcnt vmcnt(0)
	v_cmp_neq_f32_e32 vcc, 0, v7
                                        ; implicit-def: $vgpr1
	s_and_saveexec_b64 s[0:1], vcc
	s_xor_b64 s[10:11], exec, s[0:1]
	s_cbranch_execz .LBB19_1060
; %bb.1039:
	v_mov_b32_e32 v2, 0
	v_cmp_gt_f32_e32 vcc, 0, v7
	s_mov_b64 s[0:1], -1
	s_and_saveexec_b64 s[12:13], vcc
	s_cbranch_execz .LBB19_1047
; %bb.1040:
	v_trunc_f32_e32 v1, v7
	v_cmp_neq_f32_e32 vcc, v7, v1
	s_mov_b64 s[16:17], 0
	v_mov_b32_e32 v2, 0
	s_and_saveexec_b64 s[14:15], vcc
	s_cbranch_execz .LBB19_1046
; %bb.1041:
	v_cvt_f64_f32_e32 v[1:2], v7
	s_mov_b32 s0, 0
	s_mov_b32 s17, 0xc00921fb
	;; [unrolled: 1-line block ×3, first 2 shown]
	v_trunc_f64_e32 v[3:4], v[1:2]
	s_mov_b32 s1, 0x7ff00000
	v_cmp_neq_f64_e64 vcc, |v[1:2]|, s[0:1]
	v_bfrev_b32_e32 v5, 1
	s_mov_b32 s18, 0
	s_mov_b32 s19, 0x41d00000
                                        ; implicit-def: $vgpr8
	v_add_f64 v[3:4], v[1:2], -v[3:4]
	v_mul_f64 v[3:4], |v[3:4]|, s[16:17]
	v_cndmask_b32_e32 v2, v5, v4, vcc
	v_cndmask_b32_e32 v1, 0, v3, vcc
	v_cmp_nlt_f64_e64 s[18:19], |v[1:2]|, s[18:19]
                                        ; implicit-def: $vgpr3_vgpr4
                                        ; implicit-def: $vgpr5_vgpr6
	s_and_saveexec_b64 s[20:21], s[18:19]
	s_xor_b64 s[18:19], exec, s[20:21]
	s_cbranch_execz .LBB19_1043
; %bb.1042:
	v_trig_preop_f64 v[3:4], |v[1:2]|, 0
	s_mov_b32 s20, 0
	s_mov_b32 s21, 0x7b000000
	s_movk_i32 s17, 0xff80
	v_ldexp_f64 v[8:9], |v[1:2]|, s17
	v_cmp_ge_f64_e64 vcc, |v[1:2]|, s[20:21]
	v_trig_preop_f64 v[5:6], |v[1:2]|, 1
	v_and_b32_e32 v10, 0x7fffffff, v2
	v_trig_preop_f64 v[16:17], |v[1:2]|, 2
	v_mov_b32_e32 v27, 0x40100000
	v_mov_b32_e32 v26, 0
	s_mov_b32 s17, 0x3ff921fb
	v_cndmask_b32_e32 v9, v10, v9, vcc
	v_cndmask_b32_e32 v8, v1, v8, vcc
	v_mul_f64 v[10:11], v[3:4], v[8:9]
	v_mul_f64 v[12:13], v[5:6], v[8:9]
	;; [unrolled: 1-line block ×3, first 2 shown]
	v_fma_f64 v[3:4], v[3:4], v[8:9], -v[10:11]
	v_fma_f64 v[5:6], v[5:6], v[8:9], -v[12:13]
	;; [unrolled: 1-line block ×3, first 2 shown]
	v_add_f64 v[14:15], v[12:13], v[3:4]
	v_add_f64 v[18:19], v[14:15], -v[12:13]
	v_add_f64 v[24:25], v[10:11], v[14:15]
	v_add_f64 v[20:21], v[14:15], -v[18:19]
	v_add_f64 v[3:4], v[3:4], -v[18:19]
	v_add_f64 v[18:19], v[22:23], v[5:6]
	v_add_f64 v[10:11], v[24:25], -v[10:11]
	v_add_f64 v[12:13], v[12:13], -v[20:21]
	v_ldexp_f64 v[20:21], v[24:25], -2
	v_add_f64 v[28:29], v[18:19], -v[22:23]
	v_add_f64 v[10:11], v[14:15], -v[10:11]
	v_add_f64 v[3:4], v[3:4], v[12:13]
	v_fract_f64_e32 v[12:13], v[20:21]
	v_cmp_neq_f64_e64 vcc, |v[20:21]|, s[0:1]
	v_add_f64 v[5:6], v[5:6], -v[28:29]
	v_add_f64 v[14:15], v[18:19], v[3:4]
	v_ldexp_f64 v[12:13], v[12:13], 2
	v_add_f64 v[20:21], v[10:11], v[14:15]
	v_cndmask_b32_e32 v13, 0, v13, vcc
	v_cndmask_b32_e32 v12, 0, v12, vcc
	v_add_f64 v[30:31], v[14:15], -v[18:19]
	v_add_f64 v[24:25], v[20:21], v[12:13]
	v_add_f64 v[10:11], v[20:21], -v[10:11]
	v_add_f64 v[32:33], v[14:15], -v[30:31]
	;; [unrolled: 1-line block ×3, first 2 shown]
	v_cmp_gt_f64_e32 vcc, 0, v[24:25]
	v_add_f64 v[24:25], v[18:19], -v[28:29]
	v_add_f64 v[10:11], v[14:15], -v[10:11]
	;; [unrolled: 1-line block ×3, first 2 shown]
	v_cndmask_b32_e32 v27, 0, v27, vcc
	v_add_f64 v[12:13], v[12:13], v[26:27]
	v_add_f64 v[24:25], v[22:23], -v[24:25]
	v_add_f64 v[3:4], v[3:4], v[18:19]
	v_add_f64 v[34:35], v[20:21], v[12:13]
	v_add_f64 v[5:6], v[5:6], v[24:25]
	v_cvt_i32_f64_e32 v29, v[34:35]
	v_add_f64 v[3:4], v[5:6], v[3:4]
	v_cvt_f64_i32_e32 v[27:28], v29
	v_add_f64 v[12:13], v[12:13], -v[27:28]
	v_add_f64 v[3:4], v[8:9], v[3:4]
	v_add_f64 v[5:6], v[20:21], v[12:13]
	;; [unrolled: 1-line block ×3, first 2 shown]
	v_mov_b32_e32 v11, 0x3ff00000
	v_add_f64 v[8:9], v[5:6], -v[12:13]
	v_cmp_le_f64_e32 vcc, 0.5, v[5:6]
	v_add_f64 v[9:10], v[20:21], -v[8:9]
	v_cndmask_b32_e32 v27, 0, v11, vcc
	v_add_f64 v[5:6], v[5:6], -v[26:27]
	v_addc_co_u32_e64 v8, s[0:1], 0, v29, vcc
	s_mov_b32 s0, 0x33145c07
	s_mov_b32 s1, 0x3c91a626
	v_add_f64 v[3:4], v[3:4], v[9:10]
	v_add_f64 v[9:10], v[5:6], v[3:4]
	v_mul_f64 v[11:12], v[9:10], s[16:17]
	v_add_f64 v[5:6], v[9:10], -v[5:6]
	v_fma_f64 v[13:14], v[9:10], s[16:17], -v[11:12]
	v_add_f64 v[3:4], v[3:4], -v[5:6]
	v_fma_f64 v[5:6], v[9:10], s[0:1], v[13:14]
	v_fma_f64 v[5:6], v[3:4], s[16:17], v[5:6]
	v_add_f64 v[3:4], v[11:12], v[5:6]
	v_add_f64 v[9:10], v[3:4], -v[11:12]
	v_add_f64 v[5:6], v[5:6], -v[9:10]
.LBB19_1043:
	s_andn2_saveexec_b64 s[0:1], s[18:19]
	s_cbranch_execz .LBB19_1045
; %bb.1044:
	s_mov_b32 s16, 0x6dc9c883
	s_mov_b32 s17, 0x3fe45f30
	v_mul_f64 v[3:4], |v[1:2]|, s[16:17]
	s_mov_b32 s16, 0x54442d18
	s_mov_b32 s17, 0xbff921fb
	;; [unrolled: 1-line block ×4, first 2 shown]
	v_rndne_f64_e32 v[8:9], v[3:4]
	v_fma_f64 v[3:4], v[8:9], s[16:17], |v[1:2]|
	v_mul_f64 v[5:6], v[8:9], s[18:19]
	s_mov_b32 s16, 0x252049c0
	s_mov_b32 s17, 0xb97b839a
	v_fma_f64 v[14:15], v[8:9], s[18:19], v[3:4]
	v_add_f64 v[10:11], v[3:4], v[5:6]
	s_mov_b32 s19, 0x3c91a626
	v_add_f64 v[12:13], v[3:4], -v[10:11]
	v_add_f64 v[10:11], v[10:11], -v[14:15]
	v_add_f64 v[3:4], v[12:13], v[5:6]
	v_fma_f64 v[5:6], v[8:9], s[18:19], v[5:6]
	v_add_f64 v[3:4], v[10:11], v[3:4]
	v_add_f64 v[3:4], v[3:4], -v[5:6]
	v_fma_f64 v[5:6], v[8:9], s[16:17], v[3:4]
	v_cvt_i32_f64_e32 v8, v[8:9]
	v_add_f64 v[3:4], v[14:15], v[5:6]
	v_add_f64 v[10:11], v[3:4], -v[14:15]
	v_add_f64 v[5:6], v[5:6], -v[10:11]
.LBB19_1045:
	s_or_b64 exec, exec, s[0:1]
	v_mul_f64 v[9:10], v[3:4], v[3:4]
	v_add_f64 v[11:12], v[5:6], v[5:6]
	s_mov_b32 s0, 0xc751c08c
	s_mov_b32 s1, 0x3ef5e089
	v_and_b32_e32 v8, 1, v8
	v_cmp_eq_u32_e32 vcc, 0, v8
	s_mov_b32 s18, 0x54442d18
	s_mov_b32 s19, 0xc00921fb
	v_fma_f64 v[13:14], v[3:4], v[3:4], -v[9:10]
	s_mov_b64 s[16:17], exec
	v_sub_f32_e32 v7, 1.0, v7
	v_fma_f64 v[11:12], v[3:4], v[11:12], v[13:14]
	v_add_f64 v[9:10], v[9:10], v[11:12]
	v_mov_b32_e32 v11, 0xa9a29f71
	v_mov_b32_e32 v12, 0xbf078809
	v_fma_f64 v[11:12], v[9:10], s[0:1], v[11:12]
	s_mov_b32 s0, 0x90a8aae0
	s_mov_b32 s1, 0x3f17746f
	v_fma_f64 v[11:12], v[9:10], v[11:12], s[0:1]
	s_mov_b32 s0, 0xa6fbf144
	s_mov_b32 s1, 0xbefbb44d
	;; [unrolled: 3-line block ×12, first 2 shown]
	v_fma_f64 v[11:12], v[9:10], v[11:12], s[0:1]
	s_movk_i32 s0, 0x1f8
	v_cmp_class_f64_e64 s[0:1], v[1:2], s0
	v_mul_f64 v[9:10], v[9:10], v[11:12]
	v_mul_f64 v[11:12], v[3:4], v[9:10]
	v_add_f64 v[13:14], v[3:4], v[11:12]
	v_fma_f64 v[9:10], v[3:4], v[9:10], -v[11:12]
	v_add_f64 v[3:4], v[13:14], -v[3:4]
	v_add_f64 v[5:6], v[5:6], v[9:10]
	v_add_f64 v[3:4], v[11:12], -v[3:4]
	v_add_f64 v[3:4], v[5:6], v[3:4]
	v_add_f64 v[5:6], v[13:14], v[3:4]
	v_rcp_f64_e32 v[9:10], v[5:6]
	v_fma_f64 v[11:12], -v[5:6], v[9:10], 1.0
	v_fma_f64 v[9:10], v[11:12], v[9:10], v[9:10]
	v_fma_f64 v[11:12], -v[5:6], v[9:10], 1.0
	v_fma_f64 v[9:10], v[11:12], v[9:10], v[9:10]
	v_add_f64 v[11:12], v[5:6], -v[13:14]
	v_mul_f64 v[13:14], v[5:6], v[9:10]
	v_add_f64 v[3:4], v[3:4], -v[11:12]
	v_fma_f64 v[11:12], v[9:10], v[5:6], -v[13:14]
	v_fma_f64 v[3:4], v[9:10], v[3:4], v[11:12]
	v_add_f64 v[11:12], v[13:14], v[3:4]
	v_add_f64 v[15:16], -v[11:12], 1.0
	v_add_f64 v[13:14], v[11:12], -v[13:14]
	v_add_f64 v[17:18], -v[15:16], 1.0
	v_add_f64 v[3:4], v[13:14], -v[3:4]
	v_add_f64 v[11:12], v[17:18], -v[11:12]
	v_add_f64 v[3:4], v[3:4], v[11:12]
	v_add_f64 v[3:4], v[15:16], v[3:4]
	v_mul_f64 v[3:4], v[9:10], v[3:4]
	v_add_f64 v[3:4], v[9:10], v[3:4]
	v_and_b32_e32 v9, 0x80000000, v2
	v_mov_b32_e32 v2, 0x7ff80000
	v_xor_b32_e32 v1, 0x80000000, v4
	v_cndmask_b32_e32 v3, v3, v5, vcc
	v_cndmask_b32_e32 v4, v1, v6, vcc
	v_cndmask_b32_e64 v1, 0, v3, s[0:1]
	v_xor_b32_e32 v3, v4, v9
	v_cndmask_b32_e64 v2, v2, v3, s[0:1]
	v_div_scale_f64 v[3:4], s[0:1], v[1:2], v[1:2], s[18:19]
	v_div_scale_f64 v[10:11], vcc, s[18:19], v[1:2], s[18:19]
	v_rcp_f64_e32 v[5:6], v[3:4]
	v_fma_f64 v[8:9], -v[3:4], v[5:6], 1.0
	v_fma_f64 v[5:6], v[5:6], v[8:9], v[5:6]
	v_fma_f64 v[8:9], -v[3:4], v[5:6], 1.0
	v_fma_f64 v[5:6], v[5:6], v[8:9], v[5:6]
	v_mul_f64 v[8:9], v[10:11], v[5:6]
	v_fma_f64 v[3:4], -v[3:4], v[8:9], v[10:11]
	v_div_fmas_f64 v[3:4], v[3:4], v[5:6], v[8:9]
	v_div_fixup_f64 v[1:2], v[3:4], v[1:2], s[18:19]
	v_cvt_f32_f64_e32 v2, v[1:2]
.LBB19_1046:
	s_or_b64 exec, exec, s[14:15]
	s_orn2_b64 s[0:1], s[16:17], exec
.LBB19_1047:
	s_or_b64 exec, exec, s[12:13]
	v_mov_b32_e32 v1, 0x7fc00000
	s_and_saveexec_b64 s[12:13], s[0:1]
	s_cbranch_execz .LBB19_1059
; %bb.1048:
	s_mov_b32 s16, 0x41200000
	v_cmp_gt_f32_e32 vcc, s16, v7
	s_and_saveexec_b64 s[0:1], vcc
	s_cbranch_execz .LBB19_1052
; %bb.1049:
	s_mov_b64 s[14:15], 0
.LBB19_1050:                            ; =>This Inner Loop Header: Depth=1
	v_div_scale_f32 v1, s[18:19], v7, v7, 1.0
	v_div_scale_f32 v3, vcc, 1.0, v7, 1.0
	v_rcp_f32_e32 v4, v1
	v_fma_f32 v5, -v1, v4, 1.0
	v_fmac_f32_e32 v4, v5, v4
	v_mul_f32_e32 v5, v3, v4
	v_fma_f32 v6, -v1, v5, v3
	v_fmac_f32_e32 v5, v6, v4
	v_fma_f32 v1, -v1, v5, v3
	v_div_fmas_f32 v1, v1, v4, v5
	v_div_fixup_f32 v1, v1, v7, 1.0
	v_add_f32_e32 v7, 1.0, v7
	v_cmp_ngt_f32_e32 vcc, s16, v7
	s_or_b64 s[14:15], vcc, s[14:15]
	v_sub_f32_e32 v2, v2, v1
	s_andn2_b64 exec, exec, s[14:15]
	s_cbranch_execnz .LBB19_1050
; %bb.1051:
	s_or_b64 exec, exec, s[14:15]
.LBB19_1052:
	s_or_b64 exec, exec, s[0:1]
	s_mov_b32 s0, 0x41200000
	v_cmp_neq_f32_e32 vcc, s0, v7
                                        ; implicit-def: $vgpr1
	s_and_saveexec_b64 s[0:1], vcc
	s_xor_b64 s[14:15], exec, s[0:1]
	s_cbranch_execz .LBB19_1056
; %bb.1053:
	v_cvt_f64_f32_e32 v[3:4], v7
	s_mov_b32 s0, 0x85d8a000
	s_mov_b32 s1, 0x43763457
	v_mov_b32_e32 v1, 0
	v_cmp_gt_f64_e32 vcc, s[0:1], v[3:4]
	s_and_saveexec_b64 s[0:1], vcc
	s_cbranch_execz .LBB19_1055
; %bb.1054:
	v_mul_f32_e32 v1, v7, v7
	v_div_scale_f32 v3, s[16:17], v1, v1, 1.0
	v_div_scale_f32 v4, vcc, 1.0, v1, 1.0
	v_mov_b32_e32 v9, 0x3b820821
	v_rcp_f32_e32 v5, v3
	v_fma_f32 v6, -v3, v5, 1.0
	v_fmac_f32_e32 v5, v6, v5
	v_mul_f32_e32 v6, v4, v5
	v_fma_f32 v8, -v3, v6, v4
	v_fmac_f32_e32 v6, v8, v5
	v_fma_f32 v3, -v3, v6, v4
	v_div_fmas_f32 v3, v3, v5, v6
	v_mov_b32_e32 v4, 0x3daaaaab
	v_mov_b32_e32 v5, 0xbcaccacd
	;; [unrolled: 1-line block ×4, first 2 shown]
	v_div_fixup_f32 v1, v3, v1, 1.0
	v_fma_f32 v3, 0, v1, v4
	v_fmac_f32_e32 v5, v1, v3
	v_fmac_f32_e32 v6, v1, v5
	;; [unrolled: 1-line block ×4, first 2 shown]
	v_mov_b32_e32 v3, 0xbc088889
	v_fmac_f32_e32 v3, v1, v9
	v_fmac_f32_e32 v4, v1, v3
	v_mul_f32_e32 v1, v1, v4
.LBB19_1055:
	s_or_b64 exec, exec, s[0:1]
	v_div_scale_f32 v3, s[0:1], v7, v7, -0.5
	v_div_scale_f32 v4, vcc, -0.5, v7, -0.5
	s_mov_b32 s0, 0x800000
	v_cmp_gt_f32_e64 s[0:1], s0, v7
	v_cndmask_b32_e64 v6, 0, 32, s[0:1]
	s_mov_b32 s16, 0x3f317217
	v_rcp_f32_e32 v5, v3
	v_fma_f32 v8, -v3, v5, 1.0
	v_fmac_f32_e32 v5, v8, v5
	v_mul_f32_e32 v8, v4, v5
	v_fma_f32 v9, -v3, v8, v4
	v_fmac_f32_e32 v8, v9, v5
	v_fma_f32 v3, -v3, v8, v4
	v_div_fmas_f32 v3, v3, v5, v8
	v_ldexp_f32 v4, v7, v6
	v_log_f32_e32 v4, v4
	v_mul_f32_e32 v5, 0x3f317217, v4
	v_fma_f32 v5, v4, s16, -v5
	v_fmac_f32_e32 v5, 0x3377d1cf, v4
	s_mov_b32 s16, 0x7f800000
	v_fmac_f32_e32 v5, 0x3f317217, v4
	v_cmp_lt_f32_e64 vcc, |v4|, s16
	v_cndmask_b32_e32 v4, v4, v5, vcc
	v_mov_b32_e32 v5, 0x41b17218
	v_cndmask_b32_e64 v5, 0, v5, s[0:1]
	v_sub_f32_e32 v4, v4, v5
	v_div_fixup_f32 v3, v3, v7, -0.5
	v_add_f32_e32 v3, v4, v3
	v_sub_f32_e32 v1, v3, v1
	v_add_f32_e32 v1, v2, v1
                                        ; implicit-def: $vgpr2
.LBB19_1056:
	s_andn2_saveexec_b64 s[0:1], s[14:15]
; %bb.1057:
	v_add_f32_e32 v1, 0x40101cb7, v2
; %bb.1058:
	s_or_b64 exec, exec, s[0:1]
.LBB19_1059:
	s_or_b64 exec, exec, s[12:13]
                                        ; implicit-def: $vgpr7
.LBB19_1060:
	s_andn2_saveexec_b64 s[0:1], s[10:11]
; %bb.1061:
	v_xor_b32_e32 v1, 0x80000000, v7
	s_brev_b32 s10, -2
	v_mov_b32_e32 v2, 0x7f800000
	v_bfi_b32 v1, s10, v2, v1
; %bb.1062:
	s_or_b64 exec, exec, s[0:1]
	s_waitcnt lgkmcnt(0)
	v_mov_b32_e32 v2, s25
	s_and_b32 s18, s73, 0xff
	v_add_co_u32_e32 v3, vcc, s24, v0
	s_cmp_lt_i32 s18, 11
	v_addc_co_u32_e32 v4, vcc, 0, v2, vcc
	s_cbranch_scc1 .LBB19_1082
; %bb.1063:
	s_and_b32 s19, 0xffff, s18
	s_mov_b64 s[12:13], -1
	s_cmp_gt_i32 s19, 25
	s_mov_b64 s[0:1], s[52:53]
	s_cbranch_scc0 .LBB19_1100
; %bb.1064:
	s_mov_b64 s[10:11], -1
	s_cmp_gt_i32 s19, 28
	s_mov_b64 s[0:1], s[52:53]
	s_cbranch_scc0 .LBB19_1084
; %bb.1065:
	s_cmp_gt_i32 s19, 43
	s_mov_b64 s[0:1], s[52:53]
	s_cbranch_scc0 .LBB19_1076
; %bb.1066:
	s_cmp_gt_i32 s19, 45
	s_mov_b64 s[0:1], s[52:53]
	s_cbranch_scc0 .LBB19_1070
; %bb.1067:
	s_cmp_eq_u32 s19, 46
	s_mov_b64 s[0:1], -1
	s_cbranch_scc0 .LBB19_1069
; %bb.1068:
	v_bfe_u32 v0, v1, 16, 1
	s_movk_i32 s0, 0x7fff
	v_add3_u32 v0, v1, v0, s0
	v_cmp_o_f32_e32 vcc, v1, v1
	v_mov_b32_e32 v2, 0x7fc0
	v_cndmask_b32_sdwa v0, v2, v0, vcc dst_sel:DWORD dst_unused:UNUSED_PAD src0_sel:DWORD src1_sel:WORD_1
	global_store_dword v[3:4], v0, off
	s_mov_b64 s[0:1], 0
.LBB19_1069:
	s_mov_b64 s[10:11], 0
.LBB19_1070:
	s_and_b64 vcc, exec, s[10:11]
	s_cbranch_vccz .LBB19_1075
; %bb.1071:
	s_cmp_eq_u32 s19, 44
	s_mov_b64 s[0:1], -1
	s_cbranch_scc0 .LBB19_1075
; %bb.1072:
	v_bfe_u32 v0, v1, 23, 8
	s_movk_i32 s0, 0xff
	v_cmp_ne_u32_e32 vcc, s0, v0
	v_mov_b32_e32 v2, 0xff
	s_and_saveexec_b64 s[10:11], vcc
; %bb.1073:
	s_mov_b32 s0, 0x3fffff
	v_and_b32_e32 v5, 0x400000, v1
	v_and_or_b32 v0, v1, s0, v0
	v_cmp_ne_u32_e32 vcc, 0, v5
	v_cmp_ne_u32_e64 s[0:1], 0, v0
	s_and_b64 s[0:1], vcc, s[0:1]
	v_lshrrev_b32_e32 v2, 23, v1
	v_cndmask_b32_e64 v0, 0, 1, s[0:1]
	v_add_u32_e32 v2, v2, v0
; %bb.1074:
	s_or_b64 exec, exec, s[10:11]
	s_mov_b64 s[0:1], 0
	global_store_byte v[3:4], v2, off
.LBB19_1075:
	s_mov_b64 s[10:11], 0
.LBB19_1076:
	s_and_b64 vcc, exec, s[10:11]
	s_cbranch_vccz .LBB19_1083
; %bb.1077:
	s_cmp_eq_u32 s19, 29
	s_mov_b64 s[0:1], -1
	s_cbranch_scc0 .LBB19_1083
; %bb.1078:
	v_trunc_f32_e32 v0, v1
	v_mul_f32_e32 v2, 0x2f800000, v0
	v_floor_f32_e32 v2, v2
	v_fmac_f32_e32 v0, 0xcf800000, v2
	v_cvt_u32_f32_e32 v6, v2
	v_cvt_u32_f32_e32 v5, v0
	s_mov_b64 s[0:1], 0
	s_mov_b64 s[10:11], 0
	global_store_dwordx2 v[3:4], v[5:6], off
	s_branch .LBB19_1084
.LBB19_1079:
	s_or_b64 exec, exec, s[8:9]
	s_and_saveexec_b64 s[0:1], s[52:53]
	s_cbranch_execnz .LBB19_1142
.LBB19_1080:
	s_or_b64 exec, exec, s[0:1]
	s_and_saveexec_b64 s[0:1], s[12:13]
	s_xor_b64 s[0:1], exec, s[0:1]
	s_cbranch_execz .LBB19_1143
.LBB19_1081:
	v_cmp_neq_f32_e32 vcc, 0, v1
	v_cndmask_b32_e64 v0, 0, 1, vcc
	global_store_byte v[3:4], v0, off
	s_or_b64 exec, exec, s[0:1]
	s_and_saveexec_b64 s[0:1], s[10:11]
	s_xor_b64 s[0:1], exec, s[0:1]
	s_cbranch_execz .LBB19_1181
	s_branch .LBB19_1144
.LBB19_1082:
	s_mov_b64 s[12:13], 0
	s_mov_b64 s[10:11], -1
	s_mov_b64 s[0:1], s[52:53]
	s_branch .LBB19_1141
.LBB19_1083:
	s_mov_b64 s[10:11], 0
.LBB19_1084:
	s_and_b64 vcc, exec, s[10:11]
	s_cbranch_vccz .LBB19_1099
; %bb.1085:
	s_cmp_lt_i32 s19, 27
	s_mov_b64 s[10:11], -1
	s_cbranch_scc1 .LBB19_1091
; %bb.1086:
	s_cmp_gt_i32 s19, 27
	s_cbranch_scc0 .LBB19_1088
; %bb.1087:
	v_cvt_u32_f32_e32 v0, v1
	s_mov_b64 s[10:11], 0
	global_store_dword v[3:4], v0, off
.LBB19_1088:
	s_andn2_b64 vcc, exec, s[10:11]
	s_cbranch_vccnz .LBB19_1090
; %bb.1089:
	v_cvt_u32_f32_e32 v0, v1
	global_store_short v[3:4], v0, off
.LBB19_1090:
	s_mov_b64 s[10:11], 0
.LBB19_1091:
	s_andn2_b64 vcc, exec, s[10:11]
	s_cbranch_vccnz .LBB19_1099
; %bb.1092:
	v_and_b32_e32 v0, 0x7fffffff, v1
	s_mov_b32 s10, 0x43800000
	v_cmp_gt_u32_e32 vcc, s10, v0
	v_mov_b32_e32 v2, 0x80
	s_and_saveexec_b64 s[10:11], vcc
	s_cbranch_execz .LBB19_1098
; %bb.1093:
	s_mov_b32 s12, 0x3bffffff
	v_cmp_lt_u32_e32 vcc, s12, v0
	s_mov_b64 s[12:13], 0
                                        ; implicit-def: $vgpr0
	s_and_saveexec_b64 s[14:15], vcc
	s_xor_b64 s[14:15], exec, s[14:15]
	s_cbranch_execz .LBB19_1252
; %bb.1094:
	v_bfe_u32 v0, v1, 20, 1
	s_mov_b32 s16, 0x487ffff
	v_add3_u32 v0, v1, v0, s16
	s_mov_b64 s[12:13], exec
	v_lshrrev_b32_e32 v0, 20, v0
	s_andn2_saveexec_b64 s[14:15], s[14:15]
	s_cbranch_execnz .LBB19_1253
.LBB19_1095:
	s_or_b64 exec, exec, s[14:15]
	v_mov_b32_e32 v2, 0
	s_and_saveexec_b64 s[14:15], s[12:13]
.LBB19_1096:
	v_lshrrev_b32_e32 v2, 24, v1
	s_movk_i32 s12, 0x80
	v_and_or_b32 v2, v2, s12, v0
.LBB19_1097:
	s_or_b64 exec, exec, s[14:15]
.LBB19_1098:
	s_or_b64 exec, exec, s[10:11]
	global_store_byte v[3:4], v2, off
.LBB19_1099:
	s_mov_b64 s[12:13], 0
.LBB19_1100:
	s_mov_b64 s[10:11], 0
	s_and_b64 vcc, exec, s[12:13]
	s_cbranch_vccz .LBB19_1140
; %bb.1101:
	s_cmp_gt_i32 s19, 22
	s_mov_b64 s[12:13], -1
	s_cbranch_scc0 .LBB19_1133
; %bb.1102:
	s_cmp_lt_i32 s19, 24
	s_cbranch_scc1 .LBB19_1122
; %bb.1103:
	s_cmp_gt_i32 s19, 24
	s_cbranch_scc0 .LBB19_1111
; %bb.1104:
	v_and_b32_e32 v0, 0x7fffffff, v1
	s_mov_b32 s12, 0x47800000
	v_cmp_gt_u32_e32 vcc, s12, v0
	v_mov_b32_e32 v2, 0x80
	s_and_saveexec_b64 s[12:13], vcc
	s_cbranch_execz .LBB19_1110
; %bb.1105:
	s_mov_b32 s14, 0x37ffffff
	v_cmp_lt_u32_e32 vcc, s14, v0
	s_mov_b64 s[14:15], 0
                                        ; implicit-def: $vgpr0
	s_and_saveexec_b64 s[16:17], vcc
	s_xor_b64 s[16:17], exec, s[16:17]
	s_cbranch_execz .LBB19_1401
; %bb.1106:
	v_bfe_u32 v0, v1, 21, 1
	s_mov_b32 s20, 0x88fffff
	v_add3_u32 v0, v1, v0, s20
	s_mov_b64 s[14:15], exec
	v_lshrrev_b32_e32 v0, 21, v0
	s_andn2_saveexec_b64 s[16:17], s[16:17]
	s_cbranch_execnz .LBB19_1402
.LBB19_1107:
	s_or_b64 exec, exec, s[16:17]
	v_mov_b32_e32 v2, 0
	s_and_saveexec_b64 s[16:17], s[14:15]
.LBB19_1108:
	v_lshrrev_b32_e32 v2, 24, v1
	s_movk_i32 s14, 0x80
	v_and_or_b32 v2, v2, s14, v0
.LBB19_1109:
	s_or_b64 exec, exec, s[16:17]
.LBB19_1110:
	s_or_b64 exec, exec, s[12:13]
	s_mov_b64 s[12:13], 0
	global_store_byte v[3:4], v2, off
.LBB19_1111:
	s_and_b64 vcc, exec, s[12:13]
	s_cbranch_vccz .LBB19_1121
; %bb.1112:
	v_and_b32_e32 v2, 0x7fffffff, v1
	s_mov_b32 s12, 0x43f00000
	v_cmp_gt_u32_e32 vcc, s12, v2
                                        ; implicit-def: $vgpr0
	s_and_saveexec_b64 s[12:13], vcc
	s_xor_b64 s[12:13], exec, s[12:13]
	s_cbranch_execz .LBB19_1118
; %bb.1113:
	s_mov_b32 s14, 0x3c7fffff
	v_cmp_lt_u32_e32 vcc, s14, v2
                                        ; implicit-def: $vgpr0
	s_and_saveexec_b64 s[14:15], vcc
	s_xor_b64 s[14:15], exec, s[14:15]
; %bb.1114:
	v_bfe_u32 v0, v1, 20, 1
	s_mov_b32 s16, 0x407ffff
	v_add3_u32 v0, v1, v0, s16
	v_lshrrev_b32_e32 v2, 20, v0
	v_and_b32_e32 v0, 0xff00000, v0
	s_mov_b32 s16, 0x7f00000
	v_mov_b32_e32 v5, 0x7e
	v_cmp_ne_u32_e32 vcc, s16, v0
	v_cndmask_b32_e32 v0, v5, v2, vcc
; %bb.1115:
	s_andn2_saveexec_b64 s[14:15], s[14:15]
; %bb.1116:
	s_mov_b32 s16, 0x46800000
	v_add_f32_e64 v0, |v1|, s16
; %bb.1117:
	s_or_b64 exec, exec, s[14:15]
                                        ; implicit-def: $vgpr2
.LBB19_1118:
	s_andn2_saveexec_b64 s[12:13], s[12:13]
; %bb.1119:
	s_mov_b32 s14, 0x7f800000
	v_mov_b32_e32 v0, 0x7e
	v_mov_b32_e32 v5, 0x7f
	v_cmp_lt_u32_e32 vcc, s14, v2
	v_cndmask_b32_e32 v0, v0, v5, vcc
; %bb.1120:
	s_or_b64 exec, exec, s[12:13]
	v_lshrrev_b32_e32 v2, 24, v1
	s_movk_i32 s12, 0x80
	v_and_or_b32 v0, v2, s12, v0
	global_store_byte v[3:4], v0, off
.LBB19_1121:
	s_mov_b64 s[12:13], 0
.LBB19_1122:
	s_andn2_b64 vcc, exec, s[12:13]
	s_cbranch_vccnz .LBB19_1132
; %bb.1123:
	v_and_b32_e32 v2, 0x7fffffff, v1
	s_mov_b32 s12, 0x47800000
	v_cmp_gt_u32_e32 vcc, s12, v2
                                        ; implicit-def: $vgpr0
	s_and_saveexec_b64 s[12:13], vcc
	s_xor_b64 s[12:13], exec, s[12:13]
	s_cbranch_execz .LBB19_1129
; %bb.1124:
	s_mov_b32 s14, 0x387fffff
	v_cmp_lt_u32_e32 vcc, s14, v2
                                        ; implicit-def: $vgpr0
	s_and_saveexec_b64 s[14:15], vcc
	s_xor_b64 s[14:15], exec, s[14:15]
; %bb.1125:
	v_bfe_u32 v0, v1, 21, 1
	s_mov_b32 s16, 0x80fffff
	v_add3_u32 v0, v1, v0, s16
	v_lshrrev_b32_e32 v0, 21, v0
; %bb.1126:
	s_andn2_saveexec_b64 s[14:15], s[14:15]
; %bb.1127:
	s_mov_b32 s16, 0x43000000
	v_add_f32_e64 v0, |v1|, s16
; %bb.1128:
	s_or_b64 exec, exec, s[14:15]
                                        ; implicit-def: $vgpr2
.LBB19_1129:
	s_andn2_saveexec_b64 s[12:13], s[12:13]
; %bb.1130:
	s_mov_b32 s14, 0x7f800000
	v_mov_b32_e32 v0, 0x7c
	v_mov_b32_e32 v5, 0x7f
	v_cmp_lt_u32_e32 vcc, s14, v2
	v_cndmask_b32_e32 v0, v0, v5, vcc
; %bb.1131:
	s_or_b64 exec, exec, s[12:13]
	v_lshrrev_b32_e32 v2, 24, v1
	s_movk_i32 s12, 0x80
	v_and_or_b32 v0, v2, s12, v0
	global_store_byte v[3:4], v0, off
.LBB19_1132:
	s_mov_b64 s[12:13], 0
.LBB19_1133:
	s_andn2_b64 vcc, exec, s[12:13]
	s_mov_b64 s[12:13], 0
	s_cbranch_vccnz .LBB19_1141
; %bb.1134:
	s_cmp_gt_i32 s19, 14
	s_mov_b64 s[14:15], -1
	s_cbranch_scc0 .LBB19_1138
; %bb.1135:
	s_cmp_eq_u32 s19, 15
	s_mov_b64 s[0:1], -1
	s_cbranch_scc0 .LBB19_1137
; %bb.1136:
	v_bfe_u32 v0, v1, 16, 1
	s_movk_i32 s0, 0x7fff
	v_add3_u32 v0, v1, v0, s0
	v_cmp_o_f32_e32 vcc, v1, v1
	v_mov_b32_e32 v2, 0x7fc0
	v_cndmask_b32_sdwa v0, v2, v0, vcc dst_sel:DWORD dst_unused:UNUSED_PAD src0_sel:DWORD src1_sel:WORD_1
	global_store_short v[3:4], v0, off
	s_mov_b64 s[0:1], 0
.LBB19_1137:
	s_mov_b64 s[14:15], 0
.LBB19_1138:
	s_and_b64 vcc, exec, s[14:15]
	s_cbranch_vccz .LBB19_1141
; %bb.1139:
	s_cmp_lg_u32 s19, 11
	s_cselect_b64 s[14:15], -1, 0
	s_andn2_b64 s[0:1], s[0:1], exec
	s_and_b64 s[14:15], s[14:15], exec
	s_mov_b64 s[12:13], -1
	s_or_b64 s[0:1], s[0:1], s[14:15]
	s_branch .LBB19_1141
.LBB19_1140:
	s_mov_b64 s[12:13], 0
.LBB19_1141:
	s_andn2_b64 s[14:15], s[52:53], exec
	s_and_b64 s[0:1], s[0:1], exec
	s_and_b64 s[10:11], s[10:11], exec
	;; [unrolled: 1-line block ×3, first 2 shown]
	s_or_b64 s[52:53], s[14:15], s[0:1]
	s_or_b64 exec, exec, s[8:9]
	s_and_saveexec_b64 s[0:1], s[52:53]
	s_cbranch_execz .LBB19_1080
.LBB19_1142:
	s_or_b64 s[2:3], s[2:3], exec
	s_andn2_b64 s[12:13], s[12:13], exec
	s_trap 2
	s_or_b64 exec, exec, s[0:1]
	s_and_saveexec_b64 s[0:1], s[12:13]
	s_xor_b64 s[0:1], exec, s[0:1]
	s_cbranch_execnz .LBB19_1081
.LBB19_1143:
	s_or_b64 exec, exec, s[0:1]
	s_and_saveexec_b64 s[0:1], s[10:11]
	s_xor_b64 s[0:1], exec, s[0:1]
	s_cbranch_execz .LBB19_1181
.LBB19_1144:
	s_sext_i32_i16 s10, s18
	s_cmp_lt_i32 s10, 5
	s_mov_b64 s[8:9], -1
	s_cbranch_scc1 .LBB19_1165
; %bb.1145:
	s_cmp_lt_i32 s10, 8
	s_cbranch_scc1 .LBB19_1155
; %bb.1146:
	s_cmp_lt_i32 s10, 9
	s_cbranch_scc1 .LBB19_1152
; %bb.1147:
	s_cmp_gt_i32 s10, 9
	s_cbranch_scc0 .LBB19_1149
; %bb.1148:
	v_cvt_f64_f32_e32 v[5:6], v1
	s_waitcnt vmcnt(0)
	v_mov_b32_e32 v7, 0
	v_mov_b32_e32 v8, v7
	s_mov_b64 s[8:9], 0
	global_store_dwordx4 v[3:4], v[5:8], off
.LBB19_1149:
	s_andn2_b64 vcc, exec, s[8:9]
	s_cbranch_vccnz .LBB19_1151
; %bb.1150:
	v_mov_b32_e32 v2, 0
	global_store_dwordx2 v[3:4], v[1:2], off
.LBB19_1151:
	s_mov_b64 s[8:9], 0
.LBB19_1152:
	s_andn2_b64 vcc, exec, s[8:9]
	s_cbranch_vccnz .LBB19_1154
; %bb.1153:
	v_cvt_f16_f32_e32 v0, v1
	global_store_dword v[3:4], v0, off
.LBB19_1154:
	s_mov_b64 s[8:9], 0
.LBB19_1155:
	s_andn2_b64 vcc, exec, s[8:9]
	s_cbranch_vccnz .LBB19_1164
; %bb.1156:
	s_sext_i32_i16 s10, s18
	s_cmp_lt_i32 s10, 6
	s_mov_b64 s[8:9], -1
	s_cbranch_scc1 .LBB19_1162
; %bb.1157:
	s_cmp_gt_i32 s10, 6
	s_cbranch_scc0 .LBB19_1159
; %bb.1158:
	v_cvt_f64_f32_e32 v[5:6], v1
	s_mov_b64 s[8:9], 0
	global_store_dwordx2 v[3:4], v[5:6], off
.LBB19_1159:
	s_andn2_b64 vcc, exec, s[8:9]
	s_cbranch_vccnz .LBB19_1161
; %bb.1160:
	global_store_dword v[3:4], v1, off
.LBB19_1161:
	s_mov_b64 s[8:9], 0
.LBB19_1162:
	s_andn2_b64 vcc, exec, s[8:9]
	s_cbranch_vccnz .LBB19_1164
; %bb.1163:
	v_cvt_f16_f32_e32 v0, v1
	global_store_short v[3:4], v0, off
.LBB19_1164:
	s_mov_b64 s[8:9], 0
.LBB19_1165:
	s_andn2_b64 vcc, exec, s[8:9]
	s_cbranch_vccnz .LBB19_1181
; %bb.1166:
	s_sext_i32_i16 s10, s18
	s_cmp_lt_i32 s10, 2
	s_mov_b64 s[8:9], -1
	s_cbranch_scc1 .LBB19_1176
; %bb.1167:
	s_cmp_lt_i32 s10, 3
	s_cbranch_scc1 .LBB19_1173
; %bb.1168:
	s_cmp_gt_i32 s10, 3
	s_cbranch_scc0 .LBB19_1170
; %bb.1169:
	v_trunc_f32_e32 v0, v1
	s_mov_b32 s8, 0x2f800000
	v_mul_f32_e64 v2, |v0|, s8
	v_floor_f32_e32 v2, v2
	s_mov_b32 s8, 0xcf800000
	v_cvt_u32_f32_e32 v5, v2
	v_fma_f32 v2, v2, s8, |v0|
	v_cvt_u32_f32_e32 v2, v2
	v_ashrrev_i32_e32 v0, 31, v0
	v_xor_b32_e32 v6, v5, v0
	s_mov_b64 s[8:9], 0
	v_xor_b32_e32 v2, v2, v0
	v_sub_co_u32_e32 v5, vcc, v2, v0
	v_subb_co_u32_e32 v6, vcc, v6, v0, vcc
	global_store_dwordx2 v[3:4], v[5:6], off
.LBB19_1170:
	s_andn2_b64 vcc, exec, s[8:9]
	s_cbranch_vccnz .LBB19_1172
; %bb.1171:
	v_cvt_i32_f32_e32 v0, v1
	global_store_dword v[3:4], v0, off
.LBB19_1172:
	s_mov_b64 s[8:9], 0
.LBB19_1173:
	s_andn2_b64 vcc, exec, s[8:9]
	s_cbranch_vccnz .LBB19_1175
; %bb.1174:
	v_cvt_i32_f32_e32 v0, v1
	global_store_short v[3:4], v0, off
.LBB19_1175:
	s_mov_b64 s[8:9], 0
.LBB19_1176:
	s_andn2_b64 vcc, exec, s[8:9]
	s_cbranch_vccnz .LBB19_1181
; %bb.1177:
	s_sext_i32_i16 s8, s18
	s_cmp_gt_i32 s8, 0
	s_mov_b64 s[8:9], -1
	s_cbranch_scc0 .LBB19_1179
; %bb.1178:
	v_cvt_i32_f32_e32 v0, v1
	s_mov_b64 s[8:9], 0
	global_store_byte v[3:4], v0, off
.LBB19_1179:
	s_andn2_b64 vcc, exec, s[8:9]
	s_cbranch_vccnz .LBB19_1181
; %bb.1180:
	v_trunc_f32_e32 v0, v1
	s_mov_b32 s8, 0x2f800000
	v_mul_f32_e64 v1, |v0|, s8
	v_floor_f32_e32 v1, v1
	s_mov_b32 s8, 0xcf800000
	v_fma_f32 v1, v1, s8, |v0|
	v_cvt_u32_f32_e32 v1, v1
	v_ashrrev_i32_e32 v0, 31, v0
	v_xor_b32_e32 v1, v1, v0
	v_sub_u32_e32 v0, v1, v0
	global_store_byte v[3:4], v0, off
.LBB19_1181:
	s_or_b64 exec, exec, s[0:1]
	s_waitcnt lgkmcnt(0)
	s_and_b64 s[28:29], s[2:3], exec
                                        ; implicit-def: $vgpr15
                                        ; implicit-def: $vgpr8
.LBB19_1182:
	s_or_saveexec_b64 s[30:31], s[42:43]
	s_mov_b64 s[0:1], 0
                                        ; implicit-def: $vgpr0_vgpr1
                                        ; implicit-def: $sgpr14
                                        ; implicit-def: $vgpr7
	s_xor_b64 exec, exec, s[30:31]
	s_cbranch_execz .LBB19_1928
; %bb.1183:
	v_cndmask_b32_e64 v0, 0, 1, s[40:41]
	v_cmp_ne_u32_e64 s[0:1], 1, v0
	s_andn2_b64 vcc, exec, s[40:41]
	s_cbranch_vccnz .LBB19_1189
; %bb.1184:
	s_cmp_lg_u32 s33, 0
	s_mov_b32 s36, 0
	s_cbranch_scc0 .LBB19_1190
; %bb.1185:
	s_min_u32 s37, s72, 15
	s_add_i32 s37, s37, 1
	s_cmp_eq_u32 s72, 2
	s_cbranch_scc1 .LBB19_1191
; %bb.1186:
	s_and_b32 s36, s37, 28
	s_add_u32 s2, s34, 0xc4
	s_addc_u32 s3, s35, 0
	v_mov_b32_e32 v13, 0
	s_mov_b32 s38, 0
	s_mov_b64 s[6:7], s[34:35]
	v_mov_b32_e32 v6, 0
	v_mov_b32_e32 v0, v8
.LBB19_1187:                            ; =>This Inner Loop Header: Depth=1
	s_load_dwordx8 s[16:23], s[6:7], 0x4
	s_load_dwordx4 s[24:27], s[6:7], 0x24
	s_load_dwordx8 s[8:15], s[2:3], 0x0
	s_add_u32 s6, s6, 48
	s_addc_u32 s7, s7, 0
	s_waitcnt lgkmcnt(0)
	v_mul_hi_u32 v1, s17, v0
	s_add_i32 s38, s38, 4
	s_add_u32 s2, s2, 32
	s_addc_u32 s3, s3, 0
	v_add_u32_e32 v1, v0, v1
	v_lshrrev_b32_e32 v1, s18, v1
	v_mul_lo_u32 v2, v1, s16
	v_mul_hi_u32 v3, s20, v1
	s_cmp_lg_u32 s36, s38
	v_sub_u32_e32 v0, v0, v2
	v_add_u32_e32 v2, v1, v3
	v_mul_lo_u32 v3, v0, s8
	v_mul_lo_u32 v4, v0, s9
	v_lshrrev_b32_e32 v0, s21, v2
	v_mul_lo_u32 v2, v0, s19
	v_mul_hi_u32 v5, s23, v0
	v_sub_u32_e32 v1, v1, v2
	v_add_u32_e32 v2, v0, v5
	v_lshrrev_b32_e32 v2, s24, v2
	s_waitcnt vmcnt(0)
	v_mul_hi_u32 v7, s26, v2
	v_mul_lo_u32 v9, v2, s22
	v_mul_lo_u32 v5, v1, s10
	;; [unrolled: 1-line block ×3, first 2 shown]
	v_sub_u32_e32 v9, v0, v9
	v_add_u32_e32 v0, v2, v7
	v_lshrrev_b32_e32 v0, s27, v0
	v_mul_lo_u32 v7, v0, s25
	v_mul_lo_u32 v10, v9, s12
	;; [unrolled: 1-line block ×3, first 2 shown]
	v_add3_u32 v3, v3, v6, v5
	v_sub_u32_e32 v2, v2, v7
	v_mul_lo_u32 v7, v2, s14
	v_mul_lo_u32 v2, v2, s15
	v_add3_u32 v1, v4, v13, v1
	v_add3_u32 v6, v10, v3, v7
	;; [unrolled: 1-line block ×3, first 2 shown]
	s_cbranch_scc1 .LBB19_1187
; %bb.1188:
	s_and_b32 s8, s37, 3
	s_cmp_eq_u32 s8, 0
	s_cbranch_scc0 .LBB19_1192
	s_branch .LBB19_1194
.LBB19_1189:
                                        ; implicit-def: $vgpr6
                                        ; implicit-def: $vgpr13
	s_branch .LBB19_1195
.LBB19_1190:
	v_mov_b32_e32 v6, 0
	v_mov_b32_e32 v13, 0
	s_branch .LBB19_1194
.LBB19_1191:
	v_mov_b32_e32 v6, 0
	v_mov_b32_e32 v13, 0
	;; [unrolled: 1-line block ×3, first 2 shown]
	s_and_b32 s8, s37, 3
	s_cmp_eq_u32 s8, 0
	s_cbranch_scc1 .LBB19_1194
.LBB19_1192:
	s_lshl_b32 s2, s36, 3
	s_add_u32 s2, s34, s2
	s_addc_u32 s3, s35, 0
	s_add_u32 s2, s2, 0xc4
	s_addc_u32 s3, s3, 0
	s_mul_i32 s6, s36, 12
	s_add_u32 s6, s34, s6
	s_addc_u32 s7, s35, 0
.LBB19_1193:                            ; =>This Inner Loop Header: Depth=1
	s_load_dwordx2 s[10:11], s[6:7], 0x4
	s_load_dword s9, s[6:7], 0xc
	s_load_dwordx2 s[12:13], s[2:3], 0x0
	s_add_u32 s6, s6, 12
	s_addc_u32 s7, s7, 0
	s_waitcnt lgkmcnt(0)
	v_mul_hi_u32 v1, s11, v0
	s_add_u32 s2, s2, 8
	s_addc_u32 s3, s3, 0
	s_add_i32 s8, s8, -1
	v_add_u32_e32 v1, v0, v1
	v_lshrrev_b32_e32 v1, s9, v1
	v_mul_lo_u32 v2, v1, s10
	s_cmp_lg_u32 s8, 0
	v_sub_u32_e32 v0, v0, v2
	s_waitcnt vmcnt(0)
	v_mad_u64_u32 v[6:7], s[10:11], v0, s12, v[6:7]
	v_mad_u64_u32 v[13:14], s[10:11], v0, s13, v[13:14]
	v_mov_b32_e32 v0, v1
	s_cbranch_scc1 .LBB19_1193
.LBB19_1194:
	s_cbranch_execnz .LBB19_1197
.LBB19_1195:
	s_load_dwordx4 s[8:11], s[34:35], 0x4
	s_load_dwordx2 s[2:3], s[34:35], 0xc4
	s_cmp_lt_u32 s33, 2
	s_waitcnt lgkmcnt(0)
	v_mul_hi_u32 v0, s9, v8
	v_add_u32_e32 v0, v8, v0
	v_lshrrev_b32_e32 v0, s10, v0
	v_mul_lo_u32 v1, v0, s8
	v_sub_u32_e32 v1, v8, v1
	v_mul_lo_u32 v6, v1, s2
	v_mul_lo_u32 v13, v1, s3
	s_cbranch_scc1 .LBB19_1197
; %bb.1196:
	s_load_dwordx4 s[8:11], s[34:35], 0x10
	s_load_dwordx2 s[2:3], s[34:35], 0xcc
	s_waitcnt lgkmcnt(0)
	v_mul_hi_u32 v1, s9, v0
	v_add_u32_e32 v1, v0, v1
	v_lshrrev_b32_e32 v1, s10, v1
	v_mul_lo_u32 v1, v1, s8
	v_sub_u32_e32 v0, v0, v1
	s_waitcnt vmcnt(0)
	v_mad_u64_u32 v[6:7], s[6:7], v0, s2, v[6:7]
	v_mad_u64_u32 v[13:14], s[2:3], v0, s3, v[13:14]
.LBB19_1197:
	s_and_b64 vcc, exec, s[0:1]
	v_add_u32_e32 v0, 0x80, v8
	s_cbranch_vccnz .LBB19_1203
; %bb.1198:
	s_cmp_lg_u32 s33, 0
	s_mov_b32 s36, 0
	s_cbranch_scc0 .LBB19_1204
; %bb.1199:
	s_min_u32 s37, s72, 15
	s_add_i32 s37, s37, 1
	s_cmp_eq_u32 s72, 2
	s_cbranch_scc1 .LBB19_1205
; %bb.1200:
	s_and_b32 s36, s37, 28
	s_add_u32 s2, s34, 0xc4
	s_addc_u32 s3, s35, 0
	v_mov_b32_e32 v11, 0
	s_mov_b32 s38, 0
	s_mov_b64 s[6:7], s[34:35]
	v_mov_b32_e32 v4, 0
	v_mov_b32_e32 v1, v0
.LBB19_1201:                            ; =>This Inner Loop Header: Depth=1
	s_load_dwordx8 s[16:23], s[6:7], 0x4
	s_load_dwordx4 s[24:27], s[6:7], 0x24
	s_load_dwordx8 s[8:15], s[2:3], 0x0
	s_add_u32 s6, s6, 48
	s_addc_u32 s7, s7, 0
	s_waitcnt lgkmcnt(0)
	v_mul_hi_u32 v2, s17, v1
	s_add_i32 s38, s38, 4
	s_add_u32 s2, s2, 32
	s_addc_u32 s3, s3, 0
	v_add_u32_e32 v2, v1, v2
	v_lshrrev_b32_e32 v2, s18, v2
	v_mul_lo_u32 v3, v2, s16
	v_mul_hi_u32 v5, s20, v2
	s_cmp_lg_u32 s36, s38
	v_sub_u32_e32 v1, v1, v3
	v_add_u32_e32 v3, v2, v5
	v_mul_lo_u32 v5, v1, s8
	s_waitcnt vmcnt(0)
	v_mul_lo_u32 v7, v1, s9
	v_lshrrev_b32_e32 v1, s21, v3
	v_mul_lo_u32 v3, v1, s19
	v_mul_hi_u32 v9, s23, v1
	v_sub_u32_e32 v2, v2, v3
	v_add_u32_e32 v3, v1, v9
	v_lshrrev_b32_e32 v3, s24, v3
	v_mul_hi_u32 v10, s26, v3
	v_mul_lo_u32 v12, v3, s22
	v_mul_lo_u32 v9, v2, s10
	v_mul_lo_u32 v2, v2, s11
	v_sub_u32_e32 v12, v1, v12
	v_add_u32_e32 v1, v3, v10
	v_lshrrev_b32_e32 v1, s27, v1
	v_mul_lo_u32 v10, v1, s25
	v_mul_lo_u32 v14, v12, s12
	;; [unrolled: 1-line block ×3, first 2 shown]
	v_add3_u32 v4, v5, v4, v9
	v_sub_u32_e32 v3, v3, v10
	v_mul_lo_u32 v10, v3, s14
	v_mul_lo_u32 v3, v3, s15
	v_add3_u32 v2, v7, v11, v2
	v_add3_u32 v4, v14, v4, v10
	;; [unrolled: 1-line block ×3, first 2 shown]
	s_cbranch_scc1 .LBB19_1201
; %bb.1202:
	s_and_b32 s8, s37, 3
	s_cmp_eq_u32 s8, 0
	s_cbranch_scc0 .LBB19_1206
	s_branch .LBB19_1208
.LBB19_1203:
                                        ; implicit-def: $vgpr4
                                        ; implicit-def: $vgpr11
	s_branch .LBB19_1209
.LBB19_1204:
	v_mov_b32_e32 v4, 0
	v_mov_b32_e32 v11, 0
	s_branch .LBB19_1208
.LBB19_1205:
	v_mov_b32_e32 v4, 0
	v_mov_b32_e32 v11, 0
	;; [unrolled: 1-line block ×3, first 2 shown]
	s_and_b32 s8, s37, 3
	s_cmp_eq_u32 s8, 0
	s_cbranch_scc1 .LBB19_1208
.LBB19_1206:
	s_lshl_b32 s2, s36, 3
	s_add_u32 s2, s34, s2
	s_addc_u32 s3, s35, 0
	s_add_u32 s2, s2, 0xc4
	s_addc_u32 s3, s3, 0
	s_mul_i32 s6, s36, 12
	s_add_u32 s6, s34, s6
	s_addc_u32 s7, s35, 0
.LBB19_1207:                            ; =>This Inner Loop Header: Depth=1
	s_load_dwordx2 s[10:11], s[6:7], 0x4
	s_load_dword s9, s[6:7], 0xc
	s_load_dwordx2 s[12:13], s[2:3], 0x0
	s_add_u32 s6, s6, 12
	s_addc_u32 s7, s7, 0
	s_waitcnt lgkmcnt(0)
	v_mul_hi_u32 v2, s11, v1
	s_add_u32 s2, s2, 8
	s_addc_u32 s3, s3, 0
	s_add_i32 s8, s8, -1
	v_add_u32_e32 v2, v1, v2
	v_lshrrev_b32_e32 v2, s9, v2
	v_mul_lo_u32 v3, v2, s10
	s_cmp_lg_u32 s8, 0
	v_sub_u32_e32 v1, v1, v3
	v_mad_u64_u32 v[4:5], s[10:11], v1, s12, v[4:5]
	v_mad_u64_u32 v[11:12], s[10:11], v1, s13, v[11:12]
	v_mov_b32_e32 v1, v2
	s_cbranch_scc1 .LBB19_1207
.LBB19_1208:
	s_cbranch_execnz .LBB19_1211
.LBB19_1209:
	s_load_dwordx4 s[8:11], s[34:35], 0x4
	s_load_dwordx2 s[2:3], s[34:35], 0xc4
	s_cmp_lt_u32 s33, 2
	s_waitcnt lgkmcnt(0)
	v_mul_hi_u32 v1, s9, v0
	v_add_u32_e32 v1, v0, v1
	v_lshrrev_b32_e32 v1, s10, v1
	v_mul_lo_u32 v2, v1, s8
	v_sub_u32_e32 v0, v0, v2
	v_mul_lo_u32 v4, v0, s2
	v_mul_lo_u32 v11, v0, s3
	s_cbranch_scc1 .LBB19_1211
; %bb.1210:
	s_load_dwordx4 s[8:11], s[34:35], 0x10
	s_load_dwordx2 s[2:3], s[34:35], 0xcc
	s_waitcnt lgkmcnt(0)
	v_mul_hi_u32 v0, s9, v1
	v_add_u32_e32 v0, v1, v0
	v_lshrrev_b32_e32 v0, s10, v0
	v_mul_lo_u32 v0, v0, s8
	v_sub_u32_e32 v0, v1, v0
	v_mad_u64_u32 v[4:5], s[6:7], v0, s2, v[4:5]
	v_mad_u64_u32 v[11:12], s[2:3], v0, s3, v[11:12]
.LBB19_1211:
	s_and_b64 vcc, exec, s[0:1]
	v_add_u32_e32 v0, 0x100, v8
	s_cbranch_vccnz .LBB19_1217
; %bb.1212:
	s_cmp_lg_u32 s33, 0
	s_mov_b32 s36, 0
	s_cbranch_scc0 .LBB19_1218
; %bb.1213:
	s_min_u32 s37, s72, 15
	s_add_i32 s37, s37, 1
	s_cmp_eq_u32 s72, 2
	s_cbranch_scc1 .LBB19_1219
; %bb.1214:
	s_and_b32 s36, s37, 28
	s_add_u32 s2, s34, 0xc4
	s_addc_u32 s3, s35, 0
	v_mov_b32_e32 v9, 0
	s_mov_b32 s38, 0
	s_mov_b64 s[6:7], s[34:35]
	v_mov_b32_e32 v2, 0
	v_mov_b32_e32 v1, v0
.LBB19_1215:                            ; =>This Inner Loop Header: Depth=1
	s_load_dwordx8 s[16:23], s[6:7], 0x4
	s_load_dwordx4 s[24:27], s[6:7], 0x24
	s_load_dwordx8 s[8:15], s[2:3], 0x0
	s_add_u32 s6, s6, 48
	s_addc_u32 s7, s7, 0
	s_waitcnt lgkmcnt(0)
	v_mul_hi_u32 v3, s17, v1
	s_add_i32 s38, s38, 4
	s_add_u32 s2, s2, 32
	s_addc_u32 s3, s3, 0
	v_add_u32_e32 v3, v1, v3
	v_lshrrev_b32_e32 v3, s18, v3
	v_mul_lo_u32 v5, v3, s16
	s_waitcnt vmcnt(0)
	v_mul_hi_u32 v7, s20, v3
	s_cmp_lg_u32 s36, s38
	v_sub_u32_e32 v1, v1, v5
	v_add_u32_e32 v5, v3, v7
	v_mul_lo_u32 v7, v1, s8
	v_mul_lo_u32 v8, v1, s9
	v_lshrrev_b32_e32 v1, s21, v5
	v_mul_lo_u32 v5, v1, s19
	v_mul_hi_u32 v10, s23, v1
	v_sub_u32_e32 v3, v3, v5
	v_add_u32_e32 v5, v1, v10
	v_lshrrev_b32_e32 v5, s24, v5
	v_mul_hi_u32 v12, s26, v5
	v_mul_lo_u32 v14, v5, s22
	v_mul_lo_u32 v10, v3, s10
	;; [unrolled: 1-line block ×3, first 2 shown]
	v_sub_u32_e32 v14, v1, v14
	v_add_u32_e32 v1, v5, v12
	v_lshrrev_b32_e32 v1, s27, v1
	v_mul_lo_u32 v12, v1, s25
	v_mul_lo_u32 v16, v14, s12
	;; [unrolled: 1-line block ×3, first 2 shown]
	v_add3_u32 v2, v7, v2, v10
	v_sub_u32_e32 v5, v5, v12
	v_mul_lo_u32 v12, v5, s14
	v_mul_lo_u32 v5, v5, s15
	v_add3_u32 v3, v8, v9, v3
	v_add3_u32 v2, v16, v2, v12
	;; [unrolled: 1-line block ×3, first 2 shown]
	s_cbranch_scc1 .LBB19_1215
; %bb.1216:
	s_and_b32 s8, s37, 3
	s_cmp_eq_u32 s8, 0
	s_cbranch_scc0 .LBB19_1220
	s_branch .LBB19_1222
.LBB19_1217:
                                        ; implicit-def: $vgpr2
                                        ; implicit-def: $vgpr9
	s_branch .LBB19_1223
.LBB19_1218:
	v_mov_b32_e32 v2, 0
	v_mov_b32_e32 v9, 0
	s_branch .LBB19_1222
.LBB19_1219:
	v_mov_b32_e32 v2, 0
	v_mov_b32_e32 v9, 0
	;; [unrolled: 1-line block ×3, first 2 shown]
	s_and_b32 s8, s37, 3
	s_cmp_eq_u32 s8, 0
	s_cbranch_scc1 .LBB19_1222
.LBB19_1220:
	s_lshl_b32 s2, s36, 3
	s_add_u32 s2, s34, s2
	s_addc_u32 s3, s35, 0
	s_add_u32 s2, s2, 0xc4
	s_addc_u32 s3, s3, 0
	s_mul_i32 s6, s36, 12
	s_add_u32 s6, s34, s6
	s_addc_u32 s7, s35, 0
.LBB19_1221:                            ; =>This Inner Loop Header: Depth=1
	s_load_dwordx2 s[10:11], s[6:7], 0x4
	s_load_dword s9, s[6:7], 0xc
	s_load_dwordx2 s[12:13], s[2:3], 0x0
	s_add_u32 s6, s6, 12
	s_addc_u32 s7, s7, 0
	s_waitcnt lgkmcnt(0)
	v_mul_hi_u32 v3, s11, v1
	s_add_u32 s2, s2, 8
	s_addc_u32 s3, s3, 0
	s_add_i32 s8, s8, -1
	v_add_u32_e32 v3, v1, v3
	v_lshrrev_b32_e32 v5, s9, v3
	v_mul_lo_u32 v3, v5, s10
	s_cmp_lg_u32 s8, 0
	v_sub_u32_e32 v1, v1, v3
	v_mad_u64_u32 v[2:3], s[10:11], v1, s12, v[2:3]
	v_mad_u64_u32 v[9:10], s[10:11], v1, s13, v[9:10]
	v_mov_b32_e32 v1, v5
	s_cbranch_scc1 .LBB19_1221
.LBB19_1222:
	s_cbranch_execnz .LBB19_1225
.LBB19_1223:
	s_load_dwordx4 s[8:11], s[34:35], 0x4
	s_load_dwordx2 s[2:3], s[34:35], 0xc4
	s_cmp_lt_u32 s33, 2
	s_waitcnt lgkmcnt(0)
	v_mul_hi_u32 v1, s9, v0
	v_add_u32_e32 v1, v0, v1
	v_lshrrev_b32_e32 v1, s10, v1
	v_mul_lo_u32 v2, v1, s8
	v_sub_u32_e32 v0, v0, v2
	v_mul_lo_u32 v2, v0, s2
	v_mul_lo_u32 v9, v0, s3
	s_cbranch_scc1 .LBB19_1225
; %bb.1224:
	s_load_dwordx4 s[8:11], s[34:35], 0x10
	s_load_dwordx2 s[2:3], s[34:35], 0xcc
	s_waitcnt lgkmcnt(0)
	v_mul_hi_u32 v0, s9, v1
	v_add_u32_e32 v0, v1, v0
	v_lshrrev_b32_e32 v0, s10, v0
	v_mul_lo_u32 v0, v0, s8
	v_sub_u32_e32 v0, v1, v0
	v_mad_u64_u32 v[2:3], s[6:7], v0, s2, v[2:3]
	v_mad_u64_u32 v[9:10], s[2:3], v0, s3, v[9:10]
.LBB19_1225:
	s_and_b64 vcc, exec, s[0:1]
	s_cbranch_vccnz .LBB19_1231
; %bb.1226:
	s_cmp_lg_u32 s33, 0
	s_mov_b32 s26, 0
	s_cbranch_scc0 .LBB19_1232
; %bb.1227:
	s_min_u32 s27, s72, 15
	s_add_i32 s27, s27, 1
	s_cmp_eq_u32 s72, 2
	s_cbranch_scc1 .LBB19_1233
; %bb.1228:
	s_and_b32 s26, s27, 28
	s_add_u32 s6, s34, 0xc4
	s_addc_u32 s7, s35, 0
	s_waitcnt vmcnt(0)
	v_mov_b32_e32 v7, 0
	s_mov_b32 s36, 0
	s_mov_b64 s[24:25], s[34:35]
	v_mov_b32_e32 v0, 0
	v_mov_b32_e32 v1, v15
.LBB19_1229:                            ; =>This Inner Loop Header: Depth=1
	s_load_dwordx8 s[16:23], s[24:25], 0x4
	s_load_dwordx4 s[0:3], s[24:25], 0x24
	s_load_dwordx8 s[8:15], s[6:7], 0x0
	s_add_u32 s24, s24, 48
	s_addc_u32 s25, s25, 0
	s_waitcnt lgkmcnt(0)
	v_mul_hi_u32 v3, s17, v1
	s_add_i32 s36, s36, 4
	s_add_u32 s6, s6, 32
	s_addc_u32 s7, s7, 0
	v_add_u32_e32 v3, v1, v3
	v_lshrrev_b32_e32 v3, s18, v3
	v_mul_lo_u32 v5, v3, s16
	v_mul_hi_u32 v8, s20, v3
	s_cmp_lg_u32 s26, s36
	v_sub_u32_e32 v1, v1, v5
	v_add_u32_e32 v5, v3, v8
	v_mul_lo_u32 v8, v1, s8
	v_mul_lo_u32 v10, v1, s9
	v_lshrrev_b32_e32 v1, s21, v5
	v_mul_lo_u32 v5, v1, s19
	v_mul_hi_u32 v12, s23, v1
	v_sub_u32_e32 v3, v3, v5
	v_add_u32_e32 v5, v1, v12
	v_lshrrev_b32_e32 v5, s0, v5
	v_mul_hi_u32 v14, s2, v5
	v_mul_lo_u32 v16, v5, s22
	v_mul_lo_u32 v12, v3, s10
	;; [unrolled: 1-line block ×3, first 2 shown]
	v_sub_u32_e32 v16, v1, v16
	v_add_u32_e32 v1, v5, v14
	v_lshrrev_b32_e32 v1, s3, v1
	v_mul_lo_u32 v14, v1, s1
	v_mul_lo_u32 v17, v16, s12
	;; [unrolled: 1-line block ×3, first 2 shown]
	v_add3_u32 v0, v8, v0, v12
	v_sub_u32_e32 v5, v5, v14
	v_mul_lo_u32 v14, v5, s14
	v_mul_lo_u32 v5, v5, s15
	v_add3_u32 v3, v10, v7, v3
	v_add3_u32 v0, v17, v0, v14
	;; [unrolled: 1-line block ×3, first 2 shown]
	s_cbranch_scc1 .LBB19_1229
; %bb.1230:
	s_and_b32 s6, s27, 3
	s_cmp_eq_u32 s6, 0
	s_cbranch_scc0 .LBB19_1234
	s_branch .LBB19_1236
.LBB19_1231:
                                        ; implicit-def: $vgpr0
                                        ; implicit-def: $vgpr7
	s_branch .LBB19_1237
.LBB19_1232:
	v_mov_b32_e32 v0, 0
	s_waitcnt vmcnt(0)
	v_mov_b32_e32 v7, 0
	s_branch .LBB19_1236
.LBB19_1233:
	v_mov_b32_e32 v0, 0
	s_waitcnt vmcnt(0)
	v_mov_b32_e32 v7, 0
	v_mov_b32_e32 v1, v15
	s_and_b32 s6, s27, 3
	s_cmp_eq_u32 s6, 0
	s_cbranch_scc1 .LBB19_1236
.LBB19_1234:
	s_lshl_b32 s0, s26, 3
	s_add_u32 s0, s34, s0
	s_addc_u32 s1, s35, 0
	s_add_u32 s0, s0, 0xc4
	s_addc_u32 s1, s1, 0
	s_mul_i32 s2, s26, 12
	s_add_u32 s2, s34, s2
	s_addc_u32 s3, s35, 0
.LBB19_1235:                            ; =>This Inner Loop Header: Depth=1
	s_load_dwordx2 s[8:9], s[2:3], 0x4
	s_load_dword s7, s[2:3], 0xc
	s_load_dwordx2 s[10:11], s[0:1], 0x0
	s_add_u32 s2, s2, 12
	s_addc_u32 s3, s3, 0
	s_waitcnt lgkmcnt(0)
	v_mul_hi_u32 v3, s9, v1
	s_add_u32 s0, s0, 8
	s_addc_u32 s1, s1, 0
	s_add_i32 s6, s6, -1
	v_add_u32_e32 v3, v1, v3
	v_lshrrev_b32_e32 v3, s7, v3
	v_mul_lo_u32 v5, v3, s8
	s_cmp_lg_u32 s6, 0
	v_sub_u32_e32 v5, v1, v5
	v_mad_u64_u32 v[0:1], s[8:9], v5, s10, v[0:1]
	v_mad_u64_u32 v[7:8], s[8:9], v5, s11, v[7:8]
	v_mov_b32_e32 v1, v3
	s_cbranch_scc1 .LBB19_1235
.LBB19_1236:
	s_cbranch_execnz .LBB19_1239
.LBB19_1237:
	s_load_dwordx4 s[0:3], s[34:35], 0x4
	s_load_dwordx2 s[6:7], s[34:35], 0xc4
	s_cmp_lt_u32 s33, 2
	s_waitcnt lgkmcnt(0)
	v_mul_hi_u32 v0, s1, v15
	v_add_u32_e32 v0, v15, v0
	v_lshrrev_b32_e32 v1, s2, v0
	v_mul_lo_u32 v0, v1, s0
	v_sub_u32_e32 v3, v15, v0
	v_mul_lo_u32 v0, v3, s6
	s_waitcnt vmcnt(0)
	v_mul_lo_u32 v7, v3, s7
	s_cbranch_scc1 .LBB19_1239
; %bb.1238:
	s_load_dwordx4 s[0:3], s[34:35], 0x10
	s_load_dwordx2 s[6:7], s[34:35], 0xcc
	s_waitcnt lgkmcnt(0)
	v_mul_hi_u32 v3, s1, v1
	v_add_u32_e32 v3, v1, v3
	v_lshrrev_b32_e32 v3, s2, v3
	v_mul_lo_u32 v3, v3, s0
	v_sub_u32_e32 v3, v1, v3
	v_mad_u64_u32 v[0:1], s[0:1], v3, s6, v[0:1]
	v_mad_u64_u32 v[7:8], s[0:1], v3, s7, v[7:8]
.LBB19_1239:
	s_load_dwordx4 s[8:11], s[34:35], 0x148
	s_load_dword s18, s[4:5], 0x160
	s_waitcnt lgkmcnt(0)
	v_mov_b32_e32 v1, s11
	s_bfe_u32 s14, s18, 0x80010
	v_add_co_u32_e32 v12, vcc, s10, v13
	s_cmp_lt_i32 s14, 11
	v_addc_co_u32_e32 v13, vcc, 0, v1, vcc
	s_cbranch_scc1 .LBB19_1246
; %bb.1240:
	s_and_b32 s15, 0xffff, s14
	s_cmp_gt_i32 s15, 25
	s_mov_b64 s[4:5], 0
	s_cbranch_scc0 .LBB19_1248
; %bb.1241:
	s_cmp_gt_i32 s15, 28
	s_cbranch_scc0 .LBB19_1249
; %bb.1242:
	s_cmp_gt_i32 s15, 43
	;; [unrolled: 3-line block ×3, first 2 shown]
	s_cbranch_scc0 .LBB19_1251
; %bb.1244:
	s_cmp_eq_u32 s15, 46
	s_mov_b64 s[2:3], 0
	s_cbranch_scc0 .LBB19_1254
; %bb.1245:
	global_load_dword v1, v[12:13], off
	s_mov_b64 s[0:1], 0
	s_mov_b64 s[6:7], -1
	s_waitcnt vmcnt(0)
	v_lshlrev_b32_e32 v1, 16, v1
	s_branch .LBB19_1255
.LBB19_1246:
	s_mov_b64 s[6:7], 0
                                        ; implicit-def: $vgpr1
	s_mov_b64 s[2:3], s[28:29]
	s_cbranch_execnz .LBB19_1318
.LBB19_1247:
	s_andn2_b64 vcc, exec, s[6:7]
	s_cbranch_vccz .LBB19_1363
	s_branch .LBB19_1925
.LBB19_1248:
	s_mov_b64 s[6:7], 0
	s_mov_b64 s[0:1], 0
                                        ; implicit-def: $vgpr1
	s_cbranch_execnz .LBB19_1283
	s_branch .LBB19_1314
.LBB19_1249:
	s_mov_b64 s[2:3], -1
	s_mov_b64 s[6:7], 0
	s_mov_b64 s[0:1], 0
                                        ; implicit-def: $vgpr1
	s_branch .LBB19_1264
.LBB19_1250:
	s_mov_b64 s[6:7], 0
	s_mov_b64 s[0:1], 0
                                        ; implicit-def: $vgpr1
	s_cbranch_execnz .LBB19_1260
	s_branch .LBB19_1263
.LBB19_1251:
	s_mov_b64 s[2:3], -1
	s_mov_b64 s[6:7], 0
	s_mov_b64 s[0:1], 0
                                        ; implicit-def: $vgpr1
	s_branch .LBB19_1255
.LBB19_1252:
	s_andn2_saveexec_b64 s[14:15], s[14:15]
	s_cbranch_execz .LBB19_1095
.LBB19_1253:
	s_mov_b32 s16, 0x46000000
	v_add_f32_e64 v0, |v1|, s16
	v_and_b32_e32 v0, 0xff, v0
	v_cmp_ne_u32_e32 vcc, 0, v0
	s_andn2_b64 s[12:13], s[12:13], exec
	s_and_b64 s[16:17], vcc, exec
	s_or_b64 s[12:13], s[12:13], s[16:17]
	s_or_b64 exec, exec, s[14:15]
	v_mov_b32_e32 v2, 0
	s_and_saveexec_b64 s[14:15], s[12:13]
	s_cbranch_execnz .LBB19_1096
	s_branch .LBB19_1097
.LBB19_1254:
	s_mov_b64 s[0:1], -1
                                        ; implicit-def: $vgpr1
	s_mov_b64 s[6:7], 0
.LBB19_1255:
	s_and_b64 vcc, exec, s[2:3]
	s_cbranch_vccz .LBB19_1258
; %bb.1256:
	s_cmp_eq_u32 s15, 44
	s_cbranch_scc0 .LBB19_1259
; %bb.1257:
	global_load_ubyte v1, v[12:13], off
	s_movk_i32 s2, 0xff
	v_mov_b32_e32 v3, 0x7f800001
	v_mov_b32_e32 v5, 0x400000
	s_mov_b64 s[0:1], 0
	s_mov_b64 s[6:7], -1
	s_waitcnt vmcnt(0)
	v_lshlrev_b32_e32 v8, 23, v1
	v_cmp_ne_u32_e32 vcc, s2, v1
	v_cndmask_b32_e32 v3, v3, v8, vcc
	v_cmp_ne_u32_e32 vcc, 0, v1
	v_cndmask_b32_e32 v1, v5, v3, vcc
.LBB19_1258:
	s_branch .LBB19_1263
.LBB19_1259:
	s_mov_b64 s[0:1], -1
                                        ; implicit-def: $vgpr1
	s_branch .LBB19_1263
.LBB19_1260:
	s_cmp_eq_u32 s15, 29
	s_cbranch_scc0 .LBB19_1262
; %bb.1261:
	global_load_dwordx2 v[14:15], v[12:13], off
	s_mov_b64 s[0:1], 0
	s_mov_b64 s[6:7], -1
	s_mov_b64 s[2:3], 0
	s_waitcnt vmcnt(0)
	v_ffbh_u32_e32 v1, v15
	v_min_u32_e32 v1, 32, v1
	v_lshlrev_b64 v[14:15], v1, v[14:15]
	v_sub_u32_e32 v1, 32, v1
	v_min_u32_e32 v3, 1, v14
	v_or_b32_e32 v3, v15, v3
	v_cvt_f32_u32_e32 v3, v3
	v_ldexp_f32 v1, v3, v1
	s_branch .LBB19_1264
.LBB19_1262:
	s_mov_b64 s[0:1], -1
                                        ; implicit-def: $vgpr1
.LBB19_1263:
	s_mov_b64 s[2:3], 0
.LBB19_1264:
	s_and_b64 vcc, exec, s[2:3]
	s_cbranch_vccz .LBB19_1282
; %bb.1265:
	s_cmp_lt_i32 s15, 27
	s_cbranch_scc1 .LBB19_1268
; %bb.1266:
	s_cmp_gt_i32 s15, 27
	s_cbranch_scc0 .LBB19_1269
; %bb.1267:
	global_load_dword v1, v[12:13], off
	s_mov_b64 s[2:3], 0
	s_waitcnt vmcnt(0)
	v_cvt_f32_u32_e32 v1, v1
	s_branch .LBB19_1270
.LBB19_1268:
	s_mov_b64 s[2:3], -1
                                        ; implicit-def: $vgpr1
	s_branch .LBB19_1273
.LBB19_1269:
	s_mov_b64 s[2:3], -1
                                        ; implicit-def: $vgpr1
.LBB19_1270:
	s_andn2_b64 vcc, exec, s[2:3]
	s_cbranch_vccnz .LBB19_1272
; %bb.1271:
	global_load_ushort v1, v[12:13], off
	s_waitcnt vmcnt(0)
	v_cvt_f32_u32_e32 v1, v1
.LBB19_1272:
	s_mov_b64 s[2:3], 0
.LBB19_1273:
	s_andn2_b64 vcc, exec, s[2:3]
	s_cbranch_vccnz .LBB19_1281
; %bb.1274:
	global_load_ubyte v3, v[12:13], off
	s_movk_i32 s2, 0x7f
	s_waitcnt vmcnt(0)
	v_cmp_lt_i16_e32 vcc, s2, v3
	s_mov_b64 s[2:3], 0
	s_and_saveexec_b64 s[6:7], vcc
	s_xor_b64 s[6:7], exec, s[6:7]
	s_cbranch_execz .LBB19_1294
; %bb.1275:
	s_movk_i32 s2, 0x80
	v_cmp_eq_u16_e32 vcc, s2, v3
	s_mov_b64 s[2:3], -1
	s_and_saveexec_b64 s[12:13], vcc
; %bb.1276:
	s_xor_b64 s[2:3], exec, -1
; %bb.1277:
	s_or_b64 exec, exec, s[12:13]
	s_and_b64 s[2:3], s[2:3], exec
	s_or_saveexec_b64 s[6:7], s[6:7]
	v_mov_b32_e32 v1, 0x7f800001
	s_xor_b64 exec, exec, s[6:7]
	s_cbranch_execnz .LBB19_1295
.LBB19_1278:
	s_or_b64 exec, exec, s[6:7]
	s_and_saveexec_b64 s[6:7], s[2:3]
	s_cbranch_execz .LBB19_1280
.LBB19_1279:
	v_lshlrev_b32_e32 v1, 24, v3
	v_and_b32_e32 v3, 0xffff, v3
	v_and_b32_e32 v5, 7, v3
	v_ffbh_u32_e32 v10, v5
	v_min_u32_e32 v10, 32, v10
	v_subrev_u32_e32 v14, 28, v10
	v_bfe_u32 v8, v3, 3, 4
	v_lshlrev_b32_e32 v3, v14, v3
	v_sub_u32_e32 v10, 29, v10
	v_and_b32_e32 v3, 7, v3
	v_cmp_eq_u32_e32 vcc, 0, v8
	v_cndmask_b32_e32 v8, v8, v10, vcc
	v_cndmask_b32_e32 v3, v5, v3, vcc
	v_mov_b32_e32 v5, 0x3b800000
	v_lshlrev_b32_e32 v3, 20, v3
	v_and_b32_e32 v1, 0x80000000, v1
	v_lshl_add_u32 v5, v8, 23, v5
	v_or3_b32 v1, v1, v5, v3
.LBB19_1280:
	s_or_b64 exec, exec, s[6:7]
.LBB19_1281:
	s_mov_b64 s[6:7], -1
.LBB19_1282:
	s_branch .LBB19_1314
.LBB19_1283:
	s_cmp_gt_i32 s15, 22
	s_cbranch_scc0 .LBB19_1293
; %bb.1284:
	s_cmp_lt_i32 s15, 24
	s_cbranch_scc1 .LBB19_1296
; %bb.1285:
	s_cmp_gt_i32 s15, 24
	s_cbranch_scc0 .LBB19_1297
; %bb.1286:
	global_load_ubyte v3, v[12:13], off
	s_movk_i32 s2, 0x7f
	s_waitcnt vmcnt(0)
	v_cmp_lt_i16_e32 vcc, s2, v3
	s_mov_b64 s[2:3], 0
	s_and_saveexec_b64 s[4:5], vcc
	s_xor_b64 s[4:5], exec, s[4:5]
	s_cbranch_execz .LBB19_1308
; %bb.1287:
	s_movk_i32 s2, 0x80
	v_cmp_eq_u16_e32 vcc, s2, v3
	s_mov_b64 s[2:3], -1
	s_and_saveexec_b64 s[6:7], vcc
; %bb.1288:
	s_xor_b64 s[2:3], exec, -1
; %bb.1289:
	s_or_b64 exec, exec, s[6:7]
	s_and_b64 s[2:3], s[2:3], exec
	s_or_saveexec_b64 s[4:5], s[4:5]
	v_mov_b32_e32 v1, 0x7f800001
	s_xor_b64 exec, exec, s[4:5]
	s_cbranch_execnz .LBB19_1309
.LBB19_1290:
	s_or_b64 exec, exec, s[4:5]
	s_and_saveexec_b64 s[4:5], s[2:3]
	s_cbranch_execz .LBB19_1292
.LBB19_1291:
	v_lshlrev_b32_e32 v1, 24, v3
	v_and_b32_e32 v3, 0xffff, v3
	v_and_b32_e32 v5, 3, v3
	v_ffbh_u32_e32 v10, v5
	v_min_u32_e32 v10, 32, v10
	v_subrev_u32_e32 v14, 29, v10
	v_bfe_u32 v8, v3, 2, 5
	v_lshlrev_b32_e32 v3, v14, v3
	v_sub_u32_e32 v10, 30, v10
	v_and_b32_e32 v3, 3, v3
	v_cmp_eq_u32_e32 vcc, 0, v8
	v_cndmask_b32_e32 v8, v8, v10, vcc
	v_cndmask_b32_e32 v3, v5, v3, vcc
	v_mov_b32_e32 v5, 0x37800000
	v_lshlrev_b32_e32 v3, 21, v3
	v_and_b32_e32 v1, 0x80000000, v1
	v_lshl_add_u32 v5, v8, 23, v5
	v_or3_b32 v1, v1, v5, v3
.LBB19_1292:
	s_or_b64 exec, exec, s[4:5]
	s_mov_b64 s[2:3], 0
	s_branch .LBB19_1298
.LBB19_1293:
                                        ; implicit-def: $vgpr1
	s_mov_b64 s[4:5], 0
	s_branch .LBB19_1304
.LBB19_1294:
	s_or_saveexec_b64 s[6:7], s[6:7]
	v_mov_b32_e32 v1, 0x7f800001
	s_xor_b64 exec, exec, s[6:7]
	s_cbranch_execz .LBB19_1278
.LBB19_1295:
	v_cmp_ne_u16_e32 vcc, 0, v3
	s_andn2_b64 s[2:3], s[2:3], exec
	s_and_b64 s[12:13], vcc, exec
	v_mov_b32_e32 v1, 0
	s_or_b64 s[2:3], s[2:3], s[12:13]
	s_or_b64 exec, exec, s[6:7]
	s_and_saveexec_b64 s[6:7], s[2:3]
	s_cbranch_execnz .LBB19_1279
	s_branch .LBB19_1280
.LBB19_1296:
	s_mov_b64 s[2:3], -1
                                        ; implicit-def: $vgpr1
	s_branch .LBB19_1301
.LBB19_1297:
	s_mov_b64 s[2:3], -1
                                        ; implicit-def: $vgpr1
.LBB19_1298:
	s_and_b64 vcc, exec, s[2:3]
	s_cbranch_vccz .LBB19_1300
; %bb.1299:
	global_load_ubyte v1, v[12:13], off
	s_mov_b32 s2, 0x7f800000
	s_waitcnt vmcnt(0)
	v_lshlrev_b32_e32 v1, 24, v1
	v_and_b32_e32 v3, 0x7f000000, v1
	v_ffbh_u32_e32 v5, v3
	v_min_u32_e32 v5, 32, v5
	v_sub_u32_e64 v5, v5, 4 clamp
	v_lshlrev_b32_e32 v10, v5, v3
	v_lshlrev_b32_e32 v5, 23, v5
	v_lshrrev_b32_e32 v10, 4, v10
	v_add_u32_e32 v8, 0x1000000, v3
	v_sub_u32_e32 v5, v10, v5
	v_ashrrev_i32_e32 v8, 8, v8
	v_add_u32_e32 v5, 0x3c000000, v5
	v_and_or_b32 v5, v8, s2, v5
	v_cmp_ne_u32_e32 vcc, 0, v3
	v_cndmask_b32_e32 v3, 0, v5, vcc
	s_brev_b32 s2, 1
	v_and_or_b32 v1, v1, s2, v3
.LBB19_1300:
	s_mov_b64 s[2:3], 0
.LBB19_1301:
	s_andn2_b64 vcc, exec, s[2:3]
	s_cbranch_vccnz .LBB19_1303
; %bb.1302:
	global_load_ubyte v1, v[12:13], off
	s_movk_i32 s2, 0x7f00
	s_brev_b32 s3, 16
	s_waitcnt vmcnt(0)
	v_lshlrev_b16_e32 v3, 8, v1
	v_lshlrev_b32_e32 v1, 25, v1
	v_lshrrev_b32_e32 v5, 4, v1
	v_and_or_b32 v8, v3, s2, 0.5
	v_or_b32_e32 v5, 0x70000000, v5
	v_add_f32_e32 v8, -0.5, v8
	v_mul_f32_e32 v5, 0x7800000, v5
	v_cmp_gt_u32_e32 vcc, s3, v1
	v_bfe_i32 v3, v3, 0, 16
	v_cndmask_b32_e32 v1, v5, v8, vcc
	s_brev_b32 s2, 1
	v_and_or_b32 v1, v3, s2, v1
.LBB19_1303:
	s_mov_b64 s[6:7], -1
	s_mov_b64 s[4:5], 0
	s_cbranch_execnz .LBB19_1314
.LBB19_1304:
	s_cmp_gt_i32 s15, 14
	s_cbranch_scc0 .LBB19_1307
; %bb.1305:
	s_cmp_eq_u32 s15, 15
	s_cbranch_scc0 .LBB19_1310
; %bb.1306:
	global_load_ushort v1, v[12:13], off
	s_mov_b64 s[0:1], 0
	s_mov_b64 s[6:7], -1
	s_waitcnt vmcnt(0)
	v_lshlrev_b32_e32 v1, 16, v1
	s_branch .LBB19_1311
.LBB19_1307:
	s_mov_b64 s[2:3], -1
                                        ; implicit-def: $vgpr1
	s_branch .LBB19_1312
.LBB19_1308:
	s_or_saveexec_b64 s[4:5], s[4:5]
	v_mov_b32_e32 v1, 0x7f800001
	s_xor_b64 exec, exec, s[4:5]
	s_cbranch_execz .LBB19_1290
.LBB19_1309:
	v_cmp_ne_u16_e32 vcc, 0, v3
	s_andn2_b64 s[2:3], s[2:3], exec
	s_and_b64 s[6:7], vcc, exec
	v_mov_b32_e32 v1, 0
	s_or_b64 s[2:3], s[2:3], s[6:7]
	s_or_b64 exec, exec, s[4:5]
	s_and_saveexec_b64 s[4:5], s[2:3]
	s_cbranch_execnz .LBB19_1291
	s_branch .LBB19_1292
.LBB19_1310:
	s_mov_b64 s[0:1], -1
                                        ; implicit-def: $vgpr1
.LBB19_1311:
	s_mov_b64 s[2:3], 0
.LBB19_1312:
	s_and_b64 vcc, exec, s[2:3]
	s_cbranch_vccz .LBB19_1314
; %bb.1313:
	s_cmp_lg_u32 s15, 11
	s_mov_b64 s[4:5], -1
	s_cselect_b64 s[0:1], -1, 0
.LBB19_1314:
	s_and_b64 vcc, exec, s[0:1]
	s_mov_b64 s[2:3], s[28:29]
	s_cbranch_vccnz .LBB19_1399
; %bb.1315:
	s_andn2_b64 vcc, exec, s[4:5]
	s_cbranch_vccnz .LBB19_1317
.LBB19_1316:
	global_load_ubyte v1, v[12:13], off
	s_mov_b64 s[6:7], -1
	s_waitcnt vmcnt(0)
	v_cmp_ne_u16_e32 vcc, 0, v1
	v_cndmask_b32_e64 v1, 0, 1.0, vcc
.LBB19_1317:
	s_branch .LBB19_1247
.LBB19_1318:
	s_and_b32 s4, 0xffff, s14
	s_cmp_lt_i32 s4, 5
	s_cbranch_scc1 .LBB19_1323
; %bb.1319:
	s_cmp_lt_i32 s4, 8
	s_cbranch_scc1 .LBB19_1324
; %bb.1320:
	;; [unrolled: 3-line block ×3, first 2 shown]
	s_cmp_gt_i32 s4, 9
	s_cbranch_scc0 .LBB19_1326
; %bb.1322:
	global_load_dwordx2 v[14:15], v[12:13], off
	s_mov_b64 s[0:1], 0
	s_waitcnt vmcnt(0)
	v_cvt_f32_f64_e32 v1, v[14:15]
	s_branch .LBB19_1327
.LBB19_1323:
                                        ; implicit-def: $vgpr1
	s_branch .LBB19_1344
.LBB19_1324:
                                        ; implicit-def: $vgpr1
	s_branch .LBB19_1333
.LBB19_1325:
	s_mov_b64 s[0:1], -1
                                        ; implicit-def: $vgpr1
	s_branch .LBB19_1330
.LBB19_1326:
	s_mov_b64 s[0:1], -1
                                        ; implicit-def: $vgpr1
.LBB19_1327:
	s_andn2_b64 vcc, exec, s[0:1]
	s_cbranch_vccnz .LBB19_1329
; %bb.1328:
	global_load_dword v1, v[12:13], off
.LBB19_1329:
	s_mov_b64 s[0:1], 0
.LBB19_1330:
	s_andn2_b64 vcc, exec, s[0:1]
	s_cbranch_vccnz .LBB19_1332
; %bb.1331:
	global_load_dword v1, v[12:13], off
	s_waitcnt vmcnt(0)
	v_cvt_f32_f16_e32 v1, v1
.LBB19_1332:
	s_cbranch_execnz .LBB19_1343
.LBB19_1333:
	s_cmp_lt_i32 s4, 6
	s_cbranch_scc1 .LBB19_1336
; %bb.1334:
	s_cmp_gt_i32 s4, 6
	s_cbranch_scc0 .LBB19_1337
; %bb.1335:
	global_load_dwordx2 v[14:15], v[12:13], off
	s_mov_b64 s[0:1], 0
	s_waitcnt vmcnt(0)
	v_cvt_f32_f64_e32 v1, v[14:15]
	s_branch .LBB19_1338
.LBB19_1336:
	s_mov_b64 s[0:1], -1
                                        ; implicit-def: $vgpr1
	s_branch .LBB19_1341
.LBB19_1337:
	s_mov_b64 s[0:1], -1
                                        ; implicit-def: $vgpr1
.LBB19_1338:
	s_andn2_b64 vcc, exec, s[0:1]
	s_cbranch_vccnz .LBB19_1340
; %bb.1339:
	global_load_dword v1, v[12:13], off
.LBB19_1340:
	s_mov_b64 s[0:1], 0
.LBB19_1341:
	s_andn2_b64 vcc, exec, s[0:1]
	s_cbranch_vccnz .LBB19_1343
; %bb.1342:
	global_load_ushort v1, v[12:13], off
	s_waitcnt vmcnt(0)
	v_cvt_f32_f16_e32 v1, v1
.LBB19_1343:
	s_cbranch_execnz .LBB19_1362
.LBB19_1344:
	s_cmp_lt_i32 s4, 2
	s_cbranch_scc1 .LBB19_1348
; %bb.1345:
	s_cmp_lt_i32 s4, 3
	s_cbranch_scc1 .LBB19_1349
; %bb.1346:
	s_cmp_gt_i32 s4, 3
	s_cbranch_scc0 .LBB19_1350
; %bb.1347:
	global_load_dwordx2 v[14:15], v[12:13], off
	s_mov_b64 s[0:1], 0
	s_waitcnt vmcnt(0)
	v_xor_b32_e32 v3, v14, v15
	v_ffbh_i32_e32 v1, v15
	v_ashrrev_i32_e32 v3, 31, v3
	v_add_u32_e32 v1, -1, v1
	v_add_u32_e32 v3, 32, v3
	v_min_u32_e32 v1, v1, v3
	v_lshlrev_b64 v[14:15], v1, v[14:15]
	v_sub_u32_e32 v1, 32, v1
	v_min_u32_e32 v3, 1, v14
	v_or_b32_e32 v3, v15, v3
	v_cvt_f32_i32_e32 v3, v3
	v_ldexp_f32 v1, v3, v1
	s_branch .LBB19_1351
.LBB19_1348:
                                        ; implicit-def: $vgpr1
	s_branch .LBB19_1357
.LBB19_1349:
	s_mov_b64 s[0:1], -1
                                        ; implicit-def: $vgpr1
	s_branch .LBB19_1354
.LBB19_1350:
	s_mov_b64 s[0:1], -1
                                        ; implicit-def: $vgpr1
.LBB19_1351:
	s_andn2_b64 vcc, exec, s[0:1]
	s_cbranch_vccnz .LBB19_1353
; %bb.1352:
	global_load_dword v1, v[12:13], off
	s_waitcnt vmcnt(0)
	v_cvt_f32_i32_e32 v1, v1
.LBB19_1353:
	s_mov_b64 s[0:1], 0
.LBB19_1354:
	s_andn2_b64 vcc, exec, s[0:1]
	s_cbranch_vccnz .LBB19_1356
; %bb.1355:
	global_load_sshort v1, v[12:13], off
	s_waitcnt vmcnt(0)
	v_cvt_f32_i32_e32 v1, v1
.LBB19_1356:
	s_cbranch_execnz .LBB19_1362
.LBB19_1357:
	s_cmp_gt_i32 s4, 0
	s_cbranch_scc0 .LBB19_1359
; %bb.1358:
	global_load_sbyte v1, v[12:13], off
	s_mov_b64 s[0:1], 0
	s_waitcnt vmcnt(0)
	v_cvt_f32_i32_e32 v1, v1
	s_branch .LBB19_1360
.LBB19_1359:
	s_mov_b64 s[0:1], -1
                                        ; implicit-def: $vgpr1
.LBB19_1360:
	s_andn2_b64 vcc, exec, s[0:1]
	s_cbranch_vccnz .LBB19_1362
; %bb.1361:
	global_load_ubyte v1, v[12:13], off
	s_waitcnt vmcnt(0)
	v_cvt_f32_ubyte0_e32 v1, v1
.LBB19_1362:
.LBB19_1363:
	s_waitcnt vmcnt(0)
	v_cmp_neq_f32_e32 vcc, 0, v1
                                        ; implicit-def: $vgpr5
	s_and_saveexec_b64 s[0:1], vcc
	s_xor_b64 s[4:5], exec, s[0:1]
	s_cbranch_execz .LBB19_1385
; %bb.1364:
	v_mov_b32_e32 v3, 0
	v_cmp_gt_f32_e32 vcc, 0, v1
	s_mov_b64 s[0:1], -1
	s_and_saveexec_b64 s[6:7], vcc
	s_cbranch_execz .LBB19_1372
; %bb.1365:
	v_trunc_f32_e32 v3, v1
	v_cmp_neq_f32_e32 vcc, v1, v3
	s_mov_b64 s[14:15], 0
	v_mov_b32_e32 v3, 0
	s_and_saveexec_b64 s[12:13], vcc
	s_cbranch_execz .LBB19_1371
; %bb.1366:
	v_cvt_f64_f32_e32 v[12:13], v1
	s_mov_b32 s0, 0
	s_mov_b32 s15, 0xc00921fb
	;; [unrolled: 1-line block ×3, first 2 shown]
	v_trunc_f64_e32 v[14:15], v[12:13]
	s_mov_b32 s1, 0x7ff00000
	v_cmp_neq_f64_e64 vcc, |v[12:13]|, s[0:1]
	v_bfrev_b32_e32 v3, 1
	s_mov_b32 s16, 0
	s_mov_b32 s17, 0x41d00000
                                        ; implicit-def: $vgpr16_vgpr17
	v_add_f64 v[14:15], v[12:13], -v[14:15]
	v_mul_f64 v[14:15], |v[14:15]|, s[14:15]
	v_cndmask_b32_e32 v13, v3, v15, vcc
	v_cndmask_b32_e32 v12, 0, v14, vcc
	v_cmp_nlt_f64_e64 s[16:17], |v[12:13]|, s[16:17]
                                        ; implicit-def: $vgpr3
                                        ; implicit-def: $vgpr14_vgpr15
	s_and_saveexec_b64 s[20:21], s[16:17]
	s_xor_b64 s[16:17], exec, s[20:21]
	s_cbranch_execz .LBB19_1368
; %bb.1367:
	v_trig_preop_f64 v[14:15], |v[12:13]|, 0
	s_mov_b32 s20, 0
	s_mov_b32 s21, 0x7b000000
	s_movk_i32 s15, 0xff80
	v_ldexp_f64 v[18:19], |v[12:13]|, s15
	v_cmp_ge_f64_e64 vcc, |v[12:13]|, s[20:21]
	v_trig_preop_f64 v[16:17], |v[12:13]|, 1
	v_and_b32_e32 v3, 0x7fffffff, v13
	v_trig_preop_f64 v[26:27], |v[12:13]|, 2
	v_mov_b32_e32 v36, 0
	v_mov_b32_e32 v5, 0x3ff00000
	s_mov_b32 s15, 0x3ff921fb
	v_cndmask_b32_e32 v19, v3, v19, vcc
	v_cndmask_b32_e32 v18, v12, v18, vcc
	v_mov_b32_e32 v3, 0x40100000
	v_mul_f64 v[20:21], v[14:15], v[18:19]
	v_mul_f64 v[22:23], v[16:17], v[18:19]
	;; [unrolled: 1-line block ×3, first 2 shown]
	v_fma_f64 v[14:15], v[14:15], v[18:19], -v[20:21]
	v_fma_f64 v[16:17], v[16:17], v[18:19], -v[22:23]
	;; [unrolled: 1-line block ×3, first 2 shown]
	v_add_f64 v[24:25], v[22:23], v[14:15]
	v_add_f64 v[28:29], v[24:25], -v[22:23]
	v_add_f64 v[34:35], v[20:21], v[24:25]
	v_add_f64 v[30:31], v[24:25], -v[28:29]
	v_add_f64 v[14:15], v[14:15], -v[28:29]
	v_add_f64 v[28:29], v[32:33], v[16:17]
	v_add_f64 v[20:21], v[34:35], -v[20:21]
	v_add_f64 v[22:23], v[22:23], -v[30:31]
	v_ldexp_f64 v[30:31], v[34:35], -2
	v_add_f64 v[38:39], v[28:29], -v[32:33]
	v_add_f64 v[20:21], v[24:25], -v[20:21]
	v_add_f64 v[14:15], v[14:15], v[22:23]
	v_fract_f64_e32 v[22:23], v[30:31]
	v_cmp_neq_f64_e64 vcc, |v[30:31]|, s[0:1]
	v_add_f64 v[16:17], v[16:17], -v[38:39]
	v_add_f64 v[24:25], v[28:29], v[14:15]
	v_ldexp_f64 v[22:23], v[22:23], 2
	v_add_f64 v[30:31], v[20:21], v[24:25]
	v_cndmask_b32_e32 v23, 0, v23, vcc
	v_cndmask_b32_e32 v22, 0, v22, vcc
	v_add_f64 v[40:41], v[24:25], -v[28:29]
	v_add_f64 v[34:35], v[30:31], v[22:23]
	v_add_f64 v[20:21], v[30:31], -v[20:21]
	v_add_f64 v[42:43], v[24:25], -v[40:41]
	;; [unrolled: 1-line block ×3, first 2 shown]
	v_cmp_gt_f64_e32 vcc, 0, v[34:35]
	v_add_f64 v[34:35], v[28:29], -v[38:39]
	v_add_f64 v[20:21], v[24:25], -v[20:21]
	;; [unrolled: 1-line block ×3, first 2 shown]
	v_cndmask_b32_e32 v37, 0, v3, vcc
	v_add_f64 v[22:23], v[22:23], v[36:37]
	v_add_f64 v[34:35], v[32:33], -v[34:35]
	v_add_f64 v[14:15], v[14:15], v[28:29]
	v_add_f64 v[44:45], v[30:31], v[22:23]
	;; [unrolled: 1-line block ×3, first 2 shown]
	v_cvt_i32_f64_e32 v3, v[44:45]
	v_add_f64 v[14:15], v[16:17], v[14:15]
	v_cvt_f64_i32_e32 v[37:38], v3
	v_add_f64 v[22:23], v[22:23], -v[37:38]
	v_add_f64 v[14:15], v[18:19], v[14:15]
	v_add_f64 v[16:17], v[30:31], v[22:23]
	v_add_f64 v[14:15], v[20:21], v[14:15]
	v_add_f64 v[18:19], v[16:17], -v[22:23]
	v_cmp_le_f64_e32 vcc, 0.5, v[16:17]
	v_add_f64 v[18:19], v[30:31], -v[18:19]
	v_cndmask_b32_e32 v37, 0, v5, vcc
	v_add_f64 v[16:17], v[16:17], -v[36:37]
	v_addc_co_u32_e64 v3, s[0:1], 0, v3, vcc
	s_mov_b32 s0, 0x33145c07
	s_mov_b32 s1, 0x3c91a626
	v_add_f64 v[14:15], v[14:15], v[18:19]
	v_add_f64 v[18:19], v[16:17], v[14:15]
	v_mul_f64 v[20:21], v[18:19], s[14:15]
	v_add_f64 v[16:17], v[18:19], -v[16:17]
	v_fma_f64 v[22:23], v[18:19], s[14:15], -v[20:21]
	v_add_f64 v[14:15], v[14:15], -v[16:17]
	v_fma_f64 v[16:17], v[18:19], s[0:1], v[22:23]
	v_fma_f64 v[16:17], v[14:15], s[14:15], v[16:17]
	v_add_f64 v[14:15], v[20:21], v[16:17]
	v_add_f64 v[18:19], v[14:15], -v[20:21]
	v_add_f64 v[16:17], v[16:17], -v[18:19]
.LBB19_1368:
	s_andn2_saveexec_b64 s[0:1], s[16:17]
	s_cbranch_execz .LBB19_1370
; %bb.1369:
	s_mov_b32 s14, 0x6dc9c883
	s_mov_b32 s15, 0x3fe45f30
	v_mul_f64 v[14:15], |v[12:13]|, s[14:15]
	s_mov_b32 s14, 0x54442d18
	s_mov_b32 s15, 0xbff921fb
	;; [unrolled: 1-line block ×4, first 2 shown]
	v_rndne_f64_e32 v[18:19], v[14:15]
	v_fma_f64 v[14:15], v[18:19], s[14:15], |v[12:13]|
	v_mul_f64 v[16:17], v[18:19], s[16:17]
	s_mov_b32 s14, 0x252049c0
	s_mov_b32 s15, 0xb97b839a
	v_cvt_i32_f64_e32 v3, v[18:19]
	v_fma_f64 v[24:25], v[18:19], s[16:17], v[14:15]
	v_add_f64 v[20:21], v[14:15], v[16:17]
	s_mov_b32 s17, 0x3c91a626
	v_add_f64 v[22:23], v[14:15], -v[20:21]
	v_add_f64 v[20:21], v[20:21], -v[24:25]
	v_add_f64 v[14:15], v[22:23], v[16:17]
	v_fma_f64 v[16:17], v[18:19], s[16:17], v[16:17]
	v_add_f64 v[14:15], v[20:21], v[14:15]
	v_add_f64 v[14:15], v[14:15], -v[16:17]
	v_fma_f64 v[16:17], v[18:19], s[14:15], v[14:15]
	v_add_f64 v[14:15], v[24:25], v[16:17]
	v_add_f64 v[20:21], v[14:15], -v[24:25]
	v_add_f64 v[16:17], v[16:17], -v[20:21]
.LBB19_1370:
	s_or_b64 exec, exec, s[0:1]
	v_mul_f64 v[18:19], v[14:15], v[14:15]
	v_add_f64 v[20:21], v[16:17], v[16:17]
	s_mov_b32 s0, 0xc751c08c
	s_mov_b32 s1, 0x3ef5e089
	v_and_b32_e32 v3, 1, v3
	v_cmp_eq_u32_e32 vcc, 0, v3
	v_and_b32_e32 v5, 0x80000000, v13
	v_mov_b32_e32 v8, 0x7ff80000
	v_fma_f64 v[22:23], v[14:15], v[14:15], -v[18:19]
	s_mov_b32 s16, 0x54442d18
	s_mov_b32 s17, 0xc00921fb
	s_mov_b64 s[14:15], exec
	v_sub_f32_e32 v1, 1.0, v1
	v_fma_f64 v[20:21], v[14:15], v[20:21], v[22:23]
	v_add_f64 v[18:19], v[18:19], v[20:21]
	v_mov_b32_e32 v20, 0xa9a29f71
	v_mov_b32_e32 v21, 0xbf078809
	v_fma_f64 v[20:21], v[18:19], s[0:1], v[20:21]
	s_mov_b32 s0, 0x90a8aae0
	s_mov_b32 s1, 0x3f17746f
	v_fma_f64 v[20:21], v[18:19], v[20:21], s[0:1]
	s_mov_b32 s0, 0xa6fbf144
	s_mov_b32 s1, 0xbefbb44d
	;; [unrolled: 3-line block ×12, first 2 shown]
	v_fma_f64 v[20:21], v[18:19], v[20:21], s[0:1]
	s_movk_i32 s0, 0x1f8
	v_cmp_class_f64_e64 s[0:1], v[12:13], s0
	v_mul_f64 v[18:19], v[18:19], v[20:21]
	v_mul_f64 v[20:21], v[14:15], v[18:19]
	v_add_f64 v[22:23], v[14:15], v[20:21]
	v_fma_f64 v[18:19], v[14:15], v[18:19], -v[20:21]
	v_add_f64 v[14:15], v[22:23], -v[14:15]
	v_add_f64 v[16:17], v[16:17], v[18:19]
	v_add_f64 v[14:15], v[20:21], -v[14:15]
	v_add_f64 v[14:15], v[16:17], v[14:15]
	v_add_f64 v[16:17], v[22:23], v[14:15]
	v_rcp_f64_e32 v[18:19], v[16:17]
	v_fma_f64 v[20:21], -v[16:17], v[18:19], 1.0
	v_fma_f64 v[18:19], v[20:21], v[18:19], v[18:19]
	v_fma_f64 v[20:21], -v[16:17], v[18:19], 1.0
	v_fma_f64 v[18:19], v[20:21], v[18:19], v[18:19]
	v_add_f64 v[20:21], v[16:17], -v[22:23]
	v_mul_f64 v[22:23], v[16:17], v[18:19]
	v_add_f64 v[14:15], v[14:15], -v[20:21]
	v_fma_f64 v[20:21], v[18:19], v[16:17], -v[22:23]
	v_fma_f64 v[14:15], v[18:19], v[14:15], v[20:21]
	v_add_f64 v[20:21], v[22:23], v[14:15]
	v_add_f64 v[24:25], -v[20:21], 1.0
	v_add_f64 v[22:23], v[20:21], -v[22:23]
	v_add_f64 v[26:27], -v[24:25], 1.0
	v_add_f64 v[14:15], v[22:23], -v[14:15]
	v_add_f64 v[20:21], v[26:27], -v[20:21]
	v_add_f64 v[14:15], v[14:15], v[20:21]
	v_add_f64 v[14:15], v[24:25], v[14:15]
	v_mul_f64 v[14:15], v[18:19], v[14:15]
	v_add_f64 v[14:15], v[18:19], v[14:15]
	v_xor_b32_e32 v10, 0x80000000, v15
	v_cndmask_b32_e32 v3, v14, v16, vcc
	v_cndmask_b32_e32 v10, v10, v17, vcc
	v_cndmask_b32_e64 v12, 0, v3, s[0:1]
	v_xor_b32_e32 v3, v10, v5
	v_cndmask_b32_e64 v13, v8, v3, s[0:1]
	v_div_scale_f64 v[14:15], s[0:1], v[12:13], v[12:13], s[16:17]
	v_div_scale_f64 v[20:21], vcc, s[16:17], v[12:13], s[16:17]
	v_rcp_f64_e32 v[16:17], v[14:15]
	v_fma_f64 v[18:19], -v[14:15], v[16:17], 1.0
	v_fma_f64 v[16:17], v[16:17], v[18:19], v[16:17]
	v_fma_f64 v[18:19], -v[14:15], v[16:17], 1.0
	v_fma_f64 v[16:17], v[16:17], v[18:19], v[16:17]
	v_mul_f64 v[18:19], v[20:21], v[16:17]
	v_fma_f64 v[14:15], -v[14:15], v[18:19], v[20:21]
	v_div_fmas_f64 v[14:15], v[14:15], v[16:17], v[18:19]
	v_div_fixup_f64 v[12:13], v[14:15], v[12:13], s[16:17]
	v_cvt_f32_f64_e32 v3, v[12:13]
.LBB19_1371:
	s_or_b64 exec, exec, s[12:13]
	s_orn2_b64 s[0:1], s[14:15], exec
.LBB19_1372:
	s_or_b64 exec, exec, s[6:7]
	v_mov_b32_e32 v5, 0x7fc00000
	s_and_saveexec_b64 s[6:7], s[0:1]
	s_cbranch_execz .LBB19_1384
; %bb.1373:
	s_mov_b32 s14, 0x41200000
	v_cmp_gt_f32_e32 vcc, s14, v1
	s_and_saveexec_b64 s[0:1], vcc
	s_cbranch_execz .LBB19_1377
; %bb.1374:
	s_mov_b64 s[12:13], 0
.LBB19_1375:                            ; =>This Inner Loop Header: Depth=1
	v_div_scale_f32 v5, s[16:17], v1, v1, 1.0
	v_div_scale_f32 v8, vcc, 1.0, v1, 1.0
	v_rcp_f32_e32 v10, v5
	v_fma_f32 v12, -v5, v10, 1.0
	v_fmac_f32_e32 v10, v12, v10
	v_mul_f32_e32 v12, v8, v10
	v_fma_f32 v13, -v5, v12, v8
	v_fmac_f32_e32 v12, v13, v10
	v_fma_f32 v5, -v5, v12, v8
	v_div_fmas_f32 v5, v5, v10, v12
	v_div_fixup_f32 v5, v5, v1, 1.0
	v_add_f32_e32 v1, 1.0, v1
	v_cmp_ngt_f32_e32 vcc, s14, v1
	s_or_b64 s[12:13], vcc, s[12:13]
	v_sub_f32_e32 v3, v3, v5
	s_andn2_b64 exec, exec, s[12:13]
	s_cbranch_execnz .LBB19_1375
; %bb.1376:
	s_or_b64 exec, exec, s[12:13]
.LBB19_1377:
	s_or_b64 exec, exec, s[0:1]
	s_mov_b32 s0, 0x41200000
	v_cmp_neq_f32_e32 vcc, s0, v1
                                        ; implicit-def: $vgpr5
	s_and_saveexec_b64 s[0:1], vcc
	s_xor_b64 s[12:13], exec, s[0:1]
	s_cbranch_execz .LBB19_1381
; %bb.1378:
	v_cvt_f64_f32_e32 v[12:13], v1
	s_mov_b32 s0, 0x85d8a000
	s_mov_b32 s1, 0x43763457
	v_mov_b32_e32 v5, 0
	v_cmp_gt_f64_e32 vcc, s[0:1], v[12:13]
	s_and_saveexec_b64 s[0:1], vcc
	s_cbranch_execz .LBB19_1380
; %bb.1379:
	v_mul_f32_e32 v5, v1, v1
	v_div_scale_f32 v8, s[14:15], v5, v5, 1.0
	v_div_scale_f32 v10, vcc, 1.0, v5, 1.0
	v_mov_b32_e32 v15, 0x3b820821
	v_rcp_f32_e32 v12, v8
	v_fma_f32 v13, -v8, v12, 1.0
	v_fmac_f32_e32 v12, v13, v12
	v_mul_f32_e32 v13, v10, v12
	v_fma_f32 v14, -v8, v13, v10
	v_fmac_f32_e32 v13, v14, v12
	v_fma_f32 v8, -v8, v13, v10
	v_div_fmas_f32 v8, v8, v12, v13
	v_mov_b32_e32 v10, 0x3daaaaab
	v_mov_b32_e32 v12, 0xbcaccacd
	;; [unrolled: 1-line block ×4, first 2 shown]
	v_div_fixup_f32 v5, v8, v5, 1.0
	v_fma_f32 v8, 0, v5, v10
	v_fmac_f32_e32 v12, v5, v8
	v_fmac_f32_e32 v13, v5, v12
	;; [unrolled: 1-line block ×4, first 2 shown]
	v_mov_b32_e32 v8, 0xbc088889
	v_fmac_f32_e32 v8, v5, v15
	v_fmac_f32_e32 v10, v5, v8
	v_mul_f32_e32 v5, v5, v10
.LBB19_1380:
	s_or_b64 exec, exec, s[0:1]
	v_div_scale_f32 v8, s[0:1], v1, v1, -0.5
	v_div_scale_f32 v10, vcc, -0.5, v1, -0.5
	s_mov_b32 s0, 0x800000
	v_cmp_gt_f32_e64 s[0:1], s0, v1
	v_cndmask_b32_e64 v13, 0, 32, s[0:1]
	s_mov_b32 s14, 0x3f317217
	v_rcp_f32_e32 v12, v8
	v_fma_f32 v14, -v8, v12, 1.0
	v_fmac_f32_e32 v12, v14, v12
	v_mul_f32_e32 v14, v10, v12
	v_fma_f32 v15, -v8, v14, v10
	v_fmac_f32_e32 v14, v15, v12
	v_fma_f32 v8, -v8, v14, v10
	v_div_fmas_f32 v8, v8, v12, v14
	v_ldexp_f32 v10, v1, v13
	v_log_f32_e32 v10, v10
	v_mul_f32_e32 v12, 0x3f317217, v10
	v_fma_f32 v12, v10, s14, -v12
	v_fmac_f32_e32 v12, 0x3377d1cf, v10
	s_mov_b32 s14, 0x7f800000
	v_fmac_f32_e32 v12, 0x3f317217, v10
	v_cmp_lt_f32_e64 vcc, |v10|, s14
	v_cndmask_b32_e32 v10, v10, v12, vcc
	v_mov_b32_e32 v12, 0x41b17218
	v_cndmask_b32_e64 v12, 0, v12, s[0:1]
	v_sub_f32_e32 v10, v10, v12
	v_div_fixup_f32 v1, v8, v1, -0.5
	v_add_f32_e32 v1, v10, v1
	v_sub_f32_e32 v1, v1, v5
	v_add_f32_e32 v5, v3, v1
                                        ; implicit-def: $vgpr3
.LBB19_1381:
	s_andn2_saveexec_b64 s[0:1], s[12:13]
; %bb.1382:
	v_add_f32_e32 v5, 0x40101cb7, v3
; %bb.1383:
	s_or_b64 exec, exec, s[0:1]
.LBB19_1384:
	s_or_b64 exec, exec, s[6:7]
                                        ; implicit-def: $vgpr1
.LBB19_1385:
	s_andn2_saveexec_b64 s[0:1], s[4:5]
; %bb.1386:
	v_xor_b32_e32 v1, 0x80000000, v1
	s_brev_b32 s4, -2
	v_mov_b32_e32 v3, 0x7f800000
	v_bfi_b32 v5, s4, v3, v1
; %bb.1387:
	s_or_b64 exec, exec, s[0:1]
	s_lshr_b32 s0, s18, 16
	v_mov_b32_e32 v1, s11
	s_and_b32 s19, s0, 0xff
	v_add_co_u32_e32 v10, vcc, s10, v11
	s_cmp_lt_i32 s19, 11
	v_addc_co_u32_e32 v11, vcc, 0, v1, vcc
	s_cbranch_scc1 .LBB19_1394
; %bb.1388:
	s_and_b32 s16, 0xffff, s19
	s_cmp_gt_i32 s16, 25
	s_mov_b64 s[4:5], 0
	s_cbranch_scc0 .LBB19_1396
; %bb.1389:
	s_cmp_gt_i32 s16, 28
	s_cbranch_scc0 .LBB19_1397
; %bb.1390:
	s_cmp_gt_i32 s16, 43
	;; [unrolled: 3-line block ×3, first 2 shown]
	s_cbranch_scc0 .LBB19_1400
; %bb.1392:
	s_cmp_eq_u32 s16, 46
	s_mov_b64 s[12:13], 0
	s_cbranch_scc0 .LBB19_1403
; %bb.1393:
	global_load_dword v1, v[10:11], off
	s_mov_b64 s[0:1], 0
	s_mov_b64 s[6:7], -1
	s_waitcnt vmcnt(0)
	v_lshlrev_b32_e32 v1, 16, v1
	s_branch .LBB19_1404
.LBB19_1394:
	s_mov_b64 s[6:7], 0
                                        ; implicit-def: $vgpr1
	s_cbranch_execnz .LBB19_1469
.LBB19_1395:
	s_andn2_b64 vcc, exec, s[6:7]
	s_cbranch_vccnz .LBB19_1925
	s_branch .LBB19_1516
.LBB19_1396:
	s_mov_b64 s[6:7], 0
	s_mov_b64 s[0:1], 0
                                        ; implicit-def: $vgpr1
	s_cbranch_execnz .LBB19_1433
	s_branch .LBB19_1465
.LBB19_1397:
	s_mov_b64 s[12:13], -1
	s_mov_b64 s[6:7], 0
	s_mov_b64 s[0:1], 0
                                        ; implicit-def: $vgpr1
	s_branch .LBB19_1414
.LBB19_1398:
	s_mov_b64 s[12:13], -1
	s_mov_b64 s[6:7], 0
	s_mov_b64 s[0:1], 0
                                        ; implicit-def: $vgpr1
	s_branch .LBB19_1409
.LBB19_1399:
	s_or_b64 s[2:3], s[28:29], exec
	s_trap 2
	s_cbranch_execz .LBB19_1316
	s_branch .LBB19_1317
.LBB19_1400:
	s_mov_b64 s[12:13], -1
	s_mov_b64 s[6:7], 0
	s_mov_b64 s[0:1], 0
                                        ; implicit-def: $vgpr1
	s_branch .LBB19_1404
.LBB19_1401:
	s_andn2_saveexec_b64 s[16:17], s[16:17]
	s_cbranch_execz .LBB19_1107
.LBB19_1402:
	s_mov_b32 s20, 0x42800000
	v_add_f32_e64 v0, |v1|, s20
	v_and_b32_e32 v0, 0xff, v0
	v_cmp_ne_u32_e32 vcc, 0, v0
	s_andn2_b64 s[14:15], s[14:15], exec
	s_and_b64 s[20:21], vcc, exec
	s_or_b64 s[14:15], s[14:15], s[20:21]
	s_or_b64 exec, exec, s[16:17]
	v_mov_b32_e32 v2, 0
	s_and_saveexec_b64 s[16:17], s[14:15]
	s_cbranch_execnz .LBB19_1108
	s_branch .LBB19_1109
.LBB19_1403:
	s_mov_b64 s[0:1], -1
                                        ; implicit-def: $vgpr1
	s_mov_b64 s[6:7], 0
.LBB19_1404:
	s_and_b64 vcc, exec, s[12:13]
	s_cbranch_vccz .LBB19_1408
; %bb.1405:
	s_cmp_eq_u32 s16, 44
	s_cbranch_scc0 .LBB19_1407
; %bb.1406:
	global_load_ubyte v1, v[10:11], off
	s_movk_i32 s6, 0xff
	v_mov_b32_e32 v3, 0x7f800001
	v_mov_b32_e32 v8, 0x400000
	s_mov_b64 s[0:1], 0
	s_waitcnt vmcnt(0)
	v_lshlrev_b32_e32 v12, 23, v1
	v_cmp_ne_u32_e32 vcc, s6, v1
	v_cndmask_b32_e32 v3, v3, v12, vcc
	v_cmp_ne_u32_e32 vcc, 0, v1
	v_cndmask_b32_e32 v1, v8, v3, vcc
	s_mov_b64 s[6:7], -1
	s_branch .LBB19_1408
.LBB19_1407:
	s_mov_b64 s[0:1], -1
                                        ; implicit-def: $vgpr1
.LBB19_1408:
	s_mov_b64 s[12:13], 0
.LBB19_1409:
	s_and_b64 vcc, exec, s[12:13]
	s_cbranch_vccz .LBB19_1413
; %bb.1410:
	s_cmp_eq_u32 s16, 29
	s_cbranch_scc0 .LBB19_1412
; %bb.1411:
	global_load_dwordx2 v[12:13], v[10:11], off
	s_mov_b64 s[0:1], 0
	s_mov_b64 s[6:7], -1
	s_mov_b64 s[12:13], 0
	s_waitcnt vmcnt(0)
	v_ffbh_u32_e32 v1, v13
	v_min_u32_e32 v1, 32, v1
	v_lshlrev_b64 v[12:13], v1, v[12:13]
	v_sub_u32_e32 v1, 32, v1
	v_min_u32_e32 v3, 1, v12
	v_or_b32_e32 v3, v13, v3
	v_cvt_f32_u32_e32 v3, v3
	v_ldexp_f32 v1, v3, v1
	s_branch .LBB19_1414
.LBB19_1412:
	s_mov_b64 s[0:1], -1
                                        ; implicit-def: $vgpr1
.LBB19_1413:
	s_mov_b64 s[12:13], 0
.LBB19_1414:
	s_and_b64 vcc, exec, s[12:13]
	s_cbranch_vccz .LBB19_1432
; %bb.1415:
	s_cmp_lt_i32 s16, 27
	s_cbranch_scc1 .LBB19_1418
; %bb.1416:
	s_cmp_gt_i32 s16, 27
	s_cbranch_scc0 .LBB19_1419
; %bb.1417:
	global_load_dword v1, v[10:11], off
	s_mov_b64 s[6:7], 0
	s_waitcnt vmcnt(0)
	v_cvt_f32_u32_e32 v1, v1
	s_branch .LBB19_1420
.LBB19_1418:
	s_mov_b64 s[6:7], -1
                                        ; implicit-def: $vgpr1
	s_branch .LBB19_1423
.LBB19_1419:
	s_mov_b64 s[6:7], -1
                                        ; implicit-def: $vgpr1
.LBB19_1420:
	s_andn2_b64 vcc, exec, s[6:7]
	s_cbranch_vccnz .LBB19_1422
; %bb.1421:
	global_load_ushort v1, v[10:11], off
	s_waitcnt vmcnt(0)
	v_cvt_f32_u32_e32 v1, v1
.LBB19_1422:
	s_mov_b64 s[6:7], 0
.LBB19_1423:
	s_andn2_b64 vcc, exec, s[6:7]
	s_cbranch_vccnz .LBB19_1431
; %bb.1424:
	global_load_ubyte v3, v[10:11], off
	s_movk_i32 s6, 0x7f
	s_waitcnt vmcnt(0)
	v_cmp_lt_i16_e32 vcc, s6, v3
	s_mov_b64 s[6:7], 0
	s_and_saveexec_b64 s[12:13], vcc
	s_xor_b64 s[12:13], exec, s[12:13]
	s_cbranch_execz .LBB19_1444
; %bb.1425:
	s_movk_i32 s6, 0x80
	v_cmp_eq_u16_e32 vcc, s6, v3
	s_mov_b64 s[6:7], -1
	s_and_saveexec_b64 s[14:15], vcc
; %bb.1426:
	s_xor_b64 s[6:7], exec, -1
; %bb.1427:
	s_or_b64 exec, exec, s[14:15]
	s_and_b64 s[6:7], s[6:7], exec
	s_or_saveexec_b64 s[12:13], s[12:13]
	v_mov_b32_e32 v1, 0x7f800001
	s_xor_b64 exec, exec, s[12:13]
	s_cbranch_execnz .LBB19_1445
.LBB19_1428:
	s_or_b64 exec, exec, s[12:13]
	s_and_saveexec_b64 s[12:13], s[6:7]
	s_cbranch_execz .LBB19_1430
.LBB19_1429:
	v_lshlrev_b32_e32 v1, 24, v3
	v_and_b32_e32 v3, 0xffff, v3
	v_and_b32_e32 v8, 7, v3
	v_ffbh_u32_e32 v13, v8
	v_min_u32_e32 v13, 32, v13
	v_subrev_u32_e32 v14, 28, v13
	v_bfe_u32 v12, v3, 3, 4
	v_lshlrev_b32_e32 v3, v14, v3
	v_sub_u32_e32 v13, 29, v13
	v_and_b32_e32 v3, 7, v3
	v_cmp_eq_u32_e32 vcc, 0, v12
	v_cndmask_b32_e32 v12, v12, v13, vcc
	v_cndmask_b32_e32 v3, v8, v3, vcc
	v_mov_b32_e32 v8, 0x3b800000
	v_lshlrev_b32_e32 v3, 20, v3
	v_and_b32_e32 v1, 0x80000000, v1
	v_lshl_add_u32 v8, v12, 23, v8
	v_or3_b32 v1, v1, v8, v3
.LBB19_1430:
	s_or_b64 exec, exec, s[12:13]
.LBB19_1431:
	s_mov_b64 s[6:7], -1
.LBB19_1432:
	s_branch .LBB19_1465
.LBB19_1433:
	s_cmp_gt_i32 s16, 22
	s_cbranch_scc0 .LBB19_1443
; %bb.1434:
	s_cmp_lt_i32 s16, 24
	s_cbranch_scc1 .LBB19_1446
; %bb.1435:
	s_cmp_gt_i32 s16, 24
	s_cbranch_scc0 .LBB19_1447
; %bb.1436:
	global_load_ubyte v3, v[10:11], off
	s_movk_i32 s4, 0x7f
	s_waitcnt vmcnt(0)
	v_cmp_lt_i16_e32 vcc, s4, v3
	s_mov_b64 s[4:5], 0
	s_and_saveexec_b64 s[6:7], vcc
	s_xor_b64 s[6:7], exec, s[6:7]
	s_cbranch_execz .LBB19_1459
; %bb.1437:
	s_movk_i32 s4, 0x80
	v_cmp_eq_u16_e32 vcc, s4, v3
	s_mov_b64 s[4:5], -1
	s_and_saveexec_b64 s[12:13], vcc
; %bb.1438:
	s_xor_b64 s[4:5], exec, -1
; %bb.1439:
	s_or_b64 exec, exec, s[12:13]
	s_and_b64 s[4:5], s[4:5], exec
	s_or_saveexec_b64 s[6:7], s[6:7]
	v_mov_b32_e32 v1, 0x7f800001
	s_xor_b64 exec, exec, s[6:7]
	s_cbranch_execnz .LBB19_1460
.LBB19_1440:
	s_or_b64 exec, exec, s[6:7]
	s_and_saveexec_b64 s[6:7], s[4:5]
	s_cbranch_execz .LBB19_1442
.LBB19_1441:
	v_lshlrev_b32_e32 v1, 24, v3
	v_and_b32_e32 v3, 0xffff, v3
	v_and_b32_e32 v8, 3, v3
	v_ffbh_u32_e32 v13, v8
	v_min_u32_e32 v13, 32, v13
	v_subrev_u32_e32 v14, 29, v13
	v_bfe_u32 v12, v3, 2, 5
	v_lshlrev_b32_e32 v3, v14, v3
	v_sub_u32_e32 v13, 30, v13
	v_and_b32_e32 v3, 3, v3
	v_cmp_eq_u32_e32 vcc, 0, v12
	v_cndmask_b32_e32 v12, v12, v13, vcc
	v_cndmask_b32_e32 v3, v8, v3, vcc
	v_mov_b32_e32 v8, 0x37800000
	v_lshlrev_b32_e32 v3, 21, v3
	v_and_b32_e32 v1, 0x80000000, v1
	v_lshl_add_u32 v8, v12, 23, v8
	v_or3_b32 v1, v1, v8, v3
.LBB19_1442:
	s_or_b64 exec, exec, s[6:7]
	s_mov_b64 s[4:5], 0
	s_branch .LBB19_1448
.LBB19_1443:
	s_mov_b64 s[4:5], -1
                                        ; implicit-def: $vgpr1
	s_branch .LBB19_1454
.LBB19_1444:
	s_or_saveexec_b64 s[12:13], s[12:13]
	v_mov_b32_e32 v1, 0x7f800001
	s_xor_b64 exec, exec, s[12:13]
	s_cbranch_execz .LBB19_1428
.LBB19_1445:
	v_cmp_ne_u16_e32 vcc, 0, v3
	s_andn2_b64 s[6:7], s[6:7], exec
	s_and_b64 s[14:15], vcc, exec
	v_mov_b32_e32 v1, 0
	s_or_b64 s[6:7], s[6:7], s[14:15]
	s_or_b64 exec, exec, s[12:13]
	s_and_saveexec_b64 s[12:13], s[6:7]
	s_cbranch_execnz .LBB19_1429
	s_branch .LBB19_1430
.LBB19_1446:
	s_mov_b64 s[4:5], -1
                                        ; implicit-def: $vgpr1
	s_branch .LBB19_1451
.LBB19_1447:
	s_mov_b64 s[4:5], -1
                                        ; implicit-def: $vgpr1
.LBB19_1448:
	s_and_b64 vcc, exec, s[4:5]
	s_cbranch_vccz .LBB19_1450
; %bb.1449:
	global_load_ubyte v1, v[10:11], off
	s_mov_b32 s4, 0x7f800000
	s_waitcnt vmcnt(0)
	v_lshlrev_b32_e32 v1, 24, v1
	v_and_b32_e32 v3, 0x7f000000, v1
	v_ffbh_u32_e32 v8, v3
	v_min_u32_e32 v8, 32, v8
	v_sub_u32_e64 v8, v8, 4 clamp
	v_lshlrev_b32_e32 v13, v8, v3
	v_lshlrev_b32_e32 v8, 23, v8
	v_lshrrev_b32_e32 v13, 4, v13
	v_add_u32_e32 v12, 0x1000000, v3
	v_sub_u32_e32 v8, v13, v8
	v_ashrrev_i32_e32 v12, 8, v12
	v_add_u32_e32 v8, 0x3c000000, v8
	v_and_or_b32 v8, v12, s4, v8
	v_cmp_ne_u32_e32 vcc, 0, v3
	v_cndmask_b32_e32 v3, 0, v8, vcc
	s_brev_b32 s4, 1
	v_and_or_b32 v1, v1, s4, v3
.LBB19_1450:
	s_mov_b64 s[4:5], 0
.LBB19_1451:
	s_andn2_b64 vcc, exec, s[4:5]
	s_cbranch_vccnz .LBB19_1453
; %bb.1452:
	global_load_ubyte v1, v[10:11], off
	s_movk_i32 s4, 0x7f00
	s_brev_b32 s5, 16
	s_waitcnt vmcnt(0)
	v_lshlrev_b16_e32 v3, 8, v1
	v_lshlrev_b32_e32 v1, 25, v1
	v_lshrrev_b32_e32 v8, 4, v1
	v_and_or_b32 v12, v3, s4, 0.5
	v_or_b32_e32 v8, 0x70000000, v8
	v_add_f32_e32 v12, -0.5, v12
	v_mul_f32_e32 v8, 0x7800000, v8
	v_cmp_gt_u32_e32 vcc, s5, v1
	v_bfe_i32 v3, v3, 0, 16
	v_cndmask_b32_e32 v1, v8, v12, vcc
	s_brev_b32 s4, 1
	v_and_or_b32 v1, v3, s4, v1
.LBB19_1453:
	s_mov_b64 s[4:5], 0
	s_mov_b64 s[6:7], -1
.LBB19_1454:
	s_andn2_b64 vcc, exec, s[4:5]
	s_mov_b64 s[4:5], 0
	s_cbranch_vccnz .LBB19_1465
; %bb.1455:
	s_cmp_gt_i32 s16, 14
	s_cbranch_scc0 .LBB19_1458
; %bb.1456:
	s_cmp_eq_u32 s16, 15
	s_cbranch_scc0 .LBB19_1461
; %bb.1457:
	global_load_ushort v1, v[10:11], off
	s_mov_b64 s[0:1], 0
	s_mov_b64 s[6:7], -1
	s_waitcnt vmcnt(0)
	v_lshlrev_b32_e32 v1, 16, v1
	s_branch .LBB19_1462
.LBB19_1458:
	s_mov_b64 s[12:13], -1
                                        ; implicit-def: $vgpr1
	s_branch .LBB19_1463
.LBB19_1459:
	s_or_saveexec_b64 s[6:7], s[6:7]
	v_mov_b32_e32 v1, 0x7f800001
	s_xor_b64 exec, exec, s[6:7]
	s_cbranch_execz .LBB19_1440
.LBB19_1460:
	v_cmp_ne_u16_e32 vcc, 0, v3
	s_andn2_b64 s[4:5], s[4:5], exec
	s_and_b64 s[12:13], vcc, exec
	v_mov_b32_e32 v1, 0
	s_or_b64 s[4:5], s[4:5], s[12:13]
	s_or_b64 exec, exec, s[6:7]
	s_and_saveexec_b64 s[6:7], s[4:5]
	s_cbranch_execnz .LBB19_1441
	s_branch .LBB19_1442
.LBB19_1461:
	s_mov_b64 s[0:1], -1
                                        ; implicit-def: $vgpr1
.LBB19_1462:
	s_mov_b64 s[12:13], 0
.LBB19_1463:
	s_and_b64 vcc, exec, s[12:13]
	s_cbranch_vccz .LBB19_1465
; %bb.1464:
	s_cmp_lg_u32 s16, 11
	s_mov_b64 s[4:5], -1
	s_cselect_b64 s[0:1], -1, 0
.LBB19_1465:
	s_and_b64 vcc, exec, s[0:1]
	s_cbranch_vccnz .LBB19_1552
; %bb.1466:
	s_andn2_b64 vcc, exec, s[4:5]
	s_cbranch_vccnz .LBB19_1468
.LBB19_1467:
	global_load_ubyte v1, v[10:11], off
	s_mov_b64 s[6:7], -1
	s_waitcnt vmcnt(0)
	v_cmp_ne_u16_e32 vcc, 0, v1
	v_cndmask_b32_e64 v1, 0, 1.0, vcc
.LBB19_1468:
	s_branch .LBB19_1395
.LBB19_1469:
	s_and_b32 s4, 0xffff, s19
	s_cmp_lt_i32 s4, 5
	s_cbranch_scc1 .LBB19_1474
; %bb.1470:
	s_cmp_lt_i32 s4, 8
	s_cbranch_scc1 .LBB19_1475
; %bb.1471:
	;; [unrolled: 3-line block ×3, first 2 shown]
	s_cmp_gt_i32 s4, 9
	s_cbranch_scc0 .LBB19_1477
; %bb.1473:
	global_load_dwordx2 v[12:13], v[10:11], off
	s_mov_b64 s[0:1], 0
	s_waitcnt vmcnt(0)
	v_cvt_f32_f64_e32 v1, v[12:13]
	s_branch .LBB19_1478
.LBB19_1474:
                                        ; implicit-def: $vgpr1
	s_branch .LBB19_1496
.LBB19_1475:
	s_mov_b64 s[0:1], -1
                                        ; implicit-def: $vgpr1
	s_branch .LBB19_1484
.LBB19_1476:
	s_mov_b64 s[0:1], -1
                                        ; implicit-def: $vgpr1
	s_branch .LBB19_1481
.LBB19_1477:
	s_mov_b64 s[0:1], -1
                                        ; implicit-def: $vgpr1
.LBB19_1478:
	s_andn2_b64 vcc, exec, s[0:1]
	s_cbranch_vccnz .LBB19_1480
; %bb.1479:
	global_load_dword v1, v[10:11], off
.LBB19_1480:
	s_mov_b64 s[0:1], 0
.LBB19_1481:
	s_andn2_b64 vcc, exec, s[0:1]
	s_cbranch_vccnz .LBB19_1483
; %bb.1482:
	global_load_dword v1, v[10:11], off
	s_waitcnt vmcnt(0)
	v_cvt_f32_f16_e32 v1, v1
.LBB19_1483:
	s_mov_b64 s[0:1], 0
.LBB19_1484:
	s_andn2_b64 vcc, exec, s[0:1]
	s_cbranch_vccnz .LBB19_1495
; %bb.1485:
	s_cmp_lt_i32 s4, 6
	s_cbranch_scc1 .LBB19_1488
; %bb.1486:
	s_cmp_gt_i32 s4, 6
	s_cbranch_scc0 .LBB19_1489
; %bb.1487:
	global_load_dwordx2 v[12:13], v[10:11], off
	s_mov_b64 s[0:1], 0
	s_waitcnt vmcnt(0)
	v_cvt_f32_f64_e32 v1, v[12:13]
	s_branch .LBB19_1490
.LBB19_1488:
	s_mov_b64 s[0:1], -1
                                        ; implicit-def: $vgpr1
	s_branch .LBB19_1493
.LBB19_1489:
	s_mov_b64 s[0:1], -1
                                        ; implicit-def: $vgpr1
.LBB19_1490:
	s_andn2_b64 vcc, exec, s[0:1]
	s_cbranch_vccnz .LBB19_1492
; %bb.1491:
	global_load_dword v1, v[10:11], off
.LBB19_1492:
	s_mov_b64 s[0:1], 0
.LBB19_1493:
	s_andn2_b64 vcc, exec, s[0:1]
	s_cbranch_vccnz .LBB19_1495
; %bb.1494:
	global_load_ushort v1, v[10:11], off
	s_waitcnt vmcnt(0)
	v_cvt_f32_f16_e32 v1, v1
.LBB19_1495:
	s_cbranch_execnz .LBB19_1515
.LBB19_1496:
	s_cmp_lt_i32 s4, 2
	s_cbranch_scc1 .LBB19_1500
; %bb.1497:
	s_cmp_lt_i32 s4, 3
	s_cbranch_scc1 .LBB19_1501
; %bb.1498:
	s_cmp_gt_i32 s4, 3
	s_cbranch_scc0 .LBB19_1502
; %bb.1499:
	global_load_dwordx2 v[12:13], v[10:11], off
	s_mov_b64 s[0:1], 0
	s_waitcnt vmcnt(0)
	v_xor_b32_e32 v3, v12, v13
	v_ffbh_i32_e32 v1, v13
	v_ashrrev_i32_e32 v3, 31, v3
	v_add_u32_e32 v1, -1, v1
	v_add_u32_e32 v3, 32, v3
	v_min_u32_e32 v1, v1, v3
	v_lshlrev_b64 v[12:13], v1, v[12:13]
	v_sub_u32_e32 v1, 32, v1
	v_min_u32_e32 v3, 1, v12
	v_or_b32_e32 v3, v13, v3
	v_cvt_f32_i32_e32 v3, v3
	v_ldexp_f32 v1, v3, v1
	s_branch .LBB19_1503
.LBB19_1500:
	s_mov_b64 s[0:1], -1
                                        ; implicit-def: $vgpr1
	s_branch .LBB19_1509
.LBB19_1501:
	s_mov_b64 s[0:1], -1
                                        ; implicit-def: $vgpr1
	s_branch .LBB19_1506
.LBB19_1502:
	s_mov_b64 s[0:1], -1
                                        ; implicit-def: $vgpr1
.LBB19_1503:
	s_andn2_b64 vcc, exec, s[0:1]
	s_cbranch_vccnz .LBB19_1505
; %bb.1504:
	global_load_dword v1, v[10:11], off
	s_waitcnt vmcnt(0)
	v_cvt_f32_i32_e32 v1, v1
.LBB19_1505:
	s_mov_b64 s[0:1], 0
.LBB19_1506:
	s_andn2_b64 vcc, exec, s[0:1]
	s_cbranch_vccnz .LBB19_1508
; %bb.1507:
	global_load_sshort v1, v[10:11], off
	s_waitcnt vmcnt(0)
	v_cvt_f32_i32_e32 v1, v1
.LBB19_1508:
	s_mov_b64 s[0:1], 0
.LBB19_1509:
	s_andn2_b64 vcc, exec, s[0:1]
	s_cbranch_vccnz .LBB19_1515
; %bb.1510:
	s_cmp_gt_i32 s4, 0
	s_cbranch_scc0 .LBB19_1512
; %bb.1511:
	global_load_sbyte v1, v[10:11], off
	s_mov_b64 s[0:1], 0
	s_waitcnt vmcnt(0)
	v_cvt_f32_i32_e32 v1, v1
	s_branch .LBB19_1513
.LBB19_1512:
	s_mov_b64 s[0:1], -1
                                        ; implicit-def: $vgpr1
.LBB19_1513:
	s_andn2_b64 vcc, exec, s[0:1]
	s_cbranch_vccnz .LBB19_1515
; %bb.1514:
	global_load_ubyte v1, v[10:11], off
	s_waitcnt vmcnt(0)
	v_cvt_f32_ubyte0_e32 v1, v1
.LBB19_1515:
.LBB19_1516:
	s_waitcnt vmcnt(0)
	v_cmp_neq_f32_e32 vcc, 0, v1
                                        ; implicit-def: $vgpr3
	s_and_saveexec_b64 s[0:1], vcc
	s_xor_b64 s[4:5], exec, s[0:1]
	s_cbranch_execz .LBB19_1538
; %bb.1517:
	v_mov_b32_e32 v8, 0
	v_cmp_gt_f32_e32 vcc, 0, v1
	s_mov_b64 s[0:1], -1
	s_and_saveexec_b64 s[6:7], vcc
	s_cbranch_execz .LBB19_1525
; %bb.1518:
	v_trunc_f32_e32 v3, v1
	v_cmp_neq_f32_e32 vcc, v1, v3
	s_mov_b64 s[14:15], 0
	v_mov_b32_e32 v8, 0
	s_and_saveexec_b64 s[12:13], vcc
	s_cbranch_execz .LBB19_1524
; %bb.1519:
	v_cvt_f64_f32_e32 v[10:11], v1
	s_mov_b32 s0, 0
	s_mov_b32 s15, 0xc00921fb
	;; [unrolled: 1-line block ×3, first 2 shown]
	v_trunc_f64_e32 v[12:13], v[10:11]
	s_mov_b32 s1, 0x7ff00000
	v_cmp_neq_f64_e64 vcc, |v[10:11]|, s[0:1]
	v_bfrev_b32_e32 v3, 1
	s_mov_b32 s16, 0
	s_mov_b32 s17, 0x41d00000
                                        ; implicit-def: $vgpr14_vgpr15
	v_add_f64 v[12:13], v[10:11], -v[12:13]
	v_mul_f64 v[12:13], |v[12:13]|, s[14:15]
	v_cndmask_b32_e32 v11, v3, v13, vcc
	v_cndmask_b32_e32 v10, 0, v12, vcc
	v_cmp_nlt_f64_e64 s[16:17], |v[10:11]|, s[16:17]
                                        ; implicit-def: $vgpr3
                                        ; implicit-def: $vgpr12_vgpr13
	s_and_saveexec_b64 s[20:21], s[16:17]
	s_xor_b64 s[16:17], exec, s[20:21]
	s_cbranch_execz .LBB19_1521
; %bb.1520:
	v_trig_preop_f64 v[12:13], |v[10:11]|, 0
	s_mov_b32 s20, 0
	s_mov_b32 s21, 0x7b000000
	s_movk_i32 s15, 0xff80
	v_ldexp_f64 v[16:17], |v[10:11]|, s15
	v_cmp_ge_f64_e64 vcc, |v[10:11]|, s[20:21]
	v_trig_preop_f64 v[14:15], |v[10:11]|, 1
	v_and_b32_e32 v3, 0x7fffffff, v11
	v_trig_preop_f64 v[24:25], |v[10:11]|, 2
	v_mov_b32_e32 v34, 0
	v_mov_b32_e32 v8, 0x3ff00000
	s_mov_b32 s15, 0x3ff921fb
	v_cndmask_b32_e32 v17, v3, v17, vcc
	v_cndmask_b32_e32 v16, v10, v16, vcc
	v_mov_b32_e32 v3, 0x40100000
	v_mul_f64 v[18:19], v[12:13], v[16:17]
	v_mul_f64 v[20:21], v[14:15], v[16:17]
	;; [unrolled: 1-line block ×3, first 2 shown]
	v_fma_f64 v[12:13], v[12:13], v[16:17], -v[18:19]
	v_fma_f64 v[14:15], v[14:15], v[16:17], -v[20:21]
	;; [unrolled: 1-line block ×3, first 2 shown]
	v_add_f64 v[22:23], v[20:21], v[12:13]
	v_add_f64 v[26:27], v[22:23], -v[20:21]
	v_add_f64 v[32:33], v[18:19], v[22:23]
	v_add_f64 v[28:29], v[22:23], -v[26:27]
	v_add_f64 v[12:13], v[12:13], -v[26:27]
	v_add_f64 v[26:27], v[30:31], v[14:15]
	v_add_f64 v[18:19], v[32:33], -v[18:19]
	v_add_f64 v[20:21], v[20:21], -v[28:29]
	v_ldexp_f64 v[28:29], v[32:33], -2
	v_add_f64 v[36:37], v[26:27], -v[30:31]
	v_add_f64 v[18:19], v[22:23], -v[18:19]
	v_add_f64 v[12:13], v[12:13], v[20:21]
	v_fract_f64_e32 v[20:21], v[28:29]
	v_cmp_neq_f64_e64 vcc, |v[28:29]|, s[0:1]
	v_add_f64 v[14:15], v[14:15], -v[36:37]
	v_add_f64 v[22:23], v[26:27], v[12:13]
	v_ldexp_f64 v[20:21], v[20:21], 2
	v_add_f64 v[28:29], v[18:19], v[22:23]
	v_cndmask_b32_e32 v21, 0, v21, vcc
	v_cndmask_b32_e32 v20, 0, v20, vcc
	v_add_f64 v[38:39], v[22:23], -v[26:27]
	v_add_f64 v[32:33], v[28:29], v[20:21]
	v_add_f64 v[18:19], v[28:29], -v[18:19]
	v_add_f64 v[40:41], v[22:23], -v[38:39]
	v_add_f64 v[12:13], v[12:13], -v[38:39]
	v_cmp_gt_f64_e32 vcc, 0, v[32:33]
	v_add_f64 v[32:33], v[26:27], -v[36:37]
	v_add_f64 v[18:19], v[22:23], -v[18:19]
	v_add_f64 v[26:27], v[26:27], -v[40:41]
	v_cndmask_b32_e32 v35, 0, v3, vcc
	v_add_f64 v[20:21], v[20:21], v[34:35]
	v_add_f64 v[32:33], v[30:31], -v[32:33]
	v_add_f64 v[12:13], v[12:13], v[26:27]
	v_add_f64 v[42:43], v[28:29], v[20:21]
	;; [unrolled: 1-line block ×3, first 2 shown]
	v_cvt_i32_f64_e32 v3, v[42:43]
	v_add_f64 v[12:13], v[14:15], v[12:13]
	v_cvt_f64_i32_e32 v[35:36], v3
	v_add_f64 v[20:21], v[20:21], -v[35:36]
	v_add_f64 v[12:13], v[16:17], v[12:13]
	v_add_f64 v[14:15], v[28:29], v[20:21]
	;; [unrolled: 1-line block ×3, first 2 shown]
	v_add_f64 v[16:17], v[14:15], -v[20:21]
	v_cmp_le_f64_e32 vcc, 0.5, v[14:15]
	v_add_f64 v[16:17], v[28:29], -v[16:17]
	v_cndmask_b32_e32 v35, 0, v8, vcc
	v_add_f64 v[14:15], v[14:15], -v[34:35]
	v_addc_co_u32_e64 v3, s[0:1], 0, v3, vcc
	s_mov_b32 s0, 0x33145c07
	s_mov_b32 s1, 0x3c91a626
	v_add_f64 v[12:13], v[12:13], v[16:17]
	v_add_f64 v[16:17], v[14:15], v[12:13]
	v_mul_f64 v[18:19], v[16:17], s[14:15]
	v_add_f64 v[14:15], v[16:17], -v[14:15]
	v_fma_f64 v[20:21], v[16:17], s[14:15], -v[18:19]
	v_add_f64 v[12:13], v[12:13], -v[14:15]
	v_fma_f64 v[14:15], v[16:17], s[0:1], v[20:21]
	v_fma_f64 v[14:15], v[12:13], s[14:15], v[14:15]
	v_add_f64 v[12:13], v[18:19], v[14:15]
	v_add_f64 v[16:17], v[12:13], -v[18:19]
	v_add_f64 v[14:15], v[14:15], -v[16:17]
.LBB19_1521:
	s_andn2_saveexec_b64 s[0:1], s[16:17]
	s_cbranch_execz .LBB19_1523
; %bb.1522:
	s_mov_b32 s14, 0x6dc9c883
	s_mov_b32 s15, 0x3fe45f30
	v_mul_f64 v[12:13], |v[10:11]|, s[14:15]
	s_mov_b32 s14, 0x54442d18
	s_mov_b32 s15, 0xbff921fb
	;; [unrolled: 1-line block ×4, first 2 shown]
	v_rndne_f64_e32 v[16:17], v[12:13]
	v_fma_f64 v[12:13], v[16:17], s[14:15], |v[10:11]|
	v_mul_f64 v[14:15], v[16:17], s[16:17]
	s_mov_b32 s14, 0x252049c0
	s_mov_b32 s15, 0xb97b839a
	v_cvt_i32_f64_e32 v3, v[16:17]
	v_fma_f64 v[22:23], v[16:17], s[16:17], v[12:13]
	v_add_f64 v[18:19], v[12:13], v[14:15]
	s_mov_b32 s17, 0x3c91a626
	v_add_f64 v[20:21], v[12:13], -v[18:19]
	v_add_f64 v[18:19], v[18:19], -v[22:23]
	v_add_f64 v[12:13], v[20:21], v[14:15]
	v_fma_f64 v[14:15], v[16:17], s[16:17], v[14:15]
	v_add_f64 v[12:13], v[18:19], v[12:13]
	v_add_f64 v[12:13], v[12:13], -v[14:15]
	v_fma_f64 v[14:15], v[16:17], s[14:15], v[12:13]
	v_add_f64 v[12:13], v[22:23], v[14:15]
	v_add_f64 v[18:19], v[12:13], -v[22:23]
	v_add_f64 v[14:15], v[14:15], -v[18:19]
.LBB19_1523:
	s_or_b64 exec, exec, s[0:1]
	v_mul_f64 v[16:17], v[12:13], v[12:13]
	v_add_f64 v[18:19], v[14:15], v[14:15]
	s_mov_b32 s0, 0xc751c08c
	s_mov_b32 s1, 0x3ef5e089
	v_and_b32_e32 v3, 1, v3
	v_cmp_eq_u32_e32 vcc, 0, v3
	v_and_b32_e32 v8, 0x80000000, v11
	s_mov_b32 s16, 0x54442d18
	v_fma_f64 v[20:21], v[12:13], v[12:13], -v[16:17]
	s_mov_b32 s17, 0xc00921fb
	s_mov_b64 s[14:15], exec
	v_sub_f32_e32 v1, 1.0, v1
	v_fma_f64 v[18:19], v[12:13], v[18:19], v[20:21]
	v_add_f64 v[16:17], v[16:17], v[18:19]
	v_mov_b32_e32 v18, 0xa9a29f71
	v_mov_b32_e32 v19, 0xbf078809
	v_fma_f64 v[18:19], v[16:17], s[0:1], v[18:19]
	s_mov_b32 s0, 0x90a8aae0
	s_mov_b32 s1, 0x3f17746f
	v_fma_f64 v[18:19], v[16:17], v[18:19], s[0:1]
	s_mov_b32 s0, 0xa6fbf144
	s_mov_b32 s1, 0xbefbb44d
	v_fma_f64 v[18:19], v[16:17], v[18:19], s[0:1]
	s_mov_b32 s0, 0xa7943acf
	s_mov_b32 s1, 0x3f21e634
	v_fma_f64 v[18:19], v[16:17], v[18:19], s[0:1]
	s_mov_b32 s0, 0xdeb68feb
	s_mov_b32 s1, 0x3f2d250f
	v_fma_f64 v[18:19], v[16:17], v[18:19], s[0:1]
	s_mov_b32 s0, 0xb58c4d95
	s_mov_b32 s1, 0x3f437fd9
	v_fma_f64 v[18:19], v[16:17], v[18:19], s[0:1]
	s_mov_b32 s0, 0x15120e2c
	s_mov_b32 s1, 0x3f57d5af
	v_fma_f64 v[18:19], v[16:17], v[18:19], s[0:1]
	s_mov_b32 s0, 0xe09491df
	s_mov_b32 s1, 0x3f6d6d93
	v_fma_f64 v[18:19], v[16:17], v[18:19], s[0:1]
	s_mov_b32 s0, 0x2033784d
	s_mov_b32 s1, 0x3f8226e1
	v_fma_f64 v[18:19], v[16:17], v[18:19], s[0:1]
	s_mov_b32 s0, 0x9ac36ae2
	s_mov_b32 s1, 0x3f9664f4
	v_fma_f64 v[18:19], v[16:17], v[18:19], s[0:1]
	s_mov_b32 s0, 0x1b451c21
	s_mov_b32 s1, 0x3faba1ba
	v_fma_f64 v[18:19], v[16:17], v[18:19], s[0:1]
	s_mov_b32 s0, 0x111185b7
	s_mov_b32 s1, 0x3fc11111
	v_fma_f64 v[18:19], v[16:17], v[18:19], s[0:1]
	s_mov_b32 s0, 0x555554ee
	s_mov_b32 s1, 0x3fd55555
	v_fma_f64 v[18:19], v[16:17], v[18:19], s[0:1]
	s_movk_i32 s0, 0x1f8
	v_cmp_class_f64_e64 s[0:1], v[10:11], s0
	v_mov_b32_e32 v11, 0x7ff80000
	v_mul_f64 v[16:17], v[16:17], v[18:19]
	v_mul_f64 v[18:19], v[12:13], v[16:17]
	v_add_f64 v[20:21], v[12:13], v[18:19]
	v_fma_f64 v[16:17], v[12:13], v[16:17], -v[18:19]
	v_add_f64 v[12:13], v[20:21], -v[12:13]
	v_add_f64 v[14:15], v[14:15], v[16:17]
	v_add_f64 v[12:13], v[18:19], -v[12:13]
	v_add_f64 v[12:13], v[14:15], v[12:13]
	v_add_f64 v[14:15], v[20:21], v[12:13]
	v_rcp_f64_e32 v[16:17], v[14:15]
	v_fma_f64 v[18:19], -v[14:15], v[16:17], 1.0
	v_fma_f64 v[16:17], v[18:19], v[16:17], v[16:17]
	v_fma_f64 v[18:19], -v[14:15], v[16:17], 1.0
	v_fma_f64 v[16:17], v[18:19], v[16:17], v[16:17]
	v_add_f64 v[18:19], v[14:15], -v[20:21]
	v_mul_f64 v[20:21], v[14:15], v[16:17]
	v_add_f64 v[12:13], v[12:13], -v[18:19]
	v_fma_f64 v[18:19], v[16:17], v[14:15], -v[20:21]
	v_fma_f64 v[12:13], v[16:17], v[12:13], v[18:19]
	v_add_f64 v[18:19], v[20:21], v[12:13]
	v_add_f64 v[22:23], -v[18:19], 1.0
	v_add_f64 v[20:21], v[18:19], -v[20:21]
	v_add_f64 v[24:25], -v[22:23], 1.0
	v_add_f64 v[12:13], v[20:21], -v[12:13]
	v_add_f64 v[18:19], v[24:25], -v[18:19]
	v_add_f64 v[12:13], v[12:13], v[18:19]
	v_add_f64 v[12:13], v[22:23], v[12:13]
	v_mul_f64 v[12:13], v[16:17], v[12:13]
	v_add_f64 v[12:13], v[16:17], v[12:13]
	v_xor_b32_e32 v10, 0x80000000, v13
	v_cndmask_b32_e32 v3, v12, v14, vcc
	v_cndmask_b32_e32 v12, v10, v15, vcc
	v_cndmask_b32_e64 v10, 0, v3, s[0:1]
	v_xor_b32_e32 v3, v12, v8
	v_cndmask_b32_e64 v11, v11, v3, s[0:1]
	v_div_scale_f64 v[12:13], s[0:1], v[10:11], v[10:11], s[16:17]
	v_div_scale_f64 v[18:19], vcc, s[16:17], v[10:11], s[16:17]
	v_rcp_f64_e32 v[14:15], v[12:13]
	v_fma_f64 v[16:17], -v[12:13], v[14:15], 1.0
	v_fma_f64 v[14:15], v[14:15], v[16:17], v[14:15]
	v_fma_f64 v[16:17], -v[12:13], v[14:15], 1.0
	v_fma_f64 v[14:15], v[14:15], v[16:17], v[14:15]
	v_mul_f64 v[16:17], v[18:19], v[14:15]
	v_fma_f64 v[12:13], -v[12:13], v[16:17], v[18:19]
	v_div_fmas_f64 v[12:13], v[12:13], v[14:15], v[16:17]
	v_div_fixup_f64 v[10:11], v[12:13], v[10:11], s[16:17]
	v_cvt_f32_f64_e32 v8, v[10:11]
.LBB19_1524:
	s_or_b64 exec, exec, s[12:13]
	s_orn2_b64 s[0:1], s[14:15], exec
.LBB19_1525:
	s_or_b64 exec, exec, s[6:7]
	v_mov_b32_e32 v3, 0x7fc00000
	s_and_saveexec_b64 s[6:7], s[0:1]
	s_cbranch_execz .LBB19_1537
; %bb.1526:
	s_mov_b32 s14, 0x41200000
	v_cmp_gt_f32_e32 vcc, s14, v1
	s_and_saveexec_b64 s[0:1], vcc
	s_cbranch_execz .LBB19_1530
; %bb.1527:
	s_mov_b64 s[12:13], 0
.LBB19_1528:                            ; =>This Inner Loop Header: Depth=1
	v_div_scale_f32 v3, s[16:17], v1, v1, 1.0
	v_div_scale_f32 v10, vcc, 1.0, v1, 1.0
	v_rcp_f32_e32 v11, v3
	v_fma_f32 v12, -v3, v11, 1.0
	v_fmac_f32_e32 v11, v12, v11
	v_mul_f32_e32 v12, v10, v11
	v_fma_f32 v13, -v3, v12, v10
	v_fmac_f32_e32 v12, v13, v11
	v_fma_f32 v3, -v3, v12, v10
	v_div_fmas_f32 v3, v3, v11, v12
	v_div_fixup_f32 v3, v3, v1, 1.0
	v_add_f32_e32 v1, 1.0, v1
	v_cmp_ngt_f32_e32 vcc, s14, v1
	s_or_b64 s[12:13], vcc, s[12:13]
	v_sub_f32_e32 v8, v8, v3
	s_andn2_b64 exec, exec, s[12:13]
	s_cbranch_execnz .LBB19_1528
; %bb.1529:
	s_or_b64 exec, exec, s[12:13]
.LBB19_1530:
	s_or_b64 exec, exec, s[0:1]
	s_mov_b32 s0, 0x41200000
	v_cmp_neq_f32_e32 vcc, s0, v1
                                        ; implicit-def: $vgpr3
	s_and_saveexec_b64 s[0:1], vcc
	s_xor_b64 s[12:13], exec, s[0:1]
	s_cbranch_execz .LBB19_1534
; %bb.1531:
	v_cvt_f64_f32_e32 v[10:11], v1
	s_mov_b32 s0, 0x85d8a000
	s_mov_b32 s1, 0x43763457
	v_mov_b32_e32 v3, 0
	v_cmp_gt_f64_e32 vcc, s[0:1], v[10:11]
	s_and_saveexec_b64 s[0:1], vcc
	s_cbranch_execz .LBB19_1533
; %bb.1532:
	v_mul_f32_e32 v3, v1, v1
	v_div_scale_f32 v10, s[14:15], v3, v3, 1.0
	v_div_scale_f32 v11, vcc, 1.0, v3, 1.0
	v_mov_b32_e32 v15, 0x3b820821
	v_rcp_f32_e32 v12, v10
	v_fma_f32 v13, -v10, v12, 1.0
	v_fmac_f32_e32 v12, v13, v12
	v_mul_f32_e32 v13, v11, v12
	v_fma_f32 v14, -v10, v13, v11
	v_fmac_f32_e32 v13, v14, v12
	v_fma_f32 v10, -v10, v13, v11
	v_div_fmas_f32 v10, v10, v12, v13
	v_mov_b32_e32 v11, 0x3daaaaab
	v_mov_b32_e32 v12, 0xbcaccacd
	;; [unrolled: 1-line block ×4, first 2 shown]
	v_div_fixup_f32 v3, v10, v3, 1.0
	v_fma_f32 v10, 0, v3, v11
	v_fmac_f32_e32 v12, v3, v10
	v_fmac_f32_e32 v13, v3, v12
	;; [unrolled: 1-line block ×4, first 2 shown]
	v_mov_b32_e32 v10, 0xbc088889
	v_fmac_f32_e32 v10, v3, v15
	v_fmac_f32_e32 v11, v3, v10
	v_mul_f32_e32 v3, v3, v11
.LBB19_1533:
	s_or_b64 exec, exec, s[0:1]
	v_div_scale_f32 v10, s[0:1], v1, v1, -0.5
	v_div_scale_f32 v11, vcc, -0.5, v1, -0.5
	s_mov_b32 s0, 0x800000
	v_cmp_gt_f32_e64 s[0:1], s0, v1
	v_cndmask_b32_e64 v13, 0, 32, s[0:1]
	s_mov_b32 s14, 0x3f317217
	v_rcp_f32_e32 v12, v10
	v_fma_f32 v14, -v10, v12, 1.0
	v_fmac_f32_e32 v12, v14, v12
	v_mul_f32_e32 v14, v11, v12
	v_fma_f32 v15, -v10, v14, v11
	v_fmac_f32_e32 v14, v15, v12
	v_fma_f32 v10, -v10, v14, v11
	v_div_fmas_f32 v10, v10, v12, v14
	v_ldexp_f32 v11, v1, v13
	v_log_f32_e32 v11, v11
	v_mul_f32_e32 v12, 0x3f317217, v11
	v_fma_f32 v12, v11, s14, -v12
	v_fmac_f32_e32 v12, 0x3377d1cf, v11
	s_mov_b32 s14, 0x7f800000
	v_fmac_f32_e32 v12, 0x3f317217, v11
	v_cmp_lt_f32_e64 vcc, |v11|, s14
	v_cndmask_b32_e32 v11, v11, v12, vcc
	v_mov_b32_e32 v12, 0x41b17218
	v_cndmask_b32_e64 v12, 0, v12, s[0:1]
	v_sub_f32_e32 v11, v11, v12
	v_div_fixup_f32 v1, v10, v1, -0.5
	v_add_f32_e32 v1, v11, v1
	v_sub_f32_e32 v1, v1, v3
	v_add_f32_e32 v3, v8, v1
                                        ; implicit-def: $vgpr8
.LBB19_1534:
	s_andn2_saveexec_b64 s[0:1], s[12:13]
; %bb.1535:
	v_add_f32_e32 v3, 0x40101cb7, v8
; %bb.1536:
	s_or_b64 exec, exec, s[0:1]
.LBB19_1537:
	s_or_b64 exec, exec, s[6:7]
                                        ; implicit-def: $vgpr1
.LBB19_1538:
	s_andn2_saveexec_b64 s[0:1], s[4:5]
; %bb.1539:
	v_xor_b32_e32 v1, 0x80000000, v1
	s_brev_b32 s4, -2
	v_mov_b32_e32 v3, 0x7f800000
	v_bfi_b32 v3, s4, v3, v1
; %bb.1540:
	s_or_b64 exec, exec, s[0:1]
	v_mov_b32_e32 v1, s11
	v_add_co_u32_e32 v8, vcc, s10, v9
	s_cmp_lt_i32 s19, 11
	v_addc_co_u32_e32 v9, vcc, 0, v1, vcc
	s_cbranch_scc1 .LBB19_1547
; %bb.1541:
	s_and_b32 s16, 0xffff, s19
	s_cmp_gt_i32 s16, 25
	s_mov_b64 s[4:5], 0
	s_cbranch_scc0 .LBB19_1549
; %bb.1542:
	s_cmp_gt_i32 s16, 28
	s_cbranch_scc0 .LBB19_1550
; %bb.1543:
	s_cmp_gt_i32 s16, 43
	;; [unrolled: 3-line block ×3, first 2 shown]
	s_cbranch_scc0 .LBB19_1553
; %bb.1545:
	s_cmp_eq_u32 s16, 46
	s_mov_b64 s[12:13], 0
	s_cbranch_scc0 .LBB19_1554
; %bb.1546:
	global_load_dword v1, v[8:9], off
	s_mov_b64 s[0:1], 0
	s_mov_b64 s[6:7], -1
	s_waitcnt vmcnt(0)
	v_lshlrev_b32_e32 v14, 16, v1
	s_branch .LBB19_1555
.LBB19_1547:
	s_mov_b64 s[6:7], 0
                                        ; implicit-def: $vgpr14
	s_cbranch_execnz .LBB19_1621
.LBB19_1548:
	s_andn2_b64 vcc, exec, s[6:7]
	s_cbranch_vccnz .LBB19_1925
	s_branch .LBB19_1669
.LBB19_1549:
	s_mov_b64 s[12:13], -1
	s_mov_b64 s[6:7], 0
	s_mov_b64 s[0:1], 0
                                        ; implicit-def: $vgpr14
	s_branch .LBB19_1584
.LBB19_1550:
	s_mov_b64 s[12:13], -1
	s_mov_b64 s[6:7], 0
	s_mov_b64 s[0:1], 0
                                        ; implicit-def: $vgpr14
	s_branch .LBB19_1565
.LBB19_1551:
	s_mov_b64 s[12:13], -1
	s_mov_b64 s[6:7], 0
	s_mov_b64 s[0:1], 0
                                        ; implicit-def: $vgpr14
	s_branch .LBB19_1560
.LBB19_1552:
	s_trap 2
	s_or_b64 s[2:3], s[2:3], exec
	s_cbranch_execz .LBB19_1467
	s_branch .LBB19_1468
.LBB19_1553:
	s_mov_b64 s[12:13], -1
	s_mov_b64 s[6:7], 0
	s_mov_b64 s[0:1], 0
                                        ; implicit-def: $vgpr14
	s_branch .LBB19_1555
.LBB19_1554:
	s_mov_b64 s[0:1], -1
                                        ; implicit-def: $vgpr14
	s_mov_b64 s[6:7], 0
.LBB19_1555:
	s_and_b64 vcc, exec, s[12:13]
	s_cbranch_vccz .LBB19_1559
; %bb.1556:
	s_cmp_eq_u32 s16, 44
	s_cbranch_scc0 .LBB19_1558
; %bb.1557:
	global_load_ubyte v1, v[8:9], off
	s_movk_i32 s6, 0xff
	v_mov_b32_e32 v10, 0x7f800001
	v_mov_b32_e32 v11, 0x400000
	s_mov_b64 s[0:1], 0
	s_waitcnt vmcnt(0)
	v_lshlrev_b32_e32 v12, 23, v1
	v_cmp_ne_u32_e32 vcc, s6, v1
	v_cndmask_b32_e32 v10, v10, v12, vcc
	v_cmp_ne_u32_e32 vcc, 0, v1
	v_cndmask_b32_e32 v14, v11, v10, vcc
	s_mov_b64 s[6:7], -1
	s_branch .LBB19_1559
.LBB19_1558:
	s_mov_b64 s[0:1], -1
                                        ; implicit-def: $vgpr14
.LBB19_1559:
	s_mov_b64 s[12:13], 0
.LBB19_1560:
	s_and_b64 vcc, exec, s[12:13]
	s_cbranch_vccz .LBB19_1564
; %bb.1561:
	s_cmp_eq_u32 s16, 29
	s_cbranch_scc0 .LBB19_1563
; %bb.1562:
	global_load_dwordx2 v[10:11], v[8:9], off
	s_mov_b64 s[0:1], 0
	s_mov_b64 s[6:7], -1
	s_mov_b64 s[12:13], 0
	s_waitcnt vmcnt(0)
	v_ffbh_u32_e32 v1, v11
	v_min_u32_e32 v1, 32, v1
	v_lshlrev_b64 v[10:11], v1, v[10:11]
	v_sub_u32_e32 v1, 32, v1
	v_min_u32_e32 v10, 1, v10
	v_or_b32_e32 v10, v11, v10
	v_cvt_f32_u32_e32 v10, v10
	v_ldexp_f32 v14, v10, v1
	s_branch .LBB19_1565
.LBB19_1563:
	s_mov_b64 s[0:1], -1
                                        ; implicit-def: $vgpr14
.LBB19_1564:
	s_mov_b64 s[12:13], 0
.LBB19_1565:
	s_and_b64 vcc, exec, s[12:13]
	s_cbranch_vccz .LBB19_1583
; %bb.1566:
	s_cmp_lt_i32 s16, 27
	s_cbranch_scc1 .LBB19_1569
; %bb.1567:
	s_cmp_gt_i32 s16, 27
	s_cbranch_scc0 .LBB19_1570
; %bb.1568:
	global_load_dword v1, v[8:9], off
	s_mov_b64 s[6:7], 0
	s_waitcnt vmcnt(0)
	v_cvt_f32_u32_e32 v14, v1
	s_branch .LBB19_1571
.LBB19_1569:
	s_mov_b64 s[6:7], -1
                                        ; implicit-def: $vgpr14
	s_branch .LBB19_1574
.LBB19_1570:
	s_mov_b64 s[6:7], -1
                                        ; implicit-def: $vgpr14
.LBB19_1571:
	s_andn2_b64 vcc, exec, s[6:7]
	s_cbranch_vccnz .LBB19_1573
; %bb.1572:
	global_load_ushort v1, v[8:9], off
	s_waitcnt vmcnt(0)
	v_cvt_f32_u32_e32 v14, v1
.LBB19_1573:
	s_mov_b64 s[6:7], 0
.LBB19_1574:
	s_andn2_b64 vcc, exec, s[6:7]
	s_cbranch_vccnz .LBB19_1582
; %bb.1575:
	global_load_ubyte v1, v[8:9], off
	s_movk_i32 s6, 0x7f
	s_waitcnt vmcnt(0)
	v_cmp_lt_i16_e32 vcc, s6, v1
	s_mov_b64 s[6:7], 0
	s_and_saveexec_b64 s[12:13], vcc
	s_xor_b64 s[12:13], exec, s[12:13]
	s_cbranch_execz .LBB19_1596
; %bb.1576:
	s_movk_i32 s6, 0x80
	v_cmp_eq_u16_e32 vcc, s6, v1
	s_mov_b64 s[6:7], -1
	s_and_saveexec_b64 s[14:15], vcc
; %bb.1577:
	s_xor_b64 s[6:7], exec, -1
; %bb.1578:
	s_or_b64 exec, exec, s[14:15]
	s_and_b64 s[6:7], s[6:7], exec
	s_or_saveexec_b64 s[12:13], s[12:13]
	v_mov_b32_e32 v14, 0x7f800001
	s_xor_b64 exec, exec, s[12:13]
	s_cbranch_execnz .LBB19_1597
.LBB19_1579:
	s_or_b64 exec, exec, s[12:13]
	s_and_saveexec_b64 s[12:13], s[6:7]
	s_cbranch_execz .LBB19_1581
.LBB19_1580:
	v_lshlrev_b32_e32 v10, 24, v1
	v_and_b32_e32 v1, 0xffff, v1
	v_and_b32_e32 v11, 7, v1
	v_ffbh_u32_e32 v13, v11
	v_min_u32_e32 v13, 32, v13
	v_subrev_u32_e32 v14, 28, v13
	v_bfe_u32 v12, v1, 3, 4
	v_lshlrev_b32_e32 v1, v14, v1
	v_sub_u32_e32 v13, 29, v13
	v_and_b32_e32 v1, 7, v1
	v_cmp_eq_u32_e32 vcc, 0, v12
	v_cndmask_b32_e32 v12, v12, v13, vcc
	v_cndmask_b32_e32 v1, v11, v1, vcc
	v_mov_b32_e32 v11, 0x3b800000
	v_lshlrev_b32_e32 v1, 20, v1
	v_and_b32_e32 v10, 0x80000000, v10
	v_lshl_add_u32 v11, v12, 23, v11
	v_or3_b32 v14, v10, v11, v1
.LBB19_1581:
	s_or_b64 exec, exec, s[12:13]
.LBB19_1582:
	s_mov_b64 s[6:7], -1
.LBB19_1583:
	s_mov_b64 s[12:13], 0
.LBB19_1584:
	s_and_b64 vcc, exec, s[12:13]
	s_cbranch_vccz .LBB19_1617
; %bb.1585:
	s_cmp_gt_i32 s16, 22
	s_cbranch_scc0 .LBB19_1595
; %bb.1586:
	s_cmp_lt_i32 s16, 24
	s_cbranch_scc1 .LBB19_1598
; %bb.1587:
	s_cmp_gt_i32 s16, 24
	s_cbranch_scc0 .LBB19_1599
; %bb.1588:
	global_load_ubyte v1, v[8:9], off
	s_movk_i32 s4, 0x7f
	s_waitcnt vmcnt(0)
	v_cmp_lt_i16_e32 vcc, s4, v1
	s_mov_b64 s[4:5], 0
	s_and_saveexec_b64 s[6:7], vcc
	s_xor_b64 s[6:7], exec, s[6:7]
	s_cbranch_execz .LBB19_1611
; %bb.1589:
	s_movk_i32 s4, 0x80
	v_cmp_eq_u16_e32 vcc, s4, v1
	s_mov_b64 s[4:5], -1
	s_and_saveexec_b64 s[12:13], vcc
; %bb.1590:
	s_xor_b64 s[4:5], exec, -1
; %bb.1591:
	s_or_b64 exec, exec, s[12:13]
	s_and_b64 s[4:5], s[4:5], exec
	s_or_saveexec_b64 s[6:7], s[6:7]
	v_mov_b32_e32 v14, 0x7f800001
	s_xor_b64 exec, exec, s[6:7]
	s_cbranch_execnz .LBB19_1612
.LBB19_1592:
	s_or_b64 exec, exec, s[6:7]
	s_and_saveexec_b64 s[6:7], s[4:5]
	s_cbranch_execz .LBB19_1594
.LBB19_1593:
	v_lshlrev_b32_e32 v10, 24, v1
	v_and_b32_e32 v1, 0xffff, v1
	v_and_b32_e32 v11, 3, v1
	v_ffbh_u32_e32 v13, v11
	v_min_u32_e32 v13, 32, v13
	v_subrev_u32_e32 v14, 29, v13
	v_bfe_u32 v12, v1, 2, 5
	v_lshlrev_b32_e32 v1, v14, v1
	v_sub_u32_e32 v13, 30, v13
	v_and_b32_e32 v1, 3, v1
	v_cmp_eq_u32_e32 vcc, 0, v12
	v_cndmask_b32_e32 v12, v12, v13, vcc
	v_cndmask_b32_e32 v1, v11, v1, vcc
	v_mov_b32_e32 v11, 0x37800000
	v_lshlrev_b32_e32 v1, 21, v1
	v_and_b32_e32 v10, 0x80000000, v10
	v_lshl_add_u32 v11, v12, 23, v11
	v_or3_b32 v14, v10, v11, v1
.LBB19_1594:
	s_or_b64 exec, exec, s[6:7]
	s_mov_b64 s[4:5], 0
	s_branch .LBB19_1600
.LBB19_1595:
	s_mov_b64 s[4:5], -1
                                        ; implicit-def: $vgpr14
	s_branch .LBB19_1606
.LBB19_1596:
	s_or_saveexec_b64 s[12:13], s[12:13]
	v_mov_b32_e32 v14, 0x7f800001
	s_xor_b64 exec, exec, s[12:13]
	s_cbranch_execz .LBB19_1579
.LBB19_1597:
	v_cmp_ne_u16_e32 vcc, 0, v1
	s_andn2_b64 s[6:7], s[6:7], exec
	s_and_b64 s[14:15], vcc, exec
	v_mov_b32_e32 v14, 0
	s_or_b64 s[6:7], s[6:7], s[14:15]
	s_or_b64 exec, exec, s[12:13]
	s_and_saveexec_b64 s[12:13], s[6:7]
	s_cbranch_execnz .LBB19_1580
	s_branch .LBB19_1581
.LBB19_1598:
	s_mov_b64 s[4:5], -1
                                        ; implicit-def: $vgpr14
	s_branch .LBB19_1603
.LBB19_1599:
	s_mov_b64 s[4:5], -1
                                        ; implicit-def: $vgpr14
.LBB19_1600:
	s_and_b64 vcc, exec, s[4:5]
	s_cbranch_vccz .LBB19_1602
; %bb.1601:
	global_load_ubyte v1, v[8:9], off
	s_mov_b32 s4, 0x7f800000
	s_waitcnt vmcnt(0)
	v_lshlrev_b32_e32 v1, 24, v1
	v_and_b32_e32 v10, 0x7f000000, v1
	v_ffbh_u32_e32 v11, v10
	v_min_u32_e32 v11, 32, v11
	v_sub_u32_e64 v11, v11, 4 clamp
	v_lshlrev_b32_e32 v13, v11, v10
	v_lshlrev_b32_e32 v11, 23, v11
	v_lshrrev_b32_e32 v13, 4, v13
	v_add_u32_e32 v12, 0x1000000, v10
	v_sub_u32_e32 v11, v13, v11
	v_ashrrev_i32_e32 v12, 8, v12
	v_add_u32_e32 v11, 0x3c000000, v11
	v_and_or_b32 v11, v12, s4, v11
	v_cmp_ne_u32_e32 vcc, 0, v10
	v_cndmask_b32_e32 v10, 0, v11, vcc
	s_brev_b32 s4, 1
	v_and_or_b32 v14, v1, s4, v10
.LBB19_1602:
	s_mov_b64 s[4:5], 0
.LBB19_1603:
	s_andn2_b64 vcc, exec, s[4:5]
	s_cbranch_vccnz .LBB19_1605
; %bb.1604:
	global_load_ubyte v1, v[8:9], off
	s_movk_i32 s4, 0x7f00
	s_brev_b32 s5, 16
	s_waitcnt vmcnt(0)
	v_lshlrev_b16_e32 v10, 8, v1
	v_lshlrev_b32_e32 v1, 25, v1
	v_lshrrev_b32_e32 v11, 4, v1
	v_and_or_b32 v12, v10, s4, 0.5
	v_or_b32_e32 v11, 0x70000000, v11
	v_add_f32_e32 v12, -0.5, v12
	v_mul_f32_e32 v11, 0x7800000, v11
	v_cmp_gt_u32_e32 vcc, s5, v1
	v_bfe_i32 v10, v10, 0, 16
	v_cndmask_b32_e32 v1, v11, v12, vcc
	s_brev_b32 s4, 1
	v_and_or_b32 v14, v10, s4, v1
.LBB19_1605:
	s_mov_b64 s[4:5], 0
	s_mov_b64 s[6:7], -1
.LBB19_1606:
	s_andn2_b64 vcc, exec, s[4:5]
	s_mov_b64 s[4:5], 0
	s_cbranch_vccnz .LBB19_1617
; %bb.1607:
	s_cmp_gt_i32 s16, 14
	s_cbranch_scc0 .LBB19_1610
; %bb.1608:
	s_cmp_eq_u32 s16, 15
	s_cbranch_scc0 .LBB19_1613
; %bb.1609:
	global_load_ushort v1, v[8:9], off
	s_mov_b64 s[0:1], 0
	s_mov_b64 s[6:7], -1
	s_waitcnt vmcnt(0)
	v_lshlrev_b32_e32 v14, 16, v1
	s_branch .LBB19_1614
.LBB19_1610:
	s_mov_b64 s[12:13], -1
                                        ; implicit-def: $vgpr14
	s_branch .LBB19_1615
.LBB19_1611:
	s_or_saveexec_b64 s[6:7], s[6:7]
	v_mov_b32_e32 v14, 0x7f800001
	s_xor_b64 exec, exec, s[6:7]
	s_cbranch_execz .LBB19_1592
.LBB19_1612:
	v_cmp_ne_u16_e32 vcc, 0, v1
	s_andn2_b64 s[4:5], s[4:5], exec
	s_and_b64 s[12:13], vcc, exec
	v_mov_b32_e32 v14, 0
	s_or_b64 s[4:5], s[4:5], s[12:13]
	s_or_b64 exec, exec, s[6:7]
	s_and_saveexec_b64 s[6:7], s[4:5]
	s_cbranch_execnz .LBB19_1593
	s_branch .LBB19_1594
.LBB19_1613:
	s_mov_b64 s[0:1], -1
                                        ; implicit-def: $vgpr14
.LBB19_1614:
	s_mov_b64 s[12:13], 0
.LBB19_1615:
	s_and_b64 vcc, exec, s[12:13]
	s_cbranch_vccz .LBB19_1617
; %bb.1616:
	s_cmp_lg_u32 s16, 11
	s_mov_b64 s[4:5], -1
	s_cselect_b64 s[0:1], -1, 0
.LBB19_1617:
	s_and_b64 vcc, exec, s[0:1]
	s_cbranch_vccnz .LBB19_1704
; %bb.1618:
	s_andn2_b64 vcc, exec, s[4:5]
	s_cbranch_vccnz .LBB19_1620
.LBB19_1619:
	global_load_ubyte v1, v[8:9], off
	s_mov_b64 s[6:7], -1
	s_waitcnt vmcnt(0)
	v_cmp_ne_u16_e32 vcc, 0, v1
	v_cndmask_b32_e64 v14, 0, 1.0, vcc
.LBB19_1620:
	s_branch .LBB19_1548
.LBB19_1621:
	s_and_b32 s4, 0xffff, s19
	s_cmp_lt_i32 s4, 5
	s_cbranch_scc1 .LBB19_1626
; %bb.1622:
	s_cmp_lt_i32 s4, 8
	s_cbranch_scc1 .LBB19_1627
; %bb.1623:
	;; [unrolled: 3-line block ×3, first 2 shown]
	s_cmp_gt_i32 s4, 9
	s_cbranch_scc0 .LBB19_1629
; %bb.1625:
	global_load_dwordx2 v[10:11], v[8:9], off
	s_mov_b64 s[0:1], 0
	s_waitcnt vmcnt(0)
	v_cvt_f32_f64_e32 v14, v[10:11]
	s_branch .LBB19_1630
.LBB19_1626:
	s_mov_b64 s[0:1], -1
                                        ; implicit-def: $vgpr14
	s_branch .LBB19_1648
.LBB19_1627:
	s_mov_b64 s[0:1], -1
                                        ; implicit-def: $vgpr14
	s_branch .LBB19_1636
.LBB19_1628:
	s_mov_b64 s[0:1], -1
                                        ; implicit-def: $vgpr14
	s_branch .LBB19_1633
.LBB19_1629:
	s_mov_b64 s[0:1], -1
                                        ; implicit-def: $vgpr14
.LBB19_1630:
	s_andn2_b64 vcc, exec, s[0:1]
	s_cbranch_vccnz .LBB19_1632
; %bb.1631:
	global_load_dword v14, v[8:9], off
.LBB19_1632:
	s_mov_b64 s[0:1], 0
.LBB19_1633:
	s_andn2_b64 vcc, exec, s[0:1]
	s_cbranch_vccnz .LBB19_1635
; %bb.1634:
	global_load_dword v1, v[8:9], off
	s_waitcnt vmcnt(0)
	v_cvt_f32_f16_e32 v14, v1
.LBB19_1635:
	s_mov_b64 s[0:1], 0
.LBB19_1636:
	s_andn2_b64 vcc, exec, s[0:1]
	s_cbranch_vccnz .LBB19_1647
; %bb.1637:
	s_cmp_lt_i32 s4, 6
	s_cbranch_scc1 .LBB19_1640
; %bb.1638:
	s_cmp_gt_i32 s4, 6
	s_cbranch_scc0 .LBB19_1641
; %bb.1639:
	global_load_dwordx2 v[10:11], v[8:9], off
	s_mov_b64 s[0:1], 0
	s_waitcnt vmcnt(0)
	v_cvt_f32_f64_e32 v14, v[10:11]
	s_branch .LBB19_1642
.LBB19_1640:
	s_mov_b64 s[0:1], -1
                                        ; implicit-def: $vgpr14
	s_branch .LBB19_1645
.LBB19_1641:
	s_mov_b64 s[0:1], -1
                                        ; implicit-def: $vgpr14
.LBB19_1642:
	s_andn2_b64 vcc, exec, s[0:1]
	s_cbranch_vccnz .LBB19_1644
; %bb.1643:
	global_load_dword v14, v[8:9], off
.LBB19_1644:
	s_mov_b64 s[0:1], 0
.LBB19_1645:
	s_andn2_b64 vcc, exec, s[0:1]
	s_cbranch_vccnz .LBB19_1647
; %bb.1646:
	global_load_ushort v1, v[8:9], off
	s_waitcnt vmcnt(0)
	v_cvt_f32_f16_e32 v14, v1
.LBB19_1647:
	s_mov_b64 s[0:1], 0
.LBB19_1648:
	s_andn2_b64 vcc, exec, s[0:1]
	s_cbranch_vccnz .LBB19_1668
; %bb.1649:
	s_cmp_lt_i32 s4, 2
	s_cbranch_scc1 .LBB19_1653
; %bb.1650:
	s_cmp_lt_i32 s4, 3
	s_cbranch_scc1 .LBB19_1654
; %bb.1651:
	s_cmp_gt_i32 s4, 3
	s_cbranch_scc0 .LBB19_1655
; %bb.1652:
	global_load_dwordx2 v[10:11], v[8:9], off
	s_mov_b64 s[0:1], 0
	s_waitcnt vmcnt(0)
	v_xor_b32_e32 v12, v10, v11
	v_ffbh_i32_e32 v1, v11
	v_ashrrev_i32_e32 v12, 31, v12
	v_add_u32_e32 v1, -1, v1
	v_add_u32_e32 v12, 32, v12
	v_min_u32_e32 v1, v1, v12
	v_lshlrev_b64 v[10:11], v1, v[10:11]
	v_sub_u32_e32 v1, 32, v1
	v_min_u32_e32 v10, 1, v10
	v_or_b32_e32 v10, v11, v10
	v_cvt_f32_i32_e32 v10, v10
	v_ldexp_f32 v14, v10, v1
	s_branch .LBB19_1656
.LBB19_1653:
	s_mov_b64 s[0:1], -1
                                        ; implicit-def: $vgpr14
	s_branch .LBB19_1662
.LBB19_1654:
	s_mov_b64 s[0:1], -1
                                        ; implicit-def: $vgpr14
	s_branch .LBB19_1659
.LBB19_1655:
	s_mov_b64 s[0:1], -1
                                        ; implicit-def: $vgpr14
.LBB19_1656:
	s_andn2_b64 vcc, exec, s[0:1]
	s_cbranch_vccnz .LBB19_1658
; %bb.1657:
	global_load_dword v1, v[8:9], off
	s_waitcnt vmcnt(0)
	v_cvt_f32_i32_e32 v14, v1
.LBB19_1658:
	s_mov_b64 s[0:1], 0
.LBB19_1659:
	s_andn2_b64 vcc, exec, s[0:1]
	s_cbranch_vccnz .LBB19_1661
; %bb.1660:
	global_load_sshort v1, v[8:9], off
	s_waitcnt vmcnt(0)
	v_cvt_f32_i32_e32 v14, v1
.LBB19_1661:
	s_mov_b64 s[0:1], 0
.LBB19_1662:
	s_andn2_b64 vcc, exec, s[0:1]
	s_cbranch_vccnz .LBB19_1668
; %bb.1663:
	s_cmp_gt_i32 s4, 0
	s_cbranch_scc0 .LBB19_1665
; %bb.1664:
	global_load_sbyte v1, v[8:9], off
	s_mov_b64 s[0:1], 0
	s_waitcnt vmcnt(0)
	v_cvt_f32_i32_e32 v14, v1
	s_branch .LBB19_1666
.LBB19_1665:
	s_mov_b64 s[0:1], -1
                                        ; implicit-def: $vgpr14
.LBB19_1666:
	s_andn2_b64 vcc, exec, s[0:1]
	s_cbranch_vccnz .LBB19_1668
; %bb.1667:
	global_load_ubyte v1, v[8:9], off
	s_waitcnt vmcnt(0)
	v_cvt_f32_ubyte0_e32 v14, v1
.LBB19_1668:
.LBB19_1669:
	s_waitcnt vmcnt(0)
	v_cmp_neq_f32_e32 vcc, 0, v14
                                        ; implicit-def: $vgpr1
	s_and_saveexec_b64 s[0:1], vcc
	s_xor_b64 s[4:5], exec, s[0:1]
	s_cbranch_execz .LBB19_1691
; %bb.1670:
	v_mov_b32_e32 v8, 0
	v_cmp_gt_f32_e32 vcc, 0, v14
	s_mov_b64 s[0:1], -1
	s_and_saveexec_b64 s[6:7], vcc
	s_cbranch_execz .LBB19_1678
; %bb.1671:
	v_trunc_f32_e32 v1, v14
	v_cmp_neq_f32_e32 vcc, v14, v1
	s_mov_b64 s[14:15], 0
	v_mov_b32_e32 v8, 0
	s_and_saveexec_b64 s[12:13], vcc
	s_cbranch_execz .LBB19_1677
; %bb.1672:
	v_cvt_f64_f32_e32 v[8:9], v14
	s_mov_b32 s16, 0
	s_mov_b32 s1, 0xc00921fb
	;; [unrolled: 1-line block ×3, first 2 shown]
	v_trunc_f64_e32 v[10:11], v[8:9]
	s_mov_b32 s17, 0x7ff00000
	v_cmp_neq_f64_e64 vcc, |v[8:9]|, s[16:17]
	v_bfrev_b32_e32 v1, 1
	s_mov_b32 s14, 0
	s_mov_b32 s15, 0x41d00000
                                        ; implicit-def: $vgpr12_vgpr13
	v_add_f64 v[10:11], v[8:9], -v[10:11]
	v_mul_f64 v[10:11], |v[10:11]|, s[0:1]
	v_cndmask_b32_e32 v9, v1, v11, vcc
	v_cndmask_b32_e32 v8, 0, v10, vcc
	v_cmp_nlt_f64_e64 s[14:15], |v[8:9]|, s[14:15]
                                        ; implicit-def: $vgpr1
                                        ; implicit-def: $vgpr10_vgpr11
	s_and_saveexec_b64 s[20:21], s[14:15]
	s_xor_b64 s[14:15], exec, s[20:21]
	s_cbranch_execz .LBB19_1674
; %bb.1673:
	v_trig_preop_f64 v[10:11], |v[8:9]|, 0
	s_mov_b32 s20, 0
	s_mov_b32 s21, 0x7b000000
	s_movk_i32 s1, 0xff80
	v_ldexp_f64 v[15:16], |v[8:9]|, s1
	v_cmp_ge_f64_e64 vcc, |v[8:9]|, s[20:21]
	v_trig_preop_f64 v[12:13], |v[8:9]|, 1
	v_and_b32_e32 v1, 0x7fffffff, v9
	v_trig_preop_f64 v[23:24], |v[8:9]|, 2
	v_mov_b32_e32 v33, 0
	s_mov_b32 s1, 0x3ff921fb
	v_cndmask_b32_e32 v16, v1, v16, vcc
	v_cndmask_b32_e32 v15, v8, v15, vcc
	v_mov_b32_e32 v1, 0x40100000
	v_mul_f64 v[17:18], v[10:11], v[15:16]
	v_mul_f64 v[19:20], v[12:13], v[15:16]
	;; [unrolled: 1-line block ×3, first 2 shown]
	v_fma_f64 v[10:11], v[10:11], v[15:16], -v[17:18]
	v_fma_f64 v[12:13], v[12:13], v[15:16], -v[19:20]
	;; [unrolled: 1-line block ×3, first 2 shown]
	v_add_f64 v[21:22], v[19:20], v[10:11]
	v_add_f64 v[25:26], v[21:22], -v[19:20]
	v_add_f64 v[31:32], v[17:18], v[21:22]
	v_add_f64 v[27:28], v[21:22], -v[25:26]
	v_add_f64 v[10:11], v[10:11], -v[25:26]
	v_add_f64 v[25:26], v[29:30], v[12:13]
	v_add_f64 v[17:18], v[31:32], -v[17:18]
	v_add_f64 v[19:20], v[19:20], -v[27:28]
	v_ldexp_f64 v[27:28], v[31:32], -2
	v_add_f64 v[35:36], v[25:26], -v[29:30]
	v_add_f64 v[17:18], v[21:22], -v[17:18]
	v_add_f64 v[10:11], v[10:11], v[19:20]
	v_fract_f64_e32 v[19:20], v[27:28]
	v_cmp_neq_f64_e64 vcc, |v[27:28]|, s[16:17]
	v_add_f64 v[12:13], v[12:13], -v[35:36]
	s_mov_b32 s16, 0x33145c07
	s_mov_b32 s17, 0x3c91a626
	v_add_f64 v[21:22], v[25:26], v[10:11]
	v_ldexp_f64 v[19:20], v[19:20], 2
	v_add_f64 v[27:28], v[17:18], v[21:22]
	v_cndmask_b32_e32 v20, 0, v20, vcc
	v_cndmask_b32_e32 v19, 0, v19, vcc
	v_add_f64 v[37:38], v[21:22], -v[25:26]
	v_add_f64 v[31:32], v[27:28], v[19:20]
	v_add_f64 v[17:18], v[27:28], -v[17:18]
	v_add_f64 v[39:40], v[21:22], -v[37:38]
	v_add_f64 v[10:11], v[10:11], -v[37:38]
	v_cmp_gt_f64_e32 vcc, 0, v[31:32]
	v_add_f64 v[31:32], v[25:26], -v[35:36]
	v_add_f64 v[17:18], v[21:22], -v[17:18]
	;; [unrolled: 1-line block ×3, first 2 shown]
	v_cndmask_b32_e32 v34, 0, v1, vcc
	v_add_f64 v[19:20], v[19:20], v[33:34]
	v_add_f64 v[31:32], v[29:30], -v[31:32]
	v_add_f64 v[10:11], v[10:11], v[25:26]
	v_add_f64 v[41:42], v[27:28], v[19:20]
	;; [unrolled: 1-line block ×3, first 2 shown]
	v_cvt_i32_f64_e32 v1, v[41:42]
	v_add_f64 v[10:11], v[12:13], v[10:11]
	v_cvt_f64_i32_e32 v[34:35], v1
	v_add_f64 v[19:20], v[19:20], -v[34:35]
	v_add_f64 v[10:11], v[15:16], v[10:11]
	v_add_f64 v[12:13], v[27:28], v[19:20]
	;; [unrolled: 1-line block ×3, first 2 shown]
	v_mov_b32_e32 v17, 0x3ff00000
	v_add_f64 v[15:16], v[12:13], -v[19:20]
	v_cmp_le_f64_e32 vcc, 0.5, v[12:13]
	v_add_f64 v[15:16], v[27:28], -v[15:16]
	v_cndmask_b32_e32 v34, 0, v17, vcc
	v_add_f64 v[12:13], v[12:13], -v[33:34]
	v_addc_co_u32_e32 v1, vcc, 0, v1, vcc
	v_add_f64 v[10:11], v[10:11], v[15:16]
	v_add_f64 v[15:16], v[12:13], v[10:11]
	v_mul_f64 v[17:18], v[15:16], s[0:1]
	v_add_f64 v[12:13], v[15:16], -v[12:13]
	v_fma_f64 v[19:20], v[15:16], s[0:1], -v[17:18]
	v_add_f64 v[10:11], v[10:11], -v[12:13]
	v_fma_f64 v[12:13], v[15:16], s[16:17], v[19:20]
	v_fma_f64 v[12:13], v[10:11], s[0:1], v[12:13]
	v_add_f64 v[10:11], v[17:18], v[12:13]
	v_add_f64 v[15:16], v[10:11], -v[17:18]
	v_add_f64 v[12:13], v[12:13], -v[15:16]
.LBB19_1674:
	s_andn2_saveexec_b64 s[0:1], s[14:15]
	s_cbranch_execz .LBB19_1676
; %bb.1675:
	s_mov_b32 s14, 0x6dc9c883
	s_mov_b32 s15, 0x3fe45f30
	v_mul_f64 v[10:11], |v[8:9]|, s[14:15]
	s_mov_b32 s14, 0x54442d18
	s_mov_b32 s15, 0xbff921fb
	;; [unrolled: 1-line block ×4, first 2 shown]
	v_rndne_f64_e32 v[15:16], v[10:11]
	v_fma_f64 v[10:11], v[15:16], s[14:15], |v[8:9]|
	v_mul_f64 v[12:13], v[15:16], s[16:17]
	s_mov_b32 s14, 0x252049c0
	s_mov_b32 s15, 0xb97b839a
	v_cvt_i32_f64_e32 v1, v[15:16]
	v_fma_f64 v[21:22], v[15:16], s[16:17], v[10:11]
	v_add_f64 v[17:18], v[10:11], v[12:13]
	s_mov_b32 s17, 0x3c91a626
	v_add_f64 v[19:20], v[10:11], -v[17:18]
	v_add_f64 v[17:18], v[17:18], -v[21:22]
	v_add_f64 v[10:11], v[19:20], v[12:13]
	v_fma_f64 v[12:13], v[15:16], s[16:17], v[12:13]
	v_add_f64 v[10:11], v[17:18], v[10:11]
	v_add_f64 v[10:11], v[10:11], -v[12:13]
	v_fma_f64 v[12:13], v[15:16], s[14:15], v[10:11]
	v_add_f64 v[10:11], v[21:22], v[12:13]
	v_add_f64 v[17:18], v[10:11], -v[21:22]
	v_add_f64 v[12:13], v[12:13], -v[17:18]
.LBB19_1676:
	s_or_b64 exec, exec, s[0:1]
	v_mul_f64 v[15:16], v[10:11], v[10:11]
	v_add_f64 v[17:18], v[12:13], v[12:13]
	s_mov_b32 s0, 0xc751c08c
	s_mov_b32 s1, 0x3ef5e089
	v_and_b32_e32 v1, 1, v1
	v_cmp_eq_u32_e32 vcc, 0, v1
	s_mov_b32 s16, 0x54442d18
	s_mov_b32 s17, 0xc00921fb
	v_fma_f64 v[19:20], v[10:11], v[10:11], -v[15:16]
	s_mov_b64 s[14:15], exec
	v_sub_f32_e32 v14, 1.0, v14
	v_fma_f64 v[17:18], v[10:11], v[17:18], v[19:20]
	v_add_f64 v[15:16], v[15:16], v[17:18]
	v_mov_b32_e32 v17, 0xa9a29f71
	v_mov_b32_e32 v18, 0xbf078809
	v_fma_f64 v[17:18], v[15:16], s[0:1], v[17:18]
	s_mov_b32 s0, 0x90a8aae0
	s_mov_b32 s1, 0x3f17746f
	v_fma_f64 v[17:18], v[15:16], v[17:18], s[0:1]
	s_mov_b32 s0, 0xa6fbf144
	s_mov_b32 s1, 0xbefbb44d
	;; [unrolled: 3-line block ×12, first 2 shown]
	v_fma_f64 v[17:18], v[15:16], v[17:18], s[0:1]
	s_movk_i32 s0, 0x1f8
	v_cmp_class_f64_e64 s[0:1], v[8:9], s0
	v_mul_f64 v[15:16], v[15:16], v[17:18]
	v_mul_f64 v[17:18], v[10:11], v[15:16]
	v_add_f64 v[19:20], v[10:11], v[17:18]
	v_fma_f64 v[15:16], v[10:11], v[15:16], -v[17:18]
	v_add_f64 v[10:11], v[19:20], -v[10:11]
	v_add_f64 v[12:13], v[12:13], v[15:16]
	v_add_f64 v[10:11], v[17:18], -v[10:11]
	v_add_f64 v[10:11], v[12:13], v[10:11]
	v_add_f64 v[12:13], v[19:20], v[10:11]
	v_rcp_f64_e32 v[15:16], v[12:13]
	v_fma_f64 v[17:18], -v[12:13], v[15:16], 1.0
	v_fma_f64 v[15:16], v[17:18], v[15:16], v[15:16]
	v_fma_f64 v[17:18], -v[12:13], v[15:16], 1.0
	v_fma_f64 v[15:16], v[17:18], v[15:16], v[15:16]
	v_add_f64 v[17:18], v[12:13], -v[19:20]
	v_mul_f64 v[19:20], v[12:13], v[15:16]
	v_add_f64 v[10:11], v[10:11], -v[17:18]
	v_fma_f64 v[17:18], v[15:16], v[12:13], -v[19:20]
	v_fma_f64 v[10:11], v[15:16], v[10:11], v[17:18]
	v_add_f64 v[17:18], v[19:20], v[10:11]
	v_add_f64 v[21:22], -v[17:18], 1.0
	v_add_f64 v[19:20], v[17:18], -v[19:20]
	v_add_f64 v[23:24], -v[21:22], 1.0
	v_add_f64 v[10:11], v[19:20], -v[10:11]
	v_add_f64 v[17:18], v[23:24], -v[17:18]
	v_add_f64 v[10:11], v[10:11], v[17:18]
	v_add_f64 v[10:11], v[21:22], v[10:11]
	v_mul_f64 v[10:11], v[15:16], v[10:11]
	v_add_f64 v[10:11], v[15:16], v[10:11]
	v_and_b32_e32 v15, 0x80000000, v9
	v_mov_b32_e32 v9, 0x7ff80000
	v_xor_b32_e32 v8, 0x80000000, v11
	v_cndmask_b32_e32 v1, v10, v12, vcc
	v_cndmask_b32_e32 v10, v8, v13, vcc
	v_cndmask_b32_e64 v8, 0, v1, s[0:1]
	v_xor_b32_e32 v1, v10, v15
	v_cndmask_b32_e64 v9, v9, v1, s[0:1]
	v_div_scale_f64 v[10:11], s[0:1], v[8:9], v[8:9], s[16:17]
	v_div_scale_f64 v[17:18], vcc, s[16:17], v[8:9], s[16:17]
	v_rcp_f64_e32 v[12:13], v[10:11]
	v_fma_f64 v[15:16], -v[10:11], v[12:13], 1.0
	v_fma_f64 v[12:13], v[12:13], v[15:16], v[12:13]
	v_fma_f64 v[15:16], -v[10:11], v[12:13], 1.0
	v_fma_f64 v[12:13], v[12:13], v[15:16], v[12:13]
	v_mul_f64 v[15:16], v[17:18], v[12:13]
	v_fma_f64 v[10:11], -v[10:11], v[15:16], v[17:18]
	v_div_fmas_f64 v[10:11], v[10:11], v[12:13], v[15:16]
	v_div_fixup_f64 v[8:9], v[10:11], v[8:9], s[16:17]
	v_cvt_f32_f64_e32 v8, v[8:9]
.LBB19_1677:
	s_or_b64 exec, exec, s[12:13]
	s_orn2_b64 s[0:1], s[14:15], exec
.LBB19_1678:
	s_or_b64 exec, exec, s[6:7]
	v_mov_b32_e32 v1, 0x7fc00000
	s_and_saveexec_b64 s[6:7], s[0:1]
	s_cbranch_execz .LBB19_1690
; %bb.1679:
	s_mov_b32 s14, 0x41200000
	v_cmp_gt_f32_e32 vcc, s14, v14
	s_and_saveexec_b64 s[0:1], vcc
	s_cbranch_execz .LBB19_1683
; %bb.1680:
	s_mov_b64 s[12:13], 0
.LBB19_1681:                            ; =>This Inner Loop Header: Depth=1
	v_div_scale_f32 v1, s[16:17], v14, v14, 1.0
	v_div_scale_f32 v9, vcc, 1.0, v14, 1.0
	v_rcp_f32_e32 v10, v1
	v_fma_f32 v11, -v1, v10, 1.0
	v_fmac_f32_e32 v10, v11, v10
	v_mul_f32_e32 v11, v9, v10
	v_fma_f32 v12, -v1, v11, v9
	v_fmac_f32_e32 v11, v12, v10
	v_fma_f32 v1, -v1, v11, v9
	v_div_fmas_f32 v1, v1, v10, v11
	v_div_fixup_f32 v1, v1, v14, 1.0
	v_add_f32_e32 v14, 1.0, v14
	v_cmp_ngt_f32_e32 vcc, s14, v14
	s_or_b64 s[12:13], vcc, s[12:13]
	v_sub_f32_e32 v8, v8, v1
	s_andn2_b64 exec, exec, s[12:13]
	s_cbranch_execnz .LBB19_1681
; %bb.1682:
	s_or_b64 exec, exec, s[12:13]
.LBB19_1683:
	s_or_b64 exec, exec, s[0:1]
	s_mov_b32 s0, 0x41200000
	v_cmp_neq_f32_e32 vcc, s0, v14
                                        ; implicit-def: $vgpr1
	s_and_saveexec_b64 s[0:1], vcc
	s_xor_b64 s[12:13], exec, s[0:1]
	s_cbranch_execz .LBB19_1687
; %bb.1684:
	v_cvt_f64_f32_e32 v[9:10], v14
	s_mov_b32 s0, 0x85d8a000
	s_mov_b32 s1, 0x43763457
	v_mov_b32_e32 v1, 0
	v_cmp_gt_f64_e32 vcc, s[0:1], v[9:10]
	s_and_saveexec_b64 s[0:1], vcc
	s_cbranch_execz .LBB19_1686
; %bb.1685:
	v_mul_f32_e32 v1, v14, v14
	v_div_scale_f32 v9, s[14:15], v1, v1, 1.0
	v_div_scale_f32 v10, vcc, 1.0, v1, 1.0
	v_mov_b32_e32 v15, 0x3b820821
	v_rcp_f32_e32 v11, v9
	v_fma_f32 v12, -v9, v11, 1.0
	v_fmac_f32_e32 v11, v12, v11
	v_mul_f32_e32 v12, v10, v11
	v_fma_f32 v13, -v9, v12, v10
	v_fmac_f32_e32 v12, v13, v11
	v_fma_f32 v9, -v9, v12, v10
	v_div_fmas_f32 v9, v9, v11, v12
	v_mov_b32_e32 v10, 0x3daaaaab
	v_mov_b32_e32 v11, 0xbcaccacd
	;; [unrolled: 1-line block ×4, first 2 shown]
	v_div_fixup_f32 v1, v9, v1, 1.0
	v_fma_f32 v9, 0, v1, v10
	v_fmac_f32_e32 v11, v1, v9
	v_fmac_f32_e32 v12, v1, v11
	;; [unrolled: 1-line block ×4, first 2 shown]
	v_mov_b32_e32 v9, 0xbc088889
	v_fmac_f32_e32 v9, v1, v15
	v_fmac_f32_e32 v10, v1, v9
	v_mul_f32_e32 v1, v1, v10
.LBB19_1686:
	s_or_b64 exec, exec, s[0:1]
	v_div_scale_f32 v9, s[0:1], v14, v14, -0.5
	v_div_scale_f32 v10, vcc, -0.5, v14, -0.5
	s_mov_b32 s0, 0x800000
	v_cmp_gt_f32_e64 s[0:1], s0, v14
	v_cndmask_b32_e64 v12, 0, 32, s[0:1]
	s_mov_b32 s14, 0x3f317217
	v_rcp_f32_e32 v11, v9
	v_fma_f32 v13, -v9, v11, 1.0
	v_fmac_f32_e32 v11, v13, v11
	v_mul_f32_e32 v13, v10, v11
	v_fma_f32 v15, -v9, v13, v10
	v_fmac_f32_e32 v13, v15, v11
	v_fma_f32 v9, -v9, v13, v10
	v_div_fmas_f32 v9, v9, v11, v13
	v_ldexp_f32 v10, v14, v12
	v_log_f32_e32 v10, v10
	v_mul_f32_e32 v11, 0x3f317217, v10
	v_fma_f32 v11, v10, s14, -v11
	v_fmac_f32_e32 v11, 0x3377d1cf, v10
	s_mov_b32 s14, 0x7f800000
	v_fmac_f32_e32 v11, 0x3f317217, v10
	v_cmp_lt_f32_e64 vcc, |v10|, s14
	v_cndmask_b32_e32 v10, v10, v11, vcc
	v_mov_b32_e32 v11, 0x41b17218
	v_cndmask_b32_e64 v11, 0, v11, s[0:1]
	v_sub_f32_e32 v10, v10, v11
	v_div_fixup_f32 v9, v9, v14, -0.5
	v_add_f32_e32 v9, v10, v9
	v_sub_f32_e32 v1, v9, v1
	v_add_f32_e32 v1, v8, v1
                                        ; implicit-def: $vgpr8
.LBB19_1687:
	s_andn2_saveexec_b64 s[0:1], s[12:13]
; %bb.1688:
	v_add_f32_e32 v1, 0x40101cb7, v8
; %bb.1689:
	s_or_b64 exec, exec, s[0:1]
.LBB19_1690:
	s_or_b64 exec, exec, s[6:7]
                                        ; implicit-def: $vgpr14
.LBB19_1691:
	s_andn2_saveexec_b64 s[0:1], s[4:5]
; %bb.1692:
	v_xor_b32_e32 v1, 0x80000000, v14
	s_brev_b32 s4, -2
	v_mov_b32_e32 v8, 0x7f800000
	v_bfi_b32 v1, s4, v8, v1
; %bb.1693:
	s_or_b64 exec, exec, s[0:1]
	v_mov_b32_e32 v8, s11
	v_add_co_u32_e32 v7, vcc, s10, v7
	s_cmp_lt_i32 s19, 11
	v_addc_co_u32_e32 v8, vcc, 0, v8, vcc
	s_cbranch_scc1 .LBB19_1700
; %bb.1694:
	s_and_b32 s14, 0xffff, s19
	s_cmp_gt_i32 s14, 25
	s_mov_b64 s[4:5], 0
	s_cbranch_scc0 .LBB19_1701
; %bb.1695:
	s_cmp_gt_i32 s14, 28
	s_cbranch_scc0 .LBB19_1702
; %bb.1696:
	s_cmp_gt_i32 s14, 43
	;; [unrolled: 3-line block ×3, first 2 shown]
	s_cbranch_scc0 .LBB19_1705
; %bb.1698:
	s_cmp_eq_u32 s14, 46
	s_mov_b64 s[10:11], 0
	s_cbranch_scc0 .LBB19_1706
; %bb.1699:
	global_load_dword v9, v[7:8], off
	s_mov_b64 s[0:1], 0
	s_mov_b64 s[6:7], -1
	s_waitcnt vmcnt(0)
	v_lshlrev_b32_e32 v13, 16, v9
	s_branch .LBB19_1707
.LBB19_1700:
	s_mov_b64 s[0:1], -1
	s_mov_b64 s[6:7], 0
                                        ; implicit-def: $vgpr13
	s_branch .LBB19_1773
.LBB19_1701:
	s_mov_b64 s[10:11], -1
	s_mov_b64 s[6:7], 0
	s_mov_b64 s[0:1], 0
                                        ; implicit-def: $vgpr13
	s_branch .LBB19_1736
.LBB19_1702:
	s_mov_b64 s[10:11], -1
	s_mov_b64 s[6:7], 0
	s_mov_b64 s[0:1], 0
                                        ; implicit-def: $vgpr13
	s_branch .LBB19_1717
.LBB19_1703:
	s_mov_b64 s[10:11], -1
	s_mov_b64 s[6:7], 0
	s_mov_b64 s[0:1], 0
                                        ; implicit-def: $vgpr13
	s_branch .LBB19_1712
.LBB19_1704:
	s_trap 2
	s_or_b64 s[2:3], s[2:3], exec
	s_cbranch_execz .LBB19_1619
	s_branch .LBB19_1620
.LBB19_1705:
	s_mov_b64 s[10:11], -1
	s_mov_b64 s[6:7], 0
	s_mov_b64 s[0:1], 0
                                        ; implicit-def: $vgpr13
	s_branch .LBB19_1707
.LBB19_1706:
	s_mov_b64 s[0:1], -1
                                        ; implicit-def: $vgpr13
	s_mov_b64 s[6:7], 0
.LBB19_1707:
	s_and_b64 vcc, exec, s[10:11]
	s_cbranch_vccz .LBB19_1711
; %bb.1708:
	s_cmp_eq_u32 s14, 44
	s_cbranch_scc0 .LBB19_1710
; %bb.1709:
	global_load_ubyte v9, v[7:8], off
	s_movk_i32 s6, 0xff
	v_mov_b32_e32 v10, 0x7f800001
	v_mov_b32_e32 v11, 0x400000
	s_mov_b64 s[0:1], 0
	s_waitcnt vmcnt(0)
	v_lshlrev_b32_e32 v12, 23, v9
	v_cmp_ne_u32_e32 vcc, s6, v9
	v_cndmask_b32_e32 v10, v10, v12, vcc
	v_cmp_ne_u32_e32 vcc, 0, v9
	v_cndmask_b32_e32 v13, v11, v10, vcc
	s_mov_b64 s[6:7], -1
	s_branch .LBB19_1711
.LBB19_1710:
	s_mov_b64 s[0:1], -1
                                        ; implicit-def: $vgpr13
.LBB19_1711:
	s_mov_b64 s[10:11], 0
.LBB19_1712:
	s_and_b64 vcc, exec, s[10:11]
	s_cbranch_vccz .LBB19_1716
; %bb.1713:
	s_cmp_eq_u32 s14, 29
	s_cbranch_scc0 .LBB19_1715
; %bb.1714:
	global_load_dwordx2 v[9:10], v[7:8], off
	s_mov_b64 s[0:1], 0
	s_mov_b64 s[6:7], -1
	s_mov_b64 s[10:11], 0
	s_waitcnt vmcnt(0)
	v_ffbh_u32_e32 v11, v10
	v_min_u32_e32 v11, 32, v11
	v_lshlrev_b64 v[9:10], v11, v[9:10]
	v_min_u32_e32 v9, 1, v9
	v_or_b32_e32 v9, v10, v9
	v_cvt_f32_u32_e32 v9, v9
	v_sub_u32_e32 v10, 32, v11
	v_ldexp_f32 v13, v9, v10
	s_branch .LBB19_1717
.LBB19_1715:
	s_mov_b64 s[0:1], -1
                                        ; implicit-def: $vgpr13
.LBB19_1716:
	s_mov_b64 s[10:11], 0
.LBB19_1717:
	s_and_b64 vcc, exec, s[10:11]
	s_cbranch_vccz .LBB19_1735
; %bb.1718:
	s_cmp_lt_i32 s14, 27
	s_cbranch_scc1 .LBB19_1721
; %bb.1719:
	s_cmp_gt_i32 s14, 27
	s_cbranch_scc0 .LBB19_1722
; %bb.1720:
	global_load_dword v9, v[7:8], off
	s_mov_b64 s[6:7], 0
	s_waitcnt vmcnt(0)
	v_cvt_f32_u32_e32 v13, v9
	s_branch .LBB19_1723
.LBB19_1721:
	s_mov_b64 s[6:7], -1
                                        ; implicit-def: $vgpr13
	s_branch .LBB19_1726
.LBB19_1722:
	s_mov_b64 s[6:7], -1
                                        ; implicit-def: $vgpr13
.LBB19_1723:
	s_andn2_b64 vcc, exec, s[6:7]
	s_cbranch_vccnz .LBB19_1725
; %bb.1724:
	global_load_ushort v9, v[7:8], off
	s_waitcnt vmcnt(0)
	v_cvt_f32_u32_e32 v13, v9
.LBB19_1725:
	s_mov_b64 s[6:7], 0
.LBB19_1726:
	s_andn2_b64 vcc, exec, s[6:7]
	s_cbranch_vccnz .LBB19_1734
; %bb.1727:
	global_load_ubyte v9, v[7:8], off
	s_movk_i32 s6, 0x7f
	s_waitcnt vmcnt(0)
	v_cmp_lt_i16_e32 vcc, s6, v9
	s_mov_b64 s[6:7], 0
	s_and_saveexec_b64 s[10:11], vcc
	s_xor_b64 s[10:11], exec, s[10:11]
	s_cbranch_execz .LBB19_1748
; %bb.1728:
	s_movk_i32 s6, 0x80
	v_cmp_eq_u16_e32 vcc, s6, v9
	s_mov_b64 s[6:7], -1
	s_and_saveexec_b64 s[12:13], vcc
; %bb.1729:
	s_xor_b64 s[6:7], exec, -1
; %bb.1730:
	s_or_b64 exec, exec, s[12:13]
	s_and_b64 s[6:7], s[6:7], exec
	s_or_saveexec_b64 s[10:11], s[10:11]
	v_mov_b32_e32 v13, 0x7f800001
	s_xor_b64 exec, exec, s[10:11]
	s_cbranch_execnz .LBB19_1749
.LBB19_1731:
	s_or_b64 exec, exec, s[10:11]
	s_and_saveexec_b64 s[10:11], s[6:7]
	s_cbranch_execz .LBB19_1733
.LBB19_1732:
	v_lshlrev_b32_e32 v10, 24, v9
	v_and_b32_e32 v9, 0xffff, v9
	v_and_b32_e32 v11, 7, v9
	v_ffbh_u32_e32 v13, v11
	v_min_u32_e32 v13, 32, v13
	v_subrev_u32_e32 v14, 28, v13
	v_bfe_u32 v12, v9, 3, 4
	v_lshlrev_b32_e32 v9, v14, v9
	v_sub_u32_e32 v13, 29, v13
	v_and_b32_e32 v9, 7, v9
	v_cmp_eq_u32_e32 vcc, 0, v12
	v_cndmask_b32_e32 v12, v12, v13, vcc
	v_cndmask_b32_e32 v9, v11, v9, vcc
	v_mov_b32_e32 v11, 0x3b800000
	v_lshlrev_b32_e32 v9, 20, v9
	v_and_b32_e32 v10, 0x80000000, v10
	v_lshl_add_u32 v11, v12, 23, v11
	v_or3_b32 v13, v10, v11, v9
.LBB19_1733:
	s_or_b64 exec, exec, s[10:11]
.LBB19_1734:
	s_mov_b64 s[6:7], -1
.LBB19_1735:
	s_mov_b64 s[10:11], 0
.LBB19_1736:
	s_and_b64 vcc, exec, s[10:11]
	s_cbranch_vccz .LBB19_1769
; %bb.1737:
	s_cmp_gt_i32 s14, 22
	s_cbranch_scc0 .LBB19_1747
; %bb.1738:
	s_cmp_lt_i32 s14, 24
	s_cbranch_scc1 .LBB19_1750
; %bb.1739:
	s_cmp_gt_i32 s14, 24
	s_cbranch_scc0 .LBB19_1751
; %bb.1740:
	global_load_ubyte v9, v[7:8], off
	s_movk_i32 s4, 0x7f
	s_waitcnt vmcnt(0)
	v_cmp_lt_i16_e32 vcc, s4, v9
	s_mov_b64 s[4:5], 0
	s_and_saveexec_b64 s[6:7], vcc
	s_xor_b64 s[6:7], exec, s[6:7]
	s_cbranch_execz .LBB19_1763
; %bb.1741:
	s_movk_i32 s4, 0x80
	v_cmp_eq_u16_e32 vcc, s4, v9
	s_mov_b64 s[4:5], -1
	s_and_saveexec_b64 s[10:11], vcc
; %bb.1742:
	s_xor_b64 s[4:5], exec, -1
; %bb.1743:
	s_or_b64 exec, exec, s[10:11]
	s_and_b64 s[4:5], s[4:5], exec
	s_or_saveexec_b64 s[6:7], s[6:7]
	v_mov_b32_e32 v13, 0x7f800001
	s_xor_b64 exec, exec, s[6:7]
	s_cbranch_execnz .LBB19_1764
.LBB19_1744:
	s_or_b64 exec, exec, s[6:7]
	s_and_saveexec_b64 s[6:7], s[4:5]
	s_cbranch_execz .LBB19_1746
.LBB19_1745:
	v_lshlrev_b32_e32 v10, 24, v9
	v_and_b32_e32 v9, 0xffff, v9
	v_and_b32_e32 v11, 3, v9
	v_ffbh_u32_e32 v13, v11
	v_min_u32_e32 v13, 32, v13
	v_subrev_u32_e32 v14, 29, v13
	v_bfe_u32 v12, v9, 2, 5
	v_lshlrev_b32_e32 v9, v14, v9
	v_sub_u32_e32 v13, 30, v13
	v_and_b32_e32 v9, 3, v9
	v_cmp_eq_u32_e32 vcc, 0, v12
	v_cndmask_b32_e32 v12, v12, v13, vcc
	v_cndmask_b32_e32 v9, v11, v9, vcc
	v_mov_b32_e32 v11, 0x37800000
	v_lshlrev_b32_e32 v9, 21, v9
	v_and_b32_e32 v10, 0x80000000, v10
	v_lshl_add_u32 v11, v12, 23, v11
	v_or3_b32 v13, v10, v11, v9
.LBB19_1746:
	s_or_b64 exec, exec, s[6:7]
	s_mov_b64 s[4:5], 0
	s_branch .LBB19_1752
.LBB19_1747:
	s_mov_b64 s[4:5], -1
                                        ; implicit-def: $vgpr13
	s_branch .LBB19_1758
.LBB19_1748:
	s_or_saveexec_b64 s[10:11], s[10:11]
	v_mov_b32_e32 v13, 0x7f800001
	s_xor_b64 exec, exec, s[10:11]
	s_cbranch_execz .LBB19_1731
.LBB19_1749:
	v_cmp_ne_u16_e32 vcc, 0, v9
	s_andn2_b64 s[6:7], s[6:7], exec
	s_and_b64 s[12:13], vcc, exec
	v_mov_b32_e32 v13, 0
	s_or_b64 s[6:7], s[6:7], s[12:13]
	s_or_b64 exec, exec, s[10:11]
	s_and_saveexec_b64 s[10:11], s[6:7]
	s_cbranch_execnz .LBB19_1732
	s_branch .LBB19_1733
.LBB19_1750:
	s_mov_b64 s[4:5], -1
                                        ; implicit-def: $vgpr13
	s_branch .LBB19_1755
.LBB19_1751:
	s_mov_b64 s[4:5], -1
                                        ; implicit-def: $vgpr13
.LBB19_1752:
	s_and_b64 vcc, exec, s[4:5]
	s_cbranch_vccz .LBB19_1754
; %bb.1753:
	global_load_ubyte v9, v[7:8], off
	s_mov_b32 s4, 0x7f800000
	s_waitcnt vmcnt(0)
	v_lshlrev_b32_e32 v9, 24, v9
	v_and_b32_e32 v10, 0x7f000000, v9
	v_ffbh_u32_e32 v11, v10
	v_min_u32_e32 v11, 32, v11
	v_sub_u32_e64 v11, v11, 4 clamp
	v_lshlrev_b32_e32 v13, v11, v10
	v_lshlrev_b32_e32 v11, 23, v11
	v_lshrrev_b32_e32 v13, 4, v13
	v_add_u32_e32 v12, 0x1000000, v10
	v_sub_u32_e32 v11, v13, v11
	v_ashrrev_i32_e32 v12, 8, v12
	v_add_u32_e32 v11, 0x3c000000, v11
	v_and_or_b32 v11, v12, s4, v11
	v_cmp_ne_u32_e32 vcc, 0, v10
	v_cndmask_b32_e32 v10, 0, v11, vcc
	s_brev_b32 s4, 1
	v_and_or_b32 v13, v9, s4, v10
.LBB19_1754:
	s_mov_b64 s[4:5], 0
.LBB19_1755:
	s_andn2_b64 vcc, exec, s[4:5]
	s_cbranch_vccnz .LBB19_1757
; %bb.1756:
	global_load_ubyte v9, v[7:8], off
	s_movk_i32 s4, 0x7f00
	s_brev_b32 s5, 16
	s_waitcnt vmcnt(0)
	v_lshlrev_b16_e32 v10, 8, v9
	v_lshlrev_b32_e32 v9, 25, v9
	v_lshrrev_b32_e32 v11, 4, v9
	v_and_or_b32 v12, v10, s4, 0.5
	v_or_b32_e32 v11, 0x70000000, v11
	v_add_f32_e32 v12, -0.5, v12
	v_mul_f32_e32 v11, 0x7800000, v11
	v_cmp_gt_u32_e32 vcc, s5, v9
	v_bfe_i32 v10, v10, 0, 16
	v_cndmask_b32_e32 v9, v11, v12, vcc
	s_brev_b32 s4, 1
	v_and_or_b32 v13, v10, s4, v9
.LBB19_1757:
	s_mov_b64 s[4:5], 0
	s_mov_b64 s[6:7], -1
.LBB19_1758:
	s_andn2_b64 vcc, exec, s[4:5]
	s_mov_b64 s[4:5], 0
	s_cbranch_vccnz .LBB19_1769
; %bb.1759:
	s_cmp_gt_i32 s14, 14
	s_cbranch_scc0 .LBB19_1762
; %bb.1760:
	s_cmp_eq_u32 s14, 15
	s_cbranch_scc0 .LBB19_1765
; %bb.1761:
	global_load_ushort v9, v[7:8], off
	s_mov_b64 s[0:1], 0
	s_mov_b64 s[6:7], -1
	s_waitcnt vmcnt(0)
	v_lshlrev_b32_e32 v13, 16, v9
	s_branch .LBB19_1766
.LBB19_1762:
	s_mov_b64 s[10:11], -1
                                        ; implicit-def: $vgpr13
	s_branch .LBB19_1767
.LBB19_1763:
	s_or_saveexec_b64 s[6:7], s[6:7]
	v_mov_b32_e32 v13, 0x7f800001
	s_xor_b64 exec, exec, s[6:7]
	s_cbranch_execz .LBB19_1744
.LBB19_1764:
	v_cmp_ne_u16_e32 vcc, 0, v9
	s_andn2_b64 s[4:5], s[4:5], exec
	s_and_b64 s[10:11], vcc, exec
	v_mov_b32_e32 v13, 0
	s_or_b64 s[4:5], s[4:5], s[10:11]
	s_or_b64 exec, exec, s[6:7]
	s_and_saveexec_b64 s[6:7], s[4:5]
	s_cbranch_execnz .LBB19_1745
	s_branch .LBB19_1746
.LBB19_1765:
	s_mov_b64 s[0:1], -1
                                        ; implicit-def: $vgpr13
.LBB19_1766:
	s_mov_b64 s[10:11], 0
.LBB19_1767:
	s_and_b64 vcc, exec, s[10:11]
	s_cbranch_vccz .LBB19_1769
; %bb.1768:
	s_cmp_lg_u32 s14, 11
	s_mov_b64 s[4:5], -1
	s_cselect_b64 s[0:1], -1, 0
.LBB19_1769:
	s_and_b64 vcc, exec, s[0:1]
	s_cbranch_vccnz .LBB19_2328
; %bb.1770:
	s_andn2_b64 vcc, exec, s[4:5]
	s_cbranch_vccnz .LBB19_1772
.LBB19_1771:
	global_load_ubyte v9, v[7:8], off
	s_mov_b64 s[6:7], -1
	s_waitcnt vmcnt(0)
	v_cmp_ne_u16_e32 vcc, 0, v9
	v_cndmask_b32_e64 v13, 0, 1.0, vcc
.LBB19_1772:
	s_mov_b64 s[0:1], 0
.LBB19_1773:
	s_and_b64 vcc, exec, s[0:1]
	s_cbranch_vccz .LBB19_1822
; %bb.1774:
	s_and_b32 s4, 0xffff, s19
	s_cmp_lt_i32 s4, 5
	s_cbranch_scc1 .LBB19_1779
; %bb.1775:
	s_cmp_lt_i32 s4, 8
	s_cbranch_scc1 .LBB19_1780
; %bb.1776:
	;; [unrolled: 3-line block ×3, first 2 shown]
	s_cmp_gt_i32 s4, 9
	s_cbranch_scc0 .LBB19_1782
; %bb.1778:
	global_load_dwordx2 v[9:10], v[7:8], off
	s_mov_b64 s[0:1], 0
	s_waitcnt vmcnt(0)
	v_cvt_f32_f64_e32 v13, v[9:10]
	s_branch .LBB19_1783
.LBB19_1779:
	s_mov_b64 s[0:1], -1
                                        ; implicit-def: $vgpr13
	s_branch .LBB19_1801
.LBB19_1780:
	s_mov_b64 s[0:1], -1
                                        ; implicit-def: $vgpr13
	s_branch .LBB19_1789
.LBB19_1781:
	s_mov_b64 s[0:1], -1
                                        ; implicit-def: $vgpr13
	s_branch .LBB19_1786
.LBB19_1782:
	s_mov_b64 s[0:1], -1
                                        ; implicit-def: $vgpr13
.LBB19_1783:
	s_andn2_b64 vcc, exec, s[0:1]
	s_cbranch_vccnz .LBB19_1785
; %bb.1784:
	global_load_dword v13, v[7:8], off
.LBB19_1785:
	s_mov_b64 s[0:1], 0
.LBB19_1786:
	s_andn2_b64 vcc, exec, s[0:1]
	s_cbranch_vccnz .LBB19_1788
; %bb.1787:
	global_load_dword v9, v[7:8], off
	s_waitcnt vmcnt(0)
	v_cvt_f32_f16_e32 v13, v9
.LBB19_1788:
	s_mov_b64 s[0:1], 0
.LBB19_1789:
	s_andn2_b64 vcc, exec, s[0:1]
	s_cbranch_vccnz .LBB19_1800
; %bb.1790:
	s_cmp_lt_i32 s4, 6
	s_cbranch_scc1 .LBB19_1793
; %bb.1791:
	s_cmp_gt_i32 s4, 6
	s_cbranch_scc0 .LBB19_1794
; %bb.1792:
	global_load_dwordx2 v[9:10], v[7:8], off
	s_mov_b64 s[0:1], 0
	s_waitcnt vmcnt(0)
	v_cvt_f32_f64_e32 v13, v[9:10]
	s_branch .LBB19_1795
.LBB19_1793:
	s_mov_b64 s[0:1], -1
                                        ; implicit-def: $vgpr13
	s_branch .LBB19_1798
.LBB19_1794:
	s_mov_b64 s[0:1], -1
                                        ; implicit-def: $vgpr13
.LBB19_1795:
	s_andn2_b64 vcc, exec, s[0:1]
	s_cbranch_vccnz .LBB19_1797
; %bb.1796:
	global_load_dword v13, v[7:8], off
.LBB19_1797:
	s_mov_b64 s[0:1], 0
.LBB19_1798:
	s_andn2_b64 vcc, exec, s[0:1]
	s_cbranch_vccnz .LBB19_1800
; %bb.1799:
	global_load_ushort v9, v[7:8], off
	s_waitcnt vmcnt(0)
	v_cvt_f32_f16_e32 v13, v9
.LBB19_1800:
	s_mov_b64 s[0:1], 0
.LBB19_1801:
	s_andn2_b64 vcc, exec, s[0:1]
	s_cbranch_vccnz .LBB19_1821
; %bb.1802:
	s_cmp_lt_i32 s4, 2
	s_cbranch_scc1 .LBB19_1806
; %bb.1803:
	s_cmp_lt_i32 s4, 3
	s_cbranch_scc1 .LBB19_1807
; %bb.1804:
	s_cmp_gt_i32 s4, 3
	s_cbranch_scc0 .LBB19_1808
; %bb.1805:
	global_load_dwordx2 v[9:10], v[7:8], off
	s_mov_b64 s[0:1], 0
	s_waitcnt vmcnt(0)
	v_xor_b32_e32 v12, v9, v10
	v_ffbh_i32_e32 v11, v10
	v_ashrrev_i32_e32 v12, 31, v12
	v_add_u32_e32 v11, -1, v11
	v_add_u32_e32 v12, 32, v12
	v_min_u32_e32 v11, v11, v12
	v_lshlrev_b64 v[9:10], v11, v[9:10]
	v_min_u32_e32 v9, 1, v9
	v_or_b32_e32 v9, v10, v9
	v_cvt_f32_i32_e32 v9, v9
	v_sub_u32_e32 v10, 32, v11
	v_ldexp_f32 v13, v9, v10
	s_branch .LBB19_1809
.LBB19_1806:
	s_mov_b64 s[0:1], -1
                                        ; implicit-def: $vgpr13
	s_branch .LBB19_1815
.LBB19_1807:
	s_mov_b64 s[0:1], -1
                                        ; implicit-def: $vgpr13
	s_branch .LBB19_1812
.LBB19_1808:
	s_mov_b64 s[0:1], -1
                                        ; implicit-def: $vgpr13
.LBB19_1809:
	s_andn2_b64 vcc, exec, s[0:1]
	s_cbranch_vccnz .LBB19_1811
; %bb.1810:
	global_load_dword v9, v[7:8], off
	s_waitcnt vmcnt(0)
	v_cvt_f32_i32_e32 v13, v9
.LBB19_1811:
	s_mov_b64 s[0:1], 0
.LBB19_1812:
	s_andn2_b64 vcc, exec, s[0:1]
	s_cbranch_vccnz .LBB19_1814
; %bb.1813:
	global_load_sshort v9, v[7:8], off
	s_waitcnt vmcnt(0)
	v_cvt_f32_i32_e32 v13, v9
.LBB19_1814:
	s_mov_b64 s[0:1], 0
.LBB19_1815:
	s_andn2_b64 vcc, exec, s[0:1]
	s_cbranch_vccnz .LBB19_1821
; %bb.1816:
	s_cmp_gt_i32 s4, 0
	s_cbranch_scc0 .LBB19_1818
; %bb.1817:
	global_load_sbyte v9, v[7:8], off
	s_mov_b64 s[0:1], 0
	s_waitcnt vmcnt(0)
	v_cvt_f32_i32_e32 v13, v9
	s_branch .LBB19_1819
.LBB19_1818:
	s_mov_b64 s[0:1], -1
                                        ; implicit-def: $vgpr13
.LBB19_1819:
	s_andn2_b64 vcc, exec, s[0:1]
	s_cbranch_vccnz .LBB19_1821
; %bb.1820:
	global_load_ubyte v7, v[7:8], off
	s_waitcnt vmcnt(0)
	v_cvt_f32_ubyte0_e32 v13, v7
.LBB19_1821:
	s_mov_b64 s[6:7], -1
.LBB19_1822:
	s_andn2_b64 vcc, exec, s[6:7]
	s_cbranch_vccnz .LBB19_1925
; %bb.1823:
	s_waitcnt vmcnt(0)
	v_cmp_neq_f32_e32 vcc, 0, v13
                                        ; implicit-def: $vgpr7
	s_and_saveexec_b64 s[0:1], vcc
	s_xor_b64 s[4:5], exec, s[0:1]
	s_cbranch_execz .LBB19_1845
; %bb.1824:
	v_mov_b32_e32 v8, 0
	v_cmp_gt_f32_e32 vcc, 0, v13
	s_mov_b64 s[0:1], -1
	s_and_saveexec_b64 s[6:7], vcc
	s_cbranch_execz .LBB19_1832
; %bb.1825:
	v_trunc_f32_e32 v7, v13
	v_cmp_neq_f32_e32 vcc, v13, v7
	s_mov_b64 s[12:13], 0
	v_mov_b32_e32 v8, 0
	s_and_saveexec_b64 s[10:11], vcc
	s_cbranch_execz .LBB19_1831
; %bb.1826:
	v_cvt_f64_f32_e32 v[7:8], v13
	s_mov_b32 s14, 0
	s_mov_b32 s1, 0xc00921fb
	;; [unrolled: 1-line block ×3, first 2 shown]
	v_trunc_f64_e32 v[9:10], v[7:8]
	s_mov_b32 s15, 0x7ff00000
	v_cmp_neq_f64_e64 vcc, |v[7:8]|, s[14:15]
	v_bfrev_b32_e32 v11, 1
	s_mov_b32 s12, 0
	s_mov_b32 s13, 0x41d00000
                                        ; implicit-def: $vgpr14
	v_add_f64 v[9:10], v[7:8], -v[9:10]
	v_mul_f64 v[9:10], |v[9:10]|, s[0:1]
	v_cndmask_b32_e32 v8, v11, v10, vcc
	v_cndmask_b32_e32 v7, 0, v9, vcc
	v_cmp_nlt_f64_e64 s[12:13], |v[7:8]|, s[12:13]
                                        ; implicit-def: $vgpr9_vgpr10
                                        ; implicit-def: $vgpr11_vgpr12
	s_and_saveexec_b64 s[16:17], s[12:13]
	s_xor_b64 s[12:13], exec, s[16:17]
	s_cbranch_execz .LBB19_1828
; %bb.1827:
	v_trig_preop_f64 v[9:10], |v[7:8]|, 0
	s_mov_b32 s16, 0
	s_mov_b32 s17, 0x7b000000
	s_movk_i32 s1, 0xff80
	v_ldexp_f64 v[14:15], |v[7:8]|, s1
	v_cmp_ge_f64_e64 vcc, |v[7:8]|, s[16:17]
	v_trig_preop_f64 v[11:12], |v[7:8]|, 1
	v_and_b32_e32 v16, 0x7fffffff, v8
	v_trig_preop_f64 v[22:23], |v[7:8]|, 2
	v_mov_b32_e32 v33, 0x40100000
	v_mov_b32_e32 v32, 0
	s_mov_b32 s1, 0x3ff921fb
	v_cndmask_b32_e32 v15, v16, v15, vcc
	v_cndmask_b32_e32 v14, v7, v14, vcc
	v_mul_f64 v[16:17], v[9:10], v[14:15]
	v_mul_f64 v[18:19], v[11:12], v[14:15]
	;; [unrolled: 1-line block ×3, first 2 shown]
	v_fma_f64 v[9:10], v[9:10], v[14:15], -v[16:17]
	v_fma_f64 v[11:12], v[11:12], v[14:15], -v[18:19]
	;; [unrolled: 1-line block ×3, first 2 shown]
	v_add_f64 v[20:21], v[18:19], v[9:10]
	v_add_f64 v[24:25], v[20:21], -v[18:19]
	v_add_f64 v[30:31], v[16:17], v[20:21]
	v_add_f64 v[26:27], v[20:21], -v[24:25]
	v_add_f64 v[9:10], v[9:10], -v[24:25]
	v_add_f64 v[24:25], v[28:29], v[11:12]
	v_add_f64 v[16:17], v[30:31], -v[16:17]
	v_add_f64 v[18:19], v[18:19], -v[26:27]
	v_ldexp_f64 v[26:27], v[30:31], -2
	v_add_f64 v[34:35], v[24:25], -v[28:29]
	v_add_f64 v[16:17], v[20:21], -v[16:17]
	v_add_f64 v[9:10], v[9:10], v[18:19]
	v_fract_f64_e32 v[18:19], v[26:27]
	v_cmp_neq_f64_e64 vcc, |v[26:27]|, s[14:15]
	v_add_f64 v[11:12], v[11:12], -v[34:35]
	s_mov_b32 s14, 0x33145c07
	s_mov_b32 s15, 0x3c91a626
	v_add_f64 v[20:21], v[24:25], v[9:10]
	v_ldexp_f64 v[18:19], v[18:19], 2
	v_add_f64 v[26:27], v[16:17], v[20:21]
	v_cndmask_b32_e32 v19, 0, v19, vcc
	v_cndmask_b32_e32 v18, 0, v18, vcc
	v_add_f64 v[36:37], v[20:21], -v[24:25]
	v_add_f64 v[30:31], v[26:27], v[18:19]
	v_add_f64 v[16:17], v[26:27], -v[16:17]
	v_add_f64 v[38:39], v[20:21], -v[36:37]
	;; [unrolled: 1-line block ×3, first 2 shown]
	v_cmp_gt_f64_e32 vcc, 0, v[30:31]
	v_add_f64 v[30:31], v[24:25], -v[34:35]
	v_add_f64 v[16:17], v[20:21], -v[16:17]
	;; [unrolled: 1-line block ×3, first 2 shown]
	v_cndmask_b32_e32 v33, 0, v33, vcc
	v_add_f64 v[18:19], v[18:19], v[32:33]
	v_add_f64 v[30:31], v[28:29], -v[30:31]
	v_add_f64 v[9:10], v[9:10], v[24:25]
	v_add_f64 v[40:41], v[26:27], v[18:19]
	;; [unrolled: 1-line block ×3, first 2 shown]
	v_cvt_i32_f64_e32 v35, v[40:41]
	v_add_f64 v[9:10], v[11:12], v[9:10]
	v_cvt_f64_i32_e32 v[33:34], v35
	v_add_f64 v[18:19], v[18:19], -v[33:34]
	v_add_f64 v[9:10], v[14:15], v[9:10]
	v_add_f64 v[11:12], v[26:27], v[18:19]
	v_add_f64 v[9:10], v[16:17], v[9:10]
	v_mov_b32_e32 v16, 0x3ff00000
	v_add_f64 v[14:15], v[11:12], -v[18:19]
	v_cmp_le_f64_e32 vcc, 0.5, v[11:12]
	v_add_f64 v[14:15], v[26:27], -v[14:15]
	v_cndmask_b32_e32 v33, 0, v16, vcc
	v_add_f64 v[11:12], v[11:12], -v[32:33]
	v_add_f64 v[9:10], v[9:10], v[14:15]
	v_add_f64 v[14:15], v[11:12], v[9:10]
	v_mul_f64 v[16:17], v[14:15], s[0:1]
	v_add_f64 v[11:12], v[14:15], -v[11:12]
	v_fma_f64 v[18:19], v[14:15], s[0:1], -v[16:17]
	v_add_f64 v[9:10], v[9:10], -v[11:12]
	v_fma_f64 v[11:12], v[14:15], s[14:15], v[18:19]
	v_fma_f64 v[11:12], v[9:10], s[0:1], v[11:12]
	v_add_f64 v[9:10], v[16:17], v[11:12]
	v_add_f64 v[14:15], v[9:10], -v[16:17]
	v_add_f64 v[11:12], v[11:12], -v[14:15]
	v_addc_co_u32_e32 v14, vcc, 0, v35, vcc
.LBB19_1828:
	s_andn2_saveexec_b64 s[0:1], s[12:13]
	s_cbranch_execz .LBB19_1830
; %bb.1829:
	s_mov_b32 s12, 0x6dc9c883
	s_mov_b32 s13, 0x3fe45f30
	v_mul_f64 v[9:10], |v[7:8]|, s[12:13]
	s_mov_b32 s12, 0x54442d18
	s_mov_b32 s13, 0xbff921fb
	s_mov_b32 s15, 0xbc91a626
	s_mov_b32 s14, 0x33145c00
	v_rndne_f64_e32 v[14:15], v[9:10]
	v_fma_f64 v[9:10], v[14:15], s[12:13], |v[7:8]|
	v_mul_f64 v[11:12], v[14:15], s[14:15]
	s_mov_b32 s12, 0x252049c0
	s_mov_b32 s13, 0xb97b839a
	v_fma_f64 v[20:21], v[14:15], s[14:15], v[9:10]
	v_add_f64 v[16:17], v[9:10], v[11:12]
	s_mov_b32 s15, 0x3c91a626
	v_add_f64 v[18:19], v[9:10], -v[16:17]
	v_add_f64 v[16:17], v[16:17], -v[20:21]
	v_add_f64 v[9:10], v[18:19], v[11:12]
	v_fma_f64 v[11:12], v[14:15], s[14:15], v[11:12]
	v_add_f64 v[9:10], v[16:17], v[9:10]
	v_add_f64 v[9:10], v[9:10], -v[11:12]
	v_fma_f64 v[11:12], v[14:15], s[12:13], v[9:10]
	v_cvt_i32_f64_e32 v14, v[14:15]
	v_add_f64 v[9:10], v[20:21], v[11:12]
	v_add_f64 v[16:17], v[9:10], -v[20:21]
	v_add_f64 v[11:12], v[11:12], -v[16:17]
.LBB19_1830:
	s_or_b64 exec, exec, s[0:1]
	v_mul_f64 v[15:16], v[9:10], v[9:10]
	v_add_f64 v[17:18], v[11:12], v[11:12]
	s_mov_b32 s0, 0xc751c08c
	s_mov_b32 s1, 0x3ef5e089
	v_and_b32_e32 v14, 1, v14
	v_cmp_eq_u32_e32 vcc, 0, v14
	s_mov_b32 s14, 0x54442d18
	s_mov_b32 s15, 0xc00921fb
	v_fma_f64 v[19:20], v[9:10], v[9:10], -v[15:16]
	s_mov_b64 s[12:13], exec
	v_sub_f32_e32 v13, 1.0, v13
	v_fma_f64 v[17:18], v[9:10], v[17:18], v[19:20]
	v_add_f64 v[15:16], v[15:16], v[17:18]
	v_mov_b32_e32 v17, 0xa9a29f71
	v_mov_b32_e32 v18, 0xbf078809
	v_fma_f64 v[17:18], v[15:16], s[0:1], v[17:18]
	s_mov_b32 s0, 0x90a8aae0
	s_mov_b32 s1, 0x3f17746f
	v_fma_f64 v[17:18], v[15:16], v[17:18], s[0:1]
	s_mov_b32 s0, 0xa6fbf144
	s_mov_b32 s1, 0xbefbb44d
	;; [unrolled: 3-line block ×12, first 2 shown]
	v_fma_f64 v[17:18], v[15:16], v[17:18], s[0:1]
	s_movk_i32 s0, 0x1f8
	v_cmp_class_f64_e64 s[0:1], v[7:8], s0
	v_mul_f64 v[15:16], v[15:16], v[17:18]
	v_mul_f64 v[17:18], v[9:10], v[15:16]
	v_add_f64 v[19:20], v[9:10], v[17:18]
	v_fma_f64 v[15:16], v[9:10], v[15:16], -v[17:18]
	v_add_f64 v[9:10], v[19:20], -v[9:10]
	v_add_f64 v[11:12], v[11:12], v[15:16]
	v_add_f64 v[9:10], v[17:18], -v[9:10]
	v_add_f64 v[9:10], v[11:12], v[9:10]
	v_add_f64 v[11:12], v[19:20], v[9:10]
	v_rcp_f64_e32 v[15:16], v[11:12]
	v_fma_f64 v[17:18], -v[11:12], v[15:16], 1.0
	v_fma_f64 v[15:16], v[17:18], v[15:16], v[15:16]
	v_fma_f64 v[17:18], -v[11:12], v[15:16], 1.0
	v_fma_f64 v[15:16], v[17:18], v[15:16], v[15:16]
	v_add_f64 v[17:18], v[11:12], -v[19:20]
	v_mul_f64 v[19:20], v[11:12], v[15:16]
	v_add_f64 v[9:10], v[9:10], -v[17:18]
	v_fma_f64 v[17:18], v[15:16], v[11:12], -v[19:20]
	v_fma_f64 v[9:10], v[15:16], v[9:10], v[17:18]
	v_add_f64 v[17:18], v[19:20], v[9:10]
	v_add_f64 v[21:22], -v[17:18], 1.0
	v_add_f64 v[19:20], v[17:18], -v[19:20]
	v_add_f64 v[23:24], -v[21:22], 1.0
	v_add_f64 v[9:10], v[19:20], -v[9:10]
	v_add_f64 v[17:18], v[23:24], -v[17:18]
	v_add_f64 v[9:10], v[9:10], v[17:18]
	v_add_f64 v[9:10], v[21:22], v[9:10]
	v_mul_f64 v[9:10], v[15:16], v[9:10]
	v_add_f64 v[9:10], v[15:16], v[9:10]
	v_and_b32_e32 v15, 0x80000000, v8
	v_mov_b32_e32 v8, 0x7ff80000
	v_xor_b32_e32 v7, 0x80000000, v10
	v_cndmask_b32_e32 v9, v9, v11, vcc
	v_cndmask_b32_e32 v10, v7, v12, vcc
	v_cndmask_b32_e64 v7, 0, v9, s[0:1]
	v_xor_b32_e32 v9, v10, v15
	v_cndmask_b32_e64 v8, v8, v9, s[0:1]
	v_div_scale_f64 v[9:10], s[0:1], v[7:8], v[7:8], s[14:15]
	v_div_scale_f64 v[16:17], vcc, s[14:15], v[7:8], s[14:15]
	v_rcp_f64_e32 v[11:12], v[9:10]
	v_fma_f64 v[14:15], -v[9:10], v[11:12], 1.0
	v_fma_f64 v[11:12], v[11:12], v[14:15], v[11:12]
	v_fma_f64 v[14:15], -v[9:10], v[11:12], 1.0
	v_fma_f64 v[11:12], v[11:12], v[14:15], v[11:12]
	v_mul_f64 v[14:15], v[16:17], v[11:12]
	v_fma_f64 v[9:10], -v[9:10], v[14:15], v[16:17]
	v_div_fmas_f64 v[9:10], v[9:10], v[11:12], v[14:15]
	v_div_fixup_f64 v[7:8], v[9:10], v[7:8], s[14:15]
	v_cvt_f32_f64_e32 v8, v[7:8]
.LBB19_1831:
	s_or_b64 exec, exec, s[10:11]
	s_orn2_b64 s[0:1], s[12:13], exec
.LBB19_1832:
	s_or_b64 exec, exec, s[6:7]
	v_mov_b32_e32 v7, 0x7fc00000
	s_and_saveexec_b64 s[6:7], s[0:1]
	s_cbranch_execz .LBB19_1844
; %bb.1833:
	s_mov_b32 s12, 0x41200000
	v_cmp_gt_f32_e32 vcc, s12, v13
	s_and_saveexec_b64 s[0:1], vcc
	s_cbranch_execz .LBB19_1837
; %bb.1834:
	s_mov_b64 s[10:11], 0
.LBB19_1835:                            ; =>This Inner Loop Header: Depth=1
	v_div_scale_f32 v7, s[14:15], v13, v13, 1.0
	v_div_scale_f32 v9, vcc, 1.0, v13, 1.0
	v_rcp_f32_e32 v10, v7
	v_fma_f32 v11, -v7, v10, 1.0
	v_fmac_f32_e32 v10, v11, v10
	v_mul_f32_e32 v11, v9, v10
	v_fma_f32 v12, -v7, v11, v9
	v_fmac_f32_e32 v11, v12, v10
	v_fma_f32 v7, -v7, v11, v9
	v_div_fmas_f32 v7, v7, v10, v11
	v_div_fixup_f32 v7, v7, v13, 1.0
	v_add_f32_e32 v13, 1.0, v13
	v_cmp_ngt_f32_e32 vcc, s12, v13
	s_or_b64 s[10:11], vcc, s[10:11]
	v_sub_f32_e32 v8, v8, v7
	s_andn2_b64 exec, exec, s[10:11]
	s_cbranch_execnz .LBB19_1835
; %bb.1836:
	s_or_b64 exec, exec, s[10:11]
.LBB19_1837:
	s_or_b64 exec, exec, s[0:1]
	s_mov_b32 s0, 0x41200000
	v_cmp_neq_f32_e32 vcc, s0, v13
                                        ; implicit-def: $vgpr7
	s_and_saveexec_b64 s[0:1], vcc
	s_xor_b64 s[10:11], exec, s[0:1]
	s_cbranch_execz .LBB19_1841
; %bb.1838:
	v_cvt_f64_f32_e32 v[9:10], v13
	s_mov_b32 s0, 0x85d8a000
	s_mov_b32 s1, 0x43763457
	v_mov_b32_e32 v7, 0
	v_cmp_gt_f64_e32 vcc, s[0:1], v[9:10]
	s_and_saveexec_b64 s[0:1], vcc
	s_cbranch_execz .LBB19_1840
; %bb.1839:
	v_mul_f32_e32 v7, v13, v13
	v_div_scale_f32 v9, s[12:13], v7, v7, 1.0
	v_div_scale_f32 v10, vcc, 1.0, v7, 1.0
	v_mov_b32_e32 v15, 0x3b820821
	v_rcp_f32_e32 v11, v9
	v_fma_f32 v12, -v9, v11, 1.0
	v_fmac_f32_e32 v11, v12, v11
	v_mul_f32_e32 v12, v10, v11
	v_fma_f32 v14, -v9, v12, v10
	v_fmac_f32_e32 v12, v14, v11
	v_fma_f32 v9, -v9, v12, v10
	v_div_fmas_f32 v9, v9, v11, v12
	v_mov_b32_e32 v10, 0x3daaaaab
	v_mov_b32_e32 v11, 0xbcaccacd
	;; [unrolled: 1-line block ×4, first 2 shown]
	v_div_fixup_f32 v7, v9, v7, 1.0
	v_fma_f32 v9, 0, v7, v10
	v_fmac_f32_e32 v11, v7, v9
	v_fmac_f32_e32 v12, v7, v11
	;; [unrolled: 1-line block ×4, first 2 shown]
	v_mov_b32_e32 v9, 0xbc088889
	v_fmac_f32_e32 v9, v7, v15
	v_fmac_f32_e32 v10, v7, v9
	v_mul_f32_e32 v7, v7, v10
.LBB19_1840:
	s_or_b64 exec, exec, s[0:1]
	v_div_scale_f32 v9, s[0:1], v13, v13, -0.5
	v_div_scale_f32 v10, vcc, -0.5, v13, -0.5
	s_mov_b32 s0, 0x800000
	v_cmp_gt_f32_e64 s[0:1], s0, v13
	v_cndmask_b32_e64 v12, 0, 32, s[0:1]
	s_mov_b32 s12, 0x3f317217
	v_rcp_f32_e32 v11, v9
	v_fma_f32 v14, -v9, v11, 1.0
	v_fmac_f32_e32 v11, v14, v11
	v_mul_f32_e32 v14, v10, v11
	v_fma_f32 v15, -v9, v14, v10
	v_fmac_f32_e32 v14, v15, v11
	v_fma_f32 v9, -v9, v14, v10
	v_div_fmas_f32 v9, v9, v11, v14
	v_ldexp_f32 v10, v13, v12
	v_log_f32_e32 v10, v10
	v_mul_f32_e32 v11, 0x3f317217, v10
	v_fma_f32 v11, v10, s12, -v11
	v_fmac_f32_e32 v11, 0x3377d1cf, v10
	s_mov_b32 s12, 0x7f800000
	v_fmac_f32_e32 v11, 0x3f317217, v10
	v_cmp_lt_f32_e64 vcc, |v10|, s12
	v_cndmask_b32_e32 v10, v10, v11, vcc
	v_mov_b32_e32 v11, 0x41b17218
	v_cndmask_b32_e64 v11, 0, v11, s[0:1]
	v_sub_f32_e32 v10, v10, v11
	v_div_fixup_f32 v9, v9, v13, -0.5
	v_add_f32_e32 v9, v10, v9
	v_sub_f32_e32 v7, v9, v7
	v_add_f32_e32 v7, v8, v7
                                        ; implicit-def: $vgpr8
.LBB19_1841:
	s_andn2_saveexec_b64 s[0:1], s[10:11]
; %bb.1842:
	v_add_f32_e32 v7, 0x40101cb7, v8
; %bb.1843:
	s_or_b64 exec, exec, s[0:1]
.LBB19_1844:
	s_or_b64 exec, exec, s[6:7]
                                        ; implicit-def: $vgpr13
.LBB19_1845:
	s_andn2_saveexec_b64 s[0:1], s[4:5]
; %bb.1846:
	v_xor_b32_e32 v7, 0x80000000, v13
	s_brev_b32 s4, -2
	v_mov_b32_e32 v8, 0x7f800000
	v_bfi_b32 v7, s4, v8, v7
; %bb.1847:
	s_or_b64 exec, exec, s[0:1]
	s_bfe_u32 s14, s18, 0x80008
	v_mov_b32_e32 v9, s9
	v_add_co_u32_e32 v8, vcc, s8, v6
	s_cmp_lt_i32 s14, 11
	v_addc_co_u32_e32 v9, vcc, 0, v9, vcc
	s_cbranch_scc1 .LBB19_1971
; %bb.1848:
	s_and_b32 s15, 0xffff, s14
	s_mov_b64 s[10:11], -1
	s_mov_b64 s[4:5], 0
	s_cmp_gt_i32 s15, 25
	s_mov_b64 s[6:7], 0
	s_mov_b64 s[0:1], 0
	s_cbranch_scc0 .LBB19_1881
; %bb.1849:
	s_cmp_gt_i32 s15, 28
	s_cbranch_scc0 .LBB19_1864
; %bb.1850:
	s_cmp_gt_i32 s15, 43
	;; [unrolled: 3-line block ×3, first 2 shown]
	s_cbranch_scc0 .LBB19_1854
; %bb.1852:
	s_mov_b64 s[0:1], -1
	s_mov_b64 s[10:11], 0
	s_cmp_eq_u32 s15, 46
	s_cbranch_scc0 .LBB19_1854
; %bb.1853:
	v_bfe_u32 v6, v5, 16, 1
	s_movk_i32 s0, 0x7fff
	v_add3_u32 v6, v5, v6, s0
	v_cmp_o_f32_e32 vcc, v5, v5
	v_mov_b32_e32 v10, 0x7fc0
	v_cndmask_b32_sdwa v6, v10, v6, vcc dst_sel:DWORD dst_unused:UNUSED_PAD src0_sel:DWORD src1_sel:WORD_1
	global_store_dword v[8:9], v6, off
	s_mov_b64 s[0:1], 0
	s_mov_b64 s[6:7], -1
.LBB19_1854:
	s_and_b64 vcc, exec, s[10:11]
	s_cbranch_vccz .LBB19_1859
; %bb.1855:
	s_cmp_eq_u32 s15, 44
	s_mov_b64 s[0:1], -1
	s_cbranch_scc0 .LBB19_1859
; %bb.1856:
	v_bfe_u32 v6, v5, 23, 8
	s_movk_i32 s0, 0xff
	v_cmp_ne_u32_e32 vcc, s0, v6
	v_mov_b32_e32 v10, 0xff
	s_and_saveexec_b64 s[6:7], vcc
; %bb.1857:
	s_mov_b32 s0, 0x3fffff
	v_and_b32_e32 v11, 0x400000, v5
	v_and_or_b32 v6, v5, s0, v6
	v_cmp_ne_u32_e32 vcc, 0, v11
	v_cmp_ne_u32_e64 s[0:1], 0, v6
	s_and_b64 s[0:1], vcc, s[0:1]
	v_lshrrev_b32_e32 v10, 23, v5
	v_cndmask_b32_e64 v6, 0, 1, s[0:1]
	v_add_u32_e32 v10, v10, v6
; %bb.1858:
	s_or_b64 exec, exec, s[6:7]
	s_mov_b64 s[0:1], 0
	s_mov_b64 s[6:7], -1
	global_store_byte v[8:9], v10, off
.LBB19_1859:
	s_mov_b64 s[10:11], 0
.LBB19_1860:
	s_and_b64 vcc, exec, s[10:11]
	s_cbranch_vccz .LBB19_1863
; %bb.1861:
	s_cmp_eq_u32 s15, 29
	s_mov_b64 s[0:1], -1
	s_cbranch_scc0 .LBB19_1863
; %bb.1862:
	v_trunc_f32_e32 v6, v5
	v_mul_f32_e32 v10, 0x2f800000, v6
	v_floor_f32_e32 v10, v10
	v_fmac_f32_e32 v6, 0xcf800000, v10
	v_cvt_u32_f32_e32 v11, v10
	v_cvt_u32_f32_e32 v10, v6
	s_mov_b64 s[0:1], 0
	s_mov_b64 s[6:7], -1
	global_store_dwordx2 v[8:9], v[10:11], off
.LBB19_1863:
	s_mov_b64 s[10:11], 0
.LBB19_1864:
	s_and_b64 vcc, exec, s[10:11]
	s_cbranch_vccz .LBB19_1880
; %bb.1865:
	s_cmp_lt_i32 s15, 27
	s_mov_b64 s[6:7], -1
	s_cbranch_scc1 .LBB19_1871
; %bb.1866:
	v_cvt_u32_f32_e32 v6, v5
	s_cmp_gt_i32 s15, 27
	s_cbranch_scc0 .LBB19_1868
; %bb.1867:
	s_mov_b64 s[6:7], 0
	global_store_dword v[8:9], v6, off
.LBB19_1868:
	s_andn2_b64 vcc, exec, s[6:7]
	s_cbranch_vccnz .LBB19_1870
; %bb.1869:
	global_store_short v[8:9], v6, off
.LBB19_1870:
	s_mov_b64 s[6:7], 0
.LBB19_1871:
	s_andn2_b64 vcc, exec, s[6:7]
	s_cbranch_vccnz .LBB19_1879
; %bb.1872:
	v_and_b32_e32 v6, 0x7fffffff, v5
	s_mov_b32 s6, 0x43800000
	v_cmp_gt_u32_e32 vcc, s6, v6
	v_mov_b32_e32 v10, 0x80
	s_and_saveexec_b64 s[6:7], vcc
	s_cbranch_execz .LBB19_1878
; %bb.1873:
	s_mov_b32 s10, 0x3bffffff
	v_cmp_lt_u32_e32 vcc, s10, v6
	s_mov_b64 s[10:11], 0
                                        ; implicit-def: $vgpr6
	s_and_saveexec_b64 s[12:13], vcc
	s_xor_b64 s[12:13], exec, s[12:13]
	s_cbranch_execz .LBB19_2329
; %bb.1874:
	v_bfe_u32 v6, v5, 20, 1
	s_mov_b32 s16, 0x487ffff
	v_add3_u32 v6, v5, v6, s16
	s_mov_b64 s[10:11], exec
	v_lshrrev_b32_e32 v6, 20, v6
	s_andn2_saveexec_b64 s[12:13], s[12:13]
	s_cbranch_execnz .LBB19_2330
.LBB19_1875:
	s_or_b64 exec, exec, s[12:13]
	v_mov_b32_e32 v10, 0
	s_and_saveexec_b64 s[12:13], s[10:11]
.LBB19_1876:
	v_lshrrev_b32_e32 v10, 24, v5
	s_movk_i32 s10, 0x80
	v_and_or_b32 v10, v10, s10, v6
.LBB19_1877:
	s_or_b64 exec, exec, s[12:13]
.LBB19_1878:
	s_or_b64 exec, exec, s[6:7]
	global_store_byte v[8:9], v10, off
.LBB19_1879:
	s_mov_b64 s[6:7], -1
.LBB19_1880:
	s_mov_b64 s[10:11], 0
.LBB19_1881:
	s_and_b64 vcc, exec, s[10:11]
	s_cbranch_vccz .LBB19_1921
; %bb.1882:
	s_cmp_gt_i32 s15, 22
	s_mov_b64 s[4:5], -1
	s_cbranch_scc0 .LBB19_1914
; %bb.1883:
	s_cmp_lt_i32 s15, 24
	s_cbranch_scc1 .LBB19_1903
; %bb.1884:
	s_cmp_gt_i32 s15, 24
	s_cbranch_scc0 .LBB19_1892
; %bb.1885:
	v_and_b32_e32 v6, 0x7fffffff, v5
	s_mov_b32 s4, 0x47800000
	v_cmp_gt_u32_e32 vcc, s4, v6
	v_mov_b32_e32 v10, 0x80
	s_and_saveexec_b64 s[4:5], vcc
	s_cbranch_execz .LBB19_1891
; %bb.1886:
	s_mov_b32 s6, 0x37ffffff
	v_cmp_lt_u32_e32 vcc, s6, v6
	s_mov_b64 s[6:7], 0
                                        ; implicit-def: $vgpr6
	s_and_saveexec_b64 s[10:11], vcc
	s_xor_b64 s[10:11], exec, s[10:11]
	s_cbranch_execz .LBB19_2332
; %bb.1887:
	v_bfe_u32 v6, v5, 21, 1
	s_mov_b32 s12, 0x88fffff
	v_add3_u32 v6, v5, v6, s12
	s_mov_b64 s[6:7], exec
	v_lshrrev_b32_e32 v6, 21, v6
	s_andn2_saveexec_b64 s[10:11], s[10:11]
	s_cbranch_execnz .LBB19_2333
.LBB19_1888:
	s_or_b64 exec, exec, s[10:11]
	v_mov_b32_e32 v10, 0
	s_and_saveexec_b64 s[10:11], s[6:7]
.LBB19_1889:
	v_lshrrev_b32_e32 v10, 24, v5
	s_movk_i32 s6, 0x80
	v_and_or_b32 v10, v10, s6, v6
.LBB19_1890:
	s_or_b64 exec, exec, s[10:11]
.LBB19_1891:
	s_or_b64 exec, exec, s[4:5]
	s_mov_b64 s[4:5], 0
	global_store_byte v[8:9], v10, off
.LBB19_1892:
	s_and_b64 vcc, exec, s[4:5]
	s_cbranch_vccz .LBB19_1902
; %bb.1893:
	v_and_b32_e32 v10, 0x7fffffff, v5
	s_mov_b32 s4, 0x43f00000
	v_cmp_gt_u32_e32 vcc, s4, v10
                                        ; implicit-def: $vgpr6
	s_and_saveexec_b64 s[4:5], vcc
	s_xor_b64 s[4:5], exec, s[4:5]
	s_cbranch_execz .LBB19_1899
; %bb.1894:
	s_mov_b32 s6, 0x3c7fffff
	v_cmp_lt_u32_e32 vcc, s6, v10
                                        ; implicit-def: $vgpr6
	s_and_saveexec_b64 s[6:7], vcc
	s_xor_b64 s[6:7], exec, s[6:7]
; %bb.1895:
	v_bfe_u32 v6, v5, 20, 1
	s_mov_b32 s10, 0x407ffff
	v_add3_u32 v6, v5, v6, s10
	v_lshrrev_b32_e32 v10, 20, v6
	v_and_b32_e32 v6, 0xff00000, v6
	s_mov_b32 s10, 0x7f00000
	v_mov_b32_e32 v11, 0x7e
	v_cmp_ne_u32_e32 vcc, s10, v6
	v_cndmask_b32_e32 v6, v11, v10, vcc
; %bb.1896:
	s_andn2_saveexec_b64 s[6:7], s[6:7]
; %bb.1897:
	s_mov_b32 s10, 0x46800000
	v_add_f32_e64 v6, |v5|, s10
; %bb.1898:
	s_or_b64 exec, exec, s[6:7]
                                        ; implicit-def: $vgpr10
.LBB19_1899:
	s_andn2_saveexec_b64 s[4:5], s[4:5]
; %bb.1900:
	s_mov_b32 s6, 0x7f800000
	v_mov_b32_e32 v6, 0x7e
	v_mov_b32_e32 v11, 0x7f
	v_cmp_lt_u32_e32 vcc, s6, v10
	v_cndmask_b32_e32 v6, v6, v11, vcc
; %bb.1901:
	s_or_b64 exec, exec, s[4:5]
	v_lshrrev_b32_e32 v10, 24, v5
	s_movk_i32 s4, 0x80
	v_and_or_b32 v6, v10, s4, v6
	global_store_byte v[8:9], v6, off
.LBB19_1902:
	s_mov_b64 s[4:5], 0
.LBB19_1903:
	s_andn2_b64 vcc, exec, s[4:5]
	s_cbranch_vccnz .LBB19_1913
; %bb.1904:
	v_and_b32_e32 v10, 0x7fffffff, v5
	s_mov_b32 s4, 0x47800000
	v_cmp_gt_u32_e32 vcc, s4, v10
                                        ; implicit-def: $vgpr6
	s_and_saveexec_b64 s[4:5], vcc
	s_xor_b64 s[4:5], exec, s[4:5]
	s_cbranch_execz .LBB19_1910
; %bb.1905:
	s_mov_b32 s6, 0x387fffff
	v_cmp_lt_u32_e32 vcc, s6, v10
                                        ; implicit-def: $vgpr6
	s_and_saveexec_b64 s[6:7], vcc
	s_xor_b64 s[6:7], exec, s[6:7]
; %bb.1906:
	v_bfe_u32 v6, v5, 21, 1
	s_mov_b32 s10, 0x80fffff
	v_add3_u32 v6, v5, v6, s10
	v_lshrrev_b32_e32 v6, 21, v6
; %bb.1907:
	s_andn2_saveexec_b64 s[6:7], s[6:7]
; %bb.1908:
	s_mov_b32 s10, 0x43000000
	v_add_f32_e64 v6, |v5|, s10
; %bb.1909:
	s_or_b64 exec, exec, s[6:7]
                                        ; implicit-def: $vgpr10
.LBB19_1910:
	s_andn2_saveexec_b64 s[4:5], s[4:5]
; %bb.1911:
	s_mov_b32 s6, 0x7f800000
	v_mov_b32_e32 v6, 0x7c
	v_mov_b32_e32 v11, 0x7f
	v_cmp_lt_u32_e32 vcc, s6, v10
	v_cndmask_b32_e32 v6, v6, v11, vcc
; %bb.1912:
	s_or_b64 exec, exec, s[4:5]
	v_lshrrev_b32_e32 v10, 24, v5
	s_movk_i32 s4, 0x80
	v_and_or_b32 v6, v10, s4, v6
	global_store_byte v[8:9], v6, off
.LBB19_1913:
	s_mov_b64 s[4:5], 0
	s_mov_b64 s[6:7], -1
.LBB19_1914:
	s_andn2_b64 vcc, exec, s[4:5]
	s_mov_b64 s[4:5], 0
	s_cbranch_vccnz .LBB19_1921
; %bb.1915:
	s_cmp_gt_i32 s15, 14
	s_mov_b64 s[10:11], -1
	s_cbranch_scc0 .LBB19_1919
; %bb.1916:
	s_cmp_eq_u32 s15, 15
	s_mov_b64 s[0:1], -1
	s_cbranch_scc0 .LBB19_1918
; %bb.1917:
	v_bfe_u32 v6, v5, 16, 1
	s_movk_i32 s0, 0x7fff
	v_add3_u32 v6, v5, v6, s0
	v_cmp_o_f32_e32 vcc, v5, v5
	v_mov_b32_e32 v10, 0x7fc0
	v_cndmask_b32_sdwa v6, v10, v6, vcc dst_sel:DWORD dst_unused:UNUSED_PAD src0_sel:DWORD src1_sel:WORD_1
	global_store_short v[8:9], v6, off
	s_mov_b64 s[0:1], 0
	s_mov_b64 s[6:7], -1
.LBB19_1918:
	s_mov_b64 s[10:11], 0
.LBB19_1919:
	s_and_b64 vcc, exec, s[10:11]
	s_cbranch_vccz .LBB19_1921
; %bb.1920:
	s_cmp_lg_u32 s15, 11
	s_mov_b64 s[4:5], -1
	s_cselect_b64 s[0:1], -1, 0
.LBB19_1921:
	s_and_b64 vcc, exec, s[0:1]
	s_cbranch_vccnz .LBB19_2331
; %bb.1922:
	s_andn2_b64 vcc, exec, s[4:5]
	s_cbranch_vccnz .LBB19_1924
.LBB19_1923:
	v_cmp_neq_f32_e32 vcc, 0, v5
	v_cndmask_b32_e64 v6, 0, 1, vcc
	s_mov_b64 s[6:7], -1
	global_store_byte v[8:9], v6, off
.LBB19_1924:
	s_mov_b64 s[0:1], 0
	s_branch .LBB19_1972
.LBB19_1925:
	s_mov_b64 s[0:1], 0
                                        ; implicit-def: $vgpr0_vgpr1
                                        ; implicit-def: $sgpr14
                                        ; implicit-def: $vgpr7
.LBB19_1926:
	s_mov_b64 s[4:5], 0
.LBB19_1927:
	s_and_b64 s[6:7], s[4:5], exec
	s_andn2_b64 s[4:5], s[28:29], exec
	s_and_b64 s[2:3], s[2:3], exec
	s_and_b64 s[0:1], s[0:1], exec
	s_or_b64 s[28:29], s[4:5], s[2:3]
.LBB19_1928:
	s_or_b64 exec, exec, s[30:31]
	s_and_saveexec_b64 s[2:3], s[28:29]
	s_cbranch_execz .LBB19_1931
; %bb.1929:
	; divergent unreachable
	s_or_b64 exec, exec, s[2:3]
	s_and_saveexec_b64 s[2:3], s[6:7]
	s_xor_b64 s[2:3], exec, s[2:3]
	s_cbranch_execnz .LBB19_1932
.LBB19_1930:
	s_or_b64 exec, exec, s[2:3]
	s_and_saveexec_b64 s[2:3], s[0:1]
	s_cbranch_execnz .LBB19_1933
	s_branch .LBB19_1970
.LBB19_1931:
	s_or_b64 exec, exec, s[2:3]
	s_and_saveexec_b64 s[2:3], s[6:7]
	s_xor_b64 s[2:3], exec, s[2:3]
	s_cbranch_execz .LBB19_1930
.LBB19_1932:
	s_waitcnt vmcnt(0)
	v_cmp_neq_f32_e32 vcc, 0, v7
	v_cndmask_b32_e64 v2, 0, 1, vcc
	global_store_byte v[0:1], v2, off
	s_or_b64 exec, exec, s[2:3]
	s_and_saveexec_b64 s[2:3], s[0:1]
	s_cbranch_execz .LBB19_1970
.LBB19_1933:
	s_sext_i32_i16 s2, s14
	s_cmp_lt_i32 s2, 5
	s_mov_b64 s[0:1], -1
	s_cbranch_scc1 .LBB19_1954
; %bb.1934:
	s_cmp_lt_i32 s2, 8
	s_cbranch_scc1 .LBB19_1944
; %bb.1935:
	s_cmp_lt_i32 s2, 9
	s_cbranch_scc1 .LBB19_1941
; %bb.1936:
	s_cmp_gt_i32 s2, 9
	s_cbranch_scc0 .LBB19_1938
; %bb.1937:
	s_waitcnt vmcnt(0)
	v_cvt_f64_f32_e32 v[2:3], v7
	v_mov_b32_e32 v4, 0
	v_mov_b32_e32 v5, v4
	s_mov_b64 s[0:1], 0
	global_store_dwordx4 v[0:1], v[2:5], off
.LBB19_1938:
	s_andn2_b64 vcc, exec, s[0:1]
	s_cbranch_vccnz .LBB19_1940
; %bb.1939:
	v_mov_b32_e32 v8, 0
	s_waitcnt vmcnt(0)
	global_store_dwordx2 v[0:1], v[7:8], off
.LBB19_1940:
	s_mov_b64 s[0:1], 0
.LBB19_1941:
	s_andn2_b64 vcc, exec, s[0:1]
	s_cbranch_vccnz .LBB19_1943
; %bb.1942:
	s_waitcnt vmcnt(0)
	v_cvt_f16_f32_e32 v2, v7
	global_store_dword v[0:1], v2, off
.LBB19_1943:
	s_mov_b64 s[0:1], 0
.LBB19_1944:
	s_andn2_b64 vcc, exec, s[0:1]
	s_cbranch_vccnz .LBB19_1953
; %bb.1945:
	s_sext_i32_i16 s2, s14
	s_cmp_lt_i32 s2, 6
	s_mov_b64 s[0:1], -1
	s_cbranch_scc1 .LBB19_1951
; %bb.1946:
	s_cmp_gt_i32 s2, 6
	s_cbranch_scc0 .LBB19_1948
; %bb.1947:
	s_waitcnt vmcnt(0)
	v_cvt_f64_f32_e32 v[2:3], v7
	s_mov_b64 s[0:1], 0
	global_store_dwordx2 v[0:1], v[2:3], off
.LBB19_1948:
	s_andn2_b64 vcc, exec, s[0:1]
	s_cbranch_vccnz .LBB19_1950
; %bb.1949:
	s_waitcnt vmcnt(0)
	global_store_dword v[0:1], v7, off
.LBB19_1950:
	s_mov_b64 s[0:1], 0
.LBB19_1951:
	s_andn2_b64 vcc, exec, s[0:1]
	s_cbranch_vccnz .LBB19_1953
; %bb.1952:
	s_waitcnt vmcnt(0)
	v_cvt_f16_f32_e32 v2, v7
	global_store_short v[0:1], v2, off
.LBB19_1953:
	s_mov_b64 s[0:1], 0
.LBB19_1954:
	s_andn2_b64 vcc, exec, s[0:1]
	s_cbranch_vccnz .LBB19_1970
; %bb.1955:
	s_sext_i32_i16 s2, s14
	s_cmp_lt_i32 s2, 2
	s_mov_b64 s[0:1], -1
	s_cbranch_scc1 .LBB19_1965
; %bb.1956:
	s_cmp_lt_i32 s2, 3
	s_cbranch_scc1 .LBB19_1962
; %bb.1957:
	s_cmp_gt_i32 s2, 3
	s_cbranch_scc0 .LBB19_1959
; %bb.1958:
	s_waitcnt vmcnt(0)
	v_trunc_f32_e32 v2, v7
	s_mov_b32 s0, 0x2f800000
	v_mul_f32_e64 v3, |v2|, s0
	v_floor_f32_e32 v3, v3
	s_mov_b32 s0, 0xcf800000
	v_cvt_u32_f32_e32 v4, v3
	v_fma_f32 v3, v3, s0, |v2|
	v_cvt_u32_f32_e32 v3, v3
	v_ashrrev_i32_e32 v5, 31, v2
	v_xor_b32_e32 v4, v4, v5
	s_mov_b64 s[0:1], 0
	v_xor_b32_e32 v2, v3, v5
	v_sub_co_u32_e32 v2, vcc, v2, v5
	v_subb_co_u32_e32 v3, vcc, v4, v5, vcc
	global_store_dwordx2 v[0:1], v[2:3], off
.LBB19_1959:
	s_andn2_b64 vcc, exec, s[0:1]
	s_cbranch_vccnz .LBB19_1961
; %bb.1960:
	s_waitcnt vmcnt(0)
	v_cvt_i32_f32_e32 v2, v7
	global_store_dword v[0:1], v2, off
.LBB19_1961:
	s_mov_b64 s[0:1], 0
.LBB19_1962:
	s_andn2_b64 vcc, exec, s[0:1]
	s_cbranch_vccnz .LBB19_1964
; %bb.1963:
	s_waitcnt vmcnt(0)
	v_cvt_i32_f32_e32 v2, v7
	global_store_short v[0:1], v2, off
.LBB19_1964:
	s_mov_b64 s[0:1], 0
.LBB19_1965:
	s_andn2_b64 vcc, exec, s[0:1]
	s_cbranch_vccnz .LBB19_1970
; %bb.1966:
	s_sext_i32_i16 s0, s14
	s_cmp_gt_i32 s0, 0
	s_mov_b64 s[0:1], -1
	s_cbranch_scc0 .LBB19_1968
; %bb.1967:
	s_waitcnt vmcnt(0)
	v_cvt_i32_f32_e32 v2, v7
	s_mov_b64 s[0:1], 0
	global_store_byte v[0:1], v2, off
.LBB19_1968:
	s_andn2_b64 vcc, exec, s[0:1]
	s_cbranch_vccnz .LBB19_1970
; %bb.1969:
	s_waitcnt vmcnt(0)
	v_trunc_f32_e32 v2, v7
	s_mov_b32 s0, 0x2f800000
	v_mul_f32_e64 v3, |v2|, s0
	v_floor_f32_e32 v3, v3
	s_mov_b32 s0, 0xcf800000
	v_fma_f32 v3, v3, s0, |v2|
	v_cvt_u32_f32_e32 v3, v3
	v_ashrrev_i32_e32 v2, 31, v2
	v_xor_b32_e32 v3, v3, v2
	v_sub_u32_e32 v2, v3, v2
	global_store_byte v[0:1], v2, off
	s_endpgm
.LBB19_1970:
	s_endpgm
.LBB19_1971:
	s_mov_b64 s[0:1], -1
	s_mov_b64 s[6:7], 0
.LBB19_1972:
	s_and_b64 vcc, exec, s[0:1]
	s_cbranch_vccz .LBB19_2011
; %bb.1973:
	s_and_b32 s4, 0xffff, s14
	s_cmp_lt_i32 s4, 5
	s_mov_b64 s[0:1], -1
	s_cbranch_scc1 .LBB19_1994
; %bb.1974:
	s_cmp_lt_i32 s4, 8
	s_cbranch_scc1 .LBB19_1984
; %bb.1975:
	s_cmp_lt_i32 s4, 9
	s_cbranch_scc1 .LBB19_1981
; %bb.1976:
	s_cmp_gt_i32 s4, 9
	s_cbranch_scc0 .LBB19_1978
; %bb.1977:
	v_cvt_f64_f32_e32 v[10:11], v5
	v_mov_b32_e32 v12, 0
	v_mov_b32_e32 v13, v12
	s_mov_b64 s[0:1], 0
	global_store_dwordx4 v[8:9], v[10:13], off
.LBB19_1978:
	s_andn2_b64 vcc, exec, s[0:1]
	s_cbranch_vccnz .LBB19_1980
; %bb.1979:
	v_mov_b32_e32 v6, 0
	global_store_dwordx2 v[8:9], v[5:6], off
.LBB19_1980:
	s_mov_b64 s[0:1], 0
.LBB19_1981:
	s_andn2_b64 vcc, exec, s[0:1]
	s_cbranch_vccnz .LBB19_1983
; %bb.1982:
	v_cvt_f16_f32_e32 v6, v5
	global_store_dword v[8:9], v6, off
.LBB19_1983:
	s_mov_b64 s[0:1], 0
.LBB19_1984:
	s_andn2_b64 vcc, exec, s[0:1]
	s_cbranch_vccnz .LBB19_1993
; %bb.1985:
	s_cmp_lt_i32 s4, 6
	s_mov_b64 s[0:1], -1
	s_cbranch_scc1 .LBB19_1991
; %bb.1986:
	s_cmp_gt_i32 s4, 6
	s_cbranch_scc0 .LBB19_1988
; %bb.1987:
	v_cvt_f64_f32_e32 v[10:11], v5
	s_mov_b64 s[0:1], 0
	global_store_dwordx2 v[8:9], v[10:11], off
.LBB19_1988:
	s_andn2_b64 vcc, exec, s[0:1]
	s_cbranch_vccnz .LBB19_1990
; %bb.1989:
	global_store_dword v[8:9], v5, off
.LBB19_1990:
	s_mov_b64 s[0:1], 0
.LBB19_1991:
	s_andn2_b64 vcc, exec, s[0:1]
	s_cbranch_vccnz .LBB19_1993
; %bb.1992:
	v_cvt_f16_f32_e32 v6, v5
	global_store_short v[8:9], v6, off
.LBB19_1993:
	s_mov_b64 s[0:1], 0
.LBB19_1994:
	s_andn2_b64 vcc, exec, s[0:1]
	s_cbranch_vccnz .LBB19_2010
; %bb.1995:
	s_cmp_lt_i32 s4, 2
	s_mov_b64 s[0:1], -1
	s_cbranch_scc1 .LBB19_2005
; %bb.1996:
	s_cmp_lt_i32 s4, 3
	s_cbranch_scc1 .LBB19_2002
; %bb.1997:
	s_cmp_gt_i32 s4, 3
	s_cbranch_scc0 .LBB19_1999
; %bb.1998:
	v_trunc_f32_e32 v6, v5
	s_mov_b32 s0, 0x2f800000
	v_mul_f32_e64 v10, |v6|, s0
	v_floor_f32_e32 v10, v10
	s_mov_b32 s0, 0xcf800000
	v_cvt_u32_f32_e32 v11, v10
	v_fma_f32 v10, v10, s0, |v6|
	v_cvt_u32_f32_e32 v10, v10
	v_ashrrev_i32_e32 v6, 31, v6
	v_xor_b32_e32 v11, v11, v6
	s_mov_b64 s[0:1], 0
	v_xor_b32_e32 v10, v10, v6
	v_sub_co_u32_e32 v10, vcc, v10, v6
	v_subb_co_u32_e32 v11, vcc, v11, v6, vcc
	global_store_dwordx2 v[8:9], v[10:11], off
.LBB19_1999:
	s_andn2_b64 vcc, exec, s[0:1]
	s_cbranch_vccnz .LBB19_2001
; %bb.2000:
	v_cvt_i32_f32_e32 v6, v5
	global_store_dword v[8:9], v6, off
.LBB19_2001:
	s_mov_b64 s[0:1], 0
.LBB19_2002:
	s_andn2_b64 vcc, exec, s[0:1]
	s_cbranch_vccnz .LBB19_2004
; %bb.2003:
	v_cvt_i32_f32_e32 v6, v5
	global_store_short v[8:9], v6, off
.LBB19_2004:
	s_mov_b64 s[0:1], 0
.LBB19_2005:
	s_andn2_b64 vcc, exec, s[0:1]
	s_cbranch_vccnz .LBB19_2010
; %bb.2006:
	s_cmp_gt_i32 s4, 0
	s_mov_b64 s[0:1], -1
	s_cbranch_scc0 .LBB19_2008
; %bb.2007:
	v_cvt_i32_f32_e32 v6, v5
	s_mov_b64 s[0:1], 0
	global_store_byte v[8:9], v6, off
.LBB19_2008:
	s_andn2_b64 vcc, exec, s[0:1]
	s_cbranch_vccnz .LBB19_2010
; %bb.2009:
	v_trunc_f32_e32 v5, v5
	s_mov_b32 s0, 0x2f800000
	v_mul_f32_e64 v6, |v5|, s0
	v_floor_f32_e32 v6, v6
	s_mov_b32 s0, 0xcf800000
	v_fma_f32 v6, v6, s0, |v5|
	v_cvt_u32_f32_e32 v6, v6
	v_ashrrev_i32_e32 v5, 31, v5
	v_xor_b32_e32 v6, v6, v5
	v_sub_u32_e32 v5, v6, v5
	global_store_byte v[8:9], v5, off
.LBB19_2010:
	s_mov_b64 s[6:7], -1
.LBB19_2011:
	s_andn2_b64 vcc, exec, s[6:7]
	s_cbranch_vccnz .LBB19_2326
; %bb.2012:
	s_lshr_b32 s0, s18, 8
	s_and_b32 s14, s0, 0xff
	v_mov_b32_e32 v6, s9
	v_add_co_u32_e32 v5, vcc, s8, v4
	s_cmp_lt_i32 s14, 11
	v_addc_co_u32_e32 v6, vcc, 0, v6, vcc
	s_cbranch_scc1 .LBB19_2090
; %bb.2013:
	s_and_b32 s15, 0xffff, s14
	s_mov_b64 s[10:11], -1
	s_mov_b64 s[4:5], 0
	s_cmp_gt_i32 s15, 25
	s_mov_b64 s[6:7], 0
	s_mov_b64 s[0:1], 0
	s_cbranch_scc0 .LBB19_2046
; %bb.2014:
	s_cmp_gt_i32 s15, 28
	s_cbranch_scc0 .LBB19_2029
; %bb.2015:
	s_cmp_gt_i32 s15, 43
	;; [unrolled: 3-line block ×3, first 2 shown]
	s_cbranch_scc0 .LBB19_2019
; %bb.2017:
	s_mov_b64 s[0:1], -1
	s_mov_b64 s[10:11], 0
	s_cmp_eq_u32 s15, 46
	s_cbranch_scc0 .LBB19_2019
; %bb.2018:
	v_bfe_u32 v4, v3, 16, 1
	s_movk_i32 s0, 0x7fff
	v_add3_u32 v4, v3, v4, s0
	v_cmp_o_f32_e32 vcc, v3, v3
	v_mov_b32_e32 v8, 0x7fc0
	v_cndmask_b32_sdwa v4, v8, v4, vcc dst_sel:DWORD dst_unused:UNUSED_PAD src0_sel:DWORD src1_sel:WORD_1
	global_store_dword v[5:6], v4, off
	s_mov_b64 s[0:1], 0
	s_mov_b64 s[6:7], -1
.LBB19_2019:
	s_and_b64 vcc, exec, s[10:11]
	s_cbranch_vccz .LBB19_2024
; %bb.2020:
	s_cmp_eq_u32 s15, 44
	s_mov_b64 s[0:1], -1
	s_cbranch_scc0 .LBB19_2024
; %bb.2021:
	v_bfe_u32 v4, v3, 23, 8
	s_movk_i32 s0, 0xff
	v_cmp_ne_u32_e32 vcc, s0, v4
	v_mov_b32_e32 v8, 0xff
	s_and_saveexec_b64 s[6:7], vcc
; %bb.2022:
	s_mov_b32 s0, 0x3fffff
	v_and_b32_e32 v9, 0x400000, v3
	v_and_or_b32 v4, v3, s0, v4
	v_cmp_ne_u32_e32 vcc, 0, v9
	v_cmp_ne_u32_e64 s[0:1], 0, v4
	s_and_b64 s[0:1], vcc, s[0:1]
	v_lshrrev_b32_e32 v8, 23, v3
	v_cndmask_b32_e64 v4, 0, 1, s[0:1]
	v_add_u32_e32 v8, v8, v4
; %bb.2023:
	s_or_b64 exec, exec, s[6:7]
	s_mov_b64 s[0:1], 0
	s_mov_b64 s[6:7], -1
	global_store_byte v[5:6], v8, off
.LBB19_2024:
	s_mov_b64 s[10:11], 0
.LBB19_2025:
	s_and_b64 vcc, exec, s[10:11]
	s_cbranch_vccz .LBB19_2028
; %bb.2026:
	s_cmp_eq_u32 s15, 29
	s_mov_b64 s[0:1], -1
	s_cbranch_scc0 .LBB19_2028
; %bb.2027:
	v_trunc_f32_e32 v4, v3
	v_mul_f32_e32 v8, 0x2f800000, v4
	v_floor_f32_e32 v8, v8
	v_fmac_f32_e32 v4, 0xcf800000, v8
	v_cvt_u32_f32_e32 v9, v8
	v_cvt_u32_f32_e32 v8, v4
	s_mov_b64 s[0:1], 0
	s_mov_b64 s[6:7], -1
	global_store_dwordx2 v[5:6], v[8:9], off
.LBB19_2028:
	s_mov_b64 s[10:11], 0
.LBB19_2029:
	s_and_b64 vcc, exec, s[10:11]
	s_cbranch_vccz .LBB19_2045
; %bb.2030:
	s_cmp_lt_i32 s15, 27
	s_mov_b64 s[6:7], -1
	s_cbranch_scc1 .LBB19_2036
; %bb.2031:
	s_cmp_gt_i32 s15, 27
	s_cbranch_scc0 .LBB19_2033
; %bb.2032:
	v_cvt_u32_f32_e32 v4, v3
	s_mov_b64 s[6:7], 0
	global_store_dword v[5:6], v4, off
.LBB19_2033:
	s_andn2_b64 vcc, exec, s[6:7]
	s_cbranch_vccnz .LBB19_2035
; %bb.2034:
	v_cvt_u32_f32_e32 v4, v3
	global_store_short v[5:6], v4, off
.LBB19_2035:
	s_mov_b64 s[6:7], 0
.LBB19_2036:
	s_andn2_b64 vcc, exec, s[6:7]
	s_cbranch_vccnz .LBB19_2044
; %bb.2037:
	v_and_b32_e32 v4, 0x7fffffff, v3
	s_mov_b32 s6, 0x43800000
	v_cmp_gt_u32_e32 vcc, s6, v4
	v_mov_b32_e32 v8, 0x80
	s_and_saveexec_b64 s[6:7], vcc
	s_cbranch_execz .LBB19_2043
; %bb.2038:
	s_mov_b32 s10, 0x3bffffff
	v_cmp_lt_u32_e32 vcc, s10, v4
	s_mov_b64 s[10:11], 0
                                        ; implicit-def: $vgpr4
	s_and_saveexec_b64 s[12:13], vcc
	s_xor_b64 s[12:13], exec, s[12:13]
	s_cbranch_execz .LBB19_2334
; %bb.2039:
	v_bfe_u32 v4, v3, 20, 1
	s_mov_b32 s16, 0x487ffff
	v_add3_u32 v4, v3, v4, s16
	s_mov_b64 s[10:11], exec
	v_lshrrev_b32_e32 v4, 20, v4
	s_andn2_saveexec_b64 s[12:13], s[12:13]
	s_cbranch_execnz .LBB19_2335
.LBB19_2040:
	s_or_b64 exec, exec, s[12:13]
	v_mov_b32_e32 v8, 0
	s_and_saveexec_b64 s[12:13], s[10:11]
.LBB19_2041:
	v_lshrrev_b32_e32 v8, 24, v3
	s_movk_i32 s10, 0x80
	v_and_or_b32 v8, v8, s10, v4
.LBB19_2042:
	s_or_b64 exec, exec, s[12:13]
.LBB19_2043:
	s_or_b64 exec, exec, s[6:7]
	global_store_byte v[5:6], v8, off
.LBB19_2044:
	s_mov_b64 s[6:7], -1
.LBB19_2045:
	s_mov_b64 s[10:11], 0
.LBB19_2046:
	s_and_b64 vcc, exec, s[10:11]
	s_cbranch_vccz .LBB19_2086
; %bb.2047:
	s_cmp_gt_i32 s15, 22
	s_mov_b64 s[4:5], -1
	s_cbranch_scc0 .LBB19_2079
; %bb.2048:
	s_cmp_lt_i32 s15, 24
	s_cbranch_scc1 .LBB19_2068
; %bb.2049:
	s_cmp_gt_i32 s15, 24
	s_cbranch_scc0 .LBB19_2057
; %bb.2050:
	v_and_b32_e32 v4, 0x7fffffff, v3
	s_mov_b32 s4, 0x47800000
	v_cmp_gt_u32_e32 vcc, s4, v4
	v_mov_b32_e32 v8, 0x80
	s_and_saveexec_b64 s[4:5], vcc
	s_cbranch_execz .LBB19_2056
; %bb.2051:
	s_mov_b32 s6, 0x37ffffff
	v_cmp_lt_u32_e32 vcc, s6, v4
	s_mov_b64 s[6:7], 0
                                        ; implicit-def: $vgpr4
	s_and_saveexec_b64 s[10:11], vcc
	s_xor_b64 s[10:11], exec, s[10:11]
	s_cbranch_execz .LBB19_2337
; %bb.2052:
	v_bfe_u32 v4, v3, 21, 1
	s_mov_b32 s12, 0x88fffff
	v_add3_u32 v4, v3, v4, s12
	s_mov_b64 s[6:7], exec
	v_lshrrev_b32_e32 v4, 21, v4
	s_andn2_saveexec_b64 s[10:11], s[10:11]
	s_cbranch_execnz .LBB19_2338
.LBB19_2053:
	s_or_b64 exec, exec, s[10:11]
	v_mov_b32_e32 v8, 0
	s_and_saveexec_b64 s[10:11], s[6:7]
.LBB19_2054:
	v_lshrrev_b32_e32 v8, 24, v3
	s_movk_i32 s6, 0x80
	v_and_or_b32 v8, v8, s6, v4
.LBB19_2055:
	s_or_b64 exec, exec, s[10:11]
.LBB19_2056:
	s_or_b64 exec, exec, s[4:5]
	s_mov_b64 s[4:5], 0
	global_store_byte v[5:6], v8, off
.LBB19_2057:
	s_and_b64 vcc, exec, s[4:5]
	s_cbranch_vccz .LBB19_2067
; %bb.2058:
	v_and_b32_e32 v8, 0x7fffffff, v3
	s_mov_b32 s4, 0x43f00000
	v_cmp_gt_u32_e32 vcc, s4, v8
                                        ; implicit-def: $vgpr4
	s_and_saveexec_b64 s[4:5], vcc
	s_xor_b64 s[4:5], exec, s[4:5]
	s_cbranch_execz .LBB19_2064
; %bb.2059:
	s_mov_b32 s6, 0x3c7fffff
	v_cmp_lt_u32_e32 vcc, s6, v8
                                        ; implicit-def: $vgpr4
	s_and_saveexec_b64 s[6:7], vcc
	s_xor_b64 s[6:7], exec, s[6:7]
; %bb.2060:
	v_bfe_u32 v4, v3, 20, 1
	s_mov_b32 s10, 0x407ffff
	v_add3_u32 v4, v3, v4, s10
	v_lshrrev_b32_e32 v8, 20, v4
	v_and_b32_e32 v4, 0xff00000, v4
	s_mov_b32 s10, 0x7f00000
	v_mov_b32_e32 v9, 0x7e
	v_cmp_ne_u32_e32 vcc, s10, v4
	v_cndmask_b32_e32 v4, v9, v8, vcc
; %bb.2061:
	s_andn2_saveexec_b64 s[6:7], s[6:7]
; %bb.2062:
	s_mov_b32 s10, 0x46800000
	v_add_f32_e64 v4, |v3|, s10
; %bb.2063:
	s_or_b64 exec, exec, s[6:7]
                                        ; implicit-def: $vgpr8
.LBB19_2064:
	s_andn2_saveexec_b64 s[4:5], s[4:5]
; %bb.2065:
	s_mov_b32 s6, 0x7f800000
	v_mov_b32_e32 v4, 0x7e
	v_mov_b32_e32 v9, 0x7f
	v_cmp_lt_u32_e32 vcc, s6, v8
	v_cndmask_b32_e32 v4, v4, v9, vcc
; %bb.2066:
	s_or_b64 exec, exec, s[4:5]
	v_lshrrev_b32_e32 v8, 24, v3
	s_movk_i32 s4, 0x80
	v_and_or_b32 v4, v8, s4, v4
	global_store_byte v[5:6], v4, off
.LBB19_2067:
	s_mov_b64 s[4:5], 0
.LBB19_2068:
	s_andn2_b64 vcc, exec, s[4:5]
	s_cbranch_vccnz .LBB19_2078
; %bb.2069:
	v_and_b32_e32 v8, 0x7fffffff, v3
	s_mov_b32 s4, 0x47800000
	v_cmp_gt_u32_e32 vcc, s4, v8
                                        ; implicit-def: $vgpr4
	s_and_saveexec_b64 s[4:5], vcc
	s_xor_b64 s[4:5], exec, s[4:5]
	s_cbranch_execz .LBB19_2075
; %bb.2070:
	s_mov_b32 s6, 0x387fffff
	v_cmp_lt_u32_e32 vcc, s6, v8
                                        ; implicit-def: $vgpr4
	s_and_saveexec_b64 s[6:7], vcc
	s_xor_b64 s[6:7], exec, s[6:7]
; %bb.2071:
	v_bfe_u32 v4, v3, 21, 1
	s_mov_b32 s10, 0x80fffff
	v_add3_u32 v4, v3, v4, s10
	v_lshrrev_b32_e32 v4, 21, v4
; %bb.2072:
	s_andn2_saveexec_b64 s[6:7], s[6:7]
; %bb.2073:
	s_mov_b32 s10, 0x43000000
	v_add_f32_e64 v4, |v3|, s10
; %bb.2074:
	s_or_b64 exec, exec, s[6:7]
                                        ; implicit-def: $vgpr8
.LBB19_2075:
	s_andn2_saveexec_b64 s[4:5], s[4:5]
; %bb.2076:
	s_mov_b32 s6, 0x7f800000
	v_mov_b32_e32 v4, 0x7c
	v_mov_b32_e32 v9, 0x7f
	v_cmp_lt_u32_e32 vcc, s6, v8
	v_cndmask_b32_e32 v4, v4, v9, vcc
; %bb.2077:
	s_or_b64 exec, exec, s[4:5]
	v_lshrrev_b32_e32 v8, 24, v3
	s_movk_i32 s4, 0x80
	v_and_or_b32 v4, v8, s4, v4
	global_store_byte v[5:6], v4, off
.LBB19_2078:
	s_mov_b64 s[4:5], 0
	s_mov_b64 s[6:7], -1
.LBB19_2079:
	s_andn2_b64 vcc, exec, s[4:5]
	s_mov_b64 s[4:5], 0
	s_cbranch_vccnz .LBB19_2086
; %bb.2080:
	s_cmp_gt_i32 s15, 14
	s_mov_b64 s[10:11], -1
	s_cbranch_scc0 .LBB19_2084
; %bb.2081:
	s_cmp_eq_u32 s15, 15
	s_mov_b64 s[0:1], -1
	s_cbranch_scc0 .LBB19_2083
; %bb.2082:
	v_bfe_u32 v4, v3, 16, 1
	s_movk_i32 s0, 0x7fff
	v_add3_u32 v4, v3, v4, s0
	v_cmp_o_f32_e32 vcc, v3, v3
	v_mov_b32_e32 v8, 0x7fc0
	v_cndmask_b32_sdwa v4, v8, v4, vcc dst_sel:DWORD dst_unused:UNUSED_PAD src0_sel:DWORD src1_sel:WORD_1
	global_store_short v[5:6], v4, off
	s_mov_b64 s[0:1], 0
	s_mov_b64 s[6:7], -1
.LBB19_2083:
	s_mov_b64 s[10:11], 0
.LBB19_2084:
	s_and_b64 vcc, exec, s[10:11]
	s_cbranch_vccz .LBB19_2086
; %bb.2085:
	s_cmp_lg_u32 s15, 11
	s_mov_b64 s[4:5], -1
	s_cselect_b64 s[0:1], -1, 0
.LBB19_2086:
	s_and_b64 vcc, exec, s[0:1]
	s_cbranch_vccnz .LBB19_2336
; %bb.2087:
	s_andn2_b64 vcc, exec, s[4:5]
	s_cbranch_vccnz .LBB19_2089
.LBB19_2088:
	v_cmp_neq_f32_e32 vcc, 0, v3
	v_cndmask_b32_e64 v4, 0, 1, vcc
	s_mov_b64 s[6:7], -1
	global_store_byte v[5:6], v4, off
.LBB19_2089:
	s_mov_b64 s[0:1], 0
	s_branch .LBB19_2091
.LBB19_2090:
	s_mov_b64 s[0:1], -1
	s_mov_b64 s[6:7], 0
.LBB19_2091:
	s_and_b64 vcc, exec, s[0:1]
	s_cbranch_vccz .LBB19_2130
; %bb.2092:
	s_and_b32 s4, 0xffff, s14
	s_cmp_lt_i32 s4, 5
	s_mov_b64 s[0:1], -1
	s_cbranch_scc1 .LBB19_2113
; %bb.2093:
	s_cmp_lt_i32 s4, 8
	s_cbranch_scc1 .LBB19_2103
; %bb.2094:
	s_cmp_lt_i32 s4, 9
	s_cbranch_scc1 .LBB19_2100
; %bb.2095:
	s_cmp_gt_i32 s4, 9
	s_cbranch_scc0 .LBB19_2097
; %bb.2096:
	v_cvt_f64_f32_e32 v[8:9], v3
	v_mov_b32_e32 v10, 0
	v_mov_b32_e32 v11, v10
	s_mov_b64 s[0:1], 0
	global_store_dwordx4 v[5:6], v[8:11], off
.LBB19_2097:
	s_andn2_b64 vcc, exec, s[0:1]
	s_cbranch_vccnz .LBB19_2099
; %bb.2098:
	v_mov_b32_e32 v4, 0
	global_store_dwordx2 v[5:6], v[3:4], off
.LBB19_2099:
	s_mov_b64 s[0:1], 0
.LBB19_2100:
	s_andn2_b64 vcc, exec, s[0:1]
	s_cbranch_vccnz .LBB19_2102
; %bb.2101:
	v_cvt_f16_f32_e32 v4, v3
	global_store_dword v[5:6], v4, off
.LBB19_2102:
	s_mov_b64 s[0:1], 0
.LBB19_2103:
	s_andn2_b64 vcc, exec, s[0:1]
	s_cbranch_vccnz .LBB19_2112
; %bb.2104:
	s_cmp_lt_i32 s4, 6
	s_mov_b64 s[0:1], -1
	s_cbranch_scc1 .LBB19_2110
; %bb.2105:
	s_cmp_gt_i32 s4, 6
	s_cbranch_scc0 .LBB19_2107
; %bb.2106:
	v_cvt_f64_f32_e32 v[8:9], v3
	s_mov_b64 s[0:1], 0
	global_store_dwordx2 v[5:6], v[8:9], off
.LBB19_2107:
	s_andn2_b64 vcc, exec, s[0:1]
	s_cbranch_vccnz .LBB19_2109
; %bb.2108:
	global_store_dword v[5:6], v3, off
.LBB19_2109:
	s_mov_b64 s[0:1], 0
.LBB19_2110:
	s_andn2_b64 vcc, exec, s[0:1]
	s_cbranch_vccnz .LBB19_2112
; %bb.2111:
	v_cvt_f16_f32_e32 v4, v3
	global_store_short v[5:6], v4, off
.LBB19_2112:
	s_mov_b64 s[0:1], 0
.LBB19_2113:
	s_andn2_b64 vcc, exec, s[0:1]
	s_cbranch_vccnz .LBB19_2129
; %bb.2114:
	s_cmp_lt_i32 s4, 2
	s_mov_b64 s[0:1], -1
	s_cbranch_scc1 .LBB19_2124
; %bb.2115:
	s_cmp_lt_i32 s4, 3
	s_cbranch_scc1 .LBB19_2121
; %bb.2116:
	s_cmp_gt_i32 s4, 3
	s_cbranch_scc0 .LBB19_2118
; %bb.2117:
	v_trunc_f32_e32 v4, v3
	s_mov_b32 s0, 0x2f800000
	v_mul_f32_e64 v8, |v4|, s0
	v_floor_f32_e32 v8, v8
	s_mov_b32 s0, 0xcf800000
	v_cvt_u32_f32_e32 v9, v8
	v_fma_f32 v8, v8, s0, |v4|
	v_cvt_u32_f32_e32 v8, v8
	v_ashrrev_i32_e32 v4, 31, v4
	v_xor_b32_e32 v9, v9, v4
	s_mov_b64 s[0:1], 0
	v_xor_b32_e32 v8, v8, v4
	v_sub_co_u32_e32 v8, vcc, v8, v4
	v_subb_co_u32_e32 v9, vcc, v9, v4, vcc
	global_store_dwordx2 v[5:6], v[8:9], off
.LBB19_2118:
	s_andn2_b64 vcc, exec, s[0:1]
	s_cbranch_vccnz .LBB19_2120
; %bb.2119:
	v_cvt_i32_f32_e32 v4, v3
	global_store_dword v[5:6], v4, off
.LBB19_2120:
	s_mov_b64 s[0:1], 0
.LBB19_2121:
	s_andn2_b64 vcc, exec, s[0:1]
	s_cbranch_vccnz .LBB19_2123
; %bb.2122:
	v_cvt_i32_f32_e32 v4, v3
	global_store_short v[5:6], v4, off
.LBB19_2123:
	s_mov_b64 s[0:1], 0
.LBB19_2124:
	s_andn2_b64 vcc, exec, s[0:1]
	s_cbranch_vccnz .LBB19_2129
; %bb.2125:
	s_cmp_gt_i32 s4, 0
	s_mov_b64 s[0:1], -1
	s_cbranch_scc0 .LBB19_2127
; %bb.2126:
	v_cvt_i32_f32_e32 v4, v3
	s_mov_b64 s[0:1], 0
	global_store_byte v[5:6], v4, off
.LBB19_2127:
	s_andn2_b64 vcc, exec, s[0:1]
	s_cbranch_vccnz .LBB19_2129
; %bb.2128:
	v_trunc_f32_e32 v3, v3
	s_mov_b32 s0, 0x2f800000
	v_mul_f32_e64 v4, |v3|, s0
	v_floor_f32_e32 v4, v4
	s_mov_b32 s0, 0xcf800000
	v_fma_f32 v4, v4, s0, |v3|
	v_cvt_u32_f32_e32 v4, v4
	v_ashrrev_i32_e32 v3, 31, v3
	v_xor_b32_e32 v4, v4, v3
	v_sub_u32_e32 v3, v4, v3
	global_store_byte v[5:6], v3, off
.LBB19_2129:
	s_mov_b64 s[6:7], -1
.LBB19_2130:
	s_andn2_b64 vcc, exec, s[6:7]
	s_cbranch_vccnz .LBB19_2326
; %bb.2131:
	v_mov_b32_e32 v4, s9
	v_add_co_u32_e32 v3, vcc, s8, v2
	s_cmp_lt_i32 s14, 11
	v_addc_co_u32_e32 v4, vcc, 0, v4, vcc
	s_cbranch_scc1 .LBB19_2209
; %bb.2132:
	s_and_b32 s15, 0xffff, s14
	s_mov_b64 s[10:11], -1
	s_mov_b64 s[4:5], 0
	s_cmp_gt_i32 s15, 25
	s_mov_b64 s[6:7], 0
	s_mov_b64 s[0:1], 0
	s_cbranch_scc0 .LBB19_2165
; %bb.2133:
	s_cmp_gt_i32 s15, 28
	s_cbranch_scc0 .LBB19_2148
; %bb.2134:
	s_cmp_gt_i32 s15, 43
	;; [unrolled: 3-line block ×3, first 2 shown]
	s_cbranch_scc0 .LBB19_2138
; %bb.2136:
	s_mov_b64 s[0:1], -1
	s_mov_b64 s[10:11], 0
	s_cmp_eq_u32 s15, 46
	s_cbranch_scc0 .LBB19_2138
; %bb.2137:
	v_bfe_u32 v2, v1, 16, 1
	s_movk_i32 s0, 0x7fff
	v_add3_u32 v2, v1, v2, s0
	v_cmp_o_f32_e32 vcc, v1, v1
	v_mov_b32_e32 v5, 0x7fc0
	v_cndmask_b32_sdwa v2, v5, v2, vcc dst_sel:DWORD dst_unused:UNUSED_PAD src0_sel:DWORD src1_sel:WORD_1
	global_store_dword v[3:4], v2, off
	s_mov_b64 s[0:1], 0
	s_mov_b64 s[6:7], -1
.LBB19_2138:
	s_and_b64 vcc, exec, s[10:11]
	s_cbranch_vccz .LBB19_2143
; %bb.2139:
	s_cmp_eq_u32 s15, 44
	s_mov_b64 s[0:1], -1
	s_cbranch_scc0 .LBB19_2143
; %bb.2140:
	v_bfe_u32 v2, v1, 23, 8
	s_movk_i32 s0, 0xff
	v_cmp_ne_u32_e32 vcc, s0, v2
	v_mov_b32_e32 v5, 0xff
	s_and_saveexec_b64 s[6:7], vcc
; %bb.2141:
	s_mov_b32 s0, 0x3fffff
	v_and_b32_e32 v6, 0x400000, v1
	v_and_or_b32 v2, v1, s0, v2
	v_cmp_ne_u32_e32 vcc, 0, v6
	v_cmp_ne_u32_e64 s[0:1], 0, v2
	s_and_b64 s[0:1], vcc, s[0:1]
	v_lshrrev_b32_e32 v5, 23, v1
	v_cndmask_b32_e64 v2, 0, 1, s[0:1]
	v_add_u32_e32 v5, v5, v2
; %bb.2142:
	s_or_b64 exec, exec, s[6:7]
	s_mov_b64 s[0:1], 0
	s_mov_b64 s[6:7], -1
	global_store_byte v[3:4], v5, off
.LBB19_2143:
	s_mov_b64 s[10:11], 0
.LBB19_2144:
	s_and_b64 vcc, exec, s[10:11]
	s_cbranch_vccz .LBB19_2147
; %bb.2145:
	s_cmp_eq_u32 s15, 29
	s_mov_b64 s[0:1], -1
	s_cbranch_scc0 .LBB19_2147
; %bb.2146:
	v_trunc_f32_e32 v2, v1
	v_mul_f32_e32 v5, 0x2f800000, v2
	v_floor_f32_e32 v5, v5
	v_fmac_f32_e32 v2, 0xcf800000, v5
	v_cvt_u32_f32_e32 v6, v5
	v_cvt_u32_f32_e32 v5, v2
	s_mov_b64 s[0:1], 0
	s_mov_b64 s[6:7], -1
	global_store_dwordx2 v[3:4], v[5:6], off
.LBB19_2147:
	s_mov_b64 s[10:11], 0
.LBB19_2148:
	s_and_b64 vcc, exec, s[10:11]
	s_cbranch_vccz .LBB19_2164
; %bb.2149:
	s_cmp_lt_i32 s15, 27
	s_mov_b64 s[6:7], -1
	s_cbranch_scc1 .LBB19_2155
; %bb.2150:
	v_cvt_u32_f32_e32 v2, v1
	s_cmp_gt_i32 s15, 27
	s_cbranch_scc0 .LBB19_2152
; %bb.2151:
	s_mov_b64 s[6:7], 0
	global_store_dword v[3:4], v2, off
.LBB19_2152:
	s_andn2_b64 vcc, exec, s[6:7]
	s_cbranch_vccnz .LBB19_2154
; %bb.2153:
	global_store_short v[3:4], v2, off
.LBB19_2154:
	s_mov_b64 s[6:7], 0
.LBB19_2155:
	s_andn2_b64 vcc, exec, s[6:7]
	s_cbranch_vccnz .LBB19_2163
; %bb.2156:
	v_and_b32_e32 v2, 0x7fffffff, v1
	s_mov_b32 s6, 0x43800000
	v_cmp_gt_u32_e32 vcc, s6, v2
	v_mov_b32_e32 v5, 0x80
	s_and_saveexec_b64 s[6:7], vcc
	s_cbranch_execz .LBB19_2162
; %bb.2157:
	s_mov_b32 s10, 0x3bffffff
	v_cmp_lt_u32_e32 vcc, s10, v2
	s_mov_b64 s[10:11], 0
                                        ; implicit-def: $vgpr2
	s_and_saveexec_b64 s[12:13], vcc
	s_xor_b64 s[12:13], exec, s[12:13]
	s_cbranch_execz .LBB19_2339
; %bb.2158:
	v_bfe_u32 v2, v1, 20, 1
	s_mov_b32 s16, 0x487ffff
	v_add3_u32 v2, v1, v2, s16
	s_mov_b64 s[10:11], exec
	v_lshrrev_b32_e32 v2, 20, v2
	s_andn2_saveexec_b64 s[12:13], s[12:13]
	s_cbranch_execnz .LBB19_2340
.LBB19_2159:
	s_or_b64 exec, exec, s[12:13]
	v_mov_b32_e32 v5, 0
	s_and_saveexec_b64 s[12:13], s[10:11]
.LBB19_2160:
	v_lshrrev_b32_e32 v5, 24, v1
	s_movk_i32 s10, 0x80
	v_and_or_b32 v5, v5, s10, v2
.LBB19_2161:
	s_or_b64 exec, exec, s[12:13]
.LBB19_2162:
	s_or_b64 exec, exec, s[6:7]
	global_store_byte v[3:4], v5, off
.LBB19_2163:
	s_mov_b64 s[6:7], -1
.LBB19_2164:
	s_mov_b64 s[10:11], 0
.LBB19_2165:
	s_and_b64 vcc, exec, s[10:11]
	s_cbranch_vccz .LBB19_2205
; %bb.2166:
	s_cmp_gt_i32 s15, 22
	s_mov_b64 s[4:5], -1
	s_cbranch_scc0 .LBB19_2198
; %bb.2167:
	s_cmp_lt_i32 s15, 24
	s_cbranch_scc1 .LBB19_2187
; %bb.2168:
	s_cmp_gt_i32 s15, 24
	s_cbranch_scc0 .LBB19_2176
; %bb.2169:
	v_and_b32_e32 v2, 0x7fffffff, v1
	s_mov_b32 s4, 0x47800000
	v_cmp_gt_u32_e32 vcc, s4, v2
	v_mov_b32_e32 v5, 0x80
	s_and_saveexec_b64 s[4:5], vcc
	s_cbranch_execz .LBB19_2175
; %bb.2170:
	s_mov_b32 s6, 0x37ffffff
	v_cmp_lt_u32_e32 vcc, s6, v2
	s_mov_b64 s[6:7], 0
                                        ; implicit-def: $vgpr2
	s_and_saveexec_b64 s[10:11], vcc
	s_xor_b64 s[10:11], exec, s[10:11]
	s_cbranch_execz .LBB19_2342
; %bb.2171:
	v_bfe_u32 v2, v1, 21, 1
	s_mov_b32 s12, 0x88fffff
	v_add3_u32 v2, v1, v2, s12
	s_mov_b64 s[6:7], exec
	v_lshrrev_b32_e32 v2, 21, v2
	s_andn2_saveexec_b64 s[10:11], s[10:11]
	s_cbranch_execnz .LBB19_2343
.LBB19_2172:
	s_or_b64 exec, exec, s[10:11]
	v_mov_b32_e32 v5, 0
	s_and_saveexec_b64 s[10:11], s[6:7]
.LBB19_2173:
	v_lshrrev_b32_e32 v5, 24, v1
	s_movk_i32 s6, 0x80
	v_and_or_b32 v5, v5, s6, v2
.LBB19_2174:
	s_or_b64 exec, exec, s[10:11]
.LBB19_2175:
	s_or_b64 exec, exec, s[4:5]
	s_mov_b64 s[4:5], 0
	global_store_byte v[3:4], v5, off
.LBB19_2176:
	s_and_b64 vcc, exec, s[4:5]
	s_cbranch_vccz .LBB19_2186
; %bb.2177:
	v_and_b32_e32 v5, 0x7fffffff, v1
	s_mov_b32 s4, 0x43f00000
	v_cmp_gt_u32_e32 vcc, s4, v5
                                        ; implicit-def: $vgpr2
	s_and_saveexec_b64 s[4:5], vcc
	s_xor_b64 s[4:5], exec, s[4:5]
	s_cbranch_execz .LBB19_2183
; %bb.2178:
	s_mov_b32 s6, 0x3c7fffff
	v_cmp_lt_u32_e32 vcc, s6, v5
                                        ; implicit-def: $vgpr2
	s_and_saveexec_b64 s[6:7], vcc
	s_xor_b64 s[6:7], exec, s[6:7]
; %bb.2179:
	v_bfe_u32 v2, v1, 20, 1
	s_mov_b32 s10, 0x407ffff
	v_add3_u32 v2, v1, v2, s10
	v_lshrrev_b32_e32 v5, 20, v2
	v_and_b32_e32 v2, 0xff00000, v2
	s_mov_b32 s10, 0x7f00000
	v_mov_b32_e32 v6, 0x7e
	v_cmp_ne_u32_e32 vcc, s10, v2
	v_cndmask_b32_e32 v2, v6, v5, vcc
; %bb.2180:
	s_andn2_saveexec_b64 s[6:7], s[6:7]
; %bb.2181:
	s_mov_b32 s10, 0x46800000
	v_add_f32_e64 v2, |v1|, s10
; %bb.2182:
	s_or_b64 exec, exec, s[6:7]
                                        ; implicit-def: $vgpr5
.LBB19_2183:
	s_andn2_saveexec_b64 s[4:5], s[4:5]
; %bb.2184:
	s_mov_b32 s6, 0x7f800000
	v_mov_b32_e32 v2, 0x7e
	v_mov_b32_e32 v6, 0x7f
	v_cmp_lt_u32_e32 vcc, s6, v5
	v_cndmask_b32_e32 v2, v2, v6, vcc
; %bb.2185:
	s_or_b64 exec, exec, s[4:5]
	v_lshrrev_b32_e32 v5, 24, v1
	s_movk_i32 s4, 0x80
	v_and_or_b32 v2, v5, s4, v2
	global_store_byte v[3:4], v2, off
.LBB19_2186:
	s_mov_b64 s[4:5], 0
.LBB19_2187:
	s_andn2_b64 vcc, exec, s[4:5]
	s_cbranch_vccnz .LBB19_2197
; %bb.2188:
	v_and_b32_e32 v5, 0x7fffffff, v1
	s_mov_b32 s4, 0x47800000
	v_cmp_gt_u32_e32 vcc, s4, v5
                                        ; implicit-def: $vgpr2
	s_and_saveexec_b64 s[4:5], vcc
	s_xor_b64 s[4:5], exec, s[4:5]
	s_cbranch_execz .LBB19_2194
; %bb.2189:
	s_mov_b32 s6, 0x387fffff
	v_cmp_lt_u32_e32 vcc, s6, v5
                                        ; implicit-def: $vgpr2
	s_and_saveexec_b64 s[6:7], vcc
	s_xor_b64 s[6:7], exec, s[6:7]
; %bb.2190:
	v_bfe_u32 v2, v1, 21, 1
	s_mov_b32 s10, 0x80fffff
	v_add3_u32 v2, v1, v2, s10
	v_lshrrev_b32_e32 v2, 21, v2
; %bb.2191:
	s_andn2_saveexec_b64 s[6:7], s[6:7]
; %bb.2192:
	s_mov_b32 s10, 0x43000000
	v_add_f32_e64 v2, |v1|, s10
; %bb.2193:
	s_or_b64 exec, exec, s[6:7]
                                        ; implicit-def: $vgpr5
.LBB19_2194:
	s_andn2_saveexec_b64 s[4:5], s[4:5]
; %bb.2195:
	s_mov_b32 s6, 0x7f800000
	v_mov_b32_e32 v2, 0x7c
	v_mov_b32_e32 v6, 0x7f
	v_cmp_lt_u32_e32 vcc, s6, v5
	v_cndmask_b32_e32 v2, v2, v6, vcc
; %bb.2196:
	s_or_b64 exec, exec, s[4:5]
	v_lshrrev_b32_e32 v5, 24, v1
	s_movk_i32 s4, 0x80
	v_and_or_b32 v2, v5, s4, v2
	global_store_byte v[3:4], v2, off
.LBB19_2197:
	s_mov_b64 s[4:5], 0
	s_mov_b64 s[6:7], -1
.LBB19_2198:
	s_andn2_b64 vcc, exec, s[4:5]
	s_mov_b64 s[4:5], 0
	s_cbranch_vccnz .LBB19_2205
; %bb.2199:
	s_cmp_gt_i32 s15, 14
	s_mov_b64 s[10:11], -1
	s_cbranch_scc0 .LBB19_2203
; %bb.2200:
	s_cmp_eq_u32 s15, 15
	s_mov_b64 s[0:1], -1
	s_cbranch_scc0 .LBB19_2202
; %bb.2201:
	v_bfe_u32 v2, v1, 16, 1
	s_movk_i32 s0, 0x7fff
	v_add3_u32 v2, v1, v2, s0
	v_cmp_o_f32_e32 vcc, v1, v1
	v_mov_b32_e32 v5, 0x7fc0
	v_cndmask_b32_sdwa v2, v5, v2, vcc dst_sel:DWORD dst_unused:UNUSED_PAD src0_sel:DWORD src1_sel:WORD_1
	global_store_short v[3:4], v2, off
	s_mov_b64 s[0:1], 0
	s_mov_b64 s[6:7], -1
.LBB19_2202:
	s_mov_b64 s[10:11], 0
.LBB19_2203:
	s_and_b64 vcc, exec, s[10:11]
	s_cbranch_vccz .LBB19_2205
; %bb.2204:
	s_cmp_lg_u32 s15, 11
	s_mov_b64 s[4:5], -1
	s_cselect_b64 s[0:1], -1, 0
.LBB19_2205:
	s_and_b64 vcc, exec, s[0:1]
	s_cbranch_vccnz .LBB19_2341
; %bb.2206:
	s_andn2_b64 vcc, exec, s[4:5]
	s_cbranch_vccnz .LBB19_2208
.LBB19_2207:
	v_cmp_neq_f32_e32 vcc, 0, v1
	v_cndmask_b32_e64 v2, 0, 1, vcc
	s_mov_b64 s[6:7], -1
	global_store_byte v[3:4], v2, off
.LBB19_2208:
	s_mov_b64 s[0:1], 0
	s_branch .LBB19_2210
.LBB19_2209:
	s_mov_b64 s[0:1], -1
	s_mov_b64 s[6:7], 0
.LBB19_2210:
	s_and_b64 vcc, exec, s[0:1]
	s_cbranch_vccz .LBB19_2249
; %bb.2211:
	s_and_b32 s4, 0xffff, s14
	s_cmp_lt_i32 s4, 5
	s_mov_b64 s[0:1], -1
	s_cbranch_scc1 .LBB19_2232
; %bb.2212:
	s_cmp_lt_i32 s4, 8
	s_cbranch_scc1 .LBB19_2222
; %bb.2213:
	s_cmp_lt_i32 s4, 9
	s_cbranch_scc1 .LBB19_2219
; %bb.2214:
	s_cmp_gt_i32 s4, 9
	s_cbranch_scc0 .LBB19_2216
; %bb.2215:
	v_cvt_f64_f32_e32 v[8:9], v1
	v_mov_b32_e32 v10, 0
	v_mov_b32_e32 v11, v10
	s_mov_b64 s[0:1], 0
	global_store_dwordx4 v[3:4], v[8:11], off
.LBB19_2216:
	s_andn2_b64 vcc, exec, s[0:1]
	s_cbranch_vccnz .LBB19_2218
; %bb.2217:
	v_mov_b32_e32 v2, 0
	global_store_dwordx2 v[3:4], v[1:2], off
.LBB19_2218:
	s_mov_b64 s[0:1], 0
.LBB19_2219:
	s_andn2_b64 vcc, exec, s[0:1]
	s_cbranch_vccnz .LBB19_2221
; %bb.2220:
	v_cvt_f16_f32_e32 v2, v1
	global_store_dword v[3:4], v2, off
.LBB19_2221:
	s_mov_b64 s[0:1], 0
.LBB19_2222:
	s_andn2_b64 vcc, exec, s[0:1]
	s_cbranch_vccnz .LBB19_2231
; %bb.2223:
	s_cmp_lt_i32 s4, 6
	s_mov_b64 s[0:1], -1
	s_cbranch_scc1 .LBB19_2229
; %bb.2224:
	s_cmp_gt_i32 s4, 6
	s_cbranch_scc0 .LBB19_2226
; %bb.2225:
	v_cvt_f64_f32_e32 v[5:6], v1
	s_mov_b64 s[0:1], 0
	global_store_dwordx2 v[3:4], v[5:6], off
.LBB19_2226:
	s_andn2_b64 vcc, exec, s[0:1]
	s_cbranch_vccnz .LBB19_2228
; %bb.2227:
	global_store_dword v[3:4], v1, off
.LBB19_2228:
	s_mov_b64 s[0:1], 0
.LBB19_2229:
	s_andn2_b64 vcc, exec, s[0:1]
	s_cbranch_vccnz .LBB19_2231
; %bb.2230:
	v_cvt_f16_f32_e32 v2, v1
	global_store_short v[3:4], v2, off
.LBB19_2231:
	s_mov_b64 s[0:1], 0
.LBB19_2232:
	s_andn2_b64 vcc, exec, s[0:1]
	s_cbranch_vccnz .LBB19_2248
; %bb.2233:
	s_cmp_lt_i32 s4, 2
	s_mov_b64 s[0:1], -1
	s_cbranch_scc1 .LBB19_2243
; %bb.2234:
	s_cmp_lt_i32 s4, 3
	s_cbranch_scc1 .LBB19_2240
; %bb.2235:
	s_cmp_gt_i32 s4, 3
	s_cbranch_scc0 .LBB19_2237
; %bb.2236:
	v_trunc_f32_e32 v2, v1
	s_mov_b32 s0, 0x2f800000
	v_mul_f32_e64 v5, |v2|, s0
	v_floor_f32_e32 v5, v5
	s_mov_b32 s0, 0xcf800000
	v_cvt_u32_f32_e32 v6, v5
	v_fma_f32 v5, v5, s0, |v2|
	v_cvt_u32_f32_e32 v5, v5
	v_ashrrev_i32_e32 v2, 31, v2
	v_xor_b32_e32 v6, v6, v2
	s_mov_b64 s[0:1], 0
	v_xor_b32_e32 v5, v5, v2
	v_sub_co_u32_e32 v5, vcc, v5, v2
	v_subb_co_u32_e32 v6, vcc, v6, v2, vcc
	global_store_dwordx2 v[3:4], v[5:6], off
.LBB19_2237:
	s_andn2_b64 vcc, exec, s[0:1]
	s_cbranch_vccnz .LBB19_2239
; %bb.2238:
	v_cvt_i32_f32_e32 v2, v1
	global_store_dword v[3:4], v2, off
.LBB19_2239:
	s_mov_b64 s[0:1], 0
.LBB19_2240:
	s_andn2_b64 vcc, exec, s[0:1]
	s_cbranch_vccnz .LBB19_2242
; %bb.2241:
	v_cvt_i32_f32_e32 v2, v1
	global_store_short v[3:4], v2, off
.LBB19_2242:
	s_mov_b64 s[0:1], 0
.LBB19_2243:
	s_andn2_b64 vcc, exec, s[0:1]
	s_cbranch_vccnz .LBB19_2248
; %bb.2244:
	s_cmp_gt_i32 s4, 0
	s_mov_b64 s[0:1], -1
	s_cbranch_scc0 .LBB19_2246
; %bb.2245:
	v_cvt_i32_f32_e32 v2, v1
	s_mov_b64 s[0:1], 0
	global_store_byte v[3:4], v2, off
.LBB19_2246:
	s_andn2_b64 vcc, exec, s[0:1]
	s_cbranch_vccnz .LBB19_2248
; %bb.2247:
	v_trunc_f32_e32 v1, v1
	s_mov_b32 s0, 0x2f800000
	v_mul_f32_e64 v2, |v1|, s0
	v_floor_f32_e32 v2, v2
	s_mov_b32 s0, 0xcf800000
	v_fma_f32 v2, v2, s0, |v1|
	v_cvt_u32_f32_e32 v2, v2
	v_ashrrev_i32_e32 v1, 31, v1
	v_xor_b32_e32 v2, v2, v1
	v_sub_u32_e32 v1, v2, v1
	global_store_byte v[3:4], v1, off
.LBB19_2248:
	s_mov_b64 s[6:7], -1
.LBB19_2249:
	s_andn2_b64 vcc, exec, s[6:7]
	s_cbranch_vccnz .LBB19_2326
; %bb.2250:
	v_mov_b32_e32 v1, s9
	v_add_co_u32_e32 v0, vcc, s8, v0
	s_cmp_lt_i32 s14, 11
	v_addc_co_u32_e32 v1, vcc, 0, v1, vcc
	s_cbranch_scc1 .LBB19_2327
; %bb.2251:
	s_and_b32 s12, 0xffff, s14
	s_mov_b64 s[6:7], -1
	s_mov_b64 s[4:5], 0
	s_cmp_gt_i32 s12, 25
	s_mov_b64 s[0:1], 0
	s_cbranch_scc0 .LBB19_2284
; %bb.2252:
	s_cmp_gt_i32 s12, 28
	s_cbranch_scc0 .LBB19_2268
; %bb.2253:
	s_cmp_gt_i32 s12, 43
	;; [unrolled: 3-line block ×3, first 2 shown]
	s_cbranch_scc0 .LBB19_2258
; %bb.2255:
	s_cmp_eq_u32 s12, 46
	s_mov_b64 s[0:1], -1
	s_cbranch_scc0 .LBB19_2257
; %bb.2256:
	v_bfe_u32 v2, v7, 16, 1
	s_movk_i32 s0, 0x7fff
	v_add3_u32 v2, v7, v2, s0
	v_cmp_o_f32_e32 vcc, v7, v7
	v_mov_b32_e32 v3, 0x7fc0
	v_cndmask_b32_sdwa v2, v3, v2, vcc dst_sel:DWORD dst_unused:UNUSED_PAD src0_sel:DWORD src1_sel:WORD_1
	global_store_dword v[0:1], v2, off
	s_mov_b64 s[0:1], 0
.LBB19_2257:
	s_mov_b64 s[6:7], 0
.LBB19_2258:
	s_and_b64 vcc, exec, s[6:7]
	s_cbranch_vccz .LBB19_2263
; %bb.2259:
	s_cmp_eq_u32 s12, 44
	s_mov_b64 s[0:1], -1
	s_cbranch_scc0 .LBB19_2263
; %bb.2260:
	v_bfe_u32 v2, v7, 23, 8
	s_movk_i32 s0, 0xff
	v_cmp_ne_u32_e32 vcc, s0, v2
	v_mov_b32_e32 v3, 0xff
	s_and_saveexec_b64 s[6:7], vcc
; %bb.2261:
	s_mov_b32 s0, 0x3fffff
	v_and_b32_e32 v4, 0x400000, v7
	v_and_or_b32 v2, v7, s0, v2
	v_cmp_ne_u32_e32 vcc, 0, v4
	v_cmp_ne_u32_e64 s[0:1], 0, v2
	s_and_b64 s[0:1], vcc, s[0:1]
	v_lshrrev_b32_e32 v3, 23, v7
	v_cndmask_b32_e64 v2, 0, 1, s[0:1]
	v_add_u32_e32 v3, v3, v2
; %bb.2262:
	s_or_b64 exec, exec, s[6:7]
	s_mov_b64 s[0:1], 0
	global_store_byte v[0:1], v3, off
.LBB19_2263:
	s_mov_b64 s[6:7], 0
.LBB19_2264:
	s_and_b64 vcc, exec, s[6:7]
	s_cbranch_vccz .LBB19_2267
; %bb.2265:
	s_cmp_eq_u32 s12, 29
	s_mov_b64 s[0:1], -1
	s_cbranch_scc0 .LBB19_2267
; %bb.2266:
	v_trunc_f32_e32 v2, v7
	v_mul_f32_e32 v3, 0x2f800000, v2
	v_floor_f32_e32 v4, v3
	v_fmac_f32_e32 v2, 0xcf800000, v4
	v_cvt_u32_f32_e32 v3, v4
	v_cvt_u32_f32_e32 v2, v2
	s_mov_b64 s[0:1], 0
	global_store_dwordx2 v[0:1], v[2:3], off
.LBB19_2267:
	s_mov_b64 s[6:7], 0
.LBB19_2268:
	s_and_b64 vcc, exec, s[6:7]
	s_cbranch_vccz .LBB19_2283
; %bb.2269:
	s_cmp_lt_i32 s12, 27
	s_mov_b64 s[6:7], -1
	s_cbranch_scc1 .LBB19_2275
; %bb.2270:
	s_cmp_gt_i32 s12, 27
	s_cbranch_scc0 .LBB19_2272
; %bb.2271:
	v_cvt_u32_f32_e32 v2, v7
	s_mov_b64 s[6:7], 0
	global_store_dword v[0:1], v2, off
.LBB19_2272:
	s_andn2_b64 vcc, exec, s[6:7]
	s_cbranch_vccnz .LBB19_2274
; %bb.2273:
	v_cvt_u32_f32_e32 v2, v7
	global_store_short v[0:1], v2, off
.LBB19_2274:
	s_mov_b64 s[6:7], 0
.LBB19_2275:
	s_andn2_b64 vcc, exec, s[6:7]
	s_cbranch_vccnz .LBB19_2283
; %bb.2276:
	v_and_b32_e32 v2, 0x7fffffff, v7
	s_mov_b32 s6, 0x43800000
	v_cmp_gt_u32_e32 vcc, s6, v2
	v_mov_b32_e32 v3, 0x80
	s_and_saveexec_b64 s[6:7], vcc
	s_cbranch_execz .LBB19_2282
; %bb.2277:
	s_mov_b32 s8, 0x3bffffff
	v_cmp_lt_u32_e32 vcc, s8, v2
	s_mov_b64 s[8:9], 0
                                        ; implicit-def: $vgpr2
	s_and_saveexec_b64 s[10:11], vcc
	s_xor_b64 s[10:11], exec, s[10:11]
	s_cbranch_execz .LBB19_2344
; %bb.2278:
	v_bfe_u32 v2, v7, 20, 1
	s_mov_b32 s13, 0x487ffff
	v_add3_u32 v2, v7, v2, s13
	s_mov_b64 s[8:9], exec
	v_lshrrev_b32_e32 v2, 20, v2
	s_andn2_saveexec_b64 s[10:11], s[10:11]
	s_cbranch_execnz .LBB19_2345
.LBB19_2279:
	s_or_b64 exec, exec, s[10:11]
	v_mov_b32_e32 v3, 0
	s_and_saveexec_b64 s[10:11], s[8:9]
.LBB19_2280:
	v_lshrrev_b32_e32 v3, 24, v7
	s_movk_i32 s8, 0x80
	v_and_or_b32 v3, v3, s8, v2
.LBB19_2281:
	s_or_b64 exec, exec, s[10:11]
.LBB19_2282:
	s_or_b64 exec, exec, s[6:7]
	global_store_byte v[0:1], v3, off
.LBB19_2283:
	s_mov_b64 s[6:7], 0
.LBB19_2284:
	s_and_b64 vcc, exec, s[6:7]
	s_cbranch_vccz .LBB19_2324
; %bb.2285:
	s_cmp_gt_i32 s12, 22
	s_mov_b64 s[4:5], -1
	s_cbranch_scc0 .LBB19_2317
; %bb.2286:
	s_cmp_lt_i32 s12, 24
	s_cbranch_scc1 .LBB19_2306
; %bb.2287:
	s_cmp_gt_i32 s12, 24
	s_cbranch_scc0 .LBB19_2295
; %bb.2288:
	v_and_b32_e32 v2, 0x7fffffff, v7
	s_mov_b32 s4, 0x47800000
	v_cmp_gt_u32_e32 vcc, s4, v2
	v_mov_b32_e32 v3, 0x80
	s_and_saveexec_b64 s[4:5], vcc
	s_cbranch_execz .LBB19_2294
; %bb.2289:
	s_mov_b32 s6, 0x37ffffff
	v_cmp_lt_u32_e32 vcc, s6, v2
	s_mov_b64 s[6:7], 0
                                        ; implicit-def: $vgpr2
	s_and_saveexec_b64 s[8:9], vcc
	s_xor_b64 s[8:9], exec, s[8:9]
	s_cbranch_execz .LBB19_2347
; %bb.2290:
	v_bfe_u32 v2, v7, 21, 1
	s_mov_b32 s10, 0x88fffff
	v_add3_u32 v2, v7, v2, s10
	s_mov_b64 s[6:7], exec
	v_lshrrev_b32_e32 v2, 21, v2
	s_andn2_saveexec_b64 s[8:9], s[8:9]
	s_cbranch_execnz .LBB19_2348
.LBB19_2291:
	s_or_b64 exec, exec, s[8:9]
	v_mov_b32_e32 v3, 0
	s_and_saveexec_b64 s[8:9], s[6:7]
.LBB19_2292:
	v_lshrrev_b32_e32 v3, 24, v7
	s_movk_i32 s6, 0x80
	v_and_or_b32 v3, v3, s6, v2
.LBB19_2293:
	s_or_b64 exec, exec, s[8:9]
.LBB19_2294:
	s_or_b64 exec, exec, s[4:5]
	s_mov_b64 s[4:5], 0
	global_store_byte v[0:1], v3, off
.LBB19_2295:
	s_and_b64 vcc, exec, s[4:5]
	s_cbranch_vccz .LBB19_2305
; %bb.2296:
	v_and_b32_e32 v3, 0x7fffffff, v7
	s_mov_b32 s4, 0x43f00000
	v_cmp_gt_u32_e32 vcc, s4, v3
                                        ; implicit-def: $vgpr2
	s_and_saveexec_b64 s[4:5], vcc
	s_xor_b64 s[4:5], exec, s[4:5]
	s_cbranch_execz .LBB19_2302
; %bb.2297:
	s_mov_b32 s6, 0x3c7fffff
	v_cmp_lt_u32_e32 vcc, s6, v3
                                        ; implicit-def: $vgpr2
	s_and_saveexec_b64 s[6:7], vcc
	s_xor_b64 s[6:7], exec, s[6:7]
; %bb.2298:
	v_bfe_u32 v2, v7, 20, 1
	s_mov_b32 s8, 0x407ffff
	v_add3_u32 v2, v7, v2, s8
	v_lshrrev_b32_e32 v3, 20, v2
	v_and_b32_e32 v2, 0xff00000, v2
	s_mov_b32 s8, 0x7f00000
	v_mov_b32_e32 v4, 0x7e
	v_cmp_ne_u32_e32 vcc, s8, v2
	v_cndmask_b32_e32 v2, v4, v3, vcc
; %bb.2299:
	s_andn2_saveexec_b64 s[6:7], s[6:7]
; %bb.2300:
	s_mov_b32 s8, 0x46800000
	v_add_f32_e64 v2, |v7|, s8
; %bb.2301:
	s_or_b64 exec, exec, s[6:7]
                                        ; implicit-def: $vgpr3
.LBB19_2302:
	s_andn2_saveexec_b64 s[4:5], s[4:5]
; %bb.2303:
	s_mov_b32 s6, 0x7f800000
	v_mov_b32_e32 v2, 0x7e
	v_mov_b32_e32 v4, 0x7f
	v_cmp_lt_u32_e32 vcc, s6, v3
	v_cndmask_b32_e32 v2, v2, v4, vcc
; %bb.2304:
	s_or_b64 exec, exec, s[4:5]
	v_lshrrev_b32_e32 v3, 24, v7
	s_movk_i32 s4, 0x80
	v_and_or_b32 v2, v3, s4, v2
	global_store_byte v[0:1], v2, off
.LBB19_2305:
	s_mov_b64 s[4:5], 0
.LBB19_2306:
	s_andn2_b64 vcc, exec, s[4:5]
	s_cbranch_vccnz .LBB19_2316
; %bb.2307:
	v_and_b32_e32 v3, 0x7fffffff, v7
	s_mov_b32 s4, 0x47800000
	v_cmp_gt_u32_e32 vcc, s4, v3
                                        ; implicit-def: $vgpr2
	s_and_saveexec_b64 s[4:5], vcc
	s_xor_b64 s[4:5], exec, s[4:5]
	s_cbranch_execz .LBB19_2313
; %bb.2308:
	s_mov_b32 s6, 0x387fffff
	v_cmp_lt_u32_e32 vcc, s6, v3
                                        ; implicit-def: $vgpr2
	s_and_saveexec_b64 s[6:7], vcc
	s_xor_b64 s[6:7], exec, s[6:7]
; %bb.2309:
	v_bfe_u32 v2, v7, 21, 1
	s_mov_b32 s8, 0x80fffff
	v_add3_u32 v2, v7, v2, s8
	v_lshrrev_b32_e32 v2, 21, v2
; %bb.2310:
	s_andn2_saveexec_b64 s[6:7], s[6:7]
; %bb.2311:
	s_mov_b32 s8, 0x43000000
	v_add_f32_e64 v2, |v7|, s8
; %bb.2312:
	s_or_b64 exec, exec, s[6:7]
                                        ; implicit-def: $vgpr3
.LBB19_2313:
	s_andn2_saveexec_b64 s[4:5], s[4:5]
; %bb.2314:
	s_mov_b32 s6, 0x7f800000
	v_mov_b32_e32 v2, 0x7c
	v_mov_b32_e32 v4, 0x7f
	v_cmp_lt_u32_e32 vcc, s6, v3
	v_cndmask_b32_e32 v2, v2, v4, vcc
; %bb.2315:
	s_or_b64 exec, exec, s[4:5]
	v_lshrrev_b32_e32 v3, 24, v7
	s_movk_i32 s4, 0x80
	v_and_or_b32 v2, v3, s4, v2
	global_store_byte v[0:1], v2, off
.LBB19_2316:
	s_mov_b64 s[4:5], 0
.LBB19_2317:
	s_andn2_b64 vcc, exec, s[4:5]
	s_mov_b64 s[4:5], 0
	s_cbranch_vccnz .LBB19_2324
; %bb.2318:
	s_cmp_gt_i32 s12, 14
	s_mov_b64 s[6:7], -1
	s_cbranch_scc0 .LBB19_2322
; %bb.2319:
	s_cmp_eq_u32 s12, 15
	s_mov_b64 s[0:1], -1
	s_cbranch_scc0 .LBB19_2321
; %bb.2320:
	v_bfe_u32 v2, v7, 16, 1
	s_movk_i32 s0, 0x7fff
	v_add3_u32 v2, v7, v2, s0
	v_cmp_o_f32_e32 vcc, v7, v7
	v_mov_b32_e32 v3, 0x7fc0
	v_cndmask_b32_sdwa v2, v3, v2, vcc dst_sel:DWORD dst_unused:UNUSED_PAD src0_sel:DWORD src1_sel:WORD_1
	global_store_short v[0:1], v2, off
	s_mov_b64 s[0:1], 0
.LBB19_2321:
	s_mov_b64 s[6:7], 0
.LBB19_2322:
	s_and_b64 vcc, exec, s[6:7]
	s_cbranch_vccz .LBB19_2324
; %bb.2323:
	s_cmp_lg_u32 s12, 11
	s_mov_b64 s[4:5], -1
	s_cselect_b64 s[0:1], -1, 0
.LBB19_2324:
	s_and_b64 vcc, exec, s[0:1]
	s_cbranch_vccnz .LBB19_2346
.LBB19_2325:
	s_mov_b64 s[0:1], 0
	s_branch .LBB19_1927
.LBB19_2326:
	s_mov_b64 s[0:1], 0
                                        ; implicit-def: $vgpr0_vgpr1
                                        ; implicit-def: $sgpr14
	s_branch .LBB19_1926
.LBB19_2327:
	s_mov_b64 s[4:5], 0
	s_mov_b64 s[0:1], -1
	s_branch .LBB19_1927
.LBB19_2328:
	s_trap 2
	s_or_b64 s[2:3], s[2:3], exec
	s_cbranch_execz .LBB19_1771
	s_branch .LBB19_1772
.LBB19_2329:
	s_andn2_saveexec_b64 s[12:13], s[12:13]
	s_cbranch_execz .LBB19_1875
.LBB19_2330:
	s_mov_b32 s16, 0x46000000
	v_add_f32_e64 v6, |v5|, s16
	v_and_b32_e32 v6, 0xff, v6
	v_cmp_ne_u32_e32 vcc, 0, v6
	s_andn2_b64 s[10:11], s[10:11], exec
	s_and_b64 s[16:17], vcc, exec
	s_or_b64 s[10:11], s[10:11], s[16:17]
	s_or_b64 exec, exec, s[12:13]
	v_mov_b32_e32 v10, 0
	s_and_saveexec_b64 s[12:13], s[10:11]
	s_cbranch_execnz .LBB19_1876
	s_branch .LBB19_1877
.LBB19_2331:
	s_trap 2
	s_or_b64 s[2:3], s[2:3], exec
	s_cbranch_execz .LBB19_1923
	s_branch .LBB19_1924
.LBB19_2332:
	s_andn2_saveexec_b64 s[10:11], s[10:11]
	s_cbranch_execz .LBB19_1888
.LBB19_2333:
	s_mov_b32 s12, 0x42800000
	v_add_f32_e64 v6, |v5|, s12
	v_and_b32_e32 v6, 0xff, v6
	v_cmp_ne_u32_e32 vcc, 0, v6
	s_andn2_b64 s[6:7], s[6:7], exec
	s_and_b64 s[12:13], vcc, exec
	s_or_b64 s[6:7], s[6:7], s[12:13]
	s_or_b64 exec, exec, s[10:11]
	v_mov_b32_e32 v10, 0
	s_and_saveexec_b64 s[10:11], s[6:7]
	s_cbranch_execnz .LBB19_1889
	s_branch .LBB19_1890
.LBB19_2334:
	s_andn2_saveexec_b64 s[12:13], s[12:13]
	s_cbranch_execz .LBB19_2040
.LBB19_2335:
	s_mov_b32 s16, 0x46000000
	v_add_f32_e64 v4, |v3|, s16
	v_and_b32_e32 v4, 0xff, v4
	v_cmp_ne_u32_e32 vcc, 0, v4
	s_andn2_b64 s[10:11], s[10:11], exec
	s_and_b64 s[16:17], vcc, exec
	s_or_b64 s[10:11], s[10:11], s[16:17]
	s_or_b64 exec, exec, s[12:13]
	v_mov_b32_e32 v8, 0
	s_and_saveexec_b64 s[12:13], s[10:11]
	s_cbranch_execnz .LBB19_2041
	s_branch .LBB19_2042
.LBB19_2336:
	s_trap 2
	s_or_b64 s[2:3], s[2:3], exec
	s_cbranch_execz .LBB19_2088
	s_branch .LBB19_2089
.LBB19_2337:
	s_andn2_saveexec_b64 s[10:11], s[10:11]
	s_cbranch_execz .LBB19_2053
.LBB19_2338:
	s_mov_b32 s12, 0x42800000
	v_add_f32_e64 v4, |v3|, s12
	v_and_b32_e32 v4, 0xff, v4
	v_cmp_ne_u32_e32 vcc, 0, v4
	s_andn2_b64 s[6:7], s[6:7], exec
	s_and_b64 s[12:13], vcc, exec
	s_or_b64 s[6:7], s[6:7], s[12:13]
	s_or_b64 exec, exec, s[10:11]
	v_mov_b32_e32 v8, 0
	s_and_saveexec_b64 s[10:11], s[6:7]
	s_cbranch_execnz .LBB19_2054
	s_branch .LBB19_2055
.LBB19_2339:
	s_andn2_saveexec_b64 s[12:13], s[12:13]
	s_cbranch_execz .LBB19_2159
.LBB19_2340:
	s_mov_b32 s16, 0x46000000
	v_add_f32_e64 v2, |v1|, s16
	v_and_b32_e32 v2, 0xff, v2
	v_cmp_ne_u32_e32 vcc, 0, v2
	s_andn2_b64 s[10:11], s[10:11], exec
	s_and_b64 s[16:17], vcc, exec
	s_or_b64 s[10:11], s[10:11], s[16:17]
	s_or_b64 exec, exec, s[12:13]
	v_mov_b32_e32 v5, 0
	s_and_saveexec_b64 s[12:13], s[10:11]
	s_cbranch_execnz .LBB19_2160
	s_branch .LBB19_2161
.LBB19_2341:
	s_trap 2
	s_or_b64 s[2:3], s[2:3], exec
	s_cbranch_execz .LBB19_2207
	s_branch .LBB19_2208
.LBB19_2342:
	s_andn2_saveexec_b64 s[10:11], s[10:11]
	s_cbranch_execz .LBB19_2172
.LBB19_2343:
	s_mov_b32 s12, 0x42800000
	v_add_f32_e64 v2, |v1|, s12
	v_and_b32_e32 v2, 0xff, v2
	v_cmp_ne_u32_e32 vcc, 0, v2
	s_andn2_b64 s[6:7], s[6:7], exec
	s_and_b64 s[12:13], vcc, exec
	s_or_b64 s[6:7], s[6:7], s[12:13]
	s_or_b64 exec, exec, s[10:11]
	v_mov_b32_e32 v5, 0
	s_and_saveexec_b64 s[10:11], s[6:7]
	s_cbranch_execnz .LBB19_2173
	s_branch .LBB19_2174
.LBB19_2344:
	s_andn2_saveexec_b64 s[10:11], s[10:11]
	s_cbranch_execz .LBB19_2279
.LBB19_2345:
	s_mov_b32 s13, 0x46000000
	v_add_f32_e64 v2, |v7|, s13
	v_and_b32_e32 v2, 0xff, v2
	v_cmp_ne_u32_e32 vcc, 0, v2
	s_andn2_b64 s[8:9], s[8:9], exec
	s_and_b64 s[16:17], vcc, exec
	s_or_b64 s[8:9], s[8:9], s[16:17]
	s_or_b64 exec, exec, s[10:11]
	v_mov_b32_e32 v3, 0
	s_and_saveexec_b64 s[10:11], s[8:9]
	s_cbranch_execnz .LBB19_2280
	s_branch .LBB19_2281
.LBB19_2346:
	s_mov_b64 s[4:5], 0
	s_or_b64 s[2:3], s[2:3], exec
	s_trap 2
	s_branch .LBB19_2325
.LBB19_2347:
	s_andn2_saveexec_b64 s[8:9], s[8:9]
	s_cbranch_execz .LBB19_2291
.LBB19_2348:
	s_mov_b32 s10, 0x42800000
	v_add_f32_e64 v2, |v7|, s10
	v_and_b32_e32 v2, 0xff, v2
	v_cmp_ne_u32_e32 vcc, 0, v2
	s_andn2_b64 s[6:7], s[6:7], exec
	s_and_b64 s[10:11], vcc, exec
	s_or_b64 s[6:7], s[6:7], s[10:11]
	s_or_b64 exec, exec, s[8:9]
	v_mov_b32_e32 v3, 0
	s_and_saveexec_b64 s[8:9], s[6:7]
	s_cbranch_execnz .LBB19_2292
	s_branch .LBB19_2293
	.section	.rodata,"a",@progbits
	.p2align	6, 0x0
	.amdhsa_kernel _ZN2at6native32elementwise_kernel_manual_unrollILi128ELi4EZNS0_15gpu_kernel_implIZZZNS0_19digamma_kernel_cudaERNS_18TensorIteratorBaseEENKUlvE_clEvENKUlvE0_clEvEUlfE_EEvS4_RKT_EUlibE0_EEviT1_
		.amdhsa_group_segment_fixed_size 0
		.amdhsa_private_segment_fixed_size 0
		.amdhsa_kernarg_size 360
		.amdhsa_user_sgpr_count 6
		.amdhsa_user_sgpr_private_segment_buffer 1
		.amdhsa_user_sgpr_dispatch_ptr 0
		.amdhsa_user_sgpr_queue_ptr 0
		.amdhsa_user_sgpr_kernarg_segment_ptr 1
		.amdhsa_user_sgpr_dispatch_id 0
		.amdhsa_user_sgpr_flat_scratch_init 0
		.amdhsa_user_sgpr_private_segment_size 0
		.amdhsa_uses_dynamic_stack 0
		.amdhsa_system_sgpr_private_segment_wavefront_offset 0
		.amdhsa_system_sgpr_workgroup_id_x 1
		.amdhsa_system_sgpr_workgroup_id_y 0
		.amdhsa_system_sgpr_workgroup_id_z 0
		.amdhsa_system_sgpr_workgroup_info 0
		.amdhsa_system_vgpr_workitem_id 0
		.amdhsa_next_free_vgpr 46
		.amdhsa_next_free_sgpr 78
		.amdhsa_reserve_vcc 1
		.amdhsa_reserve_flat_scratch 0
		.amdhsa_float_round_mode_32 0
		.amdhsa_float_round_mode_16_64 0
		.amdhsa_float_denorm_mode_32 3
		.amdhsa_float_denorm_mode_16_64 3
		.amdhsa_dx10_clamp 1
		.amdhsa_ieee_mode 1
		.amdhsa_fp16_overflow 0
		.amdhsa_exception_fp_ieee_invalid_op 0
		.amdhsa_exception_fp_denorm_src 0
		.amdhsa_exception_fp_ieee_div_zero 0
		.amdhsa_exception_fp_ieee_overflow 0
		.amdhsa_exception_fp_ieee_underflow 0
		.amdhsa_exception_fp_ieee_inexact 0
		.amdhsa_exception_int_div_zero 0
	.end_amdhsa_kernel
	.section	.text._ZN2at6native32elementwise_kernel_manual_unrollILi128ELi4EZNS0_15gpu_kernel_implIZZZNS0_19digamma_kernel_cudaERNS_18TensorIteratorBaseEENKUlvE_clEvENKUlvE0_clEvEUlfE_EEvS4_RKT_EUlibE0_EEviT1_,"axG",@progbits,_ZN2at6native32elementwise_kernel_manual_unrollILi128ELi4EZNS0_15gpu_kernel_implIZZZNS0_19digamma_kernel_cudaERNS_18TensorIteratorBaseEENKUlvE_clEvENKUlvE0_clEvEUlfE_EEvS4_RKT_EUlibE0_EEviT1_,comdat
.Lfunc_end19:
	.size	_ZN2at6native32elementwise_kernel_manual_unrollILi128ELi4EZNS0_15gpu_kernel_implIZZZNS0_19digamma_kernel_cudaERNS_18TensorIteratorBaseEENKUlvE_clEvENKUlvE0_clEvEUlfE_EEvS4_RKT_EUlibE0_EEviT1_, .Lfunc_end19-_ZN2at6native32elementwise_kernel_manual_unrollILi128ELi4EZNS0_15gpu_kernel_implIZZZNS0_19digamma_kernel_cudaERNS_18TensorIteratorBaseEENKUlvE_clEvENKUlvE0_clEvEUlfE_EEvS4_RKT_EUlibE0_EEviT1_
                                        ; -- End function
	.set _ZN2at6native32elementwise_kernel_manual_unrollILi128ELi4EZNS0_15gpu_kernel_implIZZZNS0_19digamma_kernel_cudaERNS_18TensorIteratorBaseEENKUlvE_clEvENKUlvE0_clEvEUlfE_EEvS4_RKT_EUlibE0_EEviT1_.num_vgpr, 46
	.set _ZN2at6native32elementwise_kernel_manual_unrollILi128ELi4EZNS0_15gpu_kernel_implIZZZNS0_19digamma_kernel_cudaERNS_18TensorIteratorBaseEENKUlvE_clEvENKUlvE0_clEvEUlfE_EEvS4_RKT_EUlibE0_EEviT1_.num_agpr, 0
	.set _ZN2at6native32elementwise_kernel_manual_unrollILi128ELi4EZNS0_15gpu_kernel_implIZZZNS0_19digamma_kernel_cudaERNS_18TensorIteratorBaseEENKUlvE_clEvENKUlvE0_clEvEUlfE_EEvS4_RKT_EUlibE0_EEviT1_.numbered_sgpr, 78
	.set _ZN2at6native32elementwise_kernel_manual_unrollILi128ELi4EZNS0_15gpu_kernel_implIZZZNS0_19digamma_kernel_cudaERNS_18TensorIteratorBaseEENKUlvE_clEvENKUlvE0_clEvEUlfE_EEvS4_RKT_EUlibE0_EEviT1_.num_named_barrier, 0
	.set _ZN2at6native32elementwise_kernel_manual_unrollILi128ELi4EZNS0_15gpu_kernel_implIZZZNS0_19digamma_kernel_cudaERNS_18TensorIteratorBaseEENKUlvE_clEvENKUlvE0_clEvEUlfE_EEvS4_RKT_EUlibE0_EEviT1_.private_seg_size, 0
	.set _ZN2at6native32elementwise_kernel_manual_unrollILi128ELi4EZNS0_15gpu_kernel_implIZZZNS0_19digamma_kernel_cudaERNS_18TensorIteratorBaseEENKUlvE_clEvENKUlvE0_clEvEUlfE_EEvS4_RKT_EUlibE0_EEviT1_.uses_vcc, 1
	.set _ZN2at6native32elementwise_kernel_manual_unrollILi128ELi4EZNS0_15gpu_kernel_implIZZZNS0_19digamma_kernel_cudaERNS_18TensorIteratorBaseEENKUlvE_clEvENKUlvE0_clEvEUlfE_EEvS4_RKT_EUlibE0_EEviT1_.uses_flat_scratch, 0
	.set _ZN2at6native32elementwise_kernel_manual_unrollILi128ELi4EZNS0_15gpu_kernel_implIZZZNS0_19digamma_kernel_cudaERNS_18TensorIteratorBaseEENKUlvE_clEvENKUlvE0_clEvEUlfE_EEvS4_RKT_EUlibE0_EEviT1_.has_dyn_sized_stack, 0
	.set _ZN2at6native32elementwise_kernel_manual_unrollILi128ELi4EZNS0_15gpu_kernel_implIZZZNS0_19digamma_kernel_cudaERNS_18TensorIteratorBaseEENKUlvE_clEvENKUlvE0_clEvEUlfE_EEvS4_RKT_EUlibE0_EEviT1_.has_recursion, 0
	.set _ZN2at6native32elementwise_kernel_manual_unrollILi128ELi4EZNS0_15gpu_kernel_implIZZZNS0_19digamma_kernel_cudaERNS_18TensorIteratorBaseEENKUlvE_clEvENKUlvE0_clEvEUlfE_EEvS4_RKT_EUlibE0_EEviT1_.has_indirect_call, 0
	.section	.AMDGPU.csdata,"",@progbits
; Kernel info:
; codeLenInByte = 56656
; TotalNumSgprs: 82
; NumVgprs: 46
; ScratchSize: 0
; MemoryBound: 1
; FloatMode: 240
; IeeeMode: 1
; LDSByteSize: 0 bytes/workgroup (compile time only)
; SGPRBlocks: 10
; VGPRBlocks: 11
; NumSGPRsForWavesPerEU: 82
; NumVGPRsForWavesPerEU: 46
; Occupancy: 5
; WaveLimiterHint : 1
; COMPUTE_PGM_RSRC2:SCRATCH_EN: 0
; COMPUTE_PGM_RSRC2:USER_SGPR: 6
; COMPUTE_PGM_RSRC2:TRAP_HANDLER: 0
; COMPUTE_PGM_RSRC2:TGID_X_EN: 1
; COMPUTE_PGM_RSRC2:TGID_Y_EN: 0
; COMPUTE_PGM_RSRC2:TGID_Z_EN: 0
; COMPUTE_PGM_RSRC2:TIDIG_COMP_CNT: 0
	.text
	.p2align	2                               ; -- Begin function _ZN2at6native25elementwise_kernel_helperILb0EZZZNS0_19digamma_kernel_cudaERNS_18TensorIteratorBaseEENKUlvE_clEvENKUlvE1_clEvEUlN3c104HalfEE_NS0_6memory8policies11unroll_baseILi256ESt5arrayIPcLm2EE23TrivialOffsetCalculatorILi1EjESG_NS9_15LoadWithoutCastENS9_16StoreWithoutCastELi8ELi1EEEEEvT0_T1_
	.type	_ZN2at6native25elementwise_kernel_helperILb0EZZZNS0_19digamma_kernel_cudaERNS_18TensorIteratorBaseEENKUlvE_clEvENKUlvE1_clEvEUlN3c104HalfEE_NS0_6memory8policies11unroll_baseILi256ESt5arrayIPcLm2EE23TrivialOffsetCalculatorILi1EjESG_NS9_15LoadWithoutCastENS9_16StoreWithoutCastELi8ELi1EEEEEvT0_T1_,@function
_ZN2at6native25elementwise_kernel_helperILb0EZZZNS0_19digamma_kernel_cudaERNS_18TensorIteratorBaseEENKUlvE_clEvENKUlvE1_clEvEUlN3c104HalfEE_NS0_6memory8policies11unroll_baseILi256ESt5arrayIPcLm2EE23TrivialOffsetCalculatorILi1EjESG_NS9_15LoadWithoutCastENS9_16StoreWithoutCastELi8ELi1EEEEEvT0_T1_: ; @_ZN2at6native25elementwise_kernel_helperILb0EZZZNS0_19digamma_kernel_cudaERNS_18TensorIteratorBaseEENKUlvE_clEvENKUlvE1_clEvEUlN3c104HalfEE_NS0_6memory8policies11unroll_baseILi256ESt5arrayIPcLm2EE23TrivialOffsetCalculatorILi1EjESG_NS9_15LoadWithoutCastENS9_16StoreWithoutCastELi8ELi1EEEEEvT0_T1_
; %bb.0:
	s_waitcnt vmcnt(0) expcnt(0) lgkmcnt(0)
	v_and_b32_e32 v10, 0x3ff, v31
	s_lshl_b32 s20, s12, 11
	v_cmp_lt_i32_e64 s[4:5], v10, v4
	v_mov_b32_e32 v17, 0
	v_or_b32_e32 v5, s20, v10
	v_mov_b32_e32 v6, 0
	v_mov_b32_e32 v7, v10
	s_and_saveexec_b64 s[6:7], s[4:5]
	s_cbranch_execz .LBB20_2
; %bb.1:
	v_mov_b32_e32 v6, 0
	v_lshlrev_b64 v[6:7], 1, v[5:6]
	v_add_co_u32_e32 v6, vcc, v2, v6
	v_addc_co_u32_e32 v7, vcc, v3, v7, vcc
	flat_load_ushort v6, v[6:7]
	v_add_u32_e32 v7, 0x100, v10
.LBB20_2:
	s_or_b64 exec, exec, s[6:7]
	v_cmp_lt_i32_e32 vcc, v7, v4
	s_and_saveexec_b64 s[6:7], vcc
	s_cbranch_execz .LBB20_4
; %bb.3:
	v_add_u32_e32 v8, s20, v7
	v_mov_b32_e32 v9, 0
	v_lshlrev_b64 v[8:9], 1, v[8:9]
	v_add_u32_e32 v7, 0x100, v7
	v_add_co_u32_e32 v8, vcc, v2, v8
	v_addc_co_u32_e32 v9, vcc, v3, v9, vcc
	flat_load_ushort v17, v[8:9]
.LBB20_4:
	s_or_b64 exec, exec, s[6:7]
	v_cmp_lt_i32_e32 vcc, v7, v4
	v_mov_b32_e32 v20, 0
	v_mov_b32_e32 v19, 0
	s_and_saveexec_b64 s[6:7], vcc
	s_cbranch_execz .LBB20_6
; %bb.5:
	v_add_u32_e32 v8, s20, v7
	v_mov_b32_e32 v9, 0
	v_lshlrev_b64 v[8:9], 1, v[8:9]
	v_add_u32_e32 v7, 0x100, v7
	v_add_co_u32_e32 v8, vcc, v2, v8
	v_addc_co_u32_e32 v9, vcc, v3, v9, vcc
	flat_load_ushort v19, v[8:9]
.LBB20_6:
	s_or_b64 exec, exec, s[6:7]
	v_cmp_lt_i32_e32 vcc, v7, v4
	s_and_saveexec_b64 s[6:7], vcc
	s_cbranch_execz .LBB20_8
; %bb.7:
	v_add_u32_e32 v8, s20, v7
	v_mov_b32_e32 v9, 0
	v_lshlrev_b64 v[8:9], 1, v[8:9]
	v_add_u32_e32 v7, 0x100, v7
	v_add_co_u32_e32 v8, vcc, v2, v8
	v_addc_co_u32_e32 v9, vcc, v3, v9, vcc
	flat_load_ushort v20, v[8:9]
.LBB20_8:
	s_or_b64 exec, exec, s[6:7]
	v_cmp_lt_i32_e32 vcc, v7, v4
	v_mov_b32_e32 v16, 0
	v_mov_b32_e32 v18, 0
	s_and_saveexec_b64 s[6:7], vcc
	s_cbranch_execz .LBB20_10
; %bb.9:
	v_add_u32_e32 v8, s20, v7
	v_mov_b32_e32 v9, 0
	v_lshlrev_b64 v[8:9], 1, v[8:9]
	v_add_u32_e32 v7, 0x100, v7
	v_add_co_u32_e32 v8, vcc, v2, v8
	v_addc_co_u32_e32 v9, vcc, v3, v9, vcc
	flat_load_ushort v18, v[8:9]
.LBB20_10:
	s_or_b64 exec, exec, s[6:7]
	v_cmp_lt_i32_e32 vcc, v7, v4
	s_and_saveexec_b64 s[6:7], vcc
	s_cbranch_execz .LBB20_12
; %bb.11:
	v_add_u32_e32 v8, s20, v7
	v_mov_b32_e32 v9, 0
	v_lshlrev_b64 v[8:9], 1, v[8:9]
	v_add_u32_e32 v7, 0x100, v7
	v_add_co_u32_e32 v8, vcc, v2, v8
	v_addc_co_u32_e32 v9, vcc, v3, v9, vcc
	flat_load_ushort v16, v[8:9]
.LBB20_12:
	s_or_b64 exec, exec, s[6:7]
	v_cmp_lt_i32_e32 vcc, v7, v4
	v_mov_b32_e32 v12, 0
	v_mov_b32_e32 v14, 0
	s_and_saveexec_b64 s[6:7], vcc
	s_cbranch_execnz .LBB20_15
; %bb.13:
	s_or_b64 exec, exec, s[6:7]
	v_cmp_lt_i32_e32 vcc, v7, v4
	s_and_saveexec_b64 s[6:7], vcc
	s_cbranch_execnz .LBB20_16
.LBB20_14:
	s_or_b64 exec, exec, s[6:7]
                                        ; implicit-def: $vgpr11
	s_and_saveexec_b64 s[8:9], s[4:5]
	s_cbranch_execnz .LBB20_17
	s_branch .LBB20_42
.LBB20_15:
	v_add_u32_e32 v8, s20, v7
	v_mov_b32_e32 v9, 0
	v_lshlrev_b64 v[8:9], 1, v[8:9]
	v_add_u32_e32 v7, 0x100, v7
	v_add_co_u32_e32 v8, vcc, v2, v8
	v_addc_co_u32_e32 v9, vcc, v3, v9, vcc
	flat_load_ushort v14, v[8:9]
	s_or_b64 exec, exec, s[6:7]
	v_cmp_lt_i32_e32 vcc, v7, v4
	s_and_saveexec_b64 s[6:7], vcc
	s_cbranch_execz .LBB20_14
.LBB20_16:
	v_add_u32_e32 v7, s20, v7
	v_mov_b32_e32 v8, 0
	v_lshlrev_b64 v[7:8], 1, v[7:8]
	v_add_co_u32_e32 v2, vcc, v2, v7
	v_addc_co_u32_e32 v3, vcc, v3, v8, vcc
	flat_load_ushort v12, v[2:3]
	s_or_b64 exec, exec, s[6:7]
                                        ; implicit-def: $vgpr11
	s_and_saveexec_b64 s[8:9], s[4:5]
	s_cbranch_execz .LBB20_42
.LBB20_17:
	s_waitcnt vmcnt(0) lgkmcnt(0)
	v_cvt_f32_f16_e32 v13, v6
	v_cmp_neq_f16_e32 vcc, 0, v6
                                        ; implicit-def: $vgpr11
	s_and_saveexec_b64 s[6:7], vcc
	s_xor_b64 s[10:11], exec, s[6:7]
	s_cbranch_execz .LBB20_39
; %bb.18:
	v_cmp_gt_f16_e32 vcc, 0, v6
	s_mov_b64 s[6:7], -1
	v_mov_b32_e32 v2, 0
	s_and_saveexec_b64 s[12:13], vcc
	s_cbranch_execz .LBB20_26
; %bb.19:
	v_trunc_f32_e32 v2, v13
	v_cmp_neq_f32_e32 vcc, v2, v13
	s_mov_b64 s[16:17], 0
	v_mov_b32_e32 v2, 0
	s_and_saveexec_b64 s[14:15], vcc
	s_cbranch_execz .LBB20_25
; %bb.20:
	v_cvt_f32_f16_e32 v2, v6
	s_mov_b32 s6, 0
	s_mov_b32 s17, 0xc00921fb
	;; [unrolled: 1-line block ×3, first 2 shown]
	v_cvt_f64_f32_e32 v[2:3], v2
	s_mov_b32 s7, 0x7ff00000
	v_bfrev_b32_e32 v8, 1
	s_mov_b32 s18, 0
	v_trunc_f64_e32 v[6:7], v[2:3]
	v_cmp_neq_f64_e64 vcc, |v[2:3]|, s[6:7]
	s_mov_b32 s19, 0x41d00000
                                        ; implicit-def: $vgpr11
	v_add_f64 v[6:7], v[2:3], -v[6:7]
	v_mul_f64 v[6:7], |v[6:7]|, s[16:17]
	v_cndmask_b32_e32 v3, v8, v7, vcc
	v_cndmask_b32_e32 v2, 0, v6, vcc
	v_cmp_nlt_f64_e64 s[18:19], |v[2:3]|, s[18:19]
                                        ; implicit-def: $vgpr6_vgpr7
                                        ; implicit-def: $vgpr8_vgpr9
	s_and_saveexec_b64 s[22:23], s[18:19]
	s_xor_b64 s[18:19], exec, s[22:23]
	s_cbranch_execz .LBB20_22
; %bb.21:
	v_trig_preop_f64 v[6:7], |v[2:3]|, 0
	s_mov_b32 s22, 0
	s_mov_b32 s23, 0x7b000000
	s_movk_i32 s17, 0xff80
	v_ldexp_f64 v[21:22], |v[2:3]|, s17
	v_cmp_ge_f64_e64 vcc, |v[2:3]|, s[22:23]
	v_trig_preop_f64 v[8:9], |v[2:3]|, 1
	v_and_b32_e32 v11, 0x7fffffff, v3
	v_trig_preop_f64 v[29:30], |v[2:3]|, 2
	v_mov_b32_e32 v48, 0
	v_mov_b32_e32 v15, 0x3ff00000
	s_mov_b32 s17, 0x3ff921fb
	v_cndmask_b32_e32 v22, v11, v22, vcc
	v_cndmask_b32_e32 v21, v2, v21, vcc
	v_mov_b32_e32 v11, 0x40100000
	v_mul_f64 v[23:24], v[6:7], v[21:22]
	v_mul_f64 v[25:26], v[8:9], v[21:22]
	;; [unrolled: 1-line block ×3, first 2 shown]
	v_fma_f64 v[6:7], v[6:7], v[21:22], -v[23:24]
	v_fma_f64 v[8:9], v[8:9], v[21:22], -v[25:26]
	;; [unrolled: 1-line block ×3, first 2 shown]
	v_add_f64 v[27:28], v[25:26], v[6:7]
	v_add_f64 v[31:32], v[27:28], -v[25:26]
	v_add_f64 v[37:38], v[23:24], v[27:28]
	v_add_f64 v[33:34], v[27:28], -v[31:32]
	v_add_f64 v[6:7], v[6:7], -v[31:32]
	v_add_f64 v[31:32], v[35:36], v[8:9]
	v_add_f64 v[23:24], v[37:38], -v[23:24]
	v_add_f64 v[25:26], v[25:26], -v[33:34]
	v_ldexp_f64 v[33:34], v[37:38], -2
	v_add_f64 v[50:51], v[31:32], -v[35:36]
	v_add_f64 v[23:24], v[27:28], -v[23:24]
	v_add_f64 v[6:7], v[6:7], v[25:26]
	v_fract_f64_e32 v[25:26], v[33:34]
	v_cmp_neq_f64_e64 vcc, |v[33:34]|, s[6:7]
	v_add_f64 v[8:9], v[8:9], -v[50:51]
	v_add_f64 v[27:28], v[31:32], v[6:7]
	v_ldexp_f64 v[25:26], v[25:26], 2
	v_add_f64 v[33:34], v[23:24], v[27:28]
	v_cndmask_b32_e32 v26, 0, v26, vcc
	v_cndmask_b32_e32 v25, 0, v25, vcc
	v_add_f64 v[52:53], v[27:28], -v[31:32]
	v_add_f64 v[37:38], v[33:34], v[25:26]
	v_add_f64 v[23:24], v[33:34], -v[23:24]
	v_add_f64 v[54:55], v[27:28], -v[52:53]
	;; [unrolled: 1-line block ×3, first 2 shown]
	v_cmp_gt_f64_e32 vcc, 0, v[37:38]
	v_add_f64 v[37:38], v[31:32], -v[50:51]
	v_add_f64 v[23:24], v[27:28], -v[23:24]
	;; [unrolled: 1-line block ×3, first 2 shown]
	v_cndmask_b32_e32 v49, 0, v11, vcc
	v_add_f64 v[25:26], v[25:26], v[48:49]
	v_add_f64 v[37:38], v[35:36], -v[37:38]
	v_add_f64 v[6:7], v[6:7], v[31:32]
	v_add_f64 v[64:65], v[33:34], v[25:26]
	;; [unrolled: 1-line block ×3, first 2 shown]
	v_cvt_i32_f64_e32 v11, v[64:65]
	v_add_f64 v[6:7], v[8:9], v[6:7]
	v_cvt_f64_i32_e32 v[49:50], v11
	v_add_f64 v[25:26], v[25:26], -v[49:50]
	v_add_f64 v[6:7], v[21:22], v[6:7]
	v_add_f64 v[8:9], v[33:34], v[25:26]
	;; [unrolled: 1-line block ×3, first 2 shown]
	v_add_f64 v[21:22], v[8:9], -v[25:26]
	v_cmp_le_f64_e32 vcc, 0.5, v[8:9]
	v_add_f64 v[21:22], v[33:34], -v[21:22]
	v_cndmask_b32_e32 v49, 0, v15, vcc
	v_add_f64 v[8:9], v[8:9], -v[48:49]
	v_addc_co_u32_e64 v11, s[6:7], 0, v11, vcc
	s_mov_b32 s6, 0x33145c07
	s_mov_b32 s7, 0x3c91a626
	v_add_f64 v[6:7], v[6:7], v[21:22]
	v_add_f64 v[21:22], v[8:9], v[6:7]
	v_mul_f64 v[23:24], v[21:22], s[16:17]
	v_add_f64 v[8:9], v[21:22], -v[8:9]
	v_fma_f64 v[25:26], v[21:22], s[16:17], -v[23:24]
	v_add_f64 v[6:7], v[6:7], -v[8:9]
	v_fma_f64 v[8:9], v[21:22], s[6:7], v[25:26]
	v_fma_f64 v[8:9], v[6:7], s[16:17], v[8:9]
	v_add_f64 v[6:7], v[23:24], v[8:9]
	v_add_f64 v[21:22], v[6:7], -v[23:24]
	v_add_f64 v[8:9], v[8:9], -v[21:22]
.LBB20_22:
	s_andn2_saveexec_b64 s[6:7], s[18:19]
	s_cbranch_execz .LBB20_24
; %bb.23:
	s_mov_b32 s16, 0x6dc9c883
	s_mov_b32 s17, 0x3fe45f30
	v_mul_f64 v[6:7], |v[2:3]|, s[16:17]
	s_mov_b32 s16, 0x54442d18
	s_mov_b32 s17, 0xbff921fb
	;; [unrolled: 1-line block ×4, first 2 shown]
	v_rndne_f64_e32 v[21:22], v[6:7]
	v_fma_f64 v[6:7], v[21:22], s[16:17], |v[2:3]|
	v_mul_f64 v[8:9], v[21:22], s[18:19]
	s_mov_b32 s16, 0x252049c0
	s_mov_b32 s17, 0xb97b839a
	v_cvt_i32_f64_e32 v11, v[21:22]
	v_fma_f64 v[27:28], v[21:22], s[18:19], v[6:7]
	v_add_f64 v[23:24], v[6:7], v[8:9]
	s_mov_b32 s19, 0x3c91a626
	v_add_f64 v[25:26], v[6:7], -v[23:24]
	v_add_f64 v[23:24], v[23:24], -v[27:28]
	v_add_f64 v[6:7], v[25:26], v[8:9]
	v_fma_f64 v[8:9], v[21:22], s[18:19], v[8:9]
	v_add_f64 v[6:7], v[23:24], v[6:7]
	v_add_f64 v[6:7], v[6:7], -v[8:9]
	v_fma_f64 v[8:9], v[21:22], s[16:17], v[6:7]
	v_add_f64 v[6:7], v[27:28], v[8:9]
	v_add_f64 v[23:24], v[6:7], -v[27:28]
	v_add_f64 v[8:9], v[8:9], -v[23:24]
.LBB20_24:
	s_or_b64 exec, exec, s[6:7]
	v_mul_f64 v[21:22], v[6:7], v[6:7]
	v_add_f64 v[23:24], v[8:9], v[8:9]
	s_mov_b32 s6, 0xc751c08c
	s_mov_b32 s7, 0x3ef5e089
	v_and_b32_e32 v11, 1, v11
	v_cmp_eq_u32_e32 vcc, 0, v11
	v_and_b32_e32 v15, 0x80000000, v3
	s_mov_b32 s18, 0x54442d18
	v_fma_f64 v[25:26], v[6:7], v[6:7], -v[21:22]
	s_mov_b32 s19, 0xc00921fb
	s_mov_b64 s[16:17], exec
	v_sub_f32_e32 v13, 1.0, v13
	v_fma_f64 v[23:24], v[6:7], v[23:24], v[25:26]
	v_add_f64 v[21:22], v[21:22], v[23:24]
	v_mov_b32_e32 v23, 0xa9a29f71
	v_mov_b32_e32 v24, 0xbf078809
	v_fma_f64 v[23:24], v[21:22], s[6:7], v[23:24]
	s_mov_b32 s6, 0x90a8aae0
	s_mov_b32 s7, 0x3f17746f
	v_fma_f64 v[23:24], v[21:22], v[23:24], s[6:7]
	s_mov_b32 s6, 0xa6fbf144
	s_mov_b32 s7, 0xbefbb44d
	;; [unrolled: 3-line block ×12, first 2 shown]
	v_fma_f64 v[23:24], v[21:22], v[23:24], s[6:7]
	s_movk_i32 s6, 0x1f8
	v_cmp_class_f64_e64 s[6:7], v[2:3], s6
	v_mov_b32_e32 v3, 0x7ff80000
	v_mul_f64 v[21:22], v[21:22], v[23:24]
	v_mul_f64 v[23:24], v[6:7], v[21:22]
	v_add_f64 v[25:26], v[6:7], v[23:24]
	v_fma_f64 v[21:22], v[6:7], v[21:22], -v[23:24]
	v_add_f64 v[6:7], v[25:26], -v[6:7]
	v_add_f64 v[8:9], v[8:9], v[21:22]
	v_add_f64 v[6:7], v[23:24], -v[6:7]
	v_add_f64 v[6:7], v[8:9], v[6:7]
	v_add_f64 v[8:9], v[25:26], v[6:7]
	v_rcp_f64_e32 v[21:22], v[8:9]
	v_fma_f64 v[23:24], -v[8:9], v[21:22], 1.0
	v_fma_f64 v[21:22], v[23:24], v[21:22], v[21:22]
	v_fma_f64 v[23:24], -v[8:9], v[21:22], 1.0
	v_fma_f64 v[21:22], v[23:24], v[21:22], v[21:22]
	v_add_f64 v[23:24], v[8:9], -v[25:26]
	v_mul_f64 v[25:26], v[8:9], v[21:22]
	v_add_f64 v[6:7], v[6:7], -v[23:24]
	v_fma_f64 v[23:24], v[21:22], v[8:9], -v[25:26]
	v_fma_f64 v[6:7], v[21:22], v[6:7], v[23:24]
	v_add_f64 v[23:24], v[25:26], v[6:7]
	v_add_f64 v[27:28], -v[23:24], 1.0
	v_add_f64 v[25:26], v[23:24], -v[25:26]
	v_add_f64 v[29:30], -v[27:28], 1.0
	v_add_f64 v[6:7], v[25:26], -v[6:7]
	v_add_f64 v[23:24], v[29:30], -v[23:24]
	v_add_f64 v[6:7], v[6:7], v[23:24]
	v_add_f64 v[6:7], v[27:28], v[6:7]
	v_mul_f64 v[6:7], v[21:22], v[6:7]
	v_add_f64 v[6:7], v[21:22], v[6:7]
	v_xor_b32_e32 v2, 0x80000000, v7
	v_cndmask_b32_e32 v6, v6, v8, vcc
	v_cndmask_b32_e32 v7, v2, v9, vcc
	v_cndmask_b32_e64 v2, 0, v6, s[6:7]
	v_xor_b32_e32 v6, v7, v15
	v_cndmask_b32_e64 v3, v3, v6, s[6:7]
	v_div_scale_f64 v[6:7], s[6:7], v[2:3], v[2:3], s[18:19]
	v_div_scale_f64 v[23:24], vcc, s[18:19], v[2:3], s[18:19]
	v_rcp_f64_e32 v[8:9], v[6:7]
	v_fma_f64 v[21:22], -v[6:7], v[8:9], 1.0
	v_fma_f64 v[8:9], v[8:9], v[21:22], v[8:9]
	v_fma_f64 v[21:22], -v[6:7], v[8:9], 1.0
	v_fma_f64 v[8:9], v[8:9], v[21:22], v[8:9]
	v_mul_f64 v[21:22], v[23:24], v[8:9]
	v_fma_f64 v[6:7], -v[6:7], v[21:22], v[23:24]
	v_div_fmas_f64 v[6:7], v[6:7], v[8:9], v[21:22]
	v_div_fixup_f64 v[2:3], v[6:7], v[2:3], s[18:19]
	v_cvt_f32_f64_e32 v2, v[2:3]
.LBB20_25:
	s_or_b64 exec, exec, s[14:15]
	s_orn2_b64 s[6:7], s[16:17], exec
.LBB20_26:
	s_or_b64 exec, exec, s[12:13]
	v_mov_b32_e32 v11, 0x7e00
	s_and_saveexec_b64 s[12:13], s[6:7]
	s_cbranch_execz .LBB20_38
; %bb.27:
	s_mov_b32 s16, 0x41200000
	v_cmp_gt_f32_e32 vcc, s16, v13
	s_and_saveexec_b64 s[6:7], vcc
	s_cbranch_execz .LBB20_31
; %bb.28:
	s_mov_b64 s[14:15], 0
.LBB20_29:                              ; =>This Inner Loop Header: Depth=1
	v_div_scale_f32 v3, s[18:19], v13, v13, 1.0
	v_div_scale_f32 v6, vcc, 1.0, v13, 1.0
	v_rcp_f32_e32 v7, v3
	v_fma_f32 v8, -v3, v7, 1.0
	v_fmac_f32_e32 v7, v8, v7
	v_mul_f32_e32 v8, v6, v7
	v_fma_f32 v9, -v3, v8, v6
	v_fmac_f32_e32 v8, v9, v7
	v_fma_f32 v3, -v3, v8, v6
	v_div_fmas_f32 v3, v3, v7, v8
	v_div_fixup_f32 v3, v3, v13, 1.0
	v_add_f32_e32 v13, 1.0, v13
	v_cmp_ngt_f32_e32 vcc, s16, v13
	s_or_b64 s[14:15], vcc, s[14:15]
	v_sub_f32_e32 v2, v2, v3
	s_andn2_b64 exec, exec, s[14:15]
	s_cbranch_execnz .LBB20_29
; %bb.30:
	s_or_b64 exec, exec, s[14:15]
.LBB20_31:
	s_or_b64 exec, exec, s[6:7]
	s_mov_b32 s6, 0x41200000
	v_cmp_neq_f32_e32 vcc, s6, v13
                                        ; implicit-def: $vgpr11
	s_and_saveexec_b64 s[6:7], vcc
	s_xor_b64 s[14:15], exec, s[6:7]
	s_cbranch_execz .LBB20_35
; %bb.32:
	v_cvt_f64_f32_e32 v[6:7], v13
	s_mov_b32 s6, 0x85d8a000
	s_mov_b32 s7, 0x43763457
	v_mov_b32_e32 v3, 0
	v_cmp_gt_f64_e32 vcc, s[6:7], v[6:7]
	s_and_saveexec_b64 s[6:7], vcc
	s_cbranch_execz .LBB20_34
; %bb.33:
	v_mul_f32_e32 v3, v13, v13
	v_div_scale_f32 v6, s[16:17], v3, v3, 1.0
	v_div_scale_f32 v7, vcc, 1.0, v3, 1.0
	v_mov_b32_e32 v15, 0x3b820821
	v_rcp_f32_e32 v8, v6
	v_fma_f32 v9, -v6, v8, 1.0
	v_fmac_f32_e32 v8, v9, v8
	v_mul_f32_e32 v9, v7, v8
	v_fma_f32 v11, -v6, v9, v7
	v_fmac_f32_e32 v9, v11, v8
	v_fma_f32 v6, -v6, v9, v7
	v_div_fmas_f32 v6, v6, v8, v9
	v_mov_b32_e32 v7, 0x3daaaaab
	v_mov_b32_e32 v8, 0xbcaccacd
	;; [unrolled: 1-line block ×4, first 2 shown]
	v_div_fixup_f32 v3, v6, v3, 1.0
	v_fma_f32 v6, 0, v3, v7
	v_fmac_f32_e32 v8, v3, v6
	v_fmac_f32_e32 v9, v3, v8
	;; [unrolled: 1-line block ×4, first 2 shown]
	v_mov_b32_e32 v6, 0xbc088889
	v_fmac_f32_e32 v6, v3, v15
	v_fmac_f32_e32 v7, v3, v6
	v_mul_f32_e32 v3, v3, v7
.LBB20_34:
	s_or_b64 exec, exec, s[6:7]
	v_div_scale_f32 v6, s[6:7], v13, v13, -0.5
	v_div_scale_f32 v7, vcc, -0.5, v13, -0.5
	s_mov_b32 s6, 0x800000
	v_cmp_gt_f32_e64 s[6:7], s6, v13
	v_cndmask_b32_e64 v9, 0, 32, s[6:7]
	s_mov_b32 s16, 0x3f317217
	v_rcp_f32_e32 v8, v6
	v_fma_f32 v11, -v6, v8, 1.0
	v_fmac_f32_e32 v8, v11, v8
	v_mul_f32_e32 v11, v7, v8
	v_fma_f32 v15, -v6, v11, v7
	v_fmac_f32_e32 v11, v15, v8
	v_fma_f32 v6, -v6, v11, v7
	v_div_fmas_f32 v6, v6, v8, v11
	v_ldexp_f32 v7, v13, v9
	v_log_f32_e32 v7, v7
	v_mul_f32_e32 v8, 0x3f317217, v7
	v_fma_f32 v8, v7, s16, -v8
	v_fmac_f32_e32 v8, 0x3377d1cf, v7
	s_mov_b32 s16, 0x7f800000
	v_fmac_f32_e32 v8, 0x3f317217, v7
	v_cmp_lt_f32_e64 vcc, |v7|, s16
	v_cndmask_b32_e32 v7, v7, v8, vcc
	v_mov_b32_e32 v8, 0x41b17218
	v_cndmask_b32_e64 v8, 0, v8, s[6:7]
	v_sub_f32_e32 v7, v7, v8
	v_div_fixup_f32 v6, v6, v13, -0.5
	v_add_f32_e32 v6, v7, v6
	v_sub_f32_e32 v3, v6, v3
	v_add_f32_e32 v2, v2, v3
	v_cvt_f16_f32_e32 v11, v2
                                        ; implicit-def: $vgpr2
.LBB20_35:
	s_andn2_saveexec_b64 s[6:7], s[14:15]
; %bb.36:
	v_add_f32_e32 v2, 0x40101cb7, v2
	v_cvt_f16_f32_e32 v11, v2
; %bb.37:
	s_or_b64 exec, exec, s[6:7]
.LBB20_38:
	s_or_b64 exec, exec, s[12:13]
                                        ; implicit-def: $vgpr13
.LBB20_39:
	s_andn2_saveexec_b64 s[6:7], s[10:11]
; %bb.40:
	v_xor_b32_e32 v2, 0x80000000, v13
	v_lshrrev_b32_e32 v2, 16, v2
	s_movk_i32 s10, 0x7fff
	v_mov_b32_e32 v3, 0x7c00
	v_bfi_b32 v11, s10, v3, v2
; %bb.41:
	s_or_b64 exec, exec, s[6:7]
.LBB20_42:
	s_or_b64 exec, exec, s[8:9]
	v_add_u32_e32 v13, 0x100, v10
	v_cmp_lt_i32_e32 vcc, v13, v4
                                        ; implicit-def: $vgpr15
	s_and_saveexec_b64 s[8:9], vcc
	s_cbranch_execz .LBB20_68
; %bb.43:
	s_waitcnt vmcnt(0) lgkmcnt(0)
	v_cvt_f32_f16_e32 v21, v17
	v_cmp_neq_f16_e32 vcc, 0, v17
                                        ; implicit-def: $vgpr15
	s_and_saveexec_b64 s[6:7], vcc
	s_xor_b64 s[10:11], exec, s[6:7]
	s_cbranch_execz .LBB20_65
; %bb.44:
	v_cmp_gt_f16_e32 vcc, 0, v17
	s_mov_b64 s[6:7], -1
	v_mov_b32_e32 v2, 0
	s_and_saveexec_b64 s[12:13], vcc
	s_cbranch_execz .LBB20_52
; %bb.45:
	v_trunc_f32_e32 v2, v21
	v_cmp_neq_f32_e32 vcc, v2, v21
	s_mov_b64 s[16:17], 0
	v_mov_b32_e32 v2, 0
	s_and_saveexec_b64 s[14:15], vcc
	s_cbranch_execz .LBB20_51
; %bb.46:
	v_cvt_f32_f16_e32 v2, v17
	s_mov_b32 s18, 0
	s_mov_b32 s7, 0xc00921fb
	;; [unrolled: 1-line block ×3, first 2 shown]
	v_cvt_f64_f32_e32 v[2:3], v2
	s_mov_b32 s19, 0x7ff00000
	v_bfrev_b32_e32 v8, 1
	s_mov_b32 s16, 0
	v_trunc_f64_e32 v[6:7], v[2:3]
	v_cmp_neq_f64_e64 vcc, |v[2:3]|, s[18:19]
	s_mov_b32 s17, 0x41d00000
                                        ; implicit-def: $vgpr15
	v_add_f64 v[6:7], v[2:3], -v[6:7]
	v_mul_f64 v[6:7], |v[6:7]|, s[6:7]
	v_cndmask_b32_e32 v3, v8, v7, vcc
	v_cndmask_b32_e32 v2, 0, v6, vcc
	v_cmp_nlt_f64_e64 s[16:17], |v[2:3]|, s[16:17]
                                        ; implicit-def: $vgpr6_vgpr7
                                        ; implicit-def: $vgpr8_vgpr9
	s_and_saveexec_b64 s[22:23], s[16:17]
	s_xor_b64 s[16:17], exec, s[22:23]
	s_cbranch_execz .LBB20_48
; %bb.47:
	v_trig_preop_f64 v[6:7], |v[2:3]|, 0
	s_mov_b32 s22, 0
	s_mov_b32 s23, 0x7b000000
	s_movk_i32 s7, 0xff80
	v_cmp_ge_f64_e64 vcc, |v[2:3]|, s[22:23]
	v_ldexp_f64 v[8:9], |v[2:3]|, s7
	v_trig_preop_f64 v[22:23], |v[2:3]|, 1
	v_and_b32_e32 v15, 0x7fffffff, v3
	v_trig_preop_f64 v[30:31], |v[2:3]|, 2
	v_mov_b32_e32 v17, 0x3ff00000
	s_mov_b32 s7, 0x3ff921fb
	v_cndmask_b32_e32 v9, v15, v9, vcc
	v_cndmask_b32_e32 v8, v2, v8, vcc
	v_mov_b32_e32 v15, 0x40100000
	v_mul_f64 v[24:25], v[6:7], v[8:9]
	v_mul_f64 v[26:27], v[22:23], v[8:9]
	;; [unrolled: 1-line block ×3, first 2 shown]
	v_fma_f64 v[6:7], v[6:7], v[8:9], -v[24:25]
	v_fma_f64 v[22:23], v[22:23], v[8:9], -v[26:27]
	;; [unrolled: 1-line block ×3, first 2 shown]
	v_add_f64 v[28:29], v[26:27], v[6:7]
	v_add_f64 v[32:33], v[28:29], -v[26:27]
	v_add_f64 v[38:39], v[24:25], v[28:29]
	v_add_f64 v[34:35], v[28:29], -v[32:33]
	v_add_f64 v[6:7], v[6:7], -v[32:33]
	v_add_f64 v[32:33], v[36:37], v[22:23]
	v_add_f64 v[24:25], v[38:39], -v[24:25]
	v_add_f64 v[26:27], v[26:27], -v[34:35]
	v_ldexp_f64 v[34:35], v[38:39], -2
	v_add_f64 v[50:51], v[32:33], -v[36:37]
	v_add_f64 v[24:25], v[28:29], -v[24:25]
	v_add_f64 v[6:7], v[6:7], v[26:27]
	v_fract_f64_e32 v[26:27], v[34:35]
	v_cmp_neq_f64_e64 vcc, |v[34:35]|, s[18:19]
	v_add_f64 v[22:23], v[22:23], -v[50:51]
	v_add_f64 v[50:51], v[32:33], -v[50:51]
	s_mov_b32 s18, 0x33145c07
	s_mov_b32 s19, 0x3c91a626
	v_add_f64 v[28:29], v[32:33], v[6:7]
	v_ldexp_f64 v[26:27], v[26:27], 2
	v_add_f64 v[50:51], v[36:37], -v[50:51]
	v_add_f64 v[34:35], v[24:25], v[28:29]
	v_cndmask_b32_e32 v27, 0, v27, vcc
	v_cndmask_b32_e32 v26, 0, v26, vcc
	v_add_f64 v[48:49], v[28:29], -v[32:33]
	v_add_f64 v[22:23], v[22:23], v[50:51]
	v_add_f64 v[38:39], v[34:35], v[26:27]
	v_add_f64 v[24:25], v[34:35], -v[24:25]
	v_add_f64 v[6:7], v[6:7], -v[48:49]
	v_add_f64 v[48:49], v[28:29], -v[48:49]
	v_cmp_gt_f64_e32 vcc, 0, v[38:39]
	v_mov_b32_e32 v38, 0
	v_add_f64 v[24:25], v[28:29], -v[24:25]
	v_add_f64 v[32:33], v[32:33], -v[48:49]
	v_cndmask_b32_e32 v39, 0, v15, vcc
	v_add_f64 v[26:27], v[26:27], v[38:39]
	v_add_f64 v[6:7], v[6:7], v[32:33]
	;; [unrolled: 1-line block ×4, first 2 shown]
	v_cvt_i32_f64_e32 v15, v[48:49]
	v_add_f64 v[6:7], v[8:9], v[6:7]
	v_cvt_f64_i32_e32 v[48:49], v15
	v_add_f64 v[26:27], v[26:27], -v[48:49]
	v_add_f64 v[6:7], v[24:25], v[6:7]
	v_add_f64 v[22:23], v[34:35], v[26:27]
	v_add_f64 v[8:9], v[22:23], -v[26:27]
	v_cmp_le_f64_e32 vcc, 0.5, v[22:23]
	v_add_f64 v[8:9], v[34:35], -v[8:9]
	v_cndmask_b32_e32 v39, 0, v17, vcc
	v_addc_co_u32_e32 v15, vcc, 0, v15, vcc
	v_add_f64 v[6:7], v[6:7], v[8:9]
	v_add_f64 v[8:9], v[22:23], -v[38:39]
	v_add_f64 v[22:23], v[8:9], v[6:7]
	v_mul_f64 v[24:25], v[22:23], s[6:7]
	v_add_f64 v[8:9], v[22:23], -v[8:9]
	v_fma_f64 v[26:27], v[22:23], s[6:7], -v[24:25]
	v_add_f64 v[6:7], v[6:7], -v[8:9]
	v_fma_f64 v[8:9], v[22:23], s[18:19], v[26:27]
	v_fma_f64 v[8:9], v[6:7], s[6:7], v[8:9]
	v_add_f64 v[6:7], v[24:25], v[8:9]
	v_add_f64 v[22:23], v[6:7], -v[24:25]
	v_add_f64 v[8:9], v[8:9], -v[22:23]
.LBB20_48:
	s_andn2_saveexec_b64 s[6:7], s[16:17]
	s_cbranch_execz .LBB20_50
; %bb.49:
	s_mov_b32 s16, 0x6dc9c883
	s_mov_b32 s17, 0x3fe45f30
	v_mul_f64 v[6:7], |v[2:3]|, s[16:17]
	s_mov_b32 s16, 0x54442d18
	s_mov_b32 s17, 0xbff921fb
	;; [unrolled: 1-line block ×4, first 2 shown]
	v_rndne_f64_e32 v[22:23], v[6:7]
	v_fma_f64 v[6:7], v[22:23], s[16:17], |v[2:3]|
	v_mul_f64 v[8:9], v[22:23], s[18:19]
	s_mov_b32 s16, 0x252049c0
	s_mov_b32 s17, 0xb97b839a
	v_cvt_i32_f64_e32 v15, v[22:23]
	v_fma_f64 v[28:29], v[22:23], s[18:19], v[6:7]
	v_add_f64 v[24:25], v[6:7], v[8:9]
	s_mov_b32 s19, 0x3c91a626
	v_add_f64 v[26:27], v[6:7], -v[24:25]
	v_add_f64 v[24:25], v[24:25], -v[28:29]
	v_add_f64 v[6:7], v[26:27], v[8:9]
	v_fma_f64 v[8:9], v[22:23], s[18:19], v[8:9]
	v_add_f64 v[6:7], v[24:25], v[6:7]
	v_add_f64 v[6:7], v[6:7], -v[8:9]
	v_fma_f64 v[8:9], v[22:23], s[16:17], v[6:7]
	v_add_f64 v[6:7], v[28:29], v[8:9]
	v_add_f64 v[24:25], v[6:7], -v[28:29]
	v_add_f64 v[8:9], v[8:9], -v[24:25]
.LBB20_50:
	s_or_b64 exec, exec, s[6:7]
	v_mul_f64 v[22:23], v[6:7], v[6:7]
	v_add_f64 v[24:25], v[8:9], v[8:9]
	s_mov_b32 s6, 0xc751c08c
	s_mov_b32 s7, 0x3ef5e089
	v_and_b32_e32 v15, 1, v15
	v_cmp_eq_u32_e32 vcc, 0, v15
	v_and_b32_e32 v17, 0x80000000, v3
	s_mov_b32 s18, 0x54442d18
	v_fma_f64 v[26:27], v[6:7], v[6:7], -v[22:23]
	s_mov_b32 s19, 0xc00921fb
	s_mov_b64 s[16:17], exec
	v_sub_f32_e32 v21, 1.0, v21
	v_fma_f64 v[24:25], v[6:7], v[24:25], v[26:27]
	v_add_f64 v[22:23], v[22:23], v[24:25]
	v_mov_b32_e32 v24, 0xa9a29f71
	v_mov_b32_e32 v25, 0xbf078809
	v_fma_f64 v[24:25], v[22:23], s[6:7], v[24:25]
	s_mov_b32 s6, 0x90a8aae0
	s_mov_b32 s7, 0x3f17746f
	v_fma_f64 v[24:25], v[22:23], v[24:25], s[6:7]
	s_mov_b32 s6, 0xa6fbf144
	s_mov_b32 s7, 0xbefbb44d
	;; [unrolled: 3-line block ×12, first 2 shown]
	v_fma_f64 v[24:25], v[22:23], v[24:25], s[6:7]
	s_movk_i32 s6, 0x1f8
	v_cmp_class_f64_e64 s[6:7], v[2:3], s6
	v_mov_b32_e32 v3, 0x7ff80000
	v_mul_f64 v[22:23], v[22:23], v[24:25]
	v_mul_f64 v[24:25], v[6:7], v[22:23]
	v_add_f64 v[26:27], v[6:7], v[24:25]
	v_fma_f64 v[22:23], v[6:7], v[22:23], -v[24:25]
	v_add_f64 v[6:7], v[26:27], -v[6:7]
	v_add_f64 v[8:9], v[8:9], v[22:23]
	v_add_f64 v[6:7], v[24:25], -v[6:7]
	v_add_f64 v[6:7], v[8:9], v[6:7]
	v_add_f64 v[8:9], v[26:27], v[6:7]
	v_rcp_f64_e32 v[22:23], v[8:9]
	v_fma_f64 v[24:25], -v[8:9], v[22:23], 1.0
	v_fma_f64 v[22:23], v[24:25], v[22:23], v[22:23]
	v_fma_f64 v[24:25], -v[8:9], v[22:23], 1.0
	v_fma_f64 v[22:23], v[24:25], v[22:23], v[22:23]
	v_add_f64 v[24:25], v[8:9], -v[26:27]
	v_mul_f64 v[26:27], v[8:9], v[22:23]
	v_add_f64 v[6:7], v[6:7], -v[24:25]
	v_fma_f64 v[24:25], v[22:23], v[8:9], -v[26:27]
	v_fma_f64 v[6:7], v[22:23], v[6:7], v[24:25]
	v_add_f64 v[24:25], v[26:27], v[6:7]
	v_add_f64 v[28:29], -v[24:25], 1.0
	v_add_f64 v[26:27], v[24:25], -v[26:27]
	v_add_f64 v[30:31], -v[28:29], 1.0
	v_add_f64 v[6:7], v[26:27], -v[6:7]
	v_add_f64 v[24:25], v[30:31], -v[24:25]
	v_add_f64 v[6:7], v[6:7], v[24:25]
	v_add_f64 v[6:7], v[28:29], v[6:7]
	v_mul_f64 v[6:7], v[22:23], v[6:7]
	v_add_f64 v[6:7], v[22:23], v[6:7]
	v_xor_b32_e32 v2, 0x80000000, v7
	v_cndmask_b32_e32 v6, v6, v8, vcc
	v_cndmask_b32_e32 v7, v2, v9, vcc
	v_cndmask_b32_e64 v2, 0, v6, s[6:7]
	v_xor_b32_e32 v6, v7, v17
	v_cndmask_b32_e64 v3, v3, v6, s[6:7]
	v_div_scale_f64 v[6:7], s[6:7], v[2:3], v[2:3], s[18:19]
	v_div_scale_f64 v[24:25], vcc, s[18:19], v[2:3], s[18:19]
	v_rcp_f64_e32 v[8:9], v[6:7]
	v_fma_f64 v[22:23], -v[6:7], v[8:9], 1.0
	v_fma_f64 v[8:9], v[8:9], v[22:23], v[8:9]
	v_fma_f64 v[22:23], -v[6:7], v[8:9], 1.0
	v_fma_f64 v[8:9], v[8:9], v[22:23], v[8:9]
	v_mul_f64 v[22:23], v[24:25], v[8:9]
	v_fma_f64 v[6:7], -v[6:7], v[22:23], v[24:25]
	v_div_fmas_f64 v[6:7], v[6:7], v[8:9], v[22:23]
	v_div_fixup_f64 v[2:3], v[6:7], v[2:3], s[18:19]
	v_cvt_f32_f64_e32 v2, v[2:3]
.LBB20_51:
	s_or_b64 exec, exec, s[14:15]
	s_orn2_b64 s[6:7], s[16:17], exec
.LBB20_52:
	s_or_b64 exec, exec, s[12:13]
	v_mov_b32_e32 v15, 0x7e00
	s_and_saveexec_b64 s[12:13], s[6:7]
	s_cbranch_execz .LBB20_64
; %bb.53:
	s_mov_b32 s16, 0x41200000
	v_cmp_gt_f32_e32 vcc, s16, v21
	s_and_saveexec_b64 s[6:7], vcc
	s_cbranch_execz .LBB20_57
; %bb.54:
	s_mov_b64 s[14:15], 0
.LBB20_55:                              ; =>This Inner Loop Header: Depth=1
	v_div_scale_f32 v3, s[18:19], v21, v21, 1.0
	v_div_scale_f32 v6, vcc, 1.0, v21, 1.0
	v_rcp_f32_e32 v7, v3
	v_fma_f32 v8, -v3, v7, 1.0
	v_fmac_f32_e32 v7, v8, v7
	v_mul_f32_e32 v8, v6, v7
	v_fma_f32 v9, -v3, v8, v6
	v_fmac_f32_e32 v8, v9, v7
	v_fma_f32 v3, -v3, v8, v6
	v_div_fmas_f32 v3, v3, v7, v8
	v_div_fixup_f32 v3, v3, v21, 1.0
	v_add_f32_e32 v21, 1.0, v21
	v_cmp_ngt_f32_e32 vcc, s16, v21
	s_or_b64 s[14:15], vcc, s[14:15]
	v_sub_f32_e32 v2, v2, v3
	s_andn2_b64 exec, exec, s[14:15]
	s_cbranch_execnz .LBB20_55
; %bb.56:
	s_or_b64 exec, exec, s[14:15]
.LBB20_57:
	s_or_b64 exec, exec, s[6:7]
	s_mov_b32 s6, 0x41200000
	v_cmp_neq_f32_e32 vcc, s6, v21
                                        ; implicit-def: $vgpr15
	s_and_saveexec_b64 s[6:7], vcc
	s_xor_b64 s[14:15], exec, s[6:7]
	s_cbranch_execz .LBB20_61
; %bb.58:
	v_cvt_f64_f32_e32 v[6:7], v21
	s_mov_b32 s6, 0x85d8a000
	s_mov_b32 s7, 0x43763457
	v_mov_b32_e32 v3, 0
	v_cmp_gt_f64_e32 vcc, s[6:7], v[6:7]
	s_and_saveexec_b64 s[6:7], vcc
	s_cbranch_execz .LBB20_60
; %bb.59:
	v_mul_f32_e32 v3, v21, v21
	v_div_scale_f32 v6, s[16:17], v3, v3, 1.0
	v_div_scale_f32 v7, vcc, 1.0, v3, 1.0
	v_mov_b32_e32 v17, 0x3b820821
	v_rcp_f32_e32 v8, v6
	v_fma_f32 v9, -v6, v8, 1.0
	v_fmac_f32_e32 v8, v9, v8
	v_mul_f32_e32 v9, v7, v8
	v_fma_f32 v15, -v6, v9, v7
	v_fmac_f32_e32 v9, v15, v8
	v_fma_f32 v6, -v6, v9, v7
	v_div_fmas_f32 v6, v6, v8, v9
	v_mov_b32_e32 v7, 0x3daaaaab
	v_mov_b32_e32 v8, 0xbcaccacd
	;; [unrolled: 1-line block ×4, first 2 shown]
	v_div_fixup_f32 v3, v6, v3, 1.0
	v_fma_f32 v6, 0, v3, v7
	v_fmac_f32_e32 v8, v3, v6
	v_fmac_f32_e32 v9, v3, v8
	;; [unrolled: 1-line block ×4, first 2 shown]
	v_mov_b32_e32 v6, 0xbc088889
	v_fmac_f32_e32 v6, v3, v17
	v_fmac_f32_e32 v7, v3, v6
	v_mul_f32_e32 v3, v3, v7
.LBB20_60:
	s_or_b64 exec, exec, s[6:7]
	v_div_scale_f32 v6, s[6:7], v21, v21, -0.5
	v_div_scale_f32 v7, vcc, -0.5, v21, -0.5
	s_mov_b32 s6, 0x800000
	v_cmp_gt_f32_e64 s[6:7], s6, v21
	v_cndmask_b32_e64 v9, 0, 32, s[6:7]
	s_mov_b32 s16, 0x3f317217
	v_rcp_f32_e32 v8, v6
	v_fma_f32 v15, -v6, v8, 1.0
	v_fmac_f32_e32 v8, v15, v8
	v_mul_f32_e32 v15, v7, v8
	v_fma_f32 v17, -v6, v15, v7
	v_fmac_f32_e32 v15, v17, v8
	v_fma_f32 v6, -v6, v15, v7
	v_div_fmas_f32 v6, v6, v8, v15
	v_ldexp_f32 v7, v21, v9
	v_log_f32_e32 v7, v7
	v_mul_f32_e32 v8, 0x3f317217, v7
	v_fma_f32 v8, v7, s16, -v8
	v_fmac_f32_e32 v8, 0x3377d1cf, v7
	s_mov_b32 s16, 0x7f800000
	v_fmac_f32_e32 v8, 0x3f317217, v7
	v_cmp_lt_f32_e64 vcc, |v7|, s16
	v_cndmask_b32_e32 v7, v7, v8, vcc
	v_mov_b32_e32 v8, 0x41b17218
	v_cndmask_b32_e64 v8, 0, v8, s[6:7]
	v_sub_f32_e32 v7, v7, v8
	v_div_fixup_f32 v6, v6, v21, -0.5
	v_add_f32_e32 v6, v7, v6
	v_sub_f32_e32 v3, v6, v3
	v_add_f32_e32 v2, v2, v3
	v_cvt_f16_f32_e32 v15, v2
                                        ; implicit-def: $vgpr2
.LBB20_61:
	s_andn2_saveexec_b64 s[6:7], s[14:15]
; %bb.62:
	v_add_f32_e32 v2, 0x40101cb7, v2
	v_cvt_f16_f32_e32 v15, v2
; %bb.63:
	s_or_b64 exec, exec, s[6:7]
.LBB20_64:
	s_or_b64 exec, exec, s[12:13]
                                        ; implicit-def: $vgpr21
.LBB20_65:
	s_andn2_saveexec_b64 s[6:7], s[10:11]
; %bb.66:
	v_xor_b32_e32 v2, 0x80000000, v21
	v_lshrrev_b32_e32 v2, 16, v2
	s_movk_i32 s10, 0x7fff
	v_mov_b32_e32 v3, 0x7c00
	v_bfi_b32 v15, s10, v3, v2
; %bb.67:
	s_or_b64 exec, exec, s[6:7]
.LBB20_68:
	s_or_b64 exec, exec, s[8:9]
	v_add_u32_e32 v2, 0x200, v10
	v_cmp_lt_i32_e32 vcc, v2, v4
                                        ; implicit-def: $vgpr17
	s_and_saveexec_b64 s[8:9], vcc
	s_cbranch_execz .LBB20_94
; %bb.69:
	s_waitcnt vmcnt(0) lgkmcnt(0)
	v_cvt_f32_f16_e32 v21, v19
	v_cmp_neq_f16_e32 vcc, 0, v19
                                        ; implicit-def: $vgpr17
	s_and_saveexec_b64 s[6:7], vcc
	s_xor_b64 s[10:11], exec, s[6:7]
	s_cbranch_execz .LBB20_91
; %bb.70:
	v_cmp_gt_f16_e32 vcc, 0, v19
	s_mov_b64 s[6:7], -1
	v_mov_b32_e32 v2, 0
	s_and_saveexec_b64 s[12:13], vcc
	s_cbranch_execz .LBB20_78
; %bb.71:
	v_trunc_f32_e32 v2, v21
	v_cmp_neq_f32_e32 vcc, v2, v21
	s_mov_b64 s[16:17], 0
	v_mov_b32_e32 v2, 0
	s_and_saveexec_b64 s[14:15], vcc
	s_cbranch_execz .LBB20_77
; %bb.72:
	v_cvt_f32_f16_e32 v2, v19
	s_mov_b32 s6, 0
	s_mov_b32 s17, 0xc00921fb
	s_mov_b32 s16, 0x54442d18
	v_cvt_f64_f32_e32 v[2:3], v2
	s_mov_b32 s7, 0x7ff00000
	v_bfrev_b32_e32 v8, 1
	s_mov_b32 s18, 0
	v_trunc_f64_e32 v[6:7], v[2:3]
	v_cmp_neq_f64_e64 vcc, |v[2:3]|, s[6:7]
	s_mov_b32 s19, 0x41d00000
                                        ; implicit-def: $vgpr17
	v_add_f64 v[6:7], v[2:3], -v[6:7]
	v_mul_f64 v[6:7], |v[6:7]|, s[16:17]
	v_cndmask_b32_e32 v3, v8, v7, vcc
	v_cndmask_b32_e32 v2, 0, v6, vcc
	v_cmp_nlt_f64_e64 s[18:19], |v[2:3]|, s[18:19]
                                        ; implicit-def: $vgpr6_vgpr7
                                        ; implicit-def: $vgpr8_vgpr9
	s_and_saveexec_b64 s[22:23], s[18:19]
	s_xor_b64 s[18:19], exec, s[22:23]
	s_cbranch_execz .LBB20_74
; %bb.73:
	v_trig_preop_f64 v[6:7], |v[2:3]|, 0
	s_mov_b32 s22, 0
	s_mov_b32 s23, 0x7b000000
	s_movk_i32 s17, 0xff80
	v_cmp_ge_f64_e64 vcc, |v[2:3]|, s[22:23]
	v_ldexp_f64 v[22:23], |v[2:3]|, s17
	v_trig_preop_f64 v[8:9], |v[2:3]|, 1
	v_and_b32_e32 v17, 0x7fffffff, v3
	s_mov_b32 s17, 0x3ff921fb
	v_cndmask_b32_e32 v23, v17, v23, vcc
	v_cndmask_b32_e32 v22, v2, v22, vcc
	v_mov_b32_e32 v17, 0x40100000
	v_mul_f64 v[26:27], v[6:7], v[22:23]
	v_mul_f64 v[24:25], v[8:9], v[22:23]
	v_fma_f64 v[6:7], v[6:7], v[22:23], -v[26:27]
	v_fma_f64 v[8:9], v[8:9], v[22:23], -v[24:25]
	v_add_f64 v[28:29], v[24:25], v[6:7]
	v_add_f64 v[36:37], v[28:29], -v[24:25]
	v_add_f64 v[30:31], v[26:27], v[28:29]
	v_add_f64 v[6:7], v[6:7], -v[36:37]
	v_add_f64 v[36:37], v[28:29], -v[36:37]
	v_ldexp_f64 v[32:33], v[30:31], -2
	v_add_f64 v[26:27], v[30:31], -v[26:27]
	v_add_f64 v[36:37], v[24:25], -v[36:37]
	v_trig_preop_f64 v[24:25], |v[2:3]|, 2
	v_fract_f64_e32 v[34:35], v[32:33]
	v_add_f64 v[26:27], v[28:29], -v[26:27]
	v_cmp_neq_f64_e64 vcc, |v[32:33]|, s[6:7]
	v_add_f64 v[6:7], v[6:7], v[36:37]
	v_mul_f64 v[36:37], v[24:25], v[22:23]
	v_add_f64 v[38:39], v[36:37], v[8:9]
	v_add_f64 v[48:49], v[38:39], v[6:7]
	v_add_f64 v[30:31], v[48:49], -v[38:39]
	v_add_f64 v[28:29], v[26:27], v[48:49]
	v_add_f64 v[6:7], v[6:7], -v[30:31]
	v_add_f64 v[30:31], v[48:49], -v[30:31]
	;; [unrolled: 1-line block ×5, first 2 shown]
	v_add_f64 v[6:7], v[6:7], v[30:31]
	v_add_f64 v[30:31], v[38:39], -v[36:37]
	v_add_f64 v[8:9], v[8:9], -v[30:31]
	;; [unrolled: 1-line block ×4, first 2 shown]
	v_add_f64 v[8:9], v[8:9], v[30:31]
	v_add_f64 v[6:7], v[8:9], v[6:7]
	v_fma_f64 v[8:9], v[24:25], v[22:23], -v[36:37]
	v_add_f64 v[6:7], v[8:9], v[6:7]
	v_ldexp_f64 v[8:9], v[34:35], 2
	v_add_f64 v[6:7], v[26:27], v[6:7]
	v_cndmask_b32_e32 v9, 0, v9, vcc
	v_cndmask_b32_e32 v8, 0, v8, vcc
	v_add_f64 v[22:23], v[28:29], v[8:9]
	v_cmp_gt_f64_e32 vcc, 0, v[22:23]
	v_mov_b32_e32 v22, 0
	v_cndmask_b32_e32 v23, 0, v17, vcc
	v_add_f64 v[8:9], v[8:9], v[22:23]
	v_add_f64 v[23:24], v[28:29], v[8:9]
	v_cvt_i32_f64_e32 v17, v[23:24]
	v_cvt_f64_i32_e32 v[23:24], v17
	v_add_f64 v[8:9], v[8:9], -v[23:24]
	v_add_f64 v[24:25], v[28:29], v[8:9]
	v_add_f64 v[8:9], v[24:25], -v[8:9]
	v_cmp_le_f64_e32 vcc, 0.5, v[24:25]
	v_add_f64 v[8:9], v[28:29], -v[8:9]
	v_addc_co_u32_e64 v17, s[6:7], 0, v17, vcc
	s_mov_b32 s6, 0x33145c07
	s_mov_b32 s7, 0x3c91a626
	v_add_f64 v[6:7], v[6:7], v[8:9]
	v_mov_b32_e32 v8, 0x3ff00000
	v_cndmask_b32_e32 v23, 0, v8, vcc
	v_add_f64 v[8:9], v[24:25], -v[22:23]
	v_add_f64 v[22:23], v[8:9], v[6:7]
	v_add_f64 v[8:9], v[22:23], -v[8:9]
	v_add_f64 v[6:7], v[6:7], -v[8:9]
	v_mul_f64 v[8:9], v[22:23], s[16:17]
	v_fma_f64 v[24:25], v[22:23], s[16:17], -v[8:9]
	v_fma_f64 v[22:23], v[22:23], s[6:7], v[24:25]
	v_fma_f64 v[22:23], v[6:7], s[16:17], v[22:23]
	v_add_f64 v[6:7], v[8:9], v[22:23]
	v_add_f64 v[8:9], v[6:7], -v[8:9]
	v_add_f64 v[8:9], v[22:23], -v[8:9]
.LBB20_74:
	s_andn2_saveexec_b64 s[6:7], s[18:19]
	s_cbranch_execz .LBB20_76
; %bb.75:
	s_mov_b32 s16, 0x6dc9c883
	s_mov_b32 s17, 0x3fe45f30
	v_mul_f64 v[6:7], |v[2:3]|, s[16:17]
	s_mov_b32 s16, 0x54442d18
	s_mov_b32 s17, 0xbff921fb
	;; [unrolled: 1-line block ×4, first 2 shown]
	v_rndne_f64_e32 v[22:23], v[6:7]
	v_fma_f64 v[6:7], v[22:23], s[16:17], |v[2:3]|
	v_mul_f64 v[8:9], v[22:23], s[18:19]
	s_mov_b32 s16, 0x252049c0
	s_mov_b32 s17, 0xb97b839a
	v_cvt_i32_f64_e32 v17, v[22:23]
	v_fma_f64 v[28:29], v[22:23], s[18:19], v[6:7]
	v_add_f64 v[24:25], v[6:7], v[8:9]
	s_mov_b32 s19, 0x3c91a626
	v_add_f64 v[26:27], v[6:7], -v[24:25]
	v_add_f64 v[24:25], v[24:25], -v[28:29]
	v_add_f64 v[6:7], v[26:27], v[8:9]
	v_fma_f64 v[8:9], v[22:23], s[18:19], v[8:9]
	v_add_f64 v[6:7], v[24:25], v[6:7]
	v_add_f64 v[6:7], v[6:7], -v[8:9]
	v_fma_f64 v[8:9], v[22:23], s[16:17], v[6:7]
	v_add_f64 v[6:7], v[28:29], v[8:9]
	v_add_f64 v[24:25], v[6:7], -v[28:29]
	v_add_f64 v[8:9], v[8:9], -v[24:25]
.LBB20_76:
	s_or_b64 exec, exec, s[6:7]
	v_mul_f64 v[22:23], v[6:7], v[6:7]
	v_add_f64 v[24:25], v[8:9], v[8:9]
	s_mov_b32 s6, 0xc751c08c
	s_mov_b32 s7, 0x3ef5e089
	v_and_b32_e32 v17, 1, v17
	v_cmp_eq_u32_e32 vcc, 0, v17
	v_and_b32_e32 v19, 0x80000000, v3
	s_mov_b32 s18, 0x54442d18
	v_fma_f64 v[26:27], v[6:7], v[6:7], -v[22:23]
	s_mov_b32 s19, 0xc00921fb
	s_mov_b64 s[16:17], exec
	v_sub_f32_e32 v21, 1.0, v21
	v_fma_f64 v[24:25], v[6:7], v[24:25], v[26:27]
	v_add_f64 v[22:23], v[22:23], v[24:25]
	v_mov_b32_e32 v24, 0xa9a29f71
	v_mov_b32_e32 v25, 0xbf078809
	v_fma_f64 v[24:25], v[22:23], s[6:7], v[24:25]
	s_mov_b32 s6, 0x90a8aae0
	s_mov_b32 s7, 0x3f17746f
	v_fma_f64 v[24:25], v[22:23], v[24:25], s[6:7]
	s_mov_b32 s6, 0xa6fbf144
	s_mov_b32 s7, 0xbefbb44d
	;; [unrolled: 3-line block ×12, first 2 shown]
	v_fma_f64 v[24:25], v[22:23], v[24:25], s[6:7]
	s_movk_i32 s6, 0x1f8
	v_cmp_class_f64_e64 s[6:7], v[2:3], s6
	v_mov_b32_e32 v3, 0x7ff80000
	v_mul_f64 v[22:23], v[22:23], v[24:25]
	v_mul_f64 v[24:25], v[6:7], v[22:23]
	v_add_f64 v[26:27], v[6:7], v[24:25]
	v_fma_f64 v[22:23], v[6:7], v[22:23], -v[24:25]
	v_add_f64 v[6:7], v[26:27], -v[6:7]
	v_add_f64 v[8:9], v[8:9], v[22:23]
	v_add_f64 v[6:7], v[24:25], -v[6:7]
	v_add_f64 v[6:7], v[8:9], v[6:7]
	v_add_f64 v[8:9], v[26:27], v[6:7]
	v_rcp_f64_e32 v[22:23], v[8:9]
	v_fma_f64 v[24:25], -v[8:9], v[22:23], 1.0
	v_fma_f64 v[22:23], v[24:25], v[22:23], v[22:23]
	v_fma_f64 v[24:25], -v[8:9], v[22:23], 1.0
	v_fma_f64 v[22:23], v[24:25], v[22:23], v[22:23]
	v_add_f64 v[24:25], v[8:9], -v[26:27]
	v_mul_f64 v[26:27], v[8:9], v[22:23]
	v_add_f64 v[6:7], v[6:7], -v[24:25]
	v_fma_f64 v[24:25], v[22:23], v[8:9], -v[26:27]
	v_fma_f64 v[6:7], v[22:23], v[6:7], v[24:25]
	v_add_f64 v[24:25], v[26:27], v[6:7]
	v_add_f64 v[28:29], -v[24:25], 1.0
	v_add_f64 v[26:27], v[24:25], -v[26:27]
	v_add_f64 v[30:31], -v[28:29], 1.0
	v_add_f64 v[6:7], v[26:27], -v[6:7]
	v_add_f64 v[24:25], v[30:31], -v[24:25]
	v_add_f64 v[6:7], v[6:7], v[24:25]
	v_add_f64 v[6:7], v[28:29], v[6:7]
	v_mul_f64 v[6:7], v[22:23], v[6:7]
	v_add_f64 v[6:7], v[22:23], v[6:7]
	v_xor_b32_e32 v2, 0x80000000, v7
	v_cndmask_b32_e32 v6, v6, v8, vcc
	v_cndmask_b32_e32 v7, v2, v9, vcc
	v_cndmask_b32_e64 v2, 0, v6, s[6:7]
	v_xor_b32_e32 v6, v7, v19
	v_cndmask_b32_e64 v3, v3, v6, s[6:7]
	v_div_scale_f64 v[6:7], s[6:7], v[2:3], v[2:3], s[18:19]
	v_div_scale_f64 v[24:25], vcc, s[18:19], v[2:3], s[18:19]
	v_rcp_f64_e32 v[8:9], v[6:7]
	v_fma_f64 v[22:23], -v[6:7], v[8:9], 1.0
	v_fma_f64 v[8:9], v[8:9], v[22:23], v[8:9]
	v_fma_f64 v[22:23], -v[6:7], v[8:9], 1.0
	v_fma_f64 v[8:9], v[8:9], v[22:23], v[8:9]
	v_mul_f64 v[22:23], v[24:25], v[8:9]
	v_fma_f64 v[6:7], -v[6:7], v[22:23], v[24:25]
	v_div_fmas_f64 v[6:7], v[6:7], v[8:9], v[22:23]
	v_div_fixup_f64 v[2:3], v[6:7], v[2:3], s[18:19]
	v_cvt_f32_f64_e32 v2, v[2:3]
.LBB20_77:
	s_or_b64 exec, exec, s[14:15]
	s_orn2_b64 s[6:7], s[16:17], exec
.LBB20_78:
	s_or_b64 exec, exec, s[12:13]
	v_mov_b32_e32 v17, 0x7e00
	s_and_saveexec_b64 s[12:13], s[6:7]
	s_cbranch_execz .LBB20_90
; %bb.79:
	s_mov_b32 s16, 0x41200000
	v_cmp_gt_f32_e32 vcc, s16, v21
	s_and_saveexec_b64 s[6:7], vcc
	s_cbranch_execz .LBB20_83
; %bb.80:
	s_mov_b64 s[14:15], 0
.LBB20_81:                              ; =>This Inner Loop Header: Depth=1
	v_div_scale_f32 v3, s[18:19], v21, v21, 1.0
	v_div_scale_f32 v6, vcc, 1.0, v21, 1.0
	v_rcp_f32_e32 v7, v3
	v_fma_f32 v8, -v3, v7, 1.0
	v_fmac_f32_e32 v7, v8, v7
	v_mul_f32_e32 v8, v6, v7
	v_fma_f32 v9, -v3, v8, v6
	v_fmac_f32_e32 v8, v9, v7
	v_fma_f32 v3, -v3, v8, v6
	v_div_fmas_f32 v3, v3, v7, v8
	v_div_fixup_f32 v3, v3, v21, 1.0
	v_add_f32_e32 v21, 1.0, v21
	v_cmp_ngt_f32_e32 vcc, s16, v21
	s_or_b64 s[14:15], vcc, s[14:15]
	v_sub_f32_e32 v2, v2, v3
	s_andn2_b64 exec, exec, s[14:15]
	s_cbranch_execnz .LBB20_81
; %bb.82:
	s_or_b64 exec, exec, s[14:15]
.LBB20_83:
	s_or_b64 exec, exec, s[6:7]
	s_mov_b32 s6, 0x41200000
	v_cmp_neq_f32_e32 vcc, s6, v21
                                        ; implicit-def: $vgpr17
	s_and_saveexec_b64 s[6:7], vcc
	s_xor_b64 s[14:15], exec, s[6:7]
	s_cbranch_execz .LBB20_87
; %bb.84:
	v_cvt_f64_f32_e32 v[6:7], v21
	s_mov_b32 s6, 0x85d8a000
	s_mov_b32 s7, 0x43763457
	v_mov_b32_e32 v3, 0
	v_cmp_gt_f64_e32 vcc, s[6:7], v[6:7]
	s_and_saveexec_b64 s[6:7], vcc
	s_cbranch_execz .LBB20_86
; %bb.85:
	v_mul_f32_e32 v3, v21, v21
	v_div_scale_f32 v6, s[16:17], v3, v3, 1.0
	v_div_scale_f32 v7, vcc, 1.0, v3, 1.0
	v_mov_b32_e32 v19, 0x3b820821
	v_rcp_f32_e32 v8, v6
	v_fma_f32 v9, -v6, v8, 1.0
	v_fmac_f32_e32 v8, v9, v8
	v_mul_f32_e32 v9, v7, v8
	v_fma_f32 v17, -v6, v9, v7
	v_fmac_f32_e32 v9, v17, v8
	v_fma_f32 v6, -v6, v9, v7
	v_div_fmas_f32 v6, v6, v8, v9
	v_mov_b32_e32 v7, 0x3daaaaab
	v_mov_b32_e32 v8, 0xbcaccacd
	;; [unrolled: 1-line block ×4, first 2 shown]
	v_div_fixup_f32 v3, v6, v3, 1.0
	v_fma_f32 v6, 0, v3, v7
	v_fmac_f32_e32 v8, v3, v6
	v_fmac_f32_e32 v9, v3, v8
	;; [unrolled: 1-line block ×4, first 2 shown]
	v_mov_b32_e32 v6, 0xbc088889
	v_fmac_f32_e32 v6, v3, v19
	v_fmac_f32_e32 v7, v3, v6
	v_mul_f32_e32 v3, v3, v7
.LBB20_86:
	s_or_b64 exec, exec, s[6:7]
	v_div_scale_f32 v6, s[6:7], v21, v21, -0.5
	v_div_scale_f32 v7, vcc, -0.5, v21, -0.5
	s_mov_b32 s6, 0x800000
	v_cmp_gt_f32_e64 s[6:7], s6, v21
	v_cndmask_b32_e64 v9, 0, 32, s[6:7]
	s_mov_b32 s16, 0x3f317217
	v_rcp_f32_e32 v8, v6
	v_fma_f32 v17, -v6, v8, 1.0
	v_fmac_f32_e32 v8, v17, v8
	v_mul_f32_e32 v17, v7, v8
	v_fma_f32 v19, -v6, v17, v7
	v_fmac_f32_e32 v17, v19, v8
	v_fma_f32 v6, -v6, v17, v7
	v_div_fmas_f32 v6, v6, v8, v17
	v_ldexp_f32 v7, v21, v9
	v_log_f32_e32 v7, v7
	v_mul_f32_e32 v8, 0x3f317217, v7
	v_fma_f32 v8, v7, s16, -v8
	v_fmac_f32_e32 v8, 0x3377d1cf, v7
	s_mov_b32 s16, 0x7f800000
	v_fmac_f32_e32 v8, 0x3f317217, v7
	v_cmp_lt_f32_e64 vcc, |v7|, s16
	v_cndmask_b32_e32 v7, v7, v8, vcc
	v_mov_b32_e32 v8, 0x41b17218
	v_cndmask_b32_e64 v8, 0, v8, s[6:7]
	v_sub_f32_e32 v7, v7, v8
	v_div_fixup_f32 v6, v6, v21, -0.5
	v_add_f32_e32 v6, v7, v6
	v_sub_f32_e32 v3, v6, v3
	v_add_f32_e32 v2, v2, v3
	v_cvt_f16_f32_e32 v17, v2
                                        ; implicit-def: $vgpr2
.LBB20_87:
	s_andn2_saveexec_b64 s[6:7], s[14:15]
; %bb.88:
	v_add_f32_e32 v2, 0x40101cb7, v2
	v_cvt_f16_f32_e32 v17, v2
; %bb.89:
	s_or_b64 exec, exec, s[6:7]
.LBB20_90:
	s_or_b64 exec, exec, s[12:13]
                                        ; implicit-def: $vgpr21
.LBB20_91:
	s_andn2_saveexec_b64 s[6:7], s[10:11]
; %bb.92:
	v_xor_b32_e32 v2, 0x80000000, v21
	v_lshrrev_b32_e32 v2, 16, v2
	s_movk_i32 s10, 0x7fff
	v_mov_b32_e32 v3, 0x7c00
	v_bfi_b32 v17, s10, v3, v2
; %bb.93:
	s_or_b64 exec, exec, s[6:7]
.LBB20_94:
	s_or_b64 exec, exec, s[8:9]
	v_add_u32_e32 v2, 0x300, v10
	v_cmp_lt_i32_e32 vcc, v2, v4
                                        ; implicit-def: $vgpr19
	s_and_saveexec_b64 s[8:9], vcc
	s_cbranch_execz .LBB20_120
; %bb.95:
	s_waitcnt vmcnt(0) lgkmcnt(0)
	v_cvt_f32_f16_e32 v21, v20
	v_cmp_neq_f16_e32 vcc, 0, v20
                                        ; implicit-def: $vgpr19
	s_and_saveexec_b64 s[6:7], vcc
	s_xor_b64 s[10:11], exec, s[6:7]
	s_cbranch_execz .LBB20_117
; %bb.96:
	v_cmp_gt_f16_e32 vcc, 0, v20
	s_mov_b64 s[6:7], -1
	v_mov_b32_e32 v2, 0
	s_and_saveexec_b64 s[12:13], vcc
	s_cbranch_execz .LBB20_104
; %bb.97:
	v_trunc_f32_e32 v2, v21
	v_cmp_neq_f32_e32 vcc, v2, v21
	s_mov_b64 s[16:17], 0
	v_mov_b32_e32 v2, 0
	s_and_saveexec_b64 s[14:15], vcc
	s_cbranch_execz .LBB20_103
; %bb.98:
	v_cvt_f32_f16_e32 v2, v20
	s_mov_b32 s6, 0
	s_mov_b32 s17, 0xc00921fb
	;; [unrolled: 1-line block ×3, first 2 shown]
	v_cvt_f64_f32_e32 v[2:3], v2
	s_mov_b32 s7, 0x7ff00000
	v_bfrev_b32_e32 v8, 1
	s_mov_b32 s18, 0
	v_trunc_f64_e32 v[6:7], v[2:3]
	v_cmp_neq_f64_e64 vcc, |v[2:3]|, s[6:7]
	s_mov_b32 s19, 0x41d00000
                                        ; implicit-def: $vgpr19
	v_add_f64 v[6:7], v[2:3], -v[6:7]
	v_mul_f64 v[6:7], |v[6:7]|, s[16:17]
	v_cndmask_b32_e32 v3, v8, v7, vcc
	v_cndmask_b32_e32 v2, 0, v6, vcc
	v_cmp_nlt_f64_e64 s[18:19], |v[2:3]|, s[18:19]
                                        ; implicit-def: $vgpr6_vgpr7
                                        ; implicit-def: $vgpr8_vgpr9
	s_and_saveexec_b64 s[22:23], s[18:19]
	s_xor_b64 s[18:19], exec, s[22:23]
	s_cbranch_execz .LBB20_100
; %bb.99:
	v_trig_preop_f64 v[6:7], |v[2:3]|, 0
	s_mov_b32 s22, 0
	s_mov_b32 s23, 0x7b000000
	s_movk_i32 s17, 0xff80
	v_cmp_ge_f64_e64 vcc, |v[2:3]|, s[22:23]
	v_ldexp_f64 v[19:20], |v[2:3]|, s17
	v_trig_preop_f64 v[8:9], |v[2:3]|, 1
	v_and_b32_e32 v22, 0x7fffffff, v3
	s_mov_b32 s17, 0x3ff921fb
	v_cndmask_b32_e32 v20, v22, v20, vcc
	v_cndmask_b32_e32 v19, v2, v19, vcc
	v_mul_f64 v[24:25], v[6:7], v[19:20]
	v_mul_f64 v[22:23], v[8:9], v[19:20]
	v_fma_f64 v[6:7], v[6:7], v[19:20], -v[24:25]
	v_fma_f64 v[8:9], v[8:9], v[19:20], -v[22:23]
	v_add_f64 v[26:27], v[22:23], v[6:7]
	v_add_f64 v[34:35], v[26:27], -v[22:23]
	v_add_f64 v[28:29], v[24:25], v[26:27]
	v_add_f64 v[6:7], v[6:7], -v[34:35]
	v_add_f64 v[34:35], v[26:27], -v[34:35]
	v_ldexp_f64 v[30:31], v[28:29], -2
	v_add_f64 v[24:25], v[28:29], -v[24:25]
	v_add_f64 v[34:35], v[22:23], -v[34:35]
	v_trig_preop_f64 v[22:23], |v[2:3]|, 2
	v_fract_f64_e32 v[32:33], v[30:31]
	v_add_f64 v[24:25], v[26:27], -v[24:25]
	v_cmp_neq_f64_e64 vcc, |v[30:31]|, s[6:7]
	v_add_f64 v[6:7], v[6:7], v[34:35]
	v_mul_f64 v[34:35], v[22:23], v[19:20]
	v_add_f64 v[36:37], v[34:35], v[8:9]
	v_add_f64 v[38:39], v[36:37], v[6:7]
	v_add_f64 v[28:29], v[38:39], -v[36:37]
	v_add_f64 v[26:27], v[24:25], v[38:39]
	v_add_f64 v[6:7], v[6:7], -v[28:29]
	v_add_f64 v[28:29], v[38:39], -v[28:29]
	;; [unrolled: 1-line block ×5, first 2 shown]
	v_add_f64 v[6:7], v[6:7], v[28:29]
	v_add_f64 v[28:29], v[36:37], -v[34:35]
	v_add_f64 v[8:9], v[8:9], -v[28:29]
	;; [unrolled: 1-line block ×4, first 2 shown]
	v_add_f64 v[8:9], v[8:9], v[28:29]
	v_add_f64 v[6:7], v[8:9], v[6:7]
	v_fma_f64 v[8:9], v[22:23], v[19:20], -v[34:35]
	v_mov_b32_e32 v22, 0
	v_add_f64 v[6:7], v[8:9], v[6:7]
	v_ldexp_f64 v[8:9], v[32:33], 2
	v_add_f64 v[6:7], v[24:25], v[6:7]
	v_cndmask_b32_e32 v9, 0, v9, vcc
	v_cndmask_b32_e32 v8, 0, v8, vcc
	v_add_f64 v[19:20], v[26:27], v[8:9]
	v_cmp_gt_f64_e32 vcc, 0, v[19:20]
	v_mov_b32_e32 v19, 0x40100000
	v_cndmask_b32_e32 v23, 0, v19, vcc
	v_add_f64 v[8:9], v[8:9], v[22:23]
	v_add_f64 v[19:20], v[26:27], v[8:9]
	v_cvt_i32_f64_e32 v23, v[19:20]
	v_cvt_f64_i32_e32 v[19:20], v23
	v_add_f64 v[8:9], v[8:9], -v[19:20]
	v_add_f64 v[24:25], v[26:27], v[8:9]
	v_add_f64 v[8:9], v[24:25], -v[8:9]
	v_cmp_le_f64_e32 vcc, 0.5, v[24:25]
	v_add_f64 v[8:9], v[26:27], -v[8:9]
	v_addc_co_u32_e64 v19, s[6:7], 0, v23, vcc
	s_mov_b32 s6, 0x33145c07
	s_mov_b32 s7, 0x3c91a626
	v_add_f64 v[6:7], v[6:7], v[8:9]
	v_mov_b32_e32 v8, 0x3ff00000
	v_cndmask_b32_e32 v23, 0, v8, vcc
	v_add_f64 v[8:9], v[24:25], -v[22:23]
	v_add_f64 v[22:23], v[8:9], v[6:7]
	v_add_f64 v[8:9], v[22:23], -v[8:9]
	v_add_f64 v[6:7], v[6:7], -v[8:9]
	v_mul_f64 v[8:9], v[22:23], s[16:17]
	v_fma_f64 v[24:25], v[22:23], s[16:17], -v[8:9]
	v_fma_f64 v[22:23], v[22:23], s[6:7], v[24:25]
	v_fma_f64 v[22:23], v[6:7], s[16:17], v[22:23]
	v_add_f64 v[6:7], v[8:9], v[22:23]
	v_add_f64 v[8:9], v[6:7], -v[8:9]
	v_add_f64 v[8:9], v[22:23], -v[8:9]
.LBB20_100:
	s_andn2_saveexec_b64 s[6:7], s[18:19]
	s_cbranch_execz .LBB20_102
; %bb.101:
	s_mov_b32 s16, 0x6dc9c883
	s_mov_b32 s17, 0x3fe45f30
	v_mul_f64 v[6:7], |v[2:3]|, s[16:17]
	s_mov_b32 s16, 0x54442d18
	s_mov_b32 s17, 0xbff921fb
	;; [unrolled: 1-line block ×4, first 2 shown]
	v_rndne_f64_e32 v[19:20], v[6:7]
	v_fma_f64 v[6:7], v[19:20], s[16:17], |v[2:3]|
	v_mul_f64 v[8:9], v[19:20], s[18:19]
	s_mov_b32 s16, 0x252049c0
	s_mov_b32 s17, 0xb97b839a
	v_fma_f64 v[26:27], v[19:20], s[18:19], v[6:7]
	v_add_f64 v[22:23], v[6:7], v[8:9]
	s_mov_b32 s19, 0x3c91a626
	v_add_f64 v[24:25], v[6:7], -v[22:23]
	v_add_f64 v[22:23], v[22:23], -v[26:27]
	v_add_f64 v[6:7], v[24:25], v[8:9]
	v_fma_f64 v[8:9], v[19:20], s[18:19], v[8:9]
	v_add_f64 v[6:7], v[22:23], v[6:7]
	v_add_f64 v[6:7], v[6:7], -v[8:9]
	v_fma_f64 v[8:9], v[19:20], s[16:17], v[6:7]
	v_cvt_i32_f64_e32 v19, v[19:20]
	v_add_f64 v[6:7], v[26:27], v[8:9]
	v_add_f64 v[22:23], v[6:7], -v[26:27]
	v_add_f64 v[8:9], v[8:9], -v[22:23]
.LBB20_102:
	s_or_b64 exec, exec, s[6:7]
	v_mul_f64 v[22:23], v[6:7], v[6:7]
	v_add_f64 v[24:25], v[8:9], v[8:9]
	s_mov_b32 s6, 0xc751c08c
	s_mov_b32 s7, 0x3ef5e089
	v_and_b32_e32 v19, 1, v19
	v_cmp_eq_u32_e32 vcc, 0, v19
	v_and_b32_e32 v20, 0x80000000, v3
	s_mov_b32 s18, 0x54442d18
	v_fma_f64 v[26:27], v[6:7], v[6:7], -v[22:23]
	s_mov_b32 s19, 0xc00921fb
	s_mov_b64 s[16:17], exec
	v_sub_f32_e32 v21, 1.0, v21
	v_fma_f64 v[24:25], v[6:7], v[24:25], v[26:27]
	v_add_f64 v[22:23], v[22:23], v[24:25]
	v_mov_b32_e32 v24, 0xa9a29f71
	v_mov_b32_e32 v25, 0xbf078809
	v_fma_f64 v[24:25], v[22:23], s[6:7], v[24:25]
	s_mov_b32 s6, 0x90a8aae0
	s_mov_b32 s7, 0x3f17746f
	v_fma_f64 v[24:25], v[22:23], v[24:25], s[6:7]
	s_mov_b32 s6, 0xa6fbf144
	s_mov_b32 s7, 0xbefbb44d
	;; [unrolled: 3-line block ×12, first 2 shown]
	v_fma_f64 v[24:25], v[22:23], v[24:25], s[6:7]
	s_movk_i32 s6, 0x1f8
	v_cmp_class_f64_e64 s[6:7], v[2:3], s6
	v_mov_b32_e32 v3, 0x7ff80000
	v_mul_f64 v[22:23], v[22:23], v[24:25]
	v_mul_f64 v[24:25], v[6:7], v[22:23]
	v_add_f64 v[26:27], v[6:7], v[24:25]
	v_fma_f64 v[22:23], v[6:7], v[22:23], -v[24:25]
	v_add_f64 v[6:7], v[26:27], -v[6:7]
	v_add_f64 v[8:9], v[8:9], v[22:23]
	v_add_f64 v[6:7], v[24:25], -v[6:7]
	v_add_f64 v[6:7], v[8:9], v[6:7]
	v_add_f64 v[8:9], v[26:27], v[6:7]
	v_rcp_f64_e32 v[22:23], v[8:9]
	v_fma_f64 v[24:25], -v[8:9], v[22:23], 1.0
	v_fma_f64 v[22:23], v[24:25], v[22:23], v[22:23]
	v_fma_f64 v[24:25], -v[8:9], v[22:23], 1.0
	v_fma_f64 v[22:23], v[24:25], v[22:23], v[22:23]
	v_add_f64 v[24:25], v[8:9], -v[26:27]
	v_mul_f64 v[26:27], v[8:9], v[22:23]
	v_add_f64 v[6:7], v[6:7], -v[24:25]
	v_fma_f64 v[24:25], v[22:23], v[8:9], -v[26:27]
	v_fma_f64 v[6:7], v[22:23], v[6:7], v[24:25]
	v_add_f64 v[24:25], v[26:27], v[6:7]
	v_add_f64 v[28:29], -v[24:25], 1.0
	v_add_f64 v[26:27], v[24:25], -v[26:27]
	v_add_f64 v[30:31], -v[28:29], 1.0
	v_add_f64 v[6:7], v[26:27], -v[6:7]
	v_add_f64 v[24:25], v[30:31], -v[24:25]
	v_add_f64 v[6:7], v[6:7], v[24:25]
	v_add_f64 v[6:7], v[28:29], v[6:7]
	v_mul_f64 v[6:7], v[22:23], v[6:7]
	v_add_f64 v[6:7], v[22:23], v[6:7]
	v_xor_b32_e32 v2, 0x80000000, v7
	v_cndmask_b32_e32 v6, v6, v8, vcc
	v_cndmask_b32_e32 v7, v2, v9, vcc
	v_cndmask_b32_e64 v2, 0, v6, s[6:7]
	v_xor_b32_e32 v6, v7, v20
	v_cndmask_b32_e64 v3, v3, v6, s[6:7]
	v_div_scale_f64 v[6:7], s[6:7], v[2:3], v[2:3], s[18:19]
	v_div_scale_f64 v[22:23], vcc, s[18:19], v[2:3], s[18:19]
	v_rcp_f64_e32 v[8:9], v[6:7]
	v_fma_f64 v[19:20], -v[6:7], v[8:9], 1.0
	v_fma_f64 v[8:9], v[8:9], v[19:20], v[8:9]
	v_fma_f64 v[19:20], -v[6:7], v[8:9], 1.0
	v_fma_f64 v[8:9], v[8:9], v[19:20], v[8:9]
	v_mul_f64 v[19:20], v[22:23], v[8:9]
	v_fma_f64 v[6:7], -v[6:7], v[19:20], v[22:23]
	v_div_fmas_f64 v[6:7], v[6:7], v[8:9], v[19:20]
	v_div_fixup_f64 v[2:3], v[6:7], v[2:3], s[18:19]
	v_cvt_f32_f64_e32 v2, v[2:3]
.LBB20_103:
	s_or_b64 exec, exec, s[14:15]
	s_orn2_b64 s[6:7], s[16:17], exec
.LBB20_104:
	s_or_b64 exec, exec, s[12:13]
	v_mov_b32_e32 v19, 0x7e00
	s_and_saveexec_b64 s[12:13], s[6:7]
	s_cbranch_execz .LBB20_116
; %bb.105:
	s_mov_b32 s16, 0x41200000
	v_cmp_gt_f32_e32 vcc, s16, v21
	s_and_saveexec_b64 s[6:7], vcc
	s_cbranch_execz .LBB20_109
; %bb.106:
	s_mov_b64 s[14:15], 0
.LBB20_107:                             ; =>This Inner Loop Header: Depth=1
	v_div_scale_f32 v3, s[18:19], v21, v21, 1.0
	v_div_scale_f32 v6, vcc, 1.0, v21, 1.0
	v_rcp_f32_e32 v7, v3
	v_fma_f32 v8, -v3, v7, 1.0
	v_fmac_f32_e32 v7, v8, v7
	v_mul_f32_e32 v8, v6, v7
	v_fma_f32 v9, -v3, v8, v6
	v_fmac_f32_e32 v8, v9, v7
	v_fma_f32 v3, -v3, v8, v6
	v_div_fmas_f32 v3, v3, v7, v8
	v_div_fixup_f32 v3, v3, v21, 1.0
	v_add_f32_e32 v21, 1.0, v21
	v_cmp_ngt_f32_e32 vcc, s16, v21
	s_or_b64 s[14:15], vcc, s[14:15]
	v_sub_f32_e32 v2, v2, v3
	s_andn2_b64 exec, exec, s[14:15]
	s_cbranch_execnz .LBB20_107
; %bb.108:
	s_or_b64 exec, exec, s[14:15]
.LBB20_109:
	s_or_b64 exec, exec, s[6:7]
	s_mov_b32 s6, 0x41200000
	v_cmp_neq_f32_e32 vcc, s6, v21
                                        ; implicit-def: $vgpr19
	s_and_saveexec_b64 s[6:7], vcc
	s_xor_b64 s[14:15], exec, s[6:7]
	s_cbranch_execz .LBB20_113
; %bb.110:
	v_cvt_f64_f32_e32 v[6:7], v21
	s_mov_b32 s6, 0x85d8a000
	s_mov_b32 s7, 0x43763457
	v_mov_b32_e32 v3, 0
	v_cmp_gt_f64_e32 vcc, s[6:7], v[6:7]
	s_and_saveexec_b64 s[6:7], vcc
	s_cbranch_execz .LBB20_112
; %bb.111:
	v_mul_f32_e32 v3, v21, v21
	v_div_scale_f32 v6, s[16:17], v3, v3, 1.0
	v_div_scale_f32 v7, vcc, 1.0, v3, 1.0
	v_mov_b32_e32 v20, 0x3b820821
	v_rcp_f32_e32 v8, v6
	v_fma_f32 v9, -v6, v8, 1.0
	v_fmac_f32_e32 v8, v9, v8
	v_mul_f32_e32 v9, v7, v8
	v_fma_f32 v19, -v6, v9, v7
	v_fmac_f32_e32 v9, v19, v8
	v_fma_f32 v6, -v6, v9, v7
	v_div_fmas_f32 v6, v6, v8, v9
	v_mov_b32_e32 v7, 0x3daaaaab
	v_mov_b32_e32 v8, 0xbcaccacd
	;; [unrolled: 1-line block ×4, first 2 shown]
	v_div_fixup_f32 v3, v6, v3, 1.0
	v_fma_f32 v6, 0, v3, v7
	v_fmac_f32_e32 v8, v3, v6
	v_fmac_f32_e32 v9, v3, v8
	;; [unrolled: 1-line block ×4, first 2 shown]
	v_mov_b32_e32 v6, 0xbc088889
	v_fmac_f32_e32 v6, v3, v20
	v_fmac_f32_e32 v7, v3, v6
	v_mul_f32_e32 v3, v3, v7
.LBB20_112:
	s_or_b64 exec, exec, s[6:7]
	v_div_scale_f32 v6, s[6:7], v21, v21, -0.5
	v_div_scale_f32 v7, vcc, -0.5, v21, -0.5
	s_mov_b32 s6, 0x800000
	v_cmp_gt_f32_e64 s[6:7], s6, v21
	v_cndmask_b32_e64 v9, 0, 32, s[6:7]
	s_mov_b32 s16, 0x3f317217
	v_rcp_f32_e32 v8, v6
	v_fma_f32 v19, -v6, v8, 1.0
	v_fmac_f32_e32 v8, v19, v8
	v_mul_f32_e32 v19, v7, v8
	v_fma_f32 v20, -v6, v19, v7
	v_fmac_f32_e32 v19, v20, v8
	v_fma_f32 v6, -v6, v19, v7
	v_div_fmas_f32 v6, v6, v8, v19
	v_ldexp_f32 v7, v21, v9
	v_log_f32_e32 v7, v7
	v_mul_f32_e32 v8, 0x3f317217, v7
	v_fma_f32 v8, v7, s16, -v8
	v_fmac_f32_e32 v8, 0x3377d1cf, v7
	s_mov_b32 s16, 0x7f800000
	v_fmac_f32_e32 v8, 0x3f317217, v7
	v_cmp_lt_f32_e64 vcc, |v7|, s16
	v_cndmask_b32_e32 v7, v7, v8, vcc
	v_mov_b32_e32 v8, 0x41b17218
	v_cndmask_b32_e64 v8, 0, v8, s[6:7]
	v_sub_f32_e32 v7, v7, v8
	v_div_fixup_f32 v6, v6, v21, -0.5
	v_add_f32_e32 v6, v7, v6
	v_sub_f32_e32 v3, v6, v3
	v_add_f32_e32 v2, v2, v3
	v_cvt_f16_f32_e32 v19, v2
                                        ; implicit-def: $vgpr2
.LBB20_113:
	s_andn2_saveexec_b64 s[6:7], s[14:15]
; %bb.114:
	v_add_f32_e32 v2, 0x40101cb7, v2
	v_cvt_f16_f32_e32 v19, v2
; %bb.115:
	s_or_b64 exec, exec, s[6:7]
.LBB20_116:
	s_or_b64 exec, exec, s[12:13]
                                        ; implicit-def: $vgpr21
.LBB20_117:
	s_andn2_saveexec_b64 s[6:7], s[10:11]
; %bb.118:
	v_xor_b32_e32 v2, 0x80000000, v21
	v_lshrrev_b32_e32 v2, 16, v2
	s_movk_i32 s10, 0x7fff
	v_mov_b32_e32 v3, 0x7c00
	v_bfi_b32 v19, s10, v3, v2
; %bb.119:
	s_or_b64 exec, exec, s[6:7]
.LBB20_120:
	s_or_b64 exec, exec, s[8:9]
	v_or_b32_e32 v2, 0x400, v10
	v_cmp_lt_i32_e32 vcc, v2, v4
                                        ; implicit-def: $vgpr20
	s_and_saveexec_b64 s[8:9], vcc
	s_cbranch_execz .LBB20_146
; %bb.121:
	s_waitcnt vmcnt(0) lgkmcnt(0)
	v_cvt_f32_f16_e32 v21, v18
	v_cmp_neq_f16_e32 vcc, 0, v18
                                        ; implicit-def: $vgpr20
	s_and_saveexec_b64 s[6:7], vcc
	s_xor_b64 s[10:11], exec, s[6:7]
	s_cbranch_execz .LBB20_143
; %bb.122:
	v_cmp_gt_f16_e32 vcc, 0, v18
	s_mov_b64 s[6:7], -1
	v_mov_b32_e32 v2, 0
	s_and_saveexec_b64 s[12:13], vcc
	s_cbranch_execz .LBB20_130
; %bb.123:
	v_trunc_f32_e32 v2, v21
	v_cmp_neq_f32_e32 vcc, v2, v21
	s_mov_b64 s[16:17], 0
	v_mov_b32_e32 v2, 0
	s_and_saveexec_b64 s[14:15], vcc
	s_cbranch_execz .LBB20_129
; %bb.124:
	v_cvt_f32_f16_e32 v2, v18
	s_mov_b32 s6, 0
	s_mov_b32 s17, 0xc00921fb
	;; [unrolled: 1-line block ×3, first 2 shown]
	v_cvt_f64_f32_e32 v[2:3], v2
	s_mov_b32 s7, 0x7ff00000
	v_bfrev_b32_e32 v8, 1
	s_mov_b32 s18, 0
	v_trunc_f64_e32 v[6:7], v[2:3]
	v_cmp_neq_f64_e64 vcc, |v[2:3]|, s[6:7]
	s_mov_b32 s19, 0x41d00000
                                        ; implicit-def: $vgpr18
	v_add_f64 v[6:7], v[2:3], -v[6:7]
	v_mul_f64 v[6:7], |v[6:7]|, s[16:17]
	v_cndmask_b32_e32 v3, v8, v7, vcc
	v_cndmask_b32_e32 v2, 0, v6, vcc
	v_cmp_nlt_f64_e64 s[18:19], |v[2:3]|, s[18:19]
                                        ; implicit-def: $vgpr6_vgpr7
                                        ; implicit-def: $vgpr8_vgpr9
	s_and_saveexec_b64 s[22:23], s[18:19]
	s_xor_b64 s[18:19], exec, s[22:23]
	s_cbranch_execz .LBB20_126
; %bb.125:
	v_trig_preop_f64 v[6:7], |v[2:3]|, 0
	s_mov_b32 s22, 0
	s_mov_b32 s23, 0x7b000000
	s_movk_i32 s17, 0xff80
	v_cmp_ge_f64_e64 vcc, |v[2:3]|, s[22:23]
	v_ldexp_f64 v[22:23], |v[2:3]|, s17
	v_trig_preop_f64 v[8:9], |v[2:3]|, 1
	v_and_b32_e32 v18, 0x7fffffff, v3
	s_mov_b32 s17, 0x3ff921fb
	v_cndmask_b32_e32 v23, v18, v23, vcc
	v_cndmask_b32_e32 v22, v2, v22, vcc
	v_mov_b32_e32 v18, 0x40100000
	v_mul_f64 v[26:27], v[6:7], v[22:23]
	v_mul_f64 v[24:25], v[8:9], v[22:23]
	v_fma_f64 v[6:7], v[6:7], v[22:23], -v[26:27]
	v_fma_f64 v[8:9], v[8:9], v[22:23], -v[24:25]
	v_add_f64 v[28:29], v[24:25], v[6:7]
	v_add_f64 v[36:37], v[28:29], -v[24:25]
	v_add_f64 v[30:31], v[26:27], v[28:29]
	v_add_f64 v[6:7], v[6:7], -v[36:37]
	v_add_f64 v[36:37], v[28:29], -v[36:37]
	v_ldexp_f64 v[32:33], v[30:31], -2
	v_add_f64 v[26:27], v[30:31], -v[26:27]
	v_add_f64 v[36:37], v[24:25], -v[36:37]
	v_trig_preop_f64 v[24:25], |v[2:3]|, 2
	v_fract_f64_e32 v[34:35], v[32:33]
	v_add_f64 v[26:27], v[28:29], -v[26:27]
	v_cmp_neq_f64_e64 vcc, |v[32:33]|, s[6:7]
	v_add_f64 v[6:7], v[6:7], v[36:37]
	v_mul_f64 v[36:37], v[24:25], v[22:23]
	v_add_f64 v[38:39], v[36:37], v[8:9]
	v_add_f64 v[48:49], v[38:39], v[6:7]
	v_add_f64 v[30:31], v[48:49], -v[38:39]
	v_add_f64 v[28:29], v[26:27], v[48:49]
	v_add_f64 v[6:7], v[6:7], -v[30:31]
	v_add_f64 v[30:31], v[48:49], -v[30:31]
	v_add_f64 v[26:27], v[28:29], -v[26:27]
	v_add_f64 v[30:31], v[38:39], -v[30:31]
	v_add_f64 v[26:27], v[48:49], -v[26:27]
	v_add_f64 v[6:7], v[6:7], v[30:31]
	v_add_f64 v[30:31], v[38:39], -v[36:37]
	v_add_f64 v[8:9], v[8:9], -v[30:31]
	;; [unrolled: 1-line block ×4, first 2 shown]
	v_add_f64 v[8:9], v[8:9], v[30:31]
	v_add_f64 v[6:7], v[8:9], v[6:7]
	v_fma_f64 v[8:9], v[24:25], v[22:23], -v[36:37]
	v_add_f64 v[6:7], v[8:9], v[6:7]
	v_ldexp_f64 v[8:9], v[34:35], 2
	v_add_f64 v[6:7], v[26:27], v[6:7]
	v_cndmask_b32_e32 v9, 0, v9, vcc
	v_cndmask_b32_e32 v8, 0, v8, vcc
	v_add_f64 v[22:23], v[28:29], v[8:9]
	v_cmp_gt_f64_e32 vcc, 0, v[22:23]
	v_mov_b32_e32 v22, 0
	v_cndmask_b32_e32 v23, 0, v18, vcc
	v_add_f64 v[8:9], v[8:9], v[22:23]
	v_add_f64 v[23:24], v[28:29], v[8:9]
	v_cvt_i32_f64_e32 v18, v[23:24]
	v_cvt_f64_i32_e32 v[23:24], v18
	v_add_f64 v[8:9], v[8:9], -v[23:24]
	v_add_f64 v[24:25], v[28:29], v[8:9]
	v_add_f64 v[8:9], v[24:25], -v[8:9]
	v_cmp_le_f64_e32 vcc, 0.5, v[24:25]
	v_add_f64 v[8:9], v[28:29], -v[8:9]
	v_addc_co_u32_e64 v18, s[6:7], 0, v18, vcc
	s_mov_b32 s6, 0x33145c07
	s_mov_b32 s7, 0x3c91a626
	v_add_f64 v[6:7], v[6:7], v[8:9]
	v_mov_b32_e32 v8, 0x3ff00000
	v_cndmask_b32_e32 v23, 0, v8, vcc
	v_add_f64 v[8:9], v[24:25], -v[22:23]
	v_add_f64 v[22:23], v[8:9], v[6:7]
	v_add_f64 v[8:9], v[22:23], -v[8:9]
	v_add_f64 v[6:7], v[6:7], -v[8:9]
	v_mul_f64 v[8:9], v[22:23], s[16:17]
	v_fma_f64 v[24:25], v[22:23], s[16:17], -v[8:9]
	v_fma_f64 v[22:23], v[22:23], s[6:7], v[24:25]
	v_fma_f64 v[22:23], v[6:7], s[16:17], v[22:23]
	v_add_f64 v[6:7], v[8:9], v[22:23]
	v_add_f64 v[8:9], v[6:7], -v[8:9]
	v_add_f64 v[8:9], v[22:23], -v[8:9]
.LBB20_126:
	s_andn2_saveexec_b64 s[6:7], s[18:19]
	s_cbranch_execz .LBB20_128
; %bb.127:
	s_mov_b32 s16, 0x6dc9c883
	s_mov_b32 s17, 0x3fe45f30
	v_mul_f64 v[6:7], |v[2:3]|, s[16:17]
	s_mov_b32 s16, 0x54442d18
	s_mov_b32 s17, 0xbff921fb
	;; [unrolled: 1-line block ×4, first 2 shown]
	v_rndne_f64_e32 v[22:23], v[6:7]
	v_fma_f64 v[6:7], v[22:23], s[16:17], |v[2:3]|
	v_mul_f64 v[8:9], v[22:23], s[18:19]
	s_mov_b32 s16, 0x252049c0
	s_mov_b32 s17, 0xb97b839a
	v_cvt_i32_f64_e32 v18, v[22:23]
	v_fma_f64 v[28:29], v[22:23], s[18:19], v[6:7]
	v_add_f64 v[24:25], v[6:7], v[8:9]
	s_mov_b32 s19, 0x3c91a626
	v_add_f64 v[26:27], v[6:7], -v[24:25]
	v_add_f64 v[24:25], v[24:25], -v[28:29]
	v_add_f64 v[6:7], v[26:27], v[8:9]
	v_fma_f64 v[8:9], v[22:23], s[18:19], v[8:9]
	v_add_f64 v[6:7], v[24:25], v[6:7]
	v_add_f64 v[6:7], v[6:7], -v[8:9]
	v_fma_f64 v[8:9], v[22:23], s[16:17], v[6:7]
	v_add_f64 v[6:7], v[28:29], v[8:9]
	v_add_f64 v[24:25], v[6:7], -v[28:29]
	v_add_f64 v[8:9], v[8:9], -v[24:25]
.LBB20_128:
	s_or_b64 exec, exec, s[6:7]
	v_mul_f64 v[22:23], v[6:7], v[6:7]
	v_add_f64 v[24:25], v[8:9], v[8:9]
	s_mov_b32 s6, 0xc751c08c
	s_mov_b32 s7, 0x3ef5e089
	v_and_b32_e32 v18, 1, v18
	v_cmp_eq_u32_e32 vcc, 0, v18
	v_and_b32_e32 v20, 0x80000000, v3
	s_mov_b32 s18, 0x54442d18
	v_fma_f64 v[26:27], v[6:7], v[6:7], -v[22:23]
	s_mov_b32 s19, 0xc00921fb
	s_mov_b64 s[16:17], exec
	v_sub_f32_e32 v21, 1.0, v21
	v_fma_f64 v[24:25], v[6:7], v[24:25], v[26:27]
	v_add_f64 v[22:23], v[22:23], v[24:25]
	v_mov_b32_e32 v24, 0xa9a29f71
	v_mov_b32_e32 v25, 0xbf078809
	v_fma_f64 v[24:25], v[22:23], s[6:7], v[24:25]
	s_mov_b32 s6, 0x90a8aae0
	s_mov_b32 s7, 0x3f17746f
	v_fma_f64 v[24:25], v[22:23], v[24:25], s[6:7]
	s_mov_b32 s6, 0xa6fbf144
	s_mov_b32 s7, 0xbefbb44d
	;; [unrolled: 3-line block ×12, first 2 shown]
	v_fma_f64 v[24:25], v[22:23], v[24:25], s[6:7]
	s_movk_i32 s6, 0x1f8
	v_cmp_class_f64_e64 s[6:7], v[2:3], s6
	v_mov_b32_e32 v3, 0x7ff80000
	v_mul_f64 v[22:23], v[22:23], v[24:25]
	v_mul_f64 v[24:25], v[6:7], v[22:23]
	v_add_f64 v[26:27], v[6:7], v[24:25]
	v_fma_f64 v[22:23], v[6:7], v[22:23], -v[24:25]
	v_add_f64 v[6:7], v[26:27], -v[6:7]
	v_add_f64 v[8:9], v[8:9], v[22:23]
	v_add_f64 v[6:7], v[24:25], -v[6:7]
	v_add_f64 v[6:7], v[8:9], v[6:7]
	v_add_f64 v[8:9], v[26:27], v[6:7]
	v_rcp_f64_e32 v[22:23], v[8:9]
	v_fma_f64 v[24:25], -v[8:9], v[22:23], 1.0
	v_fma_f64 v[22:23], v[24:25], v[22:23], v[22:23]
	v_fma_f64 v[24:25], -v[8:9], v[22:23], 1.0
	v_fma_f64 v[22:23], v[24:25], v[22:23], v[22:23]
	v_add_f64 v[24:25], v[8:9], -v[26:27]
	v_mul_f64 v[26:27], v[8:9], v[22:23]
	v_add_f64 v[6:7], v[6:7], -v[24:25]
	v_fma_f64 v[24:25], v[22:23], v[8:9], -v[26:27]
	v_fma_f64 v[6:7], v[22:23], v[6:7], v[24:25]
	v_add_f64 v[24:25], v[26:27], v[6:7]
	v_add_f64 v[28:29], -v[24:25], 1.0
	v_add_f64 v[26:27], v[24:25], -v[26:27]
	v_add_f64 v[30:31], -v[28:29], 1.0
	v_add_f64 v[6:7], v[26:27], -v[6:7]
	v_add_f64 v[24:25], v[30:31], -v[24:25]
	v_add_f64 v[6:7], v[6:7], v[24:25]
	v_add_f64 v[6:7], v[28:29], v[6:7]
	v_mul_f64 v[6:7], v[22:23], v[6:7]
	v_add_f64 v[6:7], v[22:23], v[6:7]
	v_xor_b32_e32 v2, 0x80000000, v7
	v_cndmask_b32_e32 v6, v6, v8, vcc
	v_cndmask_b32_e32 v7, v2, v9, vcc
	v_cndmask_b32_e64 v2, 0, v6, s[6:7]
	v_xor_b32_e32 v6, v7, v20
	v_cndmask_b32_e64 v3, v3, v6, s[6:7]
	v_div_scale_f64 v[6:7], s[6:7], v[2:3], v[2:3], s[18:19]
	v_div_scale_f64 v[24:25], vcc, s[18:19], v[2:3], s[18:19]
	v_rcp_f64_e32 v[8:9], v[6:7]
	v_fma_f64 v[22:23], -v[6:7], v[8:9], 1.0
	v_fma_f64 v[8:9], v[8:9], v[22:23], v[8:9]
	v_fma_f64 v[22:23], -v[6:7], v[8:9], 1.0
	v_fma_f64 v[8:9], v[8:9], v[22:23], v[8:9]
	v_mul_f64 v[22:23], v[24:25], v[8:9]
	v_fma_f64 v[6:7], -v[6:7], v[22:23], v[24:25]
	v_div_fmas_f64 v[6:7], v[6:7], v[8:9], v[22:23]
	v_div_fixup_f64 v[2:3], v[6:7], v[2:3], s[18:19]
	v_cvt_f32_f64_e32 v2, v[2:3]
.LBB20_129:
	s_or_b64 exec, exec, s[14:15]
	s_orn2_b64 s[6:7], s[16:17], exec
.LBB20_130:
	s_or_b64 exec, exec, s[12:13]
	v_mov_b32_e32 v20, 0x7e00
	s_and_saveexec_b64 s[12:13], s[6:7]
	s_cbranch_execz .LBB20_142
; %bb.131:
	s_mov_b32 s16, 0x41200000
	v_cmp_gt_f32_e32 vcc, s16, v21
	s_and_saveexec_b64 s[6:7], vcc
	s_cbranch_execz .LBB20_135
; %bb.132:
	s_mov_b64 s[14:15], 0
.LBB20_133:                             ; =>This Inner Loop Header: Depth=1
	v_div_scale_f32 v3, s[18:19], v21, v21, 1.0
	v_div_scale_f32 v6, vcc, 1.0, v21, 1.0
	v_rcp_f32_e32 v7, v3
	v_fma_f32 v8, -v3, v7, 1.0
	v_fmac_f32_e32 v7, v8, v7
	v_mul_f32_e32 v8, v6, v7
	v_fma_f32 v9, -v3, v8, v6
	v_fmac_f32_e32 v8, v9, v7
	v_fma_f32 v3, -v3, v8, v6
	v_div_fmas_f32 v3, v3, v7, v8
	v_div_fixup_f32 v3, v3, v21, 1.0
	v_add_f32_e32 v21, 1.0, v21
	v_cmp_ngt_f32_e32 vcc, s16, v21
	s_or_b64 s[14:15], vcc, s[14:15]
	v_sub_f32_e32 v2, v2, v3
	s_andn2_b64 exec, exec, s[14:15]
	s_cbranch_execnz .LBB20_133
; %bb.134:
	s_or_b64 exec, exec, s[14:15]
.LBB20_135:
	s_or_b64 exec, exec, s[6:7]
	s_mov_b32 s6, 0x41200000
	v_cmp_neq_f32_e32 vcc, s6, v21
                                        ; implicit-def: $vgpr20
	s_and_saveexec_b64 s[6:7], vcc
	s_xor_b64 s[14:15], exec, s[6:7]
	s_cbranch_execz .LBB20_139
; %bb.136:
	v_cvt_f64_f32_e32 v[6:7], v21
	s_mov_b32 s6, 0x85d8a000
	s_mov_b32 s7, 0x43763457
	v_mov_b32_e32 v3, 0
	v_cmp_gt_f64_e32 vcc, s[6:7], v[6:7]
	s_and_saveexec_b64 s[6:7], vcc
	s_cbranch_execz .LBB20_138
; %bb.137:
	v_mul_f32_e32 v3, v21, v21
	v_div_scale_f32 v6, s[16:17], v3, v3, 1.0
	v_div_scale_f32 v7, vcc, 1.0, v3, 1.0
	v_mov_b32_e32 v20, 0x3b820821
	v_rcp_f32_e32 v8, v6
	v_fma_f32 v9, -v6, v8, 1.0
	v_fmac_f32_e32 v8, v9, v8
	v_mul_f32_e32 v9, v7, v8
	v_fma_f32 v18, -v6, v9, v7
	v_fmac_f32_e32 v9, v18, v8
	v_fma_f32 v6, -v6, v9, v7
	v_div_fmas_f32 v6, v6, v8, v9
	v_mov_b32_e32 v7, 0x3daaaaab
	v_mov_b32_e32 v8, 0xbcaccacd
	;; [unrolled: 1-line block ×4, first 2 shown]
	v_div_fixup_f32 v3, v6, v3, 1.0
	v_fma_f32 v6, 0, v3, v7
	v_fmac_f32_e32 v8, v3, v6
	v_fmac_f32_e32 v9, v3, v8
	v_fmac_f32_e32 v18, v3, v9
	v_fmac_f32_e32 v20, v3, v18
	v_mov_b32_e32 v6, 0xbc088889
	v_fmac_f32_e32 v6, v3, v20
	v_fmac_f32_e32 v7, v3, v6
	v_mul_f32_e32 v3, v3, v7
.LBB20_138:
	s_or_b64 exec, exec, s[6:7]
	v_div_scale_f32 v6, s[6:7], v21, v21, -0.5
	v_div_scale_f32 v7, vcc, -0.5, v21, -0.5
	s_mov_b32 s6, 0x800000
	v_cmp_gt_f32_e64 s[6:7], s6, v21
	v_cndmask_b32_e64 v9, 0, 32, s[6:7]
	s_mov_b32 s16, 0x3f317217
	v_rcp_f32_e32 v8, v6
	v_fma_f32 v18, -v6, v8, 1.0
	v_fmac_f32_e32 v8, v18, v8
	v_mul_f32_e32 v18, v7, v8
	v_fma_f32 v20, -v6, v18, v7
	v_fmac_f32_e32 v18, v20, v8
	v_fma_f32 v6, -v6, v18, v7
	v_div_fmas_f32 v6, v6, v8, v18
	v_ldexp_f32 v7, v21, v9
	v_log_f32_e32 v7, v7
	v_mul_f32_e32 v8, 0x3f317217, v7
	v_fma_f32 v8, v7, s16, -v8
	v_fmac_f32_e32 v8, 0x3377d1cf, v7
	s_mov_b32 s16, 0x7f800000
	v_fmac_f32_e32 v8, 0x3f317217, v7
	v_cmp_lt_f32_e64 vcc, |v7|, s16
	v_cndmask_b32_e32 v7, v7, v8, vcc
	v_mov_b32_e32 v8, 0x41b17218
	v_cndmask_b32_e64 v8, 0, v8, s[6:7]
	v_sub_f32_e32 v7, v7, v8
	v_div_fixup_f32 v6, v6, v21, -0.5
	v_add_f32_e32 v6, v7, v6
	v_sub_f32_e32 v3, v6, v3
	v_add_f32_e32 v2, v2, v3
	v_cvt_f16_f32_e32 v20, v2
                                        ; implicit-def: $vgpr2
.LBB20_139:
	s_andn2_saveexec_b64 s[6:7], s[14:15]
; %bb.140:
	v_add_f32_e32 v2, 0x40101cb7, v2
	v_cvt_f16_f32_e32 v20, v2
; %bb.141:
	s_or_b64 exec, exec, s[6:7]
.LBB20_142:
	s_or_b64 exec, exec, s[12:13]
                                        ; implicit-def: $vgpr21
.LBB20_143:
	s_andn2_saveexec_b64 s[6:7], s[10:11]
; %bb.144:
	v_xor_b32_e32 v2, 0x80000000, v21
	v_lshrrev_b32_e32 v2, 16, v2
	s_movk_i32 s10, 0x7fff
	v_mov_b32_e32 v3, 0x7c00
	v_bfi_b32 v20, s10, v3, v2
; %bb.145:
	s_or_b64 exec, exec, s[6:7]
.LBB20_146:
	s_or_b64 exec, exec, s[8:9]
	v_add_u32_e32 v2, 0x500, v10
	v_cmp_lt_i32_e32 vcc, v2, v4
                                        ; implicit-def: $vgpr18
	s_and_saveexec_b64 s[8:9], vcc
	s_cbranch_execz .LBB20_172
; %bb.147:
	s_waitcnt vmcnt(0) lgkmcnt(0)
	v_cvt_f32_f16_e32 v21, v16
	v_cmp_neq_f16_e32 vcc, 0, v16
                                        ; implicit-def: $vgpr18
	s_and_saveexec_b64 s[6:7], vcc
	s_xor_b64 s[10:11], exec, s[6:7]
	s_cbranch_execz .LBB20_169
; %bb.148:
	v_cmp_gt_f16_e32 vcc, 0, v16
	s_mov_b64 s[6:7], -1
	v_mov_b32_e32 v2, 0
	s_and_saveexec_b64 s[12:13], vcc
	s_cbranch_execz .LBB20_156
; %bb.149:
	v_trunc_f32_e32 v2, v21
	v_cmp_neq_f32_e32 vcc, v2, v21
	s_mov_b64 s[16:17], 0
	v_mov_b32_e32 v2, 0
	s_and_saveexec_b64 s[14:15], vcc
	s_cbranch_execz .LBB20_155
; %bb.150:
	v_cvt_f32_f16_e32 v2, v16
	s_mov_b32 s6, 0
	s_mov_b32 s17, 0xc00921fb
	;; [unrolled: 1-line block ×3, first 2 shown]
	v_cvt_f64_f32_e32 v[2:3], v2
	s_mov_b32 s7, 0x7ff00000
	v_bfrev_b32_e32 v8, 1
	s_mov_b32 s18, 0
	v_trunc_f64_e32 v[6:7], v[2:3]
	v_cmp_neq_f64_e64 vcc, |v[2:3]|, s[6:7]
	s_mov_b32 s19, 0x41d00000
                                        ; implicit-def: $vgpr16
	v_add_f64 v[6:7], v[2:3], -v[6:7]
	v_mul_f64 v[6:7], |v[6:7]|, s[16:17]
	v_cndmask_b32_e32 v3, v8, v7, vcc
	v_cndmask_b32_e32 v2, 0, v6, vcc
	v_cmp_nlt_f64_e64 s[18:19], |v[2:3]|, s[18:19]
                                        ; implicit-def: $vgpr6_vgpr7
                                        ; implicit-def: $vgpr8_vgpr9
	s_and_saveexec_b64 s[22:23], s[18:19]
	s_xor_b64 s[18:19], exec, s[22:23]
	s_cbranch_execz .LBB20_152
; %bb.151:
	v_trig_preop_f64 v[6:7], |v[2:3]|, 0
	s_mov_b32 s22, 0
	s_mov_b32 s23, 0x7b000000
	s_movk_i32 s17, 0xff80
	v_cmp_ge_f64_e64 vcc, |v[2:3]|, s[22:23]
	v_ldexp_f64 v[22:23], |v[2:3]|, s17
	v_trig_preop_f64 v[8:9], |v[2:3]|, 1
	v_and_b32_e32 v16, 0x7fffffff, v3
	s_mov_b32 s17, 0x3ff921fb
	v_cndmask_b32_e32 v23, v16, v23, vcc
	v_cndmask_b32_e32 v22, v2, v22, vcc
	v_mov_b32_e32 v16, 0x40100000
	v_mul_f64 v[26:27], v[6:7], v[22:23]
	v_mul_f64 v[24:25], v[8:9], v[22:23]
	v_fma_f64 v[6:7], v[6:7], v[22:23], -v[26:27]
	v_fma_f64 v[8:9], v[8:9], v[22:23], -v[24:25]
	v_add_f64 v[28:29], v[24:25], v[6:7]
	v_add_f64 v[36:37], v[28:29], -v[24:25]
	v_add_f64 v[30:31], v[26:27], v[28:29]
	v_add_f64 v[6:7], v[6:7], -v[36:37]
	v_add_f64 v[36:37], v[28:29], -v[36:37]
	v_ldexp_f64 v[32:33], v[30:31], -2
	v_add_f64 v[26:27], v[30:31], -v[26:27]
	v_add_f64 v[36:37], v[24:25], -v[36:37]
	v_trig_preop_f64 v[24:25], |v[2:3]|, 2
	v_fract_f64_e32 v[34:35], v[32:33]
	v_add_f64 v[26:27], v[28:29], -v[26:27]
	v_cmp_neq_f64_e64 vcc, |v[32:33]|, s[6:7]
	v_add_f64 v[6:7], v[6:7], v[36:37]
	v_mul_f64 v[36:37], v[24:25], v[22:23]
	v_add_f64 v[38:39], v[36:37], v[8:9]
	v_add_f64 v[48:49], v[38:39], v[6:7]
	v_add_f64 v[30:31], v[48:49], -v[38:39]
	v_add_f64 v[28:29], v[26:27], v[48:49]
	v_add_f64 v[6:7], v[6:7], -v[30:31]
	v_add_f64 v[30:31], v[48:49], -v[30:31]
	;; [unrolled: 1-line block ×5, first 2 shown]
	v_add_f64 v[6:7], v[6:7], v[30:31]
	v_add_f64 v[30:31], v[38:39], -v[36:37]
	v_add_f64 v[8:9], v[8:9], -v[30:31]
	;; [unrolled: 1-line block ×4, first 2 shown]
	v_add_f64 v[8:9], v[8:9], v[30:31]
	v_add_f64 v[6:7], v[8:9], v[6:7]
	v_fma_f64 v[8:9], v[24:25], v[22:23], -v[36:37]
	v_add_f64 v[6:7], v[8:9], v[6:7]
	v_ldexp_f64 v[8:9], v[34:35], 2
	v_add_f64 v[6:7], v[26:27], v[6:7]
	v_cndmask_b32_e32 v9, 0, v9, vcc
	v_cndmask_b32_e32 v8, 0, v8, vcc
	v_add_f64 v[22:23], v[28:29], v[8:9]
	v_cmp_gt_f64_e32 vcc, 0, v[22:23]
	v_mov_b32_e32 v22, 0
	v_cndmask_b32_e32 v23, 0, v16, vcc
	v_add_f64 v[8:9], v[8:9], v[22:23]
	v_add_f64 v[23:24], v[28:29], v[8:9]
	v_cvt_i32_f64_e32 v16, v[23:24]
	v_cvt_f64_i32_e32 v[23:24], v16
	v_add_f64 v[8:9], v[8:9], -v[23:24]
	v_add_f64 v[24:25], v[28:29], v[8:9]
	v_add_f64 v[8:9], v[24:25], -v[8:9]
	v_cmp_le_f64_e32 vcc, 0.5, v[24:25]
	v_add_f64 v[8:9], v[28:29], -v[8:9]
	v_addc_co_u32_e64 v16, s[6:7], 0, v16, vcc
	s_mov_b32 s6, 0x33145c07
	s_mov_b32 s7, 0x3c91a626
	v_add_f64 v[6:7], v[6:7], v[8:9]
	v_mov_b32_e32 v8, 0x3ff00000
	v_cndmask_b32_e32 v23, 0, v8, vcc
	v_add_f64 v[8:9], v[24:25], -v[22:23]
	v_add_f64 v[22:23], v[8:9], v[6:7]
	v_add_f64 v[8:9], v[22:23], -v[8:9]
	v_add_f64 v[6:7], v[6:7], -v[8:9]
	v_mul_f64 v[8:9], v[22:23], s[16:17]
	v_fma_f64 v[24:25], v[22:23], s[16:17], -v[8:9]
	v_fma_f64 v[22:23], v[22:23], s[6:7], v[24:25]
	v_fma_f64 v[22:23], v[6:7], s[16:17], v[22:23]
	v_add_f64 v[6:7], v[8:9], v[22:23]
	v_add_f64 v[8:9], v[6:7], -v[8:9]
	v_add_f64 v[8:9], v[22:23], -v[8:9]
.LBB20_152:
	s_andn2_saveexec_b64 s[6:7], s[18:19]
	s_cbranch_execz .LBB20_154
; %bb.153:
	s_mov_b32 s16, 0x6dc9c883
	s_mov_b32 s17, 0x3fe45f30
	v_mul_f64 v[6:7], |v[2:3]|, s[16:17]
	s_mov_b32 s16, 0x54442d18
	s_mov_b32 s17, 0xbff921fb
	;; [unrolled: 1-line block ×4, first 2 shown]
	v_rndne_f64_e32 v[22:23], v[6:7]
	v_fma_f64 v[6:7], v[22:23], s[16:17], |v[2:3]|
	v_mul_f64 v[8:9], v[22:23], s[18:19]
	s_mov_b32 s16, 0x252049c0
	s_mov_b32 s17, 0xb97b839a
	v_cvt_i32_f64_e32 v16, v[22:23]
	v_fma_f64 v[28:29], v[22:23], s[18:19], v[6:7]
	v_add_f64 v[24:25], v[6:7], v[8:9]
	s_mov_b32 s19, 0x3c91a626
	v_add_f64 v[26:27], v[6:7], -v[24:25]
	v_add_f64 v[24:25], v[24:25], -v[28:29]
	v_add_f64 v[6:7], v[26:27], v[8:9]
	v_fma_f64 v[8:9], v[22:23], s[18:19], v[8:9]
	v_add_f64 v[6:7], v[24:25], v[6:7]
	v_add_f64 v[6:7], v[6:7], -v[8:9]
	v_fma_f64 v[8:9], v[22:23], s[16:17], v[6:7]
	v_add_f64 v[6:7], v[28:29], v[8:9]
	v_add_f64 v[24:25], v[6:7], -v[28:29]
	v_add_f64 v[8:9], v[8:9], -v[24:25]
.LBB20_154:
	s_or_b64 exec, exec, s[6:7]
	v_mul_f64 v[22:23], v[6:7], v[6:7]
	v_add_f64 v[24:25], v[8:9], v[8:9]
	s_mov_b32 s6, 0xc751c08c
	s_mov_b32 s7, 0x3ef5e089
	v_and_b32_e32 v16, 1, v16
	v_cmp_eq_u32_e32 vcc, 0, v16
	v_and_b32_e32 v18, 0x80000000, v3
	s_mov_b32 s18, 0x54442d18
	v_fma_f64 v[26:27], v[6:7], v[6:7], -v[22:23]
	s_mov_b32 s19, 0xc00921fb
	s_mov_b64 s[16:17], exec
	v_sub_f32_e32 v21, 1.0, v21
	v_fma_f64 v[24:25], v[6:7], v[24:25], v[26:27]
	v_add_f64 v[22:23], v[22:23], v[24:25]
	v_mov_b32_e32 v24, 0xa9a29f71
	v_mov_b32_e32 v25, 0xbf078809
	v_fma_f64 v[24:25], v[22:23], s[6:7], v[24:25]
	s_mov_b32 s6, 0x90a8aae0
	s_mov_b32 s7, 0x3f17746f
	v_fma_f64 v[24:25], v[22:23], v[24:25], s[6:7]
	s_mov_b32 s6, 0xa6fbf144
	s_mov_b32 s7, 0xbefbb44d
	;; [unrolled: 3-line block ×12, first 2 shown]
	v_fma_f64 v[24:25], v[22:23], v[24:25], s[6:7]
	s_movk_i32 s6, 0x1f8
	v_cmp_class_f64_e64 s[6:7], v[2:3], s6
	v_mov_b32_e32 v3, 0x7ff80000
	v_mul_f64 v[22:23], v[22:23], v[24:25]
	v_mul_f64 v[24:25], v[6:7], v[22:23]
	v_add_f64 v[26:27], v[6:7], v[24:25]
	v_fma_f64 v[22:23], v[6:7], v[22:23], -v[24:25]
	v_add_f64 v[6:7], v[26:27], -v[6:7]
	v_add_f64 v[8:9], v[8:9], v[22:23]
	v_add_f64 v[6:7], v[24:25], -v[6:7]
	v_add_f64 v[6:7], v[8:9], v[6:7]
	v_add_f64 v[8:9], v[26:27], v[6:7]
	v_rcp_f64_e32 v[22:23], v[8:9]
	v_fma_f64 v[24:25], -v[8:9], v[22:23], 1.0
	v_fma_f64 v[22:23], v[24:25], v[22:23], v[22:23]
	v_fma_f64 v[24:25], -v[8:9], v[22:23], 1.0
	v_fma_f64 v[22:23], v[24:25], v[22:23], v[22:23]
	v_add_f64 v[24:25], v[8:9], -v[26:27]
	v_mul_f64 v[26:27], v[8:9], v[22:23]
	v_add_f64 v[6:7], v[6:7], -v[24:25]
	v_fma_f64 v[24:25], v[22:23], v[8:9], -v[26:27]
	v_fma_f64 v[6:7], v[22:23], v[6:7], v[24:25]
	v_add_f64 v[24:25], v[26:27], v[6:7]
	v_add_f64 v[28:29], -v[24:25], 1.0
	v_add_f64 v[26:27], v[24:25], -v[26:27]
	v_add_f64 v[30:31], -v[28:29], 1.0
	v_add_f64 v[6:7], v[26:27], -v[6:7]
	v_add_f64 v[24:25], v[30:31], -v[24:25]
	v_add_f64 v[6:7], v[6:7], v[24:25]
	v_add_f64 v[6:7], v[28:29], v[6:7]
	v_mul_f64 v[6:7], v[22:23], v[6:7]
	v_add_f64 v[6:7], v[22:23], v[6:7]
	v_xor_b32_e32 v2, 0x80000000, v7
	v_cndmask_b32_e32 v6, v6, v8, vcc
	v_cndmask_b32_e32 v7, v2, v9, vcc
	v_cndmask_b32_e64 v2, 0, v6, s[6:7]
	v_xor_b32_e32 v6, v7, v18
	v_cndmask_b32_e64 v3, v3, v6, s[6:7]
	v_div_scale_f64 v[6:7], s[6:7], v[2:3], v[2:3], s[18:19]
	v_div_scale_f64 v[24:25], vcc, s[18:19], v[2:3], s[18:19]
	v_rcp_f64_e32 v[8:9], v[6:7]
	v_fma_f64 v[22:23], -v[6:7], v[8:9], 1.0
	v_fma_f64 v[8:9], v[8:9], v[22:23], v[8:9]
	v_fma_f64 v[22:23], -v[6:7], v[8:9], 1.0
	v_fma_f64 v[8:9], v[8:9], v[22:23], v[8:9]
	v_mul_f64 v[22:23], v[24:25], v[8:9]
	v_fma_f64 v[6:7], -v[6:7], v[22:23], v[24:25]
	v_div_fmas_f64 v[6:7], v[6:7], v[8:9], v[22:23]
	v_div_fixup_f64 v[2:3], v[6:7], v[2:3], s[18:19]
	v_cvt_f32_f64_e32 v2, v[2:3]
.LBB20_155:
	s_or_b64 exec, exec, s[14:15]
	s_orn2_b64 s[6:7], s[16:17], exec
.LBB20_156:
	s_or_b64 exec, exec, s[12:13]
	v_mov_b32_e32 v18, 0x7e00
	s_and_saveexec_b64 s[12:13], s[6:7]
	s_cbranch_execz .LBB20_168
; %bb.157:
	s_mov_b32 s16, 0x41200000
	v_cmp_gt_f32_e32 vcc, s16, v21
	s_and_saveexec_b64 s[6:7], vcc
	s_cbranch_execz .LBB20_161
; %bb.158:
	s_mov_b64 s[14:15], 0
.LBB20_159:                             ; =>This Inner Loop Header: Depth=1
	v_div_scale_f32 v3, s[18:19], v21, v21, 1.0
	v_div_scale_f32 v6, vcc, 1.0, v21, 1.0
	v_rcp_f32_e32 v7, v3
	v_fma_f32 v8, -v3, v7, 1.0
	v_fmac_f32_e32 v7, v8, v7
	v_mul_f32_e32 v8, v6, v7
	v_fma_f32 v9, -v3, v8, v6
	v_fmac_f32_e32 v8, v9, v7
	v_fma_f32 v3, -v3, v8, v6
	v_div_fmas_f32 v3, v3, v7, v8
	v_div_fixup_f32 v3, v3, v21, 1.0
	v_add_f32_e32 v21, 1.0, v21
	v_cmp_ngt_f32_e32 vcc, s16, v21
	s_or_b64 s[14:15], vcc, s[14:15]
	v_sub_f32_e32 v2, v2, v3
	s_andn2_b64 exec, exec, s[14:15]
	s_cbranch_execnz .LBB20_159
; %bb.160:
	s_or_b64 exec, exec, s[14:15]
.LBB20_161:
	s_or_b64 exec, exec, s[6:7]
	s_mov_b32 s6, 0x41200000
	v_cmp_neq_f32_e32 vcc, s6, v21
                                        ; implicit-def: $vgpr18
	s_and_saveexec_b64 s[6:7], vcc
	s_xor_b64 s[14:15], exec, s[6:7]
	s_cbranch_execz .LBB20_165
; %bb.162:
	v_cvt_f64_f32_e32 v[6:7], v21
	s_mov_b32 s6, 0x85d8a000
	s_mov_b32 s7, 0x43763457
	v_mov_b32_e32 v3, 0
	v_cmp_gt_f64_e32 vcc, s[6:7], v[6:7]
	s_and_saveexec_b64 s[6:7], vcc
	s_cbranch_execz .LBB20_164
; %bb.163:
	v_mul_f32_e32 v3, v21, v21
	v_div_scale_f32 v6, s[16:17], v3, v3, 1.0
	v_div_scale_f32 v7, vcc, 1.0, v3, 1.0
	v_mov_b32_e32 v18, 0x3b820821
	v_rcp_f32_e32 v8, v6
	v_fma_f32 v9, -v6, v8, 1.0
	v_fmac_f32_e32 v8, v9, v8
	v_mul_f32_e32 v9, v7, v8
	v_fma_f32 v16, -v6, v9, v7
	v_fmac_f32_e32 v9, v16, v8
	v_fma_f32 v6, -v6, v9, v7
	v_div_fmas_f32 v6, v6, v8, v9
	v_mov_b32_e32 v7, 0x3daaaaab
	v_mov_b32_e32 v8, 0xbcaccacd
	;; [unrolled: 1-line block ×4, first 2 shown]
	v_div_fixup_f32 v3, v6, v3, 1.0
	v_fma_f32 v6, 0, v3, v7
	v_fmac_f32_e32 v8, v3, v6
	v_fmac_f32_e32 v9, v3, v8
	;; [unrolled: 1-line block ×4, first 2 shown]
	v_mov_b32_e32 v6, 0xbc088889
	v_fmac_f32_e32 v6, v3, v18
	v_fmac_f32_e32 v7, v3, v6
	v_mul_f32_e32 v3, v3, v7
.LBB20_164:
	s_or_b64 exec, exec, s[6:7]
	v_div_scale_f32 v6, s[6:7], v21, v21, -0.5
	v_div_scale_f32 v7, vcc, -0.5, v21, -0.5
	s_mov_b32 s6, 0x800000
	v_cmp_gt_f32_e64 s[6:7], s6, v21
	v_cndmask_b32_e64 v9, 0, 32, s[6:7]
	s_mov_b32 s16, 0x3f317217
	v_rcp_f32_e32 v8, v6
	v_fma_f32 v16, -v6, v8, 1.0
	v_fmac_f32_e32 v8, v16, v8
	v_mul_f32_e32 v16, v7, v8
	v_fma_f32 v18, -v6, v16, v7
	v_fmac_f32_e32 v16, v18, v8
	v_fma_f32 v6, -v6, v16, v7
	v_div_fmas_f32 v6, v6, v8, v16
	v_ldexp_f32 v7, v21, v9
	v_log_f32_e32 v7, v7
	v_mul_f32_e32 v8, 0x3f317217, v7
	v_fma_f32 v8, v7, s16, -v8
	v_fmac_f32_e32 v8, 0x3377d1cf, v7
	s_mov_b32 s16, 0x7f800000
	v_fmac_f32_e32 v8, 0x3f317217, v7
	v_cmp_lt_f32_e64 vcc, |v7|, s16
	v_cndmask_b32_e32 v7, v7, v8, vcc
	v_mov_b32_e32 v8, 0x41b17218
	v_cndmask_b32_e64 v8, 0, v8, s[6:7]
	v_sub_f32_e32 v7, v7, v8
	v_div_fixup_f32 v6, v6, v21, -0.5
	v_add_f32_e32 v6, v7, v6
	v_sub_f32_e32 v3, v6, v3
	v_add_f32_e32 v2, v2, v3
	v_cvt_f16_f32_e32 v18, v2
                                        ; implicit-def: $vgpr2
.LBB20_165:
	s_andn2_saveexec_b64 s[6:7], s[14:15]
; %bb.166:
	v_add_f32_e32 v2, 0x40101cb7, v2
	v_cvt_f16_f32_e32 v18, v2
; %bb.167:
	s_or_b64 exec, exec, s[6:7]
.LBB20_168:
	s_or_b64 exec, exec, s[12:13]
                                        ; implicit-def: $vgpr21
.LBB20_169:
	s_andn2_saveexec_b64 s[6:7], s[10:11]
; %bb.170:
	v_xor_b32_e32 v2, 0x80000000, v21
	v_lshrrev_b32_e32 v2, 16, v2
	s_movk_i32 s10, 0x7fff
	v_mov_b32_e32 v3, 0x7c00
	v_bfi_b32 v18, s10, v3, v2
; %bb.171:
	s_or_b64 exec, exec, s[6:7]
.LBB20_172:
	s_or_b64 exec, exec, s[8:9]
	v_add_u32_e32 v2, 0x600, v10
	v_cmp_lt_i32_e32 vcc, v2, v4
                                        ; implicit-def: $vgpr16
	s_and_saveexec_b64 s[8:9], vcc
	s_cbranch_execz .LBB20_198
; %bb.173:
	s_waitcnt vmcnt(0) lgkmcnt(0)
	v_cvt_f32_f16_e32 v21, v14
	v_cmp_neq_f16_e32 vcc, 0, v14
                                        ; implicit-def: $vgpr16
	s_and_saveexec_b64 s[6:7], vcc
	s_xor_b64 s[10:11], exec, s[6:7]
	s_cbranch_execz .LBB20_195
; %bb.174:
	v_cmp_gt_f16_e32 vcc, 0, v14
	s_mov_b64 s[6:7], -1
	v_mov_b32_e32 v2, 0
	s_and_saveexec_b64 s[12:13], vcc
	s_cbranch_execz .LBB20_182
; %bb.175:
	v_trunc_f32_e32 v2, v21
	v_cmp_neq_f32_e32 vcc, v2, v21
	s_mov_b64 s[16:17], 0
	v_mov_b32_e32 v2, 0
	s_and_saveexec_b64 s[14:15], vcc
	s_cbranch_execz .LBB20_181
; %bb.176:
	v_cvt_f32_f16_e32 v2, v14
	s_mov_b32 s6, 0
	s_mov_b32 s17, 0xc00921fb
	;; [unrolled: 1-line block ×3, first 2 shown]
	v_cvt_f64_f32_e32 v[2:3], v2
	s_mov_b32 s7, 0x7ff00000
	v_bfrev_b32_e32 v8, 1
	s_mov_b32 s18, 0
	v_trunc_f64_e32 v[6:7], v[2:3]
	v_cmp_neq_f64_e64 vcc, |v[2:3]|, s[6:7]
	s_mov_b32 s19, 0x41d00000
                                        ; implicit-def: $vgpr14
	v_add_f64 v[6:7], v[2:3], -v[6:7]
	v_mul_f64 v[6:7], |v[6:7]|, s[16:17]
	v_cndmask_b32_e32 v3, v8, v7, vcc
	v_cndmask_b32_e32 v2, 0, v6, vcc
	v_cmp_nlt_f64_e64 s[18:19], |v[2:3]|, s[18:19]
                                        ; implicit-def: $vgpr6_vgpr7
                                        ; implicit-def: $vgpr8_vgpr9
	s_and_saveexec_b64 s[22:23], s[18:19]
	s_xor_b64 s[18:19], exec, s[22:23]
	s_cbranch_execz .LBB20_178
; %bb.177:
	v_trig_preop_f64 v[6:7], |v[2:3]|, 0
	s_mov_b32 s22, 0
	s_mov_b32 s23, 0x7b000000
	s_movk_i32 s17, 0xff80
	v_cmp_ge_f64_e64 vcc, |v[2:3]|, s[22:23]
	v_ldexp_f64 v[22:23], |v[2:3]|, s17
	v_trig_preop_f64 v[8:9], |v[2:3]|, 1
	v_and_b32_e32 v14, 0x7fffffff, v3
	s_mov_b32 s17, 0x3ff921fb
	v_cndmask_b32_e32 v23, v14, v23, vcc
	v_cndmask_b32_e32 v22, v2, v22, vcc
	v_mov_b32_e32 v14, 0x40100000
	v_mul_f64 v[26:27], v[6:7], v[22:23]
	v_mul_f64 v[24:25], v[8:9], v[22:23]
	v_fma_f64 v[6:7], v[6:7], v[22:23], -v[26:27]
	v_fma_f64 v[8:9], v[8:9], v[22:23], -v[24:25]
	v_add_f64 v[28:29], v[24:25], v[6:7]
	v_add_f64 v[36:37], v[28:29], -v[24:25]
	v_add_f64 v[30:31], v[26:27], v[28:29]
	v_add_f64 v[6:7], v[6:7], -v[36:37]
	v_add_f64 v[36:37], v[28:29], -v[36:37]
	v_ldexp_f64 v[32:33], v[30:31], -2
	v_add_f64 v[26:27], v[30:31], -v[26:27]
	v_add_f64 v[36:37], v[24:25], -v[36:37]
	v_trig_preop_f64 v[24:25], |v[2:3]|, 2
	v_fract_f64_e32 v[34:35], v[32:33]
	v_add_f64 v[26:27], v[28:29], -v[26:27]
	v_cmp_neq_f64_e64 vcc, |v[32:33]|, s[6:7]
	v_add_f64 v[6:7], v[6:7], v[36:37]
	v_mul_f64 v[36:37], v[24:25], v[22:23]
	v_add_f64 v[38:39], v[36:37], v[8:9]
	v_add_f64 v[48:49], v[38:39], v[6:7]
	v_add_f64 v[30:31], v[48:49], -v[38:39]
	v_add_f64 v[28:29], v[26:27], v[48:49]
	v_add_f64 v[6:7], v[6:7], -v[30:31]
	v_add_f64 v[30:31], v[48:49], -v[30:31]
	;; [unrolled: 1-line block ×5, first 2 shown]
	v_add_f64 v[6:7], v[6:7], v[30:31]
	v_add_f64 v[30:31], v[38:39], -v[36:37]
	v_add_f64 v[8:9], v[8:9], -v[30:31]
	;; [unrolled: 1-line block ×4, first 2 shown]
	v_add_f64 v[8:9], v[8:9], v[30:31]
	v_add_f64 v[6:7], v[8:9], v[6:7]
	v_fma_f64 v[8:9], v[24:25], v[22:23], -v[36:37]
	v_add_f64 v[6:7], v[8:9], v[6:7]
	v_ldexp_f64 v[8:9], v[34:35], 2
	v_add_f64 v[6:7], v[26:27], v[6:7]
	v_cndmask_b32_e32 v9, 0, v9, vcc
	v_cndmask_b32_e32 v8, 0, v8, vcc
	v_add_f64 v[22:23], v[28:29], v[8:9]
	v_cmp_gt_f64_e32 vcc, 0, v[22:23]
	v_mov_b32_e32 v22, 0
	v_cndmask_b32_e32 v23, 0, v14, vcc
	v_add_f64 v[8:9], v[8:9], v[22:23]
	v_add_f64 v[23:24], v[28:29], v[8:9]
	v_cvt_i32_f64_e32 v14, v[23:24]
	v_cvt_f64_i32_e32 v[23:24], v14
	v_add_f64 v[8:9], v[8:9], -v[23:24]
	v_add_f64 v[24:25], v[28:29], v[8:9]
	v_add_f64 v[8:9], v[24:25], -v[8:9]
	v_cmp_le_f64_e32 vcc, 0.5, v[24:25]
	v_add_f64 v[8:9], v[28:29], -v[8:9]
	v_addc_co_u32_e64 v14, s[6:7], 0, v14, vcc
	s_mov_b32 s6, 0x33145c07
	s_mov_b32 s7, 0x3c91a626
	v_add_f64 v[6:7], v[6:7], v[8:9]
	v_mov_b32_e32 v8, 0x3ff00000
	v_cndmask_b32_e32 v23, 0, v8, vcc
	v_add_f64 v[8:9], v[24:25], -v[22:23]
	v_add_f64 v[22:23], v[8:9], v[6:7]
	v_add_f64 v[8:9], v[22:23], -v[8:9]
	v_add_f64 v[6:7], v[6:7], -v[8:9]
	v_mul_f64 v[8:9], v[22:23], s[16:17]
	v_fma_f64 v[24:25], v[22:23], s[16:17], -v[8:9]
	v_fma_f64 v[22:23], v[22:23], s[6:7], v[24:25]
	v_fma_f64 v[22:23], v[6:7], s[16:17], v[22:23]
	v_add_f64 v[6:7], v[8:9], v[22:23]
	v_add_f64 v[8:9], v[6:7], -v[8:9]
	v_add_f64 v[8:9], v[22:23], -v[8:9]
.LBB20_178:
	s_andn2_saveexec_b64 s[6:7], s[18:19]
	s_cbranch_execz .LBB20_180
; %bb.179:
	s_mov_b32 s16, 0x6dc9c883
	s_mov_b32 s17, 0x3fe45f30
	v_mul_f64 v[6:7], |v[2:3]|, s[16:17]
	s_mov_b32 s16, 0x54442d18
	s_mov_b32 s17, 0xbff921fb
	;; [unrolled: 1-line block ×4, first 2 shown]
	v_rndne_f64_e32 v[22:23], v[6:7]
	v_fma_f64 v[6:7], v[22:23], s[16:17], |v[2:3]|
	v_mul_f64 v[8:9], v[22:23], s[18:19]
	s_mov_b32 s16, 0x252049c0
	s_mov_b32 s17, 0xb97b839a
	v_cvt_i32_f64_e32 v14, v[22:23]
	v_fma_f64 v[28:29], v[22:23], s[18:19], v[6:7]
	v_add_f64 v[24:25], v[6:7], v[8:9]
	s_mov_b32 s19, 0x3c91a626
	v_add_f64 v[26:27], v[6:7], -v[24:25]
	v_add_f64 v[24:25], v[24:25], -v[28:29]
	v_add_f64 v[6:7], v[26:27], v[8:9]
	v_fma_f64 v[8:9], v[22:23], s[18:19], v[8:9]
	v_add_f64 v[6:7], v[24:25], v[6:7]
	v_add_f64 v[6:7], v[6:7], -v[8:9]
	v_fma_f64 v[8:9], v[22:23], s[16:17], v[6:7]
	v_add_f64 v[6:7], v[28:29], v[8:9]
	v_add_f64 v[24:25], v[6:7], -v[28:29]
	v_add_f64 v[8:9], v[8:9], -v[24:25]
.LBB20_180:
	s_or_b64 exec, exec, s[6:7]
	v_mul_f64 v[22:23], v[6:7], v[6:7]
	v_add_f64 v[24:25], v[8:9], v[8:9]
	s_mov_b32 s6, 0xc751c08c
	s_mov_b32 s7, 0x3ef5e089
	v_and_b32_e32 v14, 1, v14
	v_cmp_eq_u32_e32 vcc, 0, v14
	v_and_b32_e32 v16, 0x80000000, v3
	s_mov_b32 s18, 0x54442d18
	v_fma_f64 v[26:27], v[6:7], v[6:7], -v[22:23]
	s_mov_b32 s19, 0xc00921fb
	s_mov_b64 s[16:17], exec
	v_sub_f32_e32 v21, 1.0, v21
	v_fma_f64 v[24:25], v[6:7], v[24:25], v[26:27]
	v_add_f64 v[22:23], v[22:23], v[24:25]
	v_mov_b32_e32 v24, 0xa9a29f71
	v_mov_b32_e32 v25, 0xbf078809
	v_fma_f64 v[24:25], v[22:23], s[6:7], v[24:25]
	s_mov_b32 s6, 0x90a8aae0
	s_mov_b32 s7, 0x3f17746f
	v_fma_f64 v[24:25], v[22:23], v[24:25], s[6:7]
	s_mov_b32 s6, 0xa6fbf144
	s_mov_b32 s7, 0xbefbb44d
	;; [unrolled: 3-line block ×12, first 2 shown]
	v_fma_f64 v[24:25], v[22:23], v[24:25], s[6:7]
	s_movk_i32 s6, 0x1f8
	v_cmp_class_f64_e64 s[6:7], v[2:3], s6
	v_mov_b32_e32 v3, 0x7ff80000
	v_mul_f64 v[22:23], v[22:23], v[24:25]
	v_mul_f64 v[24:25], v[6:7], v[22:23]
	v_add_f64 v[26:27], v[6:7], v[24:25]
	v_fma_f64 v[22:23], v[6:7], v[22:23], -v[24:25]
	v_add_f64 v[6:7], v[26:27], -v[6:7]
	v_add_f64 v[8:9], v[8:9], v[22:23]
	v_add_f64 v[6:7], v[24:25], -v[6:7]
	v_add_f64 v[6:7], v[8:9], v[6:7]
	v_add_f64 v[8:9], v[26:27], v[6:7]
	v_rcp_f64_e32 v[22:23], v[8:9]
	v_fma_f64 v[24:25], -v[8:9], v[22:23], 1.0
	v_fma_f64 v[22:23], v[24:25], v[22:23], v[22:23]
	v_fma_f64 v[24:25], -v[8:9], v[22:23], 1.0
	v_fma_f64 v[22:23], v[24:25], v[22:23], v[22:23]
	v_add_f64 v[24:25], v[8:9], -v[26:27]
	v_mul_f64 v[26:27], v[8:9], v[22:23]
	v_add_f64 v[6:7], v[6:7], -v[24:25]
	v_fma_f64 v[24:25], v[22:23], v[8:9], -v[26:27]
	v_fma_f64 v[6:7], v[22:23], v[6:7], v[24:25]
	v_add_f64 v[24:25], v[26:27], v[6:7]
	v_add_f64 v[28:29], -v[24:25], 1.0
	v_add_f64 v[26:27], v[24:25], -v[26:27]
	v_add_f64 v[30:31], -v[28:29], 1.0
	v_add_f64 v[6:7], v[26:27], -v[6:7]
	v_add_f64 v[24:25], v[30:31], -v[24:25]
	v_add_f64 v[6:7], v[6:7], v[24:25]
	v_add_f64 v[6:7], v[28:29], v[6:7]
	v_mul_f64 v[6:7], v[22:23], v[6:7]
	v_add_f64 v[6:7], v[22:23], v[6:7]
	v_xor_b32_e32 v2, 0x80000000, v7
	v_cndmask_b32_e32 v6, v6, v8, vcc
	v_cndmask_b32_e32 v7, v2, v9, vcc
	v_cndmask_b32_e64 v2, 0, v6, s[6:7]
	v_xor_b32_e32 v6, v7, v16
	v_cndmask_b32_e64 v3, v3, v6, s[6:7]
	v_div_scale_f64 v[6:7], s[6:7], v[2:3], v[2:3], s[18:19]
	v_div_scale_f64 v[24:25], vcc, s[18:19], v[2:3], s[18:19]
	v_rcp_f64_e32 v[8:9], v[6:7]
	v_fma_f64 v[22:23], -v[6:7], v[8:9], 1.0
	v_fma_f64 v[8:9], v[8:9], v[22:23], v[8:9]
	v_fma_f64 v[22:23], -v[6:7], v[8:9], 1.0
	v_fma_f64 v[8:9], v[8:9], v[22:23], v[8:9]
	v_mul_f64 v[22:23], v[24:25], v[8:9]
	v_fma_f64 v[6:7], -v[6:7], v[22:23], v[24:25]
	v_div_fmas_f64 v[6:7], v[6:7], v[8:9], v[22:23]
	v_div_fixup_f64 v[2:3], v[6:7], v[2:3], s[18:19]
	v_cvt_f32_f64_e32 v2, v[2:3]
.LBB20_181:
	s_or_b64 exec, exec, s[14:15]
	s_orn2_b64 s[6:7], s[16:17], exec
.LBB20_182:
	s_or_b64 exec, exec, s[12:13]
	v_mov_b32_e32 v16, 0x7e00
	s_and_saveexec_b64 s[12:13], s[6:7]
	s_cbranch_execz .LBB20_194
; %bb.183:
	s_mov_b32 s16, 0x41200000
	v_cmp_gt_f32_e32 vcc, s16, v21
	s_and_saveexec_b64 s[6:7], vcc
	s_cbranch_execz .LBB20_187
; %bb.184:
	s_mov_b64 s[14:15], 0
.LBB20_185:                             ; =>This Inner Loop Header: Depth=1
	v_div_scale_f32 v3, s[18:19], v21, v21, 1.0
	v_div_scale_f32 v6, vcc, 1.0, v21, 1.0
	v_rcp_f32_e32 v7, v3
	v_fma_f32 v8, -v3, v7, 1.0
	v_fmac_f32_e32 v7, v8, v7
	v_mul_f32_e32 v8, v6, v7
	v_fma_f32 v9, -v3, v8, v6
	v_fmac_f32_e32 v8, v9, v7
	v_fma_f32 v3, -v3, v8, v6
	v_div_fmas_f32 v3, v3, v7, v8
	v_div_fixup_f32 v3, v3, v21, 1.0
	v_add_f32_e32 v21, 1.0, v21
	v_cmp_ngt_f32_e32 vcc, s16, v21
	s_or_b64 s[14:15], vcc, s[14:15]
	v_sub_f32_e32 v2, v2, v3
	s_andn2_b64 exec, exec, s[14:15]
	s_cbranch_execnz .LBB20_185
; %bb.186:
	s_or_b64 exec, exec, s[14:15]
.LBB20_187:
	s_or_b64 exec, exec, s[6:7]
	s_mov_b32 s6, 0x41200000
	v_cmp_neq_f32_e32 vcc, s6, v21
                                        ; implicit-def: $vgpr16
	s_and_saveexec_b64 s[6:7], vcc
	s_xor_b64 s[14:15], exec, s[6:7]
	s_cbranch_execz .LBB20_191
; %bb.188:
	v_cvt_f64_f32_e32 v[6:7], v21
	s_mov_b32 s6, 0x85d8a000
	s_mov_b32 s7, 0x43763457
	v_mov_b32_e32 v3, 0
	v_cmp_gt_f64_e32 vcc, s[6:7], v[6:7]
	s_and_saveexec_b64 s[6:7], vcc
	s_cbranch_execz .LBB20_190
; %bb.189:
	v_mul_f32_e32 v3, v21, v21
	v_div_scale_f32 v6, s[16:17], v3, v3, 1.0
	v_div_scale_f32 v7, vcc, 1.0, v3, 1.0
	v_mov_b32_e32 v16, 0x3b820821
	v_rcp_f32_e32 v8, v6
	v_fma_f32 v9, -v6, v8, 1.0
	v_fmac_f32_e32 v8, v9, v8
	v_mul_f32_e32 v9, v7, v8
	v_fma_f32 v14, -v6, v9, v7
	v_fmac_f32_e32 v9, v14, v8
	v_fma_f32 v6, -v6, v9, v7
	v_div_fmas_f32 v6, v6, v8, v9
	v_mov_b32_e32 v7, 0x3daaaaab
	v_mov_b32_e32 v8, 0xbcaccacd
	;; [unrolled: 1-line block ×4, first 2 shown]
	v_div_fixup_f32 v3, v6, v3, 1.0
	v_fma_f32 v6, 0, v3, v7
	v_fmac_f32_e32 v8, v3, v6
	v_fmac_f32_e32 v9, v3, v8
	;; [unrolled: 1-line block ×4, first 2 shown]
	v_mov_b32_e32 v6, 0xbc088889
	v_fmac_f32_e32 v6, v3, v16
	v_fmac_f32_e32 v7, v3, v6
	v_mul_f32_e32 v3, v3, v7
.LBB20_190:
	s_or_b64 exec, exec, s[6:7]
	v_div_scale_f32 v6, s[6:7], v21, v21, -0.5
	v_div_scale_f32 v7, vcc, -0.5, v21, -0.5
	s_mov_b32 s6, 0x800000
	v_cmp_gt_f32_e64 s[6:7], s6, v21
	v_cndmask_b32_e64 v9, 0, 32, s[6:7]
	s_mov_b32 s16, 0x3f317217
	v_rcp_f32_e32 v8, v6
	v_fma_f32 v14, -v6, v8, 1.0
	v_fmac_f32_e32 v8, v14, v8
	v_mul_f32_e32 v14, v7, v8
	v_fma_f32 v16, -v6, v14, v7
	v_fmac_f32_e32 v14, v16, v8
	v_fma_f32 v6, -v6, v14, v7
	v_div_fmas_f32 v6, v6, v8, v14
	v_ldexp_f32 v7, v21, v9
	v_log_f32_e32 v7, v7
	v_mul_f32_e32 v8, 0x3f317217, v7
	v_fma_f32 v8, v7, s16, -v8
	v_fmac_f32_e32 v8, 0x3377d1cf, v7
	s_mov_b32 s16, 0x7f800000
	v_fmac_f32_e32 v8, 0x3f317217, v7
	v_cmp_lt_f32_e64 vcc, |v7|, s16
	v_cndmask_b32_e32 v7, v7, v8, vcc
	v_mov_b32_e32 v8, 0x41b17218
	v_cndmask_b32_e64 v8, 0, v8, s[6:7]
	v_sub_f32_e32 v7, v7, v8
	v_div_fixup_f32 v6, v6, v21, -0.5
	v_add_f32_e32 v6, v7, v6
	v_sub_f32_e32 v3, v6, v3
	v_add_f32_e32 v2, v2, v3
	v_cvt_f16_f32_e32 v16, v2
                                        ; implicit-def: $vgpr2
.LBB20_191:
	s_andn2_saveexec_b64 s[6:7], s[14:15]
; %bb.192:
	v_add_f32_e32 v2, 0x40101cb7, v2
	v_cvt_f16_f32_e32 v16, v2
; %bb.193:
	s_or_b64 exec, exec, s[6:7]
.LBB20_194:
	s_or_b64 exec, exec, s[12:13]
                                        ; implicit-def: $vgpr21
.LBB20_195:
	s_andn2_saveexec_b64 s[6:7], s[10:11]
; %bb.196:
	v_xor_b32_e32 v2, 0x80000000, v21
	v_lshrrev_b32_e32 v2, 16, v2
	s_movk_i32 s10, 0x7fff
	v_mov_b32_e32 v3, 0x7c00
	v_bfi_b32 v16, s10, v3, v2
; %bb.197:
	s_or_b64 exec, exec, s[6:7]
.LBB20_198:
	s_or_b64 exec, exec, s[8:9]
	v_add_u32_e32 v2, 0x700, v10
	v_cmp_lt_i32_e32 vcc, v2, v4
                                        ; implicit-def: $vgpr2
	s_and_saveexec_b64 s[8:9], vcc
	s_cbranch_execnz .LBB20_208
; %bb.199:
	s_or_b64 exec, exec, s[8:9]
	s_and_saveexec_b64 s[6:7], s[4:5]
	s_xor_b64 s[4:5], exec, s[6:7]
	s_cbranch_execnz .LBB20_233
.LBB20_200:
	s_or_b64 exec, exec, s[4:5]
	v_cmp_lt_i32_e32 vcc, v10, v4
	s_and_saveexec_b64 s[4:5], vcc
	s_cbranch_execnz .LBB20_234
.LBB20_201:
	s_or_b64 exec, exec, s[4:5]
	v_cmp_lt_i32_e32 vcc, v10, v4
	s_and_saveexec_b64 s[4:5], vcc
	s_cbranch_execnz .LBB20_235
.LBB20_202:
	s_or_b64 exec, exec, s[4:5]
	v_cmp_lt_i32_e32 vcc, v10, v4
	s_and_saveexec_b64 s[4:5], vcc
	s_cbranch_execnz .LBB20_236
.LBB20_203:
	s_or_b64 exec, exec, s[4:5]
	v_cmp_lt_i32_e32 vcc, v10, v4
	s_and_saveexec_b64 s[4:5], vcc
	s_cbranch_execnz .LBB20_237
.LBB20_204:
	s_or_b64 exec, exec, s[4:5]
	v_cmp_lt_i32_e32 vcc, v10, v4
	s_and_saveexec_b64 s[4:5], vcc
	s_cbranch_execnz .LBB20_238
.LBB20_205:
	s_or_b64 exec, exec, s[4:5]
	v_cmp_lt_i32_e32 vcc, v10, v4
	s_and_saveexec_b64 s[4:5], vcc
	s_cbranch_execnz .LBB20_239
.LBB20_206:
	s_or_b64 exec, exec, s[4:5]
	v_cmp_lt_i32_e32 vcc, v10, v4
	s_and_saveexec_b64 s[4:5], vcc
	s_cbranch_execnz .LBB20_240
.LBB20_207:
	s_or_b64 exec, exec, s[4:5]
	s_waitcnt vmcnt(0) lgkmcnt(0)
	s_setpc_b64 s[30:31]
.LBB20_208:
	s_waitcnt vmcnt(0) lgkmcnt(0)
	v_cvt_f32_f16_e32 v14, v12
	v_cmp_neq_f16_e32 vcc, 0, v12
                                        ; implicit-def: $vgpr2
	s_and_saveexec_b64 s[6:7], vcc
	s_xor_b64 s[10:11], exec, s[6:7]
	s_cbranch_execz .LBB20_230
; %bb.209:
	v_cmp_gt_f16_e32 vcc, 0, v12
	s_mov_b64 s[6:7], -1
	v_mov_b32_e32 v3, 0
	s_and_saveexec_b64 s[12:13], vcc
	s_cbranch_execz .LBB20_217
; %bb.210:
	v_trunc_f32_e32 v2, v14
	v_cmp_neq_f32_e32 vcc, v2, v14
	s_mov_b64 s[16:17], 0
	v_mov_b32_e32 v3, 0
	s_and_saveexec_b64 s[14:15], vcc
	s_cbranch_execz .LBB20_216
; %bb.211:
	v_cvt_f32_f16_e32 v2, v12
	s_mov_b32 s6, 0
	s_mov_b32 s17, 0xc00921fb
	;; [unrolled: 1-line block ×3, first 2 shown]
	v_cvt_f64_f32_e32 v[2:3], v2
	s_mov_b32 s7, 0x7ff00000
	v_bfrev_b32_e32 v8, 1
	s_mov_b32 s18, 0
	v_trunc_f64_e32 v[6:7], v[2:3]
	v_cmp_neq_f64_e64 vcc, |v[2:3]|, s[6:7]
	s_mov_b32 s19, 0x41d00000
                                        ; implicit-def: $vgpr12
	v_add_f64 v[6:7], v[2:3], -v[6:7]
	v_mul_f64 v[6:7], |v[6:7]|, s[16:17]
	v_cndmask_b32_e32 v3, v8, v7, vcc
	v_cndmask_b32_e32 v2, 0, v6, vcc
	v_cmp_nlt_f64_e64 s[18:19], |v[2:3]|, s[18:19]
                                        ; implicit-def: $vgpr6_vgpr7
                                        ; implicit-def: $vgpr8_vgpr9
	s_and_saveexec_b64 s[22:23], s[18:19]
	s_xor_b64 s[18:19], exec, s[22:23]
	s_cbranch_execz .LBB20_213
; %bb.212:
	v_trig_preop_f64 v[6:7], |v[2:3]|, 0
	s_mov_b32 s22, 0
	s_mov_b32 s23, 0x7b000000
	s_movk_i32 s17, 0xff80
	v_cmp_ge_f64_e64 vcc, |v[2:3]|, s[22:23]
	v_ldexp_f64 v[21:22], |v[2:3]|, s17
	v_trig_preop_f64 v[8:9], |v[2:3]|, 1
	v_and_b32_e32 v12, 0x7fffffff, v3
	s_mov_b32 s17, 0x3ff921fb
	v_cndmask_b32_e32 v22, v12, v22, vcc
	v_cndmask_b32_e32 v21, v2, v21, vcc
	v_mov_b32_e32 v12, 0x40100000
	v_mul_f64 v[25:26], v[6:7], v[21:22]
	v_mul_f64 v[23:24], v[8:9], v[21:22]
	v_fma_f64 v[6:7], v[6:7], v[21:22], -v[25:26]
	v_fma_f64 v[8:9], v[8:9], v[21:22], -v[23:24]
	v_add_f64 v[27:28], v[23:24], v[6:7]
	v_add_f64 v[35:36], v[27:28], -v[23:24]
	v_add_f64 v[29:30], v[25:26], v[27:28]
	v_add_f64 v[6:7], v[6:7], -v[35:36]
	v_add_f64 v[35:36], v[27:28], -v[35:36]
	v_ldexp_f64 v[31:32], v[29:30], -2
	v_add_f64 v[25:26], v[29:30], -v[25:26]
	v_add_f64 v[35:36], v[23:24], -v[35:36]
	v_trig_preop_f64 v[23:24], |v[2:3]|, 2
	v_fract_f64_e32 v[33:34], v[31:32]
	v_add_f64 v[25:26], v[27:28], -v[25:26]
	v_cmp_neq_f64_e64 vcc, |v[31:32]|, s[6:7]
	v_add_f64 v[6:7], v[6:7], v[35:36]
	v_mul_f64 v[35:36], v[23:24], v[21:22]
	v_add_f64 v[37:38], v[35:36], v[8:9]
	v_add_f64 v[48:49], v[37:38], v[6:7]
	v_add_f64 v[29:30], v[48:49], -v[37:38]
	v_add_f64 v[27:28], v[25:26], v[48:49]
	v_add_f64 v[6:7], v[6:7], -v[29:30]
	v_add_f64 v[29:30], v[48:49], -v[29:30]
	;; [unrolled: 1-line block ×5, first 2 shown]
	v_add_f64 v[6:7], v[6:7], v[29:30]
	v_add_f64 v[29:30], v[37:38], -v[35:36]
	v_add_f64 v[8:9], v[8:9], -v[29:30]
	;; [unrolled: 1-line block ×4, first 2 shown]
	v_add_f64 v[8:9], v[8:9], v[29:30]
	v_add_f64 v[6:7], v[8:9], v[6:7]
	v_fma_f64 v[8:9], v[23:24], v[21:22], -v[35:36]
	v_add_f64 v[6:7], v[8:9], v[6:7]
	v_ldexp_f64 v[8:9], v[33:34], 2
	v_add_f64 v[6:7], v[25:26], v[6:7]
	v_cndmask_b32_e32 v9, 0, v9, vcc
	v_cndmask_b32_e32 v8, 0, v8, vcc
	v_add_f64 v[21:22], v[27:28], v[8:9]
	v_cmp_gt_f64_e32 vcc, 0, v[21:22]
	v_mov_b32_e32 v21, 0
	v_cndmask_b32_e32 v22, 0, v12, vcc
	v_add_f64 v[8:9], v[8:9], v[21:22]
	v_add_f64 v[22:23], v[27:28], v[8:9]
	v_cvt_i32_f64_e32 v12, v[22:23]
	v_cvt_f64_i32_e32 v[22:23], v12
	v_add_f64 v[8:9], v[8:9], -v[22:23]
	v_add_f64 v[23:24], v[27:28], v[8:9]
	v_add_f64 v[8:9], v[23:24], -v[8:9]
	v_cmp_le_f64_e32 vcc, 0.5, v[23:24]
	v_add_f64 v[8:9], v[27:28], -v[8:9]
	v_addc_co_u32_e64 v12, s[6:7], 0, v12, vcc
	s_mov_b32 s6, 0x33145c07
	s_mov_b32 s7, 0x3c91a626
	v_add_f64 v[6:7], v[6:7], v[8:9]
	v_mov_b32_e32 v8, 0x3ff00000
	v_cndmask_b32_e32 v22, 0, v8, vcc
	v_add_f64 v[8:9], v[23:24], -v[21:22]
	v_add_f64 v[21:22], v[8:9], v[6:7]
	v_add_f64 v[8:9], v[21:22], -v[8:9]
	v_add_f64 v[6:7], v[6:7], -v[8:9]
	v_mul_f64 v[8:9], v[21:22], s[16:17]
	v_fma_f64 v[23:24], v[21:22], s[16:17], -v[8:9]
	v_fma_f64 v[21:22], v[21:22], s[6:7], v[23:24]
	v_fma_f64 v[21:22], v[6:7], s[16:17], v[21:22]
	v_add_f64 v[6:7], v[8:9], v[21:22]
	v_add_f64 v[8:9], v[6:7], -v[8:9]
	v_add_f64 v[8:9], v[21:22], -v[8:9]
.LBB20_213:
	s_andn2_saveexec_b64 s[6:7], s[18:19]
	s_cbranch_execz .LBB20_215
; %bb.214:
	s_mov_b32 s16, 0x6dc9c883
	s_mov_b32 s17, 0x3fe45f30
	v_mul_f64 v[6:7], |v[2:3]|, s[16:17]
	s_mov_b32 s16, 0x54442d18
	s_mov_b32 s17, 0xbff921fb
	;; [unrolled: 1-line block ×4, first 2 shown]
	v_rndne_f64_e32 v[21:22], v[6:7]
	v_fma_f64 v[6:7], v[21:22], s[16:17], |v[2:3]|
	v_mul_f64 v[8:9], v[21:22], s[18:19]
	s_mov_b32 s16, 0x252049c0
	s_mov_b32 s17, 0xb97b839a
	v_cvt_i32_f64_e32 v12, v[21:22]
	v_fma_f64 v[27:28], v[21:22], s[18:19], v[6:7]
	v_add_f64 v[23:24], v[6:7], v[8:9]
	s_mov_b32 s19, 0x3c91a626
	v_add_f64 v[25:26], v[6:7], -v[23:24]
	v_add_f64 v[23:24], v[23:24], -v[27:28]
	v_add_f64 v[6:7], v[25:26], v[8:9]
	v_fma_f64 v[8:9], v[21:22], s[18:19], v[8:9]
	v_add_f64 v[6:7], v[23:24], v[6:7]
	v_add_f64 v[6:7], v[6:7], -v[8:9]
	v_fma_f64 v[8:9], v[21:22], s[16:17], v[6:7]
	v_add_f64 v[6:7], v[27:28], v[8:9]
	v_add_f64 v[23:24], v[6:7], -v[27:28]
	v_add_f64 v[8:9], v[8:9], -v[23:24]
.LBB20_215:
	s_or_b64 exec, exec, s[6:7]
	v_mul_f64 v[21:22], v[6:7], v[6:7]
	v_add_f64 v[23:24], v[8:9], v[8:9]
	s_mov_b32 s6, 0xc751c08c
	s_mov_b32 s7, 0x3ef5e089
	v_and_b32_e32 v12, 1, v12
	v_cmp_eq_u32_e32 vcc, 0, v12
	s_mov_b32 s18, 0x54442d18
	s_mov_b32 s19, 0xc00921fb
	v_fma_f64 v[25:26], v[6:7], v[6:7], -v[21:22]
	s_mov_b64 s[16:17], exec
	v_sub_f32_e32 v14, 1.0, v14
	v_fma_f64 v[23:24], v[6:7], v[23:24], v[25:26]
	v_add_f64 v[21:22], v[21:22], v[23:24]
	v_mov_b32_e32 v23, 0xa9a29f71
	v_mov_b32_e32 v24, 0xbf078809
	v_fma_f64 v[23:24], v[21:22], s[6:7], v[23:24]
	s_mov_b32 s6, 0x90a8aae0
	s_mov_b32 s7, 0x3f17746f
	v_fma_f64 v[23:24], v[21:22], v[23:24], s[6:7]
	s_mov_b32 s6, 0xa6fbf144
	s_mov_b32 s7, 0xbefbb44d
	;; [unrolled: 3-line block ×12, first 2 shown]
	v_fma_f64 v[23:24], v[21:22], v[23:24], s[6:7]
	s_movk_i32 s6, 0x1f8
	v_cmp_class_f64_e64 s[6:7], v[2:3], s6
	v_mul_f64 v[21:22], v[21:22], v[23:24]
	v_mul_f64 v[23:24], v[6:7], v[21:22]
	v_add_f64 v[25:26], v[6:7], v[23:24]
	v_fma_f64 v[21:22], v[6:7], v[21:22], -v[23:24]
	v_add_f64 v[6:7], v[25:26], -v[6:7]
	v_add_f64 v[8:9], v[8:9], v[21:22]
	v_add_f64 v[6:7], v[23:24], -v[6:7]
	v_add_f64 v[6:7], v[8:9], v[6:7]
	v_add_f64 v[8:9], v[25:26], v[6:7]
	v_rcp_f64_e32 v[21:22], v[8:9]
	v_fma_f64 v[23:24], -v[8:9], v[21:22], 1.0
	v_fma_f64 v[21:22], v[23:24], v[21:22], v[21:22]
	v_fma_f64 v[23:24], -v[8:9], v[21:22], 1.0
	v_fma_f64 v[21:22], v[23:24], v[21:22], v[21:22]
	v_add_f64 v[23:24], v[8:9], -v[25:26]
	v_mul_f64 v[25:26], v[8:9], v[21:22]
	v_add_f64 v[6:7], v[6:7], -v[23:24]
	v_fma_f64 v[23:24], v[21:22], v[8:9], -v[25:26]
	v_fma_f64 v[6:7], v[21:22], v[6:7], v[23:24]
	v_add_f64 v[23:24], v[25:26], v[6:7]
	v_add_f64 v[27:28], -v[23:24], 1.0
	v_add_f64 v[25:26], v[23:24], -v[25:26]
	v_add_f64 v[29:30], -v[27:28], 1.0
	v_add_f64 v[6:7], v[25:26], -v[6:7]
	v_add_f64 v[23:24], v[29:30], -v[23:24]
	v_add_f64 v[6:7], v[6:7], v[23:24]
	v_add_f64 v[6:7], v[27:28], v[6:7]
	v_mul_f64 v[6:7], v[21:22], v[6:7]
	v_add_f64 v[6:7], v[21:22], v[6:7]
	v_and_b32_e32 v21, 0x80000000, v3
	v_mov_b32_e32 v3, 0x7ff80000
	v_xor_b32_e32 v2, 0x80000000, v7
	v_cndmask_b32_e32 v6, v6, v8, vcc
	v_cndmask_b32_e32 v7, v2, v9, vcc
	v_cndmask_b32_e64 v2, 0, v6, s[6:7]
	v_xor_b32_e32 v6, v7, v21
	v_cndmask_b32_e64 v3, v3, v6, s[6:7]
	v_div_scale_f64 v[6:7], s[6:7], v[2:3], v[2:3], s[18:19]
	v_div_scale_f64 v[23:24], vcc, s[18:19], v[2:3], s[18:19]
	v_rcp_f64_e32 v[8:9], v[6:7]
	v_fma_f64 v[21:22], -v[6:7], v[8:9], 1.0
	v_fma_f64 v[8:9], v[8:9], v[21:22], v[8:9]
	v_fma_f64 v[21:22], -v[6:7], v[8:9], 1.0
	v_fma_f64 v[8:9], v[8:9], v[21:22], v[8:9]
	v_mul_f64 v[21:22], v[23:24], v[8:9]
	v_fma_f64 v[6:7], -v[6:7], v[21:22], v[23:24]
	v_div_fmas_f64 v[6:7], v[6:7], v[8:9], v[21:22]
	v_div_fixup_f64 v[2:3], v[6:7], v[2:3], s[18:19]
	v_cvt_f32_f64_e32 v3, v[2:3]
.LBB20_216:
	s_or_b64 exec, exec, s[14:15]
	s_orn2_b64 s[6:7], s[16:17], exec
.LBB20_217:
	s_or_b64 exec, exec, s[12:13]
	v_mov_b32_e32 v2, 0x7e00
	s_and_saveexec_b64 s[12:13], s[6:7]
	s_cbranch_execz .LBB20_229
; %bb.218:
	s_mov_b32 s16, 0x41200000
	v_cmp_gt_f32_e32 vcc, s16, v14
	s_and_saveexec_b64 s[6:7], vcc
	s_cbranch_execz .LBB20_222
; %bb.219:
	s_mov_b64 s[14:15], 0
.LBB20_220:                             ; =>This Inner Loop Header: Depth=1
	v_div_scale_f32 v2, s[18:19], v14, v14, 1.0
	v_div_scale_f32 v6, vcc, 1.0, v14, 1.0
	v_rcp_f32_e32 v7, v2
	v_fma_f32 v8, -v2, v7, 1.0
	v_fmac_f32_e32 v7, v8, v7
	v_mul_f32_e32 v8, v6, v7
	v_fma_f32 v9, -v2, v8, v6
	v_fmac_f32_e32 v8, v9, v7
	v_fma_f32 v2, -v2, v8, v6
	v_div_fmas_f32 v2, v2, v7, v8
	v_div_fixup_f32 v2, v2, v14, 1.0
	v_add_f32_e32 v14, 1.0, v14
	v_cmp_ngt_f32_e32 vcc, s16, v14
	s_or_b64 s[14:15], vcc, s[14:15]
	v_sub_f32_e32 v3, v3, v2
	s_andn2_b64 exec, exec, s[14:15]
	s_cbranch_execnz .LBB20_220
; %bb.221:
	s_or_b64 exec, exec, s[14:15]
.LBB20_222:
	s_or_b64 exec, exec, s[6:7]
	s_mov_b32 s6, 0x41200000
	v_cmp_neq_f32_e32 vcc, s6, v14
                                        ; implicit-def: $vgpr2
	s_and_saveexec_b64 s[6:7], vcc
	s_xor_b64 s[14:15], exec, s[6:7]
	s_cbranch_execz .LBB20_226
; %bb.223:
	v_cvt_f64_f32_e32 v[6:7], v14
	s_mov_b32 s6, 0x85d8a000
	s_mov_b32 s7, 0x43763457
	v_mov_b32_e32 v2, 0
	v_cmp_gt_f64_e32 vcc, s[6:7], v[6:7]
	s_and_saveexec_b64 s[6:7], vcc
	s_cbranch_execz .LBB20_225
; %bb.224:
	v_mul_f32_e32 v2, v14, v14
	v_div_scale_f32 v6, s[16:17], v2, v2, 1.0
	v_div_scale_f32 v7, vcc, 1.0, v2, 1.0
	v_mov_b32_e32 v21, 0x3b820821
	v_rcp_f32_e32 v8, v6
	v_fma_f32 v9, -v6, v8, 1.0
	v_fmac_f32_e32 v8, v9, v8
	v_mul_f32_e32 v9, v7, v8
	v_fma_f32 v12, -v6, v9, v7
	v_fmac_f32_e32 v9, v12, v8
	v_fma_f32 v6, -v6, v9, v7
	v_div_fmas_f32 v6, v6, v8, v9
	v_mov_b32_e32 v7, 0x3daaaaab
	v_mov_b32_e32 v8, 0xbcaccacd
	;; [unrolled: 1-line block ×4, first 2 shown]
	v_div_fixup_f32 v2, v6, v2, 1.0
	v_fma_f32 v6, 0, v2, v7
	v_fmac_f32_e32 v8, v2, v6
	v_fmac_f32_e32 v9, v2, v8
	;; [unrolled: 1-line block ×4, first 2 shown]
	v_mov_b32_e32 v6, 0xbc088889
	v_fmac_f32_e32 v6, v2, v21
	v_fmac_f32_e32 v7, v2, v6
	v_mul_f32_e32 v2, v2, v7
.LBB20_225:
	s_or_b64 exec, exec, s[6:7]
	v_div_scale_f32 v6, s[6:7], v14, v14, -0.5
	v_div_scale_f32 v7, vcc, -0.5, v14, -0.5
	s_mov_b32 s6, 0x800000
	v_cmp_gt_f32_e64 s[6:7], s6, v14
	v_cndmask_b32_e64 v9, 0, 32, s[6:7]
	s_mov_b32 s16, 0x3f317217
	v_rcp_f32_e32 v8, v6
	v_fma_f32 v12, -v6, v8, 1.0
	v_fmac_f32_e32 v8, v12, v8
	v_mul_f32_e32 v12, v7, v8
	v_fma_f32 v21, -v6, v12, v7
	v_fmac_f32_e32 v12, v21, v8
	v_fma_f32 v6, -v6, v12, v7
	v_div_fmas_f32 v6, v6, v8, v12
	v_ldexp_f32 v7, v14, v9
	v_log_f32_e32 v7, v7
	v_mul_f32_e32 v8, 0x3f317217, v7
	v_fma_f32 v8, v7, s16, -v8
	v_fmac_f32_e32 v8, 0x3377d1cf, v7
	s_mov_b32 s16, 0x7f800000
	v_fmac_f32_e32 v8, 0x3f317217, v7
	v_cmp_lt_f32_e64 vcc, |v7|, s16
	v_cndmask_b32_e32 v7, v7, v8, vcc
	v_mov_b32_e32 v8, 0x41b17218
	v_cndmask_b32_e64 v8, 0, v8, s[6:7]
	v_sub_f32_e32 v7, v7, v8
	v_div_fixup_f32 v6, v6, v14, -0.5
	v_add_f32_e32 v6, v7, v6
	v_sub_f32_e32 v2, v6, v2
	v_add_f32_e32 v2, v3, v2
	v_cvt_f16_f32_e32 v2, v2
                                        ; implicit-def: $vgpr3
.LBB20_226:
	s_andn2_saveexec_b64 s[6:7], s[14:15]
; %bb.227:
	v_add_f32_e32 v2, 0x40101cb7, v3
	v_cvt_f16_f32_e32 v2, v2
; %bb.228:
	s_or_b64 exec, exec, s[6:7]
.LBB20_229:
	s_or_b64 exec, exec, s[12:13]
                                        ; implicit-def: $vgpr14
.LBB20_230:
	s_andn2_saveexec_b64 s[6:7], s[10:11]
; %bb.231:
	v_xor_b32_e32 v2, 0x80000000, v14
	v_lshrrev_b32_e32 v2, 16, v2
	s_movk_i32 s10, 0x7fff
	v_mov_b32_e32 v3, 0x7c00
	v_bfi_b32 v2, s10, v3, v2
; %bb.232:
	s_or_b64 exec, exec, s[6:7]
	s_or_b64 exec, exec, s[8:9]
	s_and_saveexec_b64 s[6:7], s[4:5]
	s_xor_b64 s[4:5], exec, s[6:7]
	s_cbranch_execz .LBB20_200
.LBB20_233:
	s_waitcnt vmcnt(0) lgkmcnt(0)
	v_mov_b32_e32 v6, 0
	v_lshlrev_b64 v[5:6], 1, v[5:6]
	v_mov_b32_e32 v10, v13
	v_add_co_u32_e32 v5, vcc, v0, v5
	v_addc_co_u32_e32 v6, vcc, v1, v6, vcc
	flat_store_short v[5:6], v11
	s_or_b64 exec, exec, s[4:5]
	v_cmp_lt_i32_e32 vcc, v10, v4
	s_and_saveexec_b64 s[4:5], vcc
	s_cbranch_execz .LBB20_201
.LBB20_234:
	v_add_u32_e32 v5, s20, v10
	s_waitcnt vmcnt(0) lgkmcnt(0)
	v_mov_b32_e32 v6, 0
	v_lshlrev_b64 v[5:6], 1, v[5:6]
	v_add_u32_e32 v10, 0x100, v10
	v_add_co_u32_e32 v5, vcc, v0, v5
	v_addc_co_u32_e32 v6, vcc, v1, v6, vcc
	flat_store_short v[5:6], v15
	s_or_b64 exec, exec, s[4:5]
	v_cmp_lt_i32_e32 vcc, v10, v4
	s_and_saveexec_b64 s[4:5], vcc
	s_cbranch_execz .LBB20_202
.LBB20_235:
	v_add_u32_e32 v5, s20, v10
	s_waitcnt vmcnt(0) lgkmcnt(0)
	v_mov_b32_e32 v6, 0
	v_lshlrev_b64 v[5:6], 1, v[5:6]
	v_add_u32_e32 v10, 0x100, v10
	v_add_co_u32_e32 v5, vcc, v0, v5
	v_addc_co_u32_e32 v6, vcc, v1, v6, vcc
	flat_store_short v[5:6], v17
	s_or_b64 exec, exec, s[4:5]
	v_cmp_lt_i32_e32 vcc, v10, v4
	s_and_saveexec_b64 s[4:5], vcc
	s_cbranch_execz .LBB20_203
.LBB20_236:
	v_add_u32_e32 v5, s20, v10
	s_waitcnt vmcnt(0) lgkmcnt(0)
	v_mov_b32_e32 v6, 0
	v_lshlrev_b64 v[5:6], 1, v[5:6]
	v_add_u32_e32 v10, 0x100, v10
	v_add_co_u32_e32 v5, vcc, v0, v5
	v_addc_co_u32_e32 v6, vcc, v1, v6, vcc
	flat_store_short v[5:6], v19
	s_or_b64 exec, exec, s[4:5]
	v_cmp_lt_i32_e32 vcc, v10, v4
	s_and_saveexec_b64 s[4:5], vcc
	s_cbranch_execz .LBB20_204
.LBB20_237:
	v_add_u32_e32 v5, s20, v10
	s_waitcnt vmcnt(0) lgkmcnt(0)
	v_mov_b32_e32 v6, 0
	v_lshlrev_b64 v[5:6], 1, v[5:6]
	v_add_u32_e32 v10, 0x100, v10
	v_add_co_u32_e32 v5, vcc, v0, v5
	v_addc_co_u32_e32 v6, vcc, v1, v6, vcc
	flat_store_short v[5:6], v20
	s_or_b64 exec, exec, s[4:5]
	v_cmp_lt_i32_e32 vcc, v10, v4
	s_and_saveexec_b64 s[4:5], vcc
	s_cbranch_execz .LBB20_205
.LBB20_238:
	v_add_u32_e32 v5, s20, v10
	s_waitcnt vmcnt(0) lgkmcnt(0)
	v_mov_b32_e32 v6, 0
	v_lshlrev_b64 v[5:6], 1, v[5:6]
	v_add_u32_e32 v10, 0x100, v10
	v_add_co_u32_e32 v5, vcc, v0, v5
	v_addc_co_u32_e32 v6, vcc, v1, v6, vcc
	flat_store_short v[5:6], v18
	s_or_b64 exec, exec, s[4:5]
	v_cmp_lt_i32_e32 vcc, v10, v4
	s_and_saveexec_b64 s[4:5], vcc
	s_cbranch_execz .LBB20_206
.LBB20_239:
	v_add_u32_e32 v5, s20, v10
	s_waitcnt vmcnt(0) lgkmcnt(0)
	v_mov_b32_e32 v6, 0
	v_lshlrev_b64 v[5:6], 1, v[5:6]
	v_add_u32_e32 v10, 0x100, v10
	v_add_co_u32_e32 v5, vcc, v0, v5
	v_addc_co_u32_e32 v6, vcc, v1, v6, vcc
	flat_store_short v[5:6], v16
	s_or_b64 exec, exec, s[4:5]
	v_cmp_lt_i32_e32 vcc, v10, v4
	s_and_saveexec_b64 s[4:5], vcc
	s_cbranch_execz .LBB20_207
.LBB20_240:
	v_add_u32_e32 v3, s20, v10
	v_mov_b32_e32 v4, 0
	v_lshlrev_b64 v[3:4], 1, v[3:4]
	v_add_co_u32_e32 v0, vcc, v0, v3
	v_addc_co_u32_e32 v1, vcc, v1, v4, vcc
	flat_store_short v[0:1], v2
	s_or_b64 exec, exec, s[4:5]
	s_waitcnt vmcnt(0) lgkmcnt(0)
	s_setpc_b64 s[30:31]
.Lfunc_end20:
	.size	_ZN2at6native25elementwise_kernel_helperILb0EZZZNS0_19digamma_kernel_cudaERNS_18TensorIteratorBaseEENKUlvE_clEvENKUlvE1_clEvEUlN3c104HalfEE_NS0_6memory8policies11unroll_baseILi256ESt5arrayIPcLm2EE23TrivialOffsetCalculatorILi1EjESG_NS9_15LoadWithoutCastENS9_16StoreWithoutCastELi8ELi1EEEEEvT0_T1_, .Lfunc_end20-_ZN2at6native25elementwise_kernel_helperILb0EZZZNS0_19digamma_kernel_cudaERNS_18TensorIteratorBaseEENKUlvE_clEvENKUlvE1_clEvEUlN3c104HalfEE_NS0_6memory8policies11unroll_baseILi256ESt5arrayIPcLm2EE23TrivialOffsetCalculatorILi1EjESG_NS9_15LoadWithoutCastENS9_16StoreWithoutCastELi8ELi1EEEEEvT0_T1_
                                        ; -- End function
	.set .L_ZN2at6native25elementwise_kernel_helperILb0EZZZNS0_19digamma_kernel_cudaERNS_18TensorIteratorBaseEENKUlvE_clEvENKUlvE1_clEvEUlN3c104HalfEE_NS0_6memory8policies11unroll_baseILi256ESt5arrayIPcLm2EE23TrivialOffsetCalculatorILi1EjESG_NS9_15LoadWithoutCastENS9_16StoreWithoutCastELi8ELi1EEEEEvT0_T1_.num_vgpr, 66
	.set .L_ZN2at6native25elementwise_kernel_helperILb0EZZZNS0_19digamma_kernel_cudaERNS_18TensorIteratorBaseEENKUlvE_clEvENKUlvE1_clEvEUlN3c104HalfEE_NS0_6memory8policies11unroll_baseILi256ESt5arrayIPcLm2EE23TrivialOffsetCalculatorILi1EjESG_NS9_15LoadWithoutCastENS9_16StoreWithoutCastELi8ELi1EEEEEvT0_T1_.num_agpr, 0
	.set .L_ZN2at6native25elementwise_kernel_helperILb0EZZZNS0_19digamma_kernel_cudaERNS_18TensorIteratorBaseEENKUlvE_clEvENKUlvE1_clEvEUlN3c104HalfEE_NS0_6memory8policies11unroll_baseILi256ESt5arrayIPcLm2EE23TrivialOffsetCalculatorILi1EjESG_NS9_15LoadWithoutCastENS9_16StoreWithoutCastELi8ELi1EEEEEvT0_T1_.numbered_sgpr, 32
	.set .L_ZN2at6native25elementwise_kernel_helperILb0EZZZNS0_19digamma_kernel_cudaERNS_18TensorIteratorBaseEENKUlvE_clEvENKUlvE1_clEvEUlN3c104HalfEE_NS0_6memory8policies11unroll_baseILi256ESt5arrayIPcLm2EE23TrivialOffsetCalculatorILi1EjESG_NS9_15LoadWithoutCastENS9_16StoreWithoutCastELi8ELi1EEEEEvT0_T1_.num_named_barrier, 0
	.set .L_ZN2at6native25elementwise_kernel_helperILb0EZZZNS0_19digamma_kernel_cudaERNS_18TensorIteratorBaseEENKUlvE_clEvENKUlvE1_clEvEUlN3c104HalfEE_NS0_6memory8policies11unroll_baseILi256ESt5arrayIPcLm2EE23TrivialOffsetCalculatorILi1EjESG_NS9_15LoadWithoutCastENS9_16StoreWithoutCastELi8ELi1EEEEEvT0_T1_.private_seg_size, 0
	.set .L_ZN2at6native25elementwise_kernel_helperILb0EZZZNS0_19digamma_kernel_cudaERNS_18TensorIteratorBaseEENKUlvE_clEvENKUlvE1_clEvEUlN3c104HalfEE_NS0_6memory8policies11unroll_baseILi256ESt5arrayIPcLm2EE23TrivialOffsetCalculatorILi1EjESG_NS9_15LoadWithoutCastENS9_16StoreWithoutCastELi8ELi1EEEEEvT0_T1_.uses_vcc, 1
	.set .L_ZN2at6native25elementwise_kernel_helperILb0EZZZNS0_19digamma_kernel_cudaERNS_18TensorIteratorBaseEENKUlvE_clEvENKUlvE1_clEvEUlN3c104HalfEE_NS0_6memory8policies11unroll_baseILi256ESt5arrayIPcLm2EE23TrivialOffsetCalculatorILi1EjESG_NS9_15LoadWithoutCastENS9_16StoreWithoutCastELi8ELi1EEEEEvT0_T1_.uses_flat_scratch, 0
	.set .L_ZN2at6native25elementwise_kernel_helperILb0EZZZNS0_19digamma_kernel_cudaERNS_18TensorIteratorBaseEENKUlvE_clEvENKUlvE1_clEvEUlN3c104HalfEE_NS0_6memory8policies11unroll_baseILi256ESt5arrayIPcLm2EE23TrivialOffsetCalculatorILi1EjESG_NS9_15LoadWithoutCastENS9_16StoreWithoutCastELi8ELi1EEEEEvT0_T1_.has_dyn_sized_stack, 0
	.set .L_ZN2at6native25elementwise_kernel_helperILb0EZZZNS0_19digamma_kernel_cudaERNS_18TensorIteratorBaseEENKUlvE_clEvENKUlvE1_clEvEUlN3c104HalfEE_NS0_6memory8policies11unroll_baseILi256ESt5arrayIPcLm2EE23TrivialOffsetCalculatorILi1EjESG_NS9_15LoadWithoutCastENS9_16StoreWithoutCastELi8ELi1EEEEEvT0_T1_.has_recursion, 0
	.set .L_ZN2at6native25elementwise_kernel_helperILb0EZZZNS0_19digamma_kernel_cudaERNS_18TensorIteratorBaseEENKUlvE_clEvENKUlvE1_clEvEUlN3c104HalfEE_NS0_6memory8policies11unroll_baseILi256ESt5arrayIPcLm2EE23TrivialOffsetCalculatorILi1EjESG_NS9_15LoadWithoutCastENS9_16StoreWithoutCastELi8ELi1EEEEEvT0_T1_.has_indirect_call, 0
	.section	.AMDGPU.csdata,"",@progbits
; Function info:
; codeLenInByte = 20640
; TotalNumSgprs: 36
; NumVgprs: 66
; ScratchSize: 0
; MemoryBound: 0
	.text
	.p2align	2                               ; -- Begin function _ZN2at6native25elementwise_kernel_helperILb0EZZZNS0_19digamma_kernel_cudaERNS_18TensorIteratorBaseEENKUlvE_clEvENKUlvE1_clEvEUlN3c104HalfEE_NS0_6memory8policies10vectorizedILi8ESt5arrayIPcLm2EELi8EEEEEvT0_T1_
	.type	_ZN2at6native25elementwise_kernel_helperILb0EZZZNS0_19digamma_kernel_cudaERNS_18TensorIteratorBaseEENKUlvE_clEvENKUlvE1_clEvEUlN3c104HalfEE_NS0_6memory8policies10vectorizedILi8ESt5arrayIPcLm2EELi8EEEEEvT0_T1_,@function
_ZN2at6native25elementwise_kernel_helperILb0EZZZNS0_19digamma_kernel_cudaERNS_18TensorIteratorBaseEENKUlvE_clEvENKUlvE1_clEvEUlN3c104HalfEE_NS0_6memory8policies10vectorizedILi8ESt5arrayIPcLm2EELi8EEEEEvT0_T1_: ; @_ZN2at6native25elementwise_kernel_helperILb0EZZZNS0_19digamma_kernel_cudaERNS_18TensorIteratorBaseEENKUlvE_clEvENKUlvE1_clEvEUlN3c104HalfEE_NS0_6memory8policies10vectorizedILi8ESt5arrayIPcLm2EELi8EEEEEvT0_T1_
; %bb.0:
	s_waitcnt vmcnt(0) expcnt(0) lgkmcnt(0)
	s_lshl_b32 s4, s12, 11
	s_ashr_i32 s5, s4, 31
	s_lshl_b64 s[6:7], s[4:5], 1
	v_mov_b32_e32 v4, s7
	v_add_co_u32_e32 v2, vcc, s6, v2
	v_addc_co_u32_e32 v3, vcc, v3, v4, vcc
	v_and_b32_e32 v4, 0x3ff, v31
	v_lshlrev_b32_e32 v12, 4, v4
	v_add_co_u32_e32 v2, vcc, v2, v12
	v_addc_co_u32_e32 v3, vcc, 0, v3, vcc
	flat_load_dwordx4 v[2:5], v[2:3]
	v_mov_b32_e32 v6, 0
                                        ; implicit-def: $vgpr13
	s_waitcnt vmcnt(0) lgkmcnt(0)
	v_cvt_f32_f16_e32 v14, v2
	v_cmp_neq_f16_e32 vcc, 0, v2
	s_and_saveexec_b64 s[4:5], vcc
	s_xor_b64 s[8:9], exec, s[4:5]
	s_cbranch_execz .LBB21_22
; %bb.1:
	v_cmp_gt_f16_e32 vcc, 0, v2
	s_mov_b64 s[4:5], -1
	s_and_saveexec_b64 s[10:11], vcc
	s_cbranch_execz .LBB21_9
; %bb.2:
	v_trunc_f32_e32 v6, v14
	v_cmp_neq_f32_e32 vcc, v6, v14
	s_mov_b64 s[14:15], 0
	v_mov_b32_e32 v6, 0
	s_and_saveexec_b64 s[12:13], vcc
	s_cbranch_execz .LBB21_8
; %bb.3:
	v_cvt_f32_f16_e32 v6, v2
	s_mov_b32 s4, 0
	s_mov_b32 s15, 0xc00921fb
	;; [unrolled: 1-line block ×3, first 2 shown]
	v_cvt_f64_f32_e32 v[6:7], v6
	s_mov_b32 s5, 0x7ff00000
	v_bfrev_b32_e32 v10, 1
	s_mov_b32 s16, 0
	v_trunc_f64_e32 v[8:9], v[6:7]
	v_cmp_neq_f64_e64 vcc, |v[6:7]|, s[4:5]
	s_mov_b32 s17, 0x41d00000
                                        ; implicit-def: $vgpr13
	v_add_f64 v[8:9], v[6:7], -v[8:9]
	v_mul_f64 v[8:9], |v[8:9]|, s[14:15]
	v_cndmask_b32_e32 v7, v10, v9, vcc
	v_cndmask_b32_e32 v6, 0, v8, vcc
	v_cmp_nlt_f64_e64 s[16:17], |v[6:7]|, s[16:17]
                                        ; implicit-def: $vgpr8_vgpr9
                                        ; implicit-def: $vgpr10_vgpr11
	s_and_saveexec_b64 s[18:19], s[16:17]
	s_xor_b64 s[16:17], exec, s[18:19]
	s_cbranch_execz .LBB21_5
; %bb.4:
	v_trig_preop_f64 v[8:9], |v[6:7]|, 0
	s_mov_b32 s18, 0
	s_mov_b32 s19, 0x7b000000
	s_movk_i32 s15, 0xff80
	v_ldexp_f64 v[15:16], |v[6:7]|, s15
	v_cmp_ge_f64_e64 vcc, |v[6:7]|, s[18:19]
	v_trig_preop_f64 v[10:11], |v[6:7]|, 1
	v_and_b32_e32 v13, 0x7fffffff, v7
	v_trig_preop_f64 v[21:22], |v[6:7]|, 2
	s_mov_b32 s15, 0x3ff921fb
	v_cndmask_b32_e32 v16, v13, v16, vcc
	v_cndmask_b32_e32 v15, v6, v15, vcc
	v_mov_b32_e32 v13, 0x40100000
	v_mul_f64 v[17:18], v[8:9], v[15:16]
	v_mul_f64 v[19:20], v[10:11], v[15:16]
	v_mul_f64 v[27:28], v[21:22], v[15:16]
	v_fma_f64 v[8:9], v[8:9], v[15:16], -v[17:18]
	v_fma_f64 v[10:11], v[10:11], v[15:16], -v[19:20]
	;; [unrolled: 1-line block ×3, first 2 shown]
	v_add_f64 v[23:24], v[19:20], v[8:9]
	v_add_f64 v[25:26], v[23:24], -v[19:20]
	v_add_f64 v[21:22], v[17:18], v[23:24]
	v_add_f64 v[8:9], v[8:9], -v[25:26]
	v_add_f64 v[25:26], v[23:24], -v[25:26]
	;; [unrolled: 1-line block ×3, first 2 shown]
	v_ldexp_f64 v[21:22], v[21:22], -2
	v_add_f64 v[19:20], v[19:20], -v[25:26]
	v_add_f64 v[25:26], v[27:28], v[10:11]
	v_add_f64 v[17:18], v[23:24], -v[17:18]
	v_fract_f64_e32 v[23:24], v[21:22]
	v_cmp_neq_f64_e64 vcc, |v[21:22]|, s[4:5]
	v_add_f64 v[8:9], v[8:9], v[19:20]
	v_add_f64 v[19:20], v[25:26], -v[27:28]
	v_ldexp_f64 v[23:24], v[23:24], 2
	v_add_f64 v[10:11], v[10:11], -v[19:20]
	v_add_f64 v[19:20], v[25:26], -v[19:20]
	;; [unrolled: 1-line block ×3, first 2 shown]
	v_add_f64 v[27:28], v[25:26], v[8:9]
	v_add_f64 v[10:11], v[10:11], v[19:20]
	v_add_f64 v[21:22], v[27:28], -v[25:26]
	v_cndmask_b32_e32 v20, 0, v24, vcc
	v_cndmask_b32_e32 v19, 0, v23, vcc
	v_add_f64 v[23:24], v[17:18], v[27:28]
	v_add_f64 v[8:9], v[8:9], -v[21:22]
	v_add_f64 v[21:22], v[27:28], -v[21:22]
	;; [unrolled: 1-line block ×4, first 2 shown]
	v_add_f64 v[25:26], v[23:24], v[19:20]
	v_add_f64 v[17:18], v[27:28], -v[17:18]
	v_add_f64 v[8:9], v[8:9], v[21:22]
	v_cmp_gt_f64_e32 vcc, 0, v[25:26]
	v_mov_b32_e32 v25, 0
	v_add_f64 v[8:9], v[10:11], v[8:9]
	v_cndmask_b32_e32 v26, 0, v13, vcc
	v_add_f64 v[19:20], v[19:20], v[25:26]
	v_add_f64 v[8:9], v[15:16], v[8:9]
	;; [unrolled: 1-line block ×4, first 2 shown]
	v_mov_b32_e32 v17, 0x3ff00000
	v_cvt_i32_f64_e32 v13, v[21:22]
	v_cvt_f64_i32_e32 v[21:22], v13
	v_add_f64 v[19:20], v[19:20], -v[21:22]
	v_add_f64 v[10:11], v[23:24], v[19:20]
	v_add_f64 v[15:16], v[10:11], -v[19:20]
	v_cmp_le_f64_e32 vcc, 0.5, v[10:11]
	v_add_f64 v[15:16], v[23:24], -v[15:16]
	v_cndmask_b32_e32 v26, 0, v17, vcc
	v_add_f64 v[10:11], v[10:11], -v[25:26]
	v_addc_co_u32_e64 v13, s[4:5], 0, v13, vcc
	s_mov_b32 s4, 0x33145c07
	s_mov_b32 s5, 0x3c91a626
	v_add_f64 v[8:9], v[8:9], v[15:16]
	v_add_f64 v[15:16], v[10:11], v[8:9]
	v_mul_f64 v[17:18], v[15:16], s[14:15]
	v_add_f64 v[10:11], v[15:16], -v[10:11]
	v_fma_f64 v[19:20], v[15:16], s[14:15], -v[17:18]
	v_add_f64 v[8:9], v[8:9], -v[10:11]
	v_fma_f64 v[10:11], v[15:16], s[4:5], v[19:20]
	v_fma_f64 v[10:11], v[8:9], s[14:15], v[10:11]
	v_add_f64 v[8:9], v[17:18], v[10:11]
	v_add_f64 v[15:16], v[8:9], -v[17:18]
	v_add_f64 v[10:11], v[10:11], -v[15:16]
.LBB21_5:
	s_andn2_saveexec_b64 s[4:5], s[16:17]
	s_cbranch_execz .LBB21_7
; %bb.6:
	s_mov_b32 s14, 0x6dc9c883
	s_mov_b32 s15, 0x3fe45f30
	v_mul_f64 v[8:9], |v[6:7]|, s[14:15]
	s_mov_b32 s14, 0x54442d18
	s_mov_b32 s15, 0xbff921fb
	;; [unrolled: 1-line block ×4, first 2 shown]
	v_rndne_f64_e32 v[15:16], v[8:9]
	v_fma_f64 v[8:9], v[15:16], s[14:15], |v[6:7]|
	v_mul_f64 v[10:11], v[15:16], s[16:17]
	s_mov_b32 s14, 0x252049c0
	s_mov_b32 s15, 0xb97b839a
	v_cvt_i32_f64_e32 v13, v[15:16]
	v_fma_f64 v[21:22], v[15:16], s[16:17], v[8:9]
	v_add_f64 v[17:18], v[8:9], v[10:11]
	s_mov_b32 s17, 0x3c91a626
	v_add_f64 v[19:20], v[8:9], -v[17:18]
	v_add_f64 v[17:18], v[17:18], -v[21:22]
	v_add_f64 v[8:9], v[19:20], v[10:11]
	v_fma_f64 v[10:11], v[15:16], s[16:17], v[10:11]
	v_add_f64 v[8:9], v[17:18], v[8:9]
	v_add_f64 v[8:9], v[8:9], -v[10:11]
	v_fma_f64 v[10:11], v[15:16], s[14:15], v[8:9]
	v_add_f64 v[8:9], v[21:22], v[10:11]
	v_add_f64 v[17:18], v[8:9], -v[21:22]
	v_add_f64 v[10:11], v[10:11], -v[17:18]
.LBB21_7:
	s_or_b64 exec, exec, s[4:5]
	v_mul_f64 v[15:16], v[8:9], v[8:9]
	v_add_f64 v[17:18], v[10:11], v[10:11]
	s_mov_b32 s4, 0xc751c08c
	s_mov_b32 s5, 0x3ef5e089
	v_and_b32_e32 v13, 1, v13
	v_cmp_eq_u32_e32 vcc, 0, v13
	s_mov_b32 s16, 0x54442d18
	s_mov_b32 s17, 0xc00921fb
	v_fma_f64 v[19:20], v[8:9], v[8:9], -v[15:16]
	s_mov_b64 s[14:15], exec
	v_sub_f32_e32 v14, 1.0, v14
	v_fma_f64 v[17:18], v[8:9], v[17:18], v[19:20]
	v_add_f64 v[15:16], v[15:16], v[17:18]
	v_mov_b32_e32 v17, 0xa9a29f71
	v_mov_b32_e32 v18, 0xbf078809
	v_fma_f64 v[17:18], v[15:16], s[4:5], v[17:18]
	s_mov_b32 s4, 0x90a8aae0
	s_mov_b32 s5, 0x3f17746f
	v_fma_f64 v[17:18], v[15:16], v[17:18], s[4:5]
	s_mov_b32 s4, 0xa6fbf144
	s_mov_b32 s5, 0xbefbb44d
	;; [unrolled: 3-line block ×12, first 2 shown]
	v_fma_f64 v[17:18], v[15:16], v[17:18], s[4:5]
	s_movk_i32 s4, 0x1f8
	v_cmp_class_f64_e64 s[4:5], v[6:7], s4
	v_mul_f64 v[15:16], v[15:16], v[17:18]
	v_mul_f64 v[17:18], v[8:9], v[15:16]
	v_add_f64 v[19:20], v[8:9], v[17:18]
	v_fma_f64 v[15:16], v[8:9], v[15:16], -v[17:18]
	v_add_f64 v[8:9], v[19:20], -v[8:9]
	v_add_f64 v[10:11], v[10:11], v[15:16]
	v_add_f64 v[8:9], v[17:18], -v[8:9]
	v_add_f64 v[8:9], v[10:11], v[8:9]
	v_add_f64 v[10:11], v[19:20], v[8:9]
	v_rcp_f64_e32 v[15:16], v[10:11]
	v_fma_f64 v[17:18], -v[10:11], v[15:16], 1.0
	v_fma_f64 v[15:16], v[17:18], v[15:16], v[15:16]
	v_fma_f64 v[17:18], -v[10:11], v[15:16], 1.0
	v_fma_f64 v[15:16], v[17:18], v[15:16], v[15:16]
	v_add_f64 v[17:18], v[10:11], -v[19:20]
	v_mul_f64 v[19:20], v[10:11], v[15:16]
	v_add_f64 v[8:9], v[8:9], -v[17:18]
	v_fma_f64 v[17:18], v[15:16], v[10:11], -v[19:20]
	v_fma_f64 v[8:9], v[15:16], v[8:9], v[17:18]
	v_add_f64 v[17:18], v[19:20], v[8:9]
	v_add_f64 v[21:22], -v[17:18], 1.0
	v_add_f64 v[19:20], v[17:18], -v[19:20]
	v_add_f64 v[23:24], -v[21:22], 1.0
	v_add_f64 v[8:9], v[19:20], -v[8:9]
	v_add_f64 v[17:18], v[23:24], -v[17:18]
	v_add_f64 v[8:9], v[8:9], v[17:18]
	v_add_f64 v[8:9], v[21:22], v[8:9]
	v_mul_f64 v[8:9], v[15:16], v[8:9]
	v_add_f64 v[8:9], v[15:16], v[8:9]
	v_and_b32_e32 v15, 0x80000000, v7
	v_mov_b32_e32 v7, 0x7ff80000
	v_xor_b32_e32 v6, 0x80000000, v9
	v_cndmask_b32_e32 v8, v8, v10, vcc
	v_cndmask_b32_e32 v9, v6, v11, vcc
	v_cndmask_b32_e64 v6, 0, v8, s[4:5]
	v_xor_b32_e32 v8, v9, v15
	v_cndmask_b32_e64 v7, v7, v8, s[4:5]
	v_div_scale_f64 v[8:9], s[4:5], v[6:7], v[6:7], s[16:17]
	v_div_scale_f64 v[17:18], vcc, s[16:17], v[6:7], s[16:17]
	v_rcp_f64_e32 v[10:11], v[8:9]
	v_fma_f64 v[15:16], -v[8:9], v[10:11], 1.0
	v_fma_f64 v[10:11], v[10:11], v[15:16], v[10:11]
	v_fma_f64 v[15:16], -v[8:9], v[10:11], 1.0
	v_fma_f64 v[10:11], v[10:11], v[15:16], v[10:11]
	v_mul_f64 v[15:16], v[17:18], v[10:11]
	v_fma_f64 v[8:9], -v[8:9], v[15:16], v[17:18]
	v_div_fmas_f64 v[8:9], v[8:9], v[10:11], v[15:16]
	v_div_fixup_f64 v[6:7], v[8:9], v[6:7], s[16:17]
	v_cvt_f32_f64_e32 v6, v[6:7]
.LBB21_8:
	s_or_b64 exec, exec, s[12:13]
	s_orn2_b64 s[4:5], s[14:15], exec
.LBB21_9:
	s_or_b64 exec, exec, s[10:11]
	v_mov_b32_e32 v13, 0x7e00
	s_and_saveexec_b64 s[10:11], s[4:5]
	s_cbranch_execz .LBB21_21
; %bb.10:
	s_mov_b32 s14, 0x41200000
	v_cmp_gt_f32_e32 vcc, s14, v14
	s_and_saveexec_b64 s[4:5], vcc
	s_cbranch_execz .LBB21_14
; %bb.11:
	s_mov_b64 s[12:13], 0
.LBB21_12:                              ; =>This Inner Loop Header: Depth=1
	v_div_scale_f32 v7, s[16:17], v14, v14, 1.0
	v_div_scale_f32 v8, vcc, 1.0, v14, 1.0
	v_rcp_f32_e32 v9, v7
	v_fma_f32 v10, -v7, v9, 1.0
	v_fmac_f32_e32 v9, v10, v9
	v_mul_f32_e32 v10, v8, v9
	v_fma_f32 v11, -v7, v10, v8
	v_fmac_f32_e32 v10, v11, v9
	v_fma_f32 v7, -v7, v10, v8
	v_div_fmas_f32 v7, v7, v9, v10
	v_div_fixup_f32 v7, v7, v14, 1.0
	v_add_f32_e32 v14, 1.0, v14
	v_cmp_ngt_f32_e32 vcc, s14, v14
	s_or_b64 s[12:13], vcc, s[12:13]
	v_sub_f32_e32 v6, v6, v7
	s_andn2_b64 exec, exec, s[12:13]
	s_cbranch_execnz .LBB21_12
; %bb.13:
	s_or_b64 exec, exec, s[12:13]
.LBB21_14:
	s_or_b64 exec, exec, s[4:5]
	s_mov_b32 s4, 0x41200000
	v_cmp_neq_f32_e32 vcc, s4, v14
                                        ; implicit-def: $vgpr13
	s_and_saveexec_b64 s[4:5], vcc
	s_xor_b64 s[12:13], exec, s[4:5]
	s_cbranch_execz .LBB21_18
; %bb.15:
	v_cvt_f64_f32_e32 v[7:8], v14
	s_mov_b32 s4, 0x85d8a000
	s_mov_b32 s5, 0x43763457
	v_cmp_gt_f64_e32 vcc, s[4:5], v[7:8]
	v_mov_b32_e32 v7, 0
	s_and_saveexec_b64 s[4:5], vcc
	s_cbranch_execz .LBB21_17
; %bb.16:
	v_mul_f32_e32 v7, v14, v14
	v_div_scale_f32 v8, s[14:15], v7, v7, 1.0
	v_div_scale_f32 v9, vcc, 1.0, v7, 1.0
	v_mov_b32_e32 v15, 0x3b820821
	v_rcp_f32_e32 v10, v8
	v_fma_f32 v11, -v8, v10, 1.0
	v_fmac_f32_e32 v10, v11, v10
	v_mul_f32_e32 v11, v9, v10
	v_fma_f32 v13, -v8, v11, v9
	v_fmac_f32_e32 v11, v13, v10
	v_fma_f32 v8, -v8, v11, v9
	v_div_fmas_f32 v8, v8, v10, v11
	v_mov_b32_e32 v9, 0x3daaaaab
	v_mov_b32_e32 v10, 0xbcaccacd
	;; [unrolled: 1-line block ×4, first 2 shown]
	v_div_fixup_f32 v7, v8, v7, 1.0
	v_fma_f32 v8, 0, v7, v9
	v_fmac_f32_e32 v10, v7, v8
	v_fmac_f32_e32 v11, v7, v10
	;; [unrolled: 1-line block ×4, first 2 shown]
	v_mov_b32_e32 v8, 0xbc088889
	v_fmac_f32_e32 v8, v7, v15
	v_fmac_f32_e32 v9, v7, v8
	v_mul_f32_e32 v7, v7, v9
.LBB21_17:
	s_or_b64 exec, exec, s[4:5]
	v_div_scale_f32 v8, s[4:5], v14, v14, -0.5
	v_div_scale_f32 v9, vcc, -0.5, v14, -0.5
	s_mov_b32 s4, 0x800000
	v_cmp_gt_f32_e64 s[4:5], s4, v14
	v_cndmask_b32_e64 v11, 0, 32, s[4:5]
	s_mov_b32 s14, 0x3f317217
	v_rcp_f32_e32 v10, v8
	v_fma_f32 v13, -v8, v10, 1.0
	v_fmac_f32_e32 v10, v13, v10
	v_mul_f32_e32 v13, v9, v10
	v_fma_f32 v15, -v8, v13, v9
	v_fmac_f32_e32 v13, v15, v10
	v_fma_f32 v8, -v8, v13, v9
	v_div_fmas_f32 v8, v8, v10, v13
	v_ldexp_f32 v9, v14, v11
	v_log_f32_e32 v9, v9
	v_mul_f32_e32 v10, 0x3f317217, v9
	v_fma_f32 v10, v9, s14, -v10
	v_fmac_f32_e32 v10, 0x3377d1cf, v9
	s_mov_b32 s14, 0x7f800000
	v_fmac_f32_e32 v10, 0x3f317217, v9
	v_cmp_lt_f32_e64 vcc, |v9|, s14
	v_cndmask_b32_e32 v9, v9, v10, vcc
	v_mov_b32_e32 v10, 0x41b17218
	v_cndmask_b32_e64 v10, 0, v10, s[4:5]
	v_sub_f32_e32 v9, v9, v10
	v_div_fixup_f32 v8, v8, v14, -0.5
	v_add_f32_e32 v8, v9, v8
	v_sub_f32_e32 v7, v8, v7
	v_add_f32_e32 v6, v6, v7
	v_cvt_f16_f32_e32 v13, v6
                                        ; implicit-def: $vgpr6
.LBB21_18:
	s_andn2_saveexec_b64 s[4:5], s[12:13]
; %bb.19:
	v_add_f32_e32 v6, 0x40101cb7, v6
	v_cvt_f16_f32_e32 v13, v6
; %bb.20:
	s_or_b64 exec, exec, s[4:5]
.LBB21_21:
	s_or_b64 exec, exec, s[10:11]
                                        ; implicit-def: $vgpr14
.LBB21_22:
	s_andn2_saveexec_b64 s[4:5], s[8:9]
; %bb.23:
	v_xor_b32_e32 v6, 0x80000000, v14
	v_lshrrev_b32_e32 v6, 16, v6
	s_movk_i32 s8, 0x7fff
	v_mov_b32_e32 v7, 0x7c00
	v_bfi_b32 v13, s8, v7, v6
; %bb.24:
	s_or_b64 exec, exec, s[4:5]
	v_cvt_f32_f16_sdwa v15, v2 dst_sel:DWORD dst_unused:UNUSED_PAD src0_sel:WORD_1
	v_mov_b32_e32 v6, 0
	v_cmp_neq_f16_sdwa s[4:5], v2, v6 src0_sel:WORD_1 src1_sel:DWORD
                                        ; implicit-def: $vgpr14
	s_and_saveexec_b64 s[8:9], s[4:5]
	s_xor_b64 s[8:9], exec, s[8:9]
	s_cbranch_execz .LBB21_46
; %bb.25:
	v_cmp_lt_f16_sdwa s[12:13], v2, v6 src0_sel:WORD_1 src1_sel:DWORD
	s_mov_b64 s[4:5], -1
	s_and_saveexec_b64 s[10:11], s[12:13]
	s_cbranch_execz .LBB21_33
; %bb.26:
	v_trunc_f32_e32 v6, v15
	v_cmp_neq_f32_e32 vcc, v6, v15
	s_mov_b64 s[14:15], 0
	v_mov_b32_e32 v6, 0
	s_and_saveexec_b64 s[12:13], vcc
	s_cbranch_execz .LBB21_32
; %bb.27:
	v_cvt_f32_f16_sdwa v2, v2 dst_sel:DWORD dst_unused:UNUSED_PAD src0_sel:WORD_1
	s_mov_b32 s4, 0
	s_mov_b32 s15, 0xc00921fb
	;; [unrolled: 1-line block ×3, first 2 shown]
	v_cvt_f64_f32_e32 v[6:7], v2
	s_mov_b32 s5, 0x7ff00000
	v_bfrev_b32_e32 v2, 1
	s_mov_b32 s16, 0
	v_trunc_f64_e32 v[8:9], v[6:7]
	v_cmp_neq_f64_e64 vcc, |v[6:7]|, s[4:5]
	s_mov_b32 s17, 0x41d00000
                                        ; implicit-def: $vgpr10_vgpr11
	v_add_f64 v[8:9], v[6:7], -v[8:9]
	v_mul_f64 v[8:9], |v[8:9]|, s[14:15]
	v_cndmask_b32_e32 v7, v2, v9, vcc
	v_cndmask_b32_e32 v6, 0, v8, vcc
	v_cmp_nlt_f64_e64 s[16:17], |v[6:7]|, s[16:17]
                                        ; implicit-def: $vgpr2
                                        ; implicit-def: $vgpr8_vgpr9
	s_and_saveexec_b64 s[18:19], s[16:17]
	s_xor_b64 s[16:17], exec, s[18:19]
	s_cbranch_execz .LBB21_29
; %bb.28:
	v_trig_preop_f64 v[8:9], |v[6:7]|, 0
	s_mov_b32 s18, 0
	s_mov_b32 s19, 0x7b000000
	s_movk_i32 s15, 0xff80
	v_cmp_ge_f64_e64 vcc, |v[6:7]|, s[18:19]
	v_ldexp_f64 v[16:17], |v[6:7]|, s15
	v_trig_preop_f64 v[10:11], |v[6:7]|, 1
	v_and_b32_e32 v2, 0x7fffffff, v7
	s_mov_b32 s15, 0x3ff921fb
	v_cndmask_b32_e32 v17, v2, v17, vcc
	v_cndmask_b32_e32 v16, v6, v16, vcc
	v_mov_b32_e32 v2, 0x40100000
	v_mul_f64 v[20:21], v[8:9], v[16:17]
	v_mul_f64 v[18:19], v[10:11], v[16:17]
	v_fma_f64 v[8:9], v[8:9], v[16:17], -v[20:21]
	v_fma_f64 v[10:11], v[10:11], v[16:17], -v[18:19]
	v_add_f64 v[22:23], v[18:19], v[8:9]
	v_add_f64 v[30:31], v[22:23], -v[18:19]
	v_add_f64 v[24:25], v[20:21], v[22:23]
	v_add_f64 v[8:9], v[8:9], -v[30:31]
	v_add_f64 v[30:31], v[22:23], -v[30:31]
	v_ldexp_f64 v[26:27], v[24:25], -2
	v_add_f64 v[20:21], v[24:25], -v[20:21]
	v_add_f64 v[30:31], v[18:19], -v[30:31]
	v_trig_preop_f64 v[18:19], |v[6:7]|, 2
	v_fract_f64_e32 v[28:29], v[26:27]
	v_add_f64 v[20:21], v[22:23], -v[20:21]
	v_cmp_neq_f64_e64 vcc, |v[26:27]|, s[4:5]
	v_add_f64 v[8:9], v[8:9], v[30:31]
	v_mul_f64 v[30:31], v[18:19], v[16:17]
	v_add_f64 v[32:33], v[30:31], v[10:11]
	v_add_f64 v[34:35], v[32:33], v[8:9]
	v_add_f64 v[24:25], v[34:35], -v[32:33]
	v_add_f64 v[22:23], v[20:21], v[34:35]
	v_add_f64 v[8:9], v[8:9], -v[24:25]
	v_add_f64 v[24:25], v[34:35], -v[24:25]
	;; [unrolled: 1-line block ×5, first 2 shown]
	v_add_f64 v[8:9], v[8:9], v[24:25]
	v_add_f64 v[24:25], v[32:33], -v[30:31]
	v_add_f64 v[10:11], v[10:11], -v[24:25]
	;; [unrolled: 1-line block ×4, first 2 shown]
	v_add_f64 v[10:11], v[10:11], v[24:25]
	v_add_f64 v[8:9], v[10:11], v[8:9]
	v_fma_f64 v[10:11], v[18:19], v[16:17], -v[30:31]
	v_add_f64 v[8:9], v[10:11], v[8:9]
	v_ldexp_f64 v[10:11], v[28:29], 2
	v_add_f64 v[8:9], v[20:21], v[8:9]
	v_cndmask_b32_e32 v11, 0, v11, vcc
	v_cndmask_b32_e32 v10, 0, v10, vcc
	v_add_f64 v[16:17], v[22:23], v[10:11]
	v_cmp_gt_f64_e32 vcc, 0, v[16:17]
	v_mov_b32_e32 v16, 0
	v_cndmask_b32_e32 v17, 0, v2, vcc
	v_add_f64 v[10:11], v[10:11], v[16:17]
	v_add_f64 v[17:18], v[22:23], v[10:11]
	v_cvt_i32_f64_e32 v2, v[17:18]
	v_cvt_f64_i32_e32 v[17:18], v2
	v_add_f64 v[10:11], v[10:11], -v[17:18]
	v_add_f64 v[18:19], v[22:23], v[10:11]
	v_add_f64 v[10:11], v[18:19], -v[10:11]
	v_cmp_le_f64_e32 vcc, 0.5, v[18:19]
	v_add_f64 v[10:11], v[22:23], -v[10:11]
	v_addc_co_u32_e64 v2, s[4:5], 0, v2, vcc
	s_mov_b32 s4, 0x33145c07
	s_mov_b32 s5, 0x3c91a626
	v_add_f64 v[8:9], v[8:9], v[10:11]
	v_mov_b32_e32 v10, 0x3ff00000
	v_cndmask_b32_e32 v17, 0, v10, vcc
	v_add_f64 v[10:11], v[18:19], -v[16:17]
	v_add_f64 v[16:17], v[10:11], v[8:9]
	v_add_f64 v[10:11], v[16:17], -v[10:11]
	v_add_f64 v[8:9], v[8:9], -v[10:11]
	v_mul_f64 v[10:11], v[16:17], s[14:15]
	v_fma_f64 v[18:19], v[16:17], s[14:15], -v[10:11]
	v_fma_f64 v[16:17], v[16:17], s[4:5], v[18:19]
	v_fma_f64 v[16:17], v[8:9], s[14:15], v[16:17]
	v_add_f64 v[8:9], v[10:11], v[16:17]
	v_add_f64 v[10:11], v[8:9], -v[10:11]
	v_add_f64 v[10:11], v[16:17], -v[10:11]
.LBB21_29:
	s_andn2_saveexec_b64 s[4:5], s[16:17]
	s_cbranch_execz .LBB21_31
; %bb.30:
	s_mov_b32 s14, 0x6dc9c883
	s_mov_b32 s15, 0x3fe45f30
	v_mul_f64 v[8:9], |v[6:7]|, s[14:15]
	s_mov_b32 s14, 0x54442d18
	s_mov_b32 s15, 0xbff921fb
	;; [unrolled: 1-line block ×4, first 2 shown]
	v_rndne_f64_e32 v[16:17], v[8:9]
	v_fma_f64 v[8:9], v[16:17], s[14:15], |v[6:7]|
	v_mul_f64 v[10:11], v[16:17], s[16:17]
	s_mov_b32 s14, 0x252049c0
	s_mov_b32 s15, 0xb97b839a
	v_cvt_i32_f64_e32 v2, v[16:17]
	v_fma_f64 v[22:23], v[16:17], s[16:17], v[8:9]
	v_add_f64 v[18:19], v[8:9], v[10:11]
	s_mov_b32 s17, 0x3c91a626
	v_add_f64 v[20:21], v[8:9], -v[18:19]
	v_add_f64 v[18:19], v[18:19], -v[22:23]
	v_add_f64 v[8:9], v[20:21], v[10:11]
	v_fma_f64 v[10:11], v[16:17], s[16:17], v[10:11]
	v_add_f64 v[8:9], v[18:19], v[8:9]
	v_add_f64 v[8:9], v[8:9], -v[10:11]
	v_fma_f64 v[10:11], v[16:17], s[14:15], v[8:9]
	v_add_f64 v[8:9], v[22:23], v[10:11]
	v_add_f64 v[18:19], v[8:9], -v[22:23]
	v_add_f64 v[10:11], v[10:11], -v[18:19]
.LBB21_31:
	s_or_b64 exec, exec, s[4:5]
	v_mul_f64 v[16:17], v[8:9], v[8:9]
	v_add_f64 v[18:19], v[10:11], v[10:11]
	s_mov_b32 s4, 0xc751c08c
	s_mov_b32 s5, 0x3ef5e089
	v_and_b32_e32 v2, 1, v2
	v_cmp_eq_u32_e32 vcc, 0, v2
	v_and_b32_e32 v14, 0x80000000, v7
	s_mov_b32 s16, 0x54442d18
	v_fma_f64 v[20:21], v[8:9], v[8:9], -v[16:17]
	s_mov_b32 s17, 0xc00921fb
	s_mov_b64 s[14:15], exec
	v_sub_f32_e32 v15, 1.0, v15
	v_fma_f64 v[18:19], v[8:9], v[18:19], v[20:21]
	v_add_f64 v[16:17], v[16:17], v[18:19]
	v_mov_b32_e32 v18, 0xa9a29f71
	v_mov_b32_e32 v19, 0xbf078809
	v_fma_f64 v[18:19], v[16:17], s[4:5], v[18:19]
	s_mov_b32 s4, 0x90a8aae0
	s_mov_b32 s5, 0x3f17746f
	v_fma_f64 v[18:19], v[16:17], v[18:19], s[4:5]
	s_mov_b32 s4, 0xa6fbf144
	s_mov_b32 s5, 0xbefbb44d
	;; [unrolled: 3-line block ×12, first 2 shown]
	v_fma_f64 v[18:19], v[16:17], v[18:19], s[4:5]
	s_movk_i32 s4, 0x1f8
	v_cmp_class_f64_e64 s[4:5], v[6:7], s4
	v_mov_b32_e32 v7, 0x7ff80000
	v_mul_f64 v[16:17], v[16:17], v[18:19]
	v_mul_f64 v[18:19], v[8:9], v[16:17]
	v_add_f64 v[20:21], v[8:9], v[18:19]
	v_fma_f64 v[16:17], v[8:9], v[16:17], -v[18:19]
	v_add_f64 v[8:9], v[20:21], -v[8:9]
	v_add_f64 v[10:11], v[10:11], v[16:17]
	v_add_f64 v[8:9], v[18:19], -v[8:9]
	v_add_f64 v[8:9], v[10:11], v[8:9]
	v_add_f64 v[10:11], v[20:21], v[8:9]
	v_rcp_f64_e32 v[16:17], v[10:11]
	v_fma_f64 v[18:19], -v[10:11], v[16:17], 1.0
	v_fma_f64 v[16:17], v[18:19], v[16:17], v[16:17]
	v_fma_f64 v[18:19], -v[10:11], v[16:17], 1.0
	v_fma_f64 v[16:17], v[18:19], v[16:17], v[16:17]
	v_add_f64 v[18:19], v[10:11], -v[20:21]
	v_mul_f64 v[20:21], v[10:11], v[16:17]
	v_add_f64 v[8:9], v[8:9], -v[18:19]
	v_fma_f64 v[18:19], v[16:17], v[10:11], -v[20:21]
	v_fma_f64 v[8:9], v[16:17], v[8:9], v[18:19]
	v_add_f64 v[18:19], v[20:21], v[8:9]
	v_add_f64 v[22:23], -v[18:19], 1.0
	v_add_f64 v[20:21], v[18:19], -v[20:21]
	v_add_f64 v[24:25], -v[22:23], 1.0
	v_add_f64 v[8:9], v[20:21], -v[8:9]
	v_add_f64 v[18:19], v[24:25], -v[18:19]
	v_add_f64 v[8:9], v[8:9], v[18:19]
	v_add_f64 v[8:9], v[22:23], v[8:9]
	v_mul_f64 v[8:9], v[16:17], v[8:9]
	v_add_f64 v[8:9], v[16:17], v[8:9]
	v_xor_b32_e32 v6, 0x80000000, v9
	v_cndmask_b32_e32 v2, v8, v10, vcc
	v_cndmask_b32_e32 v8, v6, v11, vcc
	v_cndmask_b32_e64 v6, 0, v2, s[4:5]
	v_xor_b32_e32 v2, v8, v14
	v_cndmask_b32_e64 v7, v7, v2, s[4:5]
	v_div_scale_f64 v[8:9], s[4:5], v[6:7], v[6:7], s[16:17]
	v_div_scale_f64 v[18:19], vcc, s[16:17], v[6:7], s[16:17]
	v_rcp_f64_e32 v[10:11], v[8:9]
	v_fma_f64 v[16:17], -v[8:9], v[10:11], 1.0
	v_fma_f64 v[10:11], v[10:11], v[16:17], v[10:11]
	v_fma_f64 v[16:17], -v[8:9], v[10:11], 1.0
	v_fma_f64 v[10:11], v[10:11], v[16:17], v[10:11]
	v_mul_f64 v[16:17], v[18:19], v[10:11]
	v_fma_f64 v[8:9], -v[8:9], v[16:17], v[18:19]
	v_div_fmas_f64 v[8:9], v[8:9], v[10:11], v[16:17]
	v_div_fixup_f64 v[6:7], v[8:9], v[6:7], s[16:17]
	v_cvt_f32_f64_e32 v6, v[6:7]
.LBB21_32:
	s_or_b64 exec, exec, s[12:13]
	s_orn2_b64 s[4:5], s[14:15], exec
.LBB21_33:
	s_or_b64 exec, exec, s[10:11]
	v_mov_b32_e32 v14, 0x7e00
	s_and_saveexec_b64 s[10:11], s[4:5]
	s_cbranch_execz .LBB21_45
; %bb.34:
	s_mov_b32 s14, 0x41200000
	v_cmp_gt_f32_e32 vcc, s14, v15
	s_and_saveexec_b64 s[4:5], vcc
	s_cbranch_execz .LBB21_38
; %bb.35:
	s_mov_b64 s[12:13], 0
.LBB21_36:                              ; =>This Inner Loop Header: Depth=1
	v_div_scale_f32 v2, s[16:17], v15, v15, 1.0
	v_div_scale_f32 v7, vcc, 1.0, v15, 1.0
	v_rcp_f32_e32 v8, v2
	v_fma_f32 v9, -v2, v8, 1.0
	v_fmac_f32_e32 v8, v9, v8
	v_mul_f32_e32 v9, v7, v8
	v_fma_f32 v10, -v2, v9, v7
	v_fmac_f32_e32 v9, v10, v8
	v_fma_f32 v2, -v2, v9, v7
	v_div_fmas_f32 v2, v2, v8, v9
	v_div_fixup_f32 v2, v2, v15, 1.0
	v_add_f32_e32 v15, 1.0, v15
	v_cmp_ngt_f32_e32 vcc, s14, v15
	s_or_b64 s[12:13], vcc, s[12:13]
	v_sub_f32_e32 v6, v6, v2
	s_andn2_b64 exec, exec, s[12:13]
	s_cbranch_execnz .LBB21_36
; %bb.37:
	s_or_b64 exec, exec, s[12:13]
.LBB21_38:
	s_or_b64 exec, exec, s[4:5]
	s_mov_b32 s4, 0x41200000
	v_cmp_neq_f32_e32 vcc, s4, v15
                                        ; implicit-def: $vgpr14
	s_and_saveexec_b64 s[4:5], vcc
	s_xor_b64 s[12:13], exec, s[4:5]
	s_cbranch_execz .LBB21_42
; %bb.39:
	v_cvt_f64_f32_e32 v[7:8], v15
	s_mov_b32 s4, 0x85d8a000
	s_mov_b32 s5, 0x43763457
	v_mov_b32_e32 v2, 0
	v_cmp_gt_f64_e32 vcc, s[4:5], v[7:8]
	s_and_saveexec_b64 s[4:5], vcc
	s_cbranch_execz .LBB21_41
; %bb.40:
	v_mul_f32_e32 v2, v15, v15
	v_div_scale_f32 v7, s[14:15], v2, v2, 1.0
	v_div_scale_f32 v8, vcc, 1.0, v2, 1.0
	v_mov_b32_e32 v14, 0x3b820821
	v_rcp_f32_e32 v9, v7
	v_fma_f32 v10, -v7, v9, 1.0
	v_fmac_f32_e32 v9, v10, v9
	v_mul_f32_e32 v10, v8, v9
	v_fma_f32 v11, -v7, v10, v8
	v_fmac_f32_e32 v10, v11, v9
	v_fma_f32 v7, -v7, v10, v8
	v_div_fmas_f32 v7, v7, v9, v10
	v_mov_b32_e32 v8, 0x3daaaaab
	v_mov_b32_e32 v9, 0xbcaccacd
	;; [unrolled: 1-line block ×4, first 2 shown]
	v_div_fixup_f32 v2, v7, v2, 1.0
	v_fma_f32 v7, 0, v2, v8
	v_fmac_f32_e32 v9, v2, v7
	v_fmac_f32_e32 v10, v2, v9
	;; [unrolled: 1-line block ×4, first 2 shown]
	v_mov_b32_e32 v7, 0xbc088889
	v_fmac_f32_e32 v7, v2, v14
	v_fmac_f32_e32 v8, v2, v7
	v_mul_f32_e32 v2, v2, v8
.LBB21_41:
	s_or_b64 exec, exec, s[4:5]
	v_div_scale_f32 v7, s[4:5], v15, v15, -0.5
	v_div_scale_f32 v8, vcc, -0.5, v15, -0.5
	s_mov_b32 s4, 0x800000
	v_cmp_gt_f32_e64 s[4:5], s4, v15
	v_cndmask_b32_e64 v10, 0, 32, s[4:5]
	s_mov_b32 s14, 0x3f317217
	v_rcp_f32_e32 v9, v7
	v_fma_f32 v11, -v7, v9, 1.0
	v_fmac_f32_e32 v9, v11, v9
	v_mul_f32_e32 v11, v8, v9
	v_fma_f32 v14, -v7, v11, v8
	v_fmac_f32_e32 v11, v14, v9
	v_fma_f32 v7, -v7, v11, v8
	v_div_fmas_f32 v7, v7, v9, v11
	v_ldexp_f32 v8, v15, v10
	v_log_f32_e32 v8, v8
	v_mul_f32_e32 v9, 0x3f317217, v8
	v_fma_f32 v9, v8, s14, -v9
	v_fmac_f32_e32 v9, 0x3377d1cf, v8
	s_mov_b32 s14, 0x7f800000
	v_fmac_f32_e32 v9, 0x3f317217, v8
	v_cmp_lt_f32_e64 vcc, |v8|, s14
	v_cndmask_b32_e32 v8, v8, v9, vcc
	v_mov_b32_e32 v9, 0x41b17218
	v_cndmask_b32_e64 v9, 0, v9, s[4:5]
	v_sub_f32_e32 v8, v8, v9
	v_div_fixup_f32 v7, v7, v15, -0.5
	v_add_f32_e32 v7, v8, v7
	v_sub_f32_e32 v2, v7, v2
	v_add_f32_e32 v2, v6, v2
	v_cvt_f16_f32_e32 v14, v2
                                        ; implicit-def: $vgpr6
.LBB21_42:
	s_andn2_saveexec_b64 s[4:5], s[12:13]
; %bb.43:
	v_add_f32_e32 v2, 0x40101cb7, v6
	v_cvt_f16_f32_e32 v14, v2
; %bb.44:
	s_or_b64 exec, exec, s[4:5]
.LBB21_45:
	s_or_b64 exec, exec, s[10:11]
                                        ; implicit-def: $vgpr15
.LBB21_46:
	s_andn2_saveexec_b64 s[4:5], s[8:9]
; %bb.47:
	v_xor_b32_e32 v2, 0x80000000, v15
	v_lshrrev_b32_e32 v2, 16, v2
	s_movk_i32 s8, 0x7fff
	v_mov_b32_e32 v6, 0x7c00
	v_bfi_b32 v14, s8, v6, v2
; %bb.48:
	s_or_b64 exec, exec, s[4:5]
	v_cvt_f32_f16_e32 v2, v3
	v_cmp_neq_f16_e32 vcc, 0, v3
                                        ; implicit-def: $vgpr10
	s_and_saveexec_b64 s[4:5], vcc
	s_xor_b64 s[8:9], exec, s[4:5]
	s_cbranch_execz .LBB21_70
; %bb.49:
	v_cmp_gt_f16_e32 vcc, 0, v3
	s_mov_b64 s[4:5], -1
	v_mov_b32_e32 v6, 0
	s_and_saveexec_b64 s[10:11], vcc
	s_cbranch_execz .LBB21_57
; %bb.50:
	v_trunc_f32_e32 v6, v2
	v_cmp_neq_f32_e32 vcc, v6, v2
	s_mov_b64 s[14:15], 0
	v_mov_b32_e32 v6, 0
	s_and_saveexec_b64 s[12:13], vcc
	s_cbranch_execz .LBB21_56
; %bb.51:
	v_cvt_f32_f16_e32 v6, v3
	s_mov_b32 s16, 0
	s_mov_b32 s5, 0xc00921fb
	s_mov_b32 s4, 0x54442d18
	v_cvt_f64_f32_e32 v[6:7], v6
	s_mov_b32 s17, 0x7ff00000
	v_bfrev_b32_e32 v10, 1
	s_mov_b32 s14, 0
	v_trunc_f64_e32 v[8:9], v[6:7]
	v_cmp_neq_f64_e64 vcc, |v[6:7]|, s[16:17]
	s_mov_b32 s15, 0x41d00000
                                        ; implicit-def: $vgpr15
	v_add_f64 v[8:9], v[6:7], -v[8:9]
	v_mul_f64 v[8:9], |v[8:9]|, s[4:5]
	v_cndmask_b32_e32 v7, v10, v9, vcc
	v_cndmask_b32_e32 v6, 0, v8, vcc
	v_cmp_nlt_f64_e64 s[14:15], |v[6:7]|, s[14:15]
                                        ; implicit-def: $vgpr8_vgpr9
                                        ; implicit-def: $vgpr10_vgpr11
	s_and_saveexec_b64 s[18:19], s[14:15]
	s_xor_b64 s[14:15], exec, s[18:19]
	s_cbranch_execz .LBB21_53
; %bb.52:
	v_trig_preop_f64 v[8:9], |v[6:7]|, 0
	s_mov_b32 s18, 0
	s_mov_b32 s19, 0x7b000000
	s_movk_i32 s5, 0xff80
	v_cmp_ge_f64_e64 vcc, |v[6:7]|, s[18:19]
	v_ldexp_f64 v[10:11], |v[6:7]|, s5
	v_trig_preop_f64 v[15:16], |v[6:7]|, 1
	v_and_b32_e32 v17, 0x7fffffff, v7
	v_trig_preop_f64 v[21:22], |v[6:7]|, 2
	v_mov_b32_e32 v33, 0x40100000
	s_mov_b32 s5, 0x3ff921fb
	v_cndmask_b32_e32 v11, v17, v11, vcc
	v_cndmask_b32_e32 v10, v6, v10, vcc
	v_mul_f64 v[17:18], v[8:9], v[10:11]
	v_mul_f64 v[19:20], v[15:16], v[10:11]
	;; [unrolled: 1-line block ×3, first 2 shown]
	v_fma_f64 v[8:9], v[8:9], v[10:11], -v[17:18]
	v_fma_f64 v[15:16], v[15:16], v[10:11], -v[19:20]
	;; [unrolled: 1-line block ×3, first 2 shown]
	v_add_f64 v[23:24], v[19:20], v[8:9]
	v_add_f64 v[31:32], v[27:28], v[15:16]
	v_add_f64 v[25:26], v[23:24], -v[19:20]
	v_add_f64 v[29:30], v[23:24], -v[25:26]
	;; [unrolled: 1-line block ×3, first 2 shown]
	v_add_f64 v[25:26], v[17:18], v[23:24]
	v_add_f64 v[19:20], v[19:20], -v[29:30]
	v_add_f64 v[29:30], v[31:32], -v[27:28]
	;; [unrolled: 1-line block ×3, first 2 shown]
	v_ldexp_f64 v[25:26], v[25:26], -2
	v_add_f64 v[8:9], v[8:9], v[19:20]
	v_add_f64 v[19:20], v[31:32], -v[29:30]
	v_add_f64 v[15:16], v[15:16], -v[29:30]
	v_fract_f64_e32 v[29:30], v[25:26]
	v_add_f64 v[17:18], v[23:24], -v[17:18]
	v_cmp_neq_f64_e64 vcc, |v[25:26]|, s[16:17]
	s_mov_b32 s16, 0x33145c07
	s_mov_b32 s17, 0x3c91a626
	v_add_f64 v[23:24], v[31:32], v[8:9]
	v_add_f64 v[19:20], v[27:28], -v[19:20]
	v_ldexp_f64 v[25:26], v[29:30], 2
	v_add_f64 v[29:30], v[17:18], v[23:24]
	v_add_f64 v[15:16], v[15:16], v[19:20]
	v_cndmask_b32_e32 v20, 0, v26, vcc
	v_cndmask_b32_e32 v19, 0, v25, vcc
	v_add_f64 v[25:26], v[29:30], v[19:20]
	v_add_f64 v[17:18], v[29:30], -v[17:18]
	v_cmp_gt_f64_e32 vcc, 0, v[25:26]
	v_add_f64 v[25:26], v[23:24], -v[31:32]
	v_add_f64 v[17:18], v[23:24], -v[17:18]
	;; [unrolled: 1-line block ×5, first 2 shown]
	v_mov_b32_e32 v31, 0
	v_cndmask_b32_e32 v32, 0, v33, vcc
	v_add_f64 v[19:20], v[19:20], v[31:32]
	v_add_f64 v[8:9], v[8:9], v[25:26]
	;; [unrolled: 1-line block ×4, first 2 shown]
	v_cvt_i32_f64_e32 v33, v[32:33]
	v_cvt_f64_i32_e32 v[25:26], v33
	v_add_f64 v[8:9], v[10:11], v[8:9]
	v_add_f64 v[19:20], v[19:20], -v[25:26]
	v_add_f64 v[8:9], v[17:18], v[8:9]
	v_mov_b32_e32 v17, 0x3ff00000
	v_add_f64 v[15:16], v[29:30], v[19:20]
	v_add_f64 v[10:11], v[15:16], -v[19:20]
	v_cmp_le_f64_e32 vcc, 0.5, v[15:16]
	v_add_f64 v[10:11], v[29:30], -v[10:11]
	v_cndmask_b32_e32 v32, 0, v17, vcc
	v_add_f64 v[8:9], v[8:9], v[10:11]
	v_add_f64 v[10:11], v[15:16], -v[31:32]
	v_add_f64 v[15:16], v[10:11], v[8:9]
	v_mul_f64 v[17:18], v[15:16], s[4:5]
	v_add_f64 v[10:11], v[15:16], -v[10:11]
	v_fma_f64 v[19:20], v[15:16], s[4:5], -v[17:18]
	v_add_f64 v[8:9], v[8:9], -v[10:11]
	v_fma_f64 v[10:11], v[15:16], s[16:17], v[19:20]
	v_fma_f64 v[10:11], v[8:9], s[4:5], v[10:11]
	v_add_f64 v[8:9], v[17:18], v[10:11]
	v_add_f64 v[15:16], v[8:9], -v[17:18]
	v_add_f64 v[10:11], v[10:11], -v[15:16]
	v_addc_co_u32_e32 v15, vcc, 0, v33, vcc
.LBB21_53:
	s_andn2_saveexec_b64 s[4:5], s[14:15]
	s_cbranch_execz .LBB21_55
; %bb.54:
	s_mov_b32 s14, 0x6dc9c883
	s_mov_b32 s15, 0x3fe45f30
	v_mul_f64 v[8:9], |v[6:7]|, s[14:15]
	s_mov_b32 s14, 0x54442d18
	s_mov_b32 s15, 0xbff921fb
	;; [unrolled: 1-line block ×4, first 2 shown]
	v_rndne_f64_e32 v[15:16], v[8:9]
	v_fma_f64 v[8:9], v[15:16], s[14:15], |v[6:7]|
	v_mul_f64 v[10:11], v[15:16], s[16:17]
	s_mov_b32 s14, 0x252049c0
	s_mov_b32 s15, 0xb97b839a
	v_fma_f64 v[21:22], v[15:16], s[16:17], v[8:9]
	v_add_f64 v[17:18], v[8:9], v[10:11]
	s_mov_b32 s17, 0x3c91a626
	v_add_f64 v[19:20], v[8:9], -v[17:18]
	v_add_f64 v[17:18], v[17:18], -v[21:22]
	v_add_f64 v[8:9], v[19:20], v[10:11]
	v_fma_f64 v[10:11], v[15:16], s[16:17], v[10:11]
	v_add_f64 v[8:9], v[17:18], v[8:9]
	v_add_f64 v[8:9], v[8:9], -v[10:11]
	v_fma_f64 v[10:11], v[15:16], s[14:15], v[8:9]
	v_cvt_i32_f64_e32 v15, v[15:16]
	v_add_f64 v[8:9], v[21:22], v[10:11]
	v_add_f64 v[17:18], v[8:9], -v[21:22]
	v_add_f64 v[10:11], v[10:11], -v[17:18]
.LBB21_55:
	s_or_b64 exec, exec, s[4:5]
	v_mul_f64 v[16:17], v[8:9], v[8:9]
	v_add_f64 v[18:19], v[10:11], v[10:11]
	s_mov_b32 s4, 0xc751c08c
	s_mov_b32 s5, 0x3ef5e089
	v_and_b32_e32 v15, 1, v15
	v_cmp_eq_u32_e32 vcc, 0, v15
	s_mov_b32 s16, 0x54442d18
	s_mov_b32 s17, 0xc00921fb
	v_fma_f64 v[20:21], v[8:9], v[8:9], -v[16:17]
	s_mov_b64 s[14:15], exec
	v_sub_f32_e32 v2, 1.0, v2
	v_fma_f64 v[18:19], v[8:9], v[18:19], v[20:21]
	v_add_f64 v[16:17], v[16:17], v[18:19]
	v_mov_b32_e32 v18, 0xa9a29f71
	v_mov_b32_e32 v19, 0xbf078809
	v_fma_f64 v[18:19], v[16:17], s[4:5], v[18:19]
	s_mov_b32 s4, 0x90a8aae0
	s_mov_b32 s5, 0x3f17746f
	v_fma_f64 v[18:19], v[16:17], v[18:19], s[4:5]
	s_mov_b32 s4, 0xa6fbf144
	s_mov_b32 s5, 0xbefbb44d
	;; [unrolled: 3-line block ×12, first 2 shown]
	v_fma_f64 v[18:19], v[16:17], v[18:19], s[4:5]
	s_movk_i32 s4, 0x1f8
	v_cmp_class_f64_e64 s[4:5], v[6:7], s4
	v_mul_f64 v[16:17], v[16:17], v[18:19]
	v_mul_f64 v[18:19], v[8:9], v[16:17]
	v_add_f64 v[20:21], v[8:9], v[18:19]
	v_fma_f64 v[16:17], v[8:9], v[16:17], -v[18:19]
	v_add_f64 v[8:9], v[20:21], -v[8:9]
	v_add_f64 v[10:11], v[10:11], v[16:17]
	v_add_f64 v[8:9], v[18:19], -v[8:9]
	v_add_f64 v[8:9], v[10:11], v[8:9]
	v_add_f64 v[10:11], v[20:21], v[8:9]
	v_rcp_f64_e32 v[16:17], v[10:11]
	v_fma_f64 v[18:19], -v[10:11], v[16:17], 1.0
	v_fma_f64 v[16:17], v[18:19], v[16:17], v[16:17]
	v_fma_f64 v[18:19], -v[10:11], v[16:17], 1.0
	v_fma_f64 v[16:17], v[18:19], v[16:17], v[16:17]
	v_add_f64 v[18:19], v[10:11], -v[20:21]
	v_mul_f64 v[20:21], v[10:11], v[16:17]
	v_add_f64 v[8:9], v[8:9], -v[18:19]
	v_fma_f64 v[18:19], v[16:17], v[10:11], -v[20:21]
	v_fma_f64 v[8:9], v[16:17], v[8:9], v[18:19]
	v_add_f64 v[18:19], v[20:21], v[8:9]
	v_add_f64 v[22:23], -v[18:19], 1.0
	v_add_f64 v[20:21], v[18:19], -v[20:21]
	v_add_f64 v[24:25], -v[22:23], 1.0
	v_add_f64 v[8:9], v[20:21], -v[8:9]
	v_add_f64 v[18:19], v[24:25], -v[18:19]
	v_add_f64 v[8:9], v[8:9], v[18:19]
	v_add_f64 v[8:9], v[22:23], v[8:9]
	v_mul_f64 v[8:9], v[16:17], v[8:9]
	v_add_f64 v[8:9], v[16:17], v[8:9]
	v_and_b32_e32 v16, 0x80000000, v7
	v_mov_b32_e32 v7, 0x7ff80000
	v_xor_b32_e32 v6, 0x80000000, v9
	v_cndmask_b32_e32 v8, v8, v10, vcc
	v_cndmask_b32_e32 v9, v6, v11, vcc
	v_cndmask_b32_e64 v6, 0, v8, s[4:5]
	v_xor_b32_e32 v8, v9, v16
	v_cndmask_b32_e64 v7, v7, v8, s[4:5]
	v_div_scale_f64 v[8:9], s[4:5], v[6:7], v[6:7], s[16:17]
	v_div_scale_f64 v[17:18], vcc, s[16:17], v[6:7], s[16:17]
	v_rcp_f64_e32 v[10:11], v[8:9]
	v_fma_f64 v[15:16], -v[8:9], v[10:11], 1.0
	v_fma_f64 v[10:11], v[10:11], v[15:16], v[10:11]
	v_fma_f64 v[15:16], -v[8:9], v[10:11], 1.0
	v_fma_f64 v[10:11], v[10:11], v[15:16], v[10:11]
	v_mul_f64 v[15:16], v[17:18], v[10:11]
	v_fma_f64 v[8:9], -v[8:9], v[15:16], v[17:18]
	v_div_fmas_f64 v[8:9], v[8:9], v[10:11], v[15:16]
	v_div_fixup_f64 v[6:7], v[8:9], v[6:7], s[16:17]
	v_cvt_f32_f64_e32 v6, v[6:7]
.LBB21_56:
	s_or_b64 exec, exec, s[12:13]
	s_orn2_b64 s[4:5], s[14:15], exec
.LBB21_57:
	s_or_b64 exec, exec, s[10:11]
	v_mov_b32_e32 v10, 0x7e00
	s_and_saveexec_b64 s[10:11], s[4:5]
	s_cbranch_execz .LBB21_69
; %bb.58:
	s_mov_b32 s14, 0x41200000
	v_cmp_gt_f32_e32 vcc, s14, v2
	s_and_saveexec_b64 s[4:5], vcc
	s_cbranch_execz .LBB21_62
; %bb.59:
	s_mov_b64 s[12:13], 0
.LBB21_60:                              ; =>This Inner Loop Header: Depth=1
	v_div_scale_f32 v7, s[16:17], v2, v2, 1.0
	v_div_scale_f32 v8, vcc, 1.0, v2, 1.0
	v_rcp_f32_e32 v9, v7
	v_fma_f32 v10, -v7, v9, 1.0
	v_fmac_f32_e32 v9, v10, v9
	v_mul_f32_e32 v10, v8, v9
	v_fma_f32 v11, -v7, v10, v8
	v_fmac_f32_e32 v10, v11, v9
	v_fma_f32 v7, -v7, v10, v8
	v_div_fmas_f32 v7, v7, v9, v10
	v_div_fixup_f32 v7, v7, v2, 1.0
	v_add_f32_e32 v2, 1.0, v2
	v_cmp_ngt_f32_e32 vcc, s14, v2
	s_or_b64 s[12:13], vcc, s[12:13]
	v_sub_f32_e32 v6, v6, v7
	s_andn2_b64 exec, exec, s[12:13]
	s_cbranch_execnz .LBB21_60
; %bb.61:
	s_or_b64 exec, exec, s[12:13]
.LBB21_62:
	s_or_b64 exec, exec, s[4:5]
	s_mov_b32 s4, 0x41200000
	v_cmp_neq_f32_e32 vcc, s4, v2
                                        ; implicit-def: $vgpr10
	s_and_saveexec_b64 s[4:5], vcc
	s_xor_b64 s[12:13], exec, s[4:5]
	s_cbranch_execz .LBB21_66
; %bb.63:
	v_cvt_f64_f32_e32 v[7:8], v2
	s_mov_b32 s4, 0x85d8a000
	s_mov_b32 s5, 0x43763457
	v_cmp_gt_f64_e32 vcc, s[4:5], v[7:8]
	v_mov_b32_e32 v7, 0
	s_and_saveexec_b64 s[4:5], vcc
	s_cbranch_execz .LBB21_65
; %bb.64:
	v_mul_f32_e32 v7, v2, v2
	v_div_scale_f32 v8, s[14:15], v7, v7, 1.0
	v_div_scale_f32 v9, vcc, 1.0, v7, 1.0
	v_mov_b32_e32 v16, 0x3b820821
	v_rcp_f32_e32 v10, v8
	v_fma_f32 v11, -v8, v10, 1.0
	v_fmac_f32_e32 v10, v11, v10
	v_mul_f32_e32 v11, v9, v10
	v_fma_f32 v15, -v8, v11, v9
	v_fmac_f32_e32 v11, v15, v10
	v_fma_f32 v8, -v8, v11, v9
	v_div_fmas_f32 v8, v8, v10, v11
	v_mov_b32_e32 v9, 0x3daaaaab
	v_mov_b32_e32 v10, 0xbcaccacd
	;; [unrolled: 1-line block ×4, first 2 shown]
	v_div_fixup_f32 v7, v8, v7, 1.0
	v_fma_f32 v8, 0, v7, v9
	v_fmac_f32_e32 v10, v7, v8
	v_fmac_f32_e32 v11, v7, v10
	;; [unrolled: 1-line block ×4, first 2 shown]
	v_mov_b32_e32 v8, 0xbc088889
	v_fmac_f32_e32 v8, v7, v16
	v_fmac_f32_e32 v9, v7, v8
	v_mul_f32_e32 v7, v7, v9
.LBB21_65:
	s_or_b64 exec, exec, s[4:5]
	v_div_scale_f32 v8, s[4:5], v2, v2, -0.5
	v_div_scale_f32 v9, vcc, -0.5, v2, -0.5
	s_mov_b32 s4, 0x800000
	v_cmp_gt_f32_e64 s[4:5], s4, v2
	v_cndmask_b32_e64 v11, 0, 32, s[4:5]
	s_mov_b32 s14, 0x3f317217
	v_rcp_f32_e32 v10, v8
	v_fma_f32 v15, -v8, v10, 1.0
	v_fmac_f32_e32 v10, v15, v10
	v_mul_f32_e32 v15, v9, v10
	v_fma_f32 v16, -v8, v15, v9
	v_fmac_f32_e32 v15, v16, v10
	v_fma_f32 v8, -v8, v15, v9
	v_div_fmas_f32 v8, v8, v10, v15
	v_ldexp_f32 v9, v2, v11
	v_log_f32_e32 v9, v9
	v_mul_f32_e32 v10, 0x3f317217, v9
	v_fma_f32 v10, v9, s14, -v10
	v_fmac_f32_e32 v10, 0x3377d1cf, v9
	s_mov_b32 s14, 0x7f800000
	v_fmac_f32_e32 v10, 0x3f317217, v9
	v_cmp_lt_f32_e64 vcc, |v9|, s14
	v_cndmask_b32_e32 v9, v9, v10, vcc
	v_mov_b32_e32 v10, 0x41b17218
	v_cndmask_b32_e64 v10, 0, v10, s[4:5]
	v_sub_f32_e32 v9, v9, v10
	v_div_fixup_f32 v2, v8, v2, -0.5
	v_add_f32_e32 v2, v9, v2
	v_sub_f32_e32 v2, v2, v7
	v_add_f32_e32 v2, v6, v2
	v_cvt_f16_f32_e32 v10, v2
                                        ; implicit-def: $vgpr6
.LBB21_66:
	s_andn2_saveexec_b64 s[4:5], s[12:13]
; %bb.67:
	v_add_f32_e32 v2, 0x40101cb7, v6
	v_cvt_f16_f32_e32 v10, v2
; %bb.68:
	s_or_b64 exec, exec, s[4:5]
.LBB21_69:
	s_or_b64 exec, exec, s[10:11]
                                        ; implicit-def: $vgpr2
.LBB21_70:
	s_andn2_saveexec_b64 s[4:5], s[8:9]
; %bb.71:
	v_xor_b32_e32 v2, 0x80000000, v2
	v_lshrrev_b32_e32 v2, 16, v2
	s_movk_i32 s8, 0x7fff
	v_mov_b32_e32 v6, 0x7c00
	v_bfi_b32 v10, s8, v6, v2
; %bb.72:
	s_or_b64 exec, exec, s[4:5]
	v_cvt_f32_f16_sdwa v15, v3 dst_sel:DWORD dst_unused:UNUSED_PAD src0_sel:WORD_1
	v_mov_b32_e32 v2, 0
	v_cmp_neq_f16_sdwa s[4:5], v3, v2 src0_sel:WORD_1 src1_sel:DWORD
                                        ; implicit-def: $vgpr11
	s_and_saveexec_b64 s[8:9], s[4:5]
	s_xor_b64 s[8:9], exec, s[8:9]
	s_cbranch_execz .LBB21_94
; %bb.73:
	v_cmp_lt_f16_sdwa s[12:13], v3, v2 src0_sel:WORD_1 src1_sel:DWORD
	s_mov_b64 s[4:5], -1
	s_and_saveexec_b64 s[10:11], s[12:13]
	s_cbranch_execz .LBB21_81
; %bb.74:
	v_trunc_f32_e32 v2, v15
	v_cmp_neq_f32_e32 vcc, v2, v15
	s_mov_b64 s[14:15], 0
	v_mov_b32_e32 v2, 0
	s_and_saveexec_b64 s[12:13], vcc
	s_cbranch_execz .LBB21_80
; %bb.75:
	v_cvt_f32_f16_sdwa v2, v3 dst_sel:DWORD dst_unused:UNUSED_PAD src0_sel:WORD_1
	s_mov_b32 s16, 0
	s_mov_b32 s5, 0xc00921fb
	;; [unrolled: 1-line block ×3, first 2 shown]
	v_cvt_f64_f32_e32 v[2:3], v2
	s_mov_b32 s17, 0x7ff00000
	v_bfrev_b32_e32 v8, 1
	s_mov_b32 s14, 0
	v_trunc_f64_e32 v[6:7], v[2:3]
	v_cmp_neq_f64_e64 vcc, |v[2:3]|, s[16:17]
	s_mov_b32 s15, 0x41d00000
                                        ; implicit-def: $vgpr11
	v_add_f64 v[6:7], v[2:3], -v[6:7]
	v_mul_f64 v[6:7], |v[6:7]|, s[4:5]
	v_cndmask_b32_e32 v3, v8, v7, vcc
	v_cndmask_b32_e32 v2, 0, v6, vcc
	v_cmp_nlt_f64_e64 s[14:15], |v[2:3]|, s[14:15]
                                        ; implicit-def: $vgpr6_vgpr7
                                        ; implicit-def: $vgpr8_vgpr9
	s_and_saveexec_b64 s[18:19], s[14:15]
	s_xor_b64 s[14:15], exec, s[18:19]
	s_cbranch_execz .LBB21_77
; %bb.76:
	v_trig_preop_f64 v[6:7], |v[2:3]|, 0
	s_mov_b32 s18, 0
	s_mov_b32 s19, 0x7b000000
	s_movk_i32 s5, 0xff80
	v_cmp_ge_f64_e64 vcc, |v[2:3]|, s[18:19]
	v_ldexp_f64 v[8:9], |v[2:3]|, s5
	v_trig_preop_f64 v[16:17], |v[2:3]|, 1
	v_and_b32_e32 v11, 0x7fffffff, v3
	v_trig_preop_f64 v[22:23], |v[2:3]|, 2
	s_mov_b32 s5, 0x3ff921fb
	v_cndmask_b32_e32 v9, v11, v9, vcc
	v_cndmask_b32_e32 v8, v2, v8, vcc
	v_mov_b32_e32 v11, 0x40100000
	v_mul_f64 v[18:19], v[6:7], v[8:9]
	v_mul_f64 v[20:21], v[16:17], v[8:9]
	;; [unrolled: 1-line block ×3, first 2 shown]
	v_fma_f64 v[6:7], v[6:7], v[8:9], -v[18:19]
	v_fma_f64 v[16:17], v[16:17], v[8:9], -v[20:21]
	;; [unrolled: 1-line block ×3, first 2 shown]
	v_add_f64 v[24:25], v[20:21], v[6:7]
	v_add_f64 v[32:33], v[28:29], v[16:17]
	v_add_f64 v[26:27], v[24:25], -v[20:21]
	v_add_f64 v[30:31], v[24:25], -v[26:27]
	;; [unrolled: 1-line block ×3, first 2 shown]
	v_add_f64 v[26:27], v[18:19], v[24:25]
	v_add_f64 v[20:21], v[20:21], -v[30:31]
	v_add_f64 v[30:31], v[32:33], -v[28:29]
	v_add_f64 v[18:19], v[26:27], -v[18:19]
	v_ldexp_f64 v[26:27], v[26:27], -2
	v_add_f64 v[6:7], v[6:7], v[20:21]
	v_add_f64 v[20:21], v[32:33], -v[30:31]
	v_add_f64 v[16:17], v[16:17], -v[30:31]
	v_fract_f64_e32 v[30:31], v[26:27]
	v_add_f64 v[18:19], v[24:25], -v[18:19]
	v_cmp_neq_f64_e64 vcc, |v[26:27]|, s[16:17]
	s_mov_b32 s16, 0x33145c07
	s_mov_b32 s17, 0x3c91a626
	v_add_f64 v[24:25], v[32:33], v[6:7]
	v_add_f64 v[20:21], v[28:29], -v[20:21]
	v_ldexp_f64 v[26:27], v[30:31], 2
	v_add_f64 v[30:31], v[18:19], v[24:25]
	v_add_f64 v[16:17], v[16:17], v[20:21]
	v_cndmask_b32_e32 v21, 0, v27, vcc
	v_cndmask_b32_e32 v20, 0, v26, vcc
	v_add_f64 v[26:27], v[30:31], v[20:21]
	v_add_f64 v[18:19], v[30:31], -v[18:19]
	v_cmp_gt_f64_e32 vcc, 0, v[26:27]
	v_add_f64 v[26:27], v[24:25], -v[32:33]
	v_add_f64 v[18:19], v[24:25], -v[18:19]
	;; [unrolled: 1-line block ×5, first 2 shown]
	v_mov_b32_e32 v32, 0
	v_cndmask_b32_e32 v33, 0, v11, vcc
	v_add_f64 v[20:21], v[20:21], v[32:33]
	v_add_f64 v[6:7], v[6:7], v[26:27]
	;; [unrolled: 1-line block ×4, first 2 shown]
	v_cvt_i32_f64_e32 v11, v[33:34]
	v_cvt_f64_i32_e32 v[26:27], v11
	v_add_f64 v[6:7], v[8:9], v[6:7]
	v_add_f64 v[20:21], v[20:21], -v[26:27]
	v_add_f64 v[6:7], v[18:19], v[6:7]
	v_mov_b32_e32 v18, 0x3ff00000
	v_add_f64 v[16:17], v[30:31], v[20:21]
	v_add_f64 v[8:9], v[16:17], -v[20:21]
	v_cmp_le_f64_e32 vcc, 0.5, v[16:17]
	v_add_f64 v[8:9], v[30:31], -v[8:9]
	v_cndmask_b32_e32 v33, 0, v18, vcc
	v_addc_co_u32_e32 v11, vcc, 0, v11, vcc
	v_add_f64 v[6:7], v[6:7], v[8:9]
	v_add_f64 v[8:9], v[16:17], -v[32:33]
	v_add_f64 v[16:17], v[8:9], v[6:7]
	v_mul_f64 v[18:19], v[16:17], s[4:5]
	v_add_f64 v[8:9], v[16:17], -v[8:9]
	v_fma_f64 v[20:21], v[16:17], s[4:5], -v[18:19]
	v_add_f64 v[6:7], v[6:7], -v[8:9]
	v_fma_f64 v[8:9], v[16:17], s[16:17], v[20:21]
	v_fma_f64 v[8:9], v[6:7], s[4:5], v[8:9]
	v_add_f64 v[6:7], v[18:19], v[8:9]
	v_add_f64 v[16:17], v[6:7], -v[18:19]
	v_add_f64 v[8:9], v[8:9], -v[16:17]
.LBB21_77:
	s_andn2_saveexec_b64 s[4:5], s[14:15]
	s_cbranch_execz .LBB21_79
; %bb.78:
	s_mov_b32 s14, 0x6dc9c883
	s_mov_b32 s15, 0x3fe45f30
	v_mul_f64 v[6:7], |v[2:3]|, s[14:15]
	s_mov_b32 s14, 0x54442d18
	s_mov_b32 s15, 0xbff921fb
	;; [unrolled: 1-line block ×4, first 2 shown]
	v_rndne_f64_e32 v[16:17], v[6:7]
	v_fma_f64 v[6:7], v[16:17], s[14:15], |v[2:3]|
	v_mul_f64 v[8:9], v[16:17], s[16:17]
	s_mov_b32 s14, 0x252049c0
	s_mov_b32 s15, 0xb97b839a
	v_cvt_i32_f64_e32 v11, v[16:17]
	v_fma_f64 v[22:23], v[16:17], s[16:17], v[6:7]
	v_add_f64 v[18:19], v[6:7], v[8:9]
	s_mov_b32 s17, 0x3c91a626
	v_add_f64 v[20:21], v[6:7], -v[18:19]
	v_add_f64 v[18:19], v[18:19], -v[22:23]
	v_add_f64 v[6:7], v[20:21], v[8:9]
	v_fma_f64 v[8:9], v[16:17], s[16:17], v[8:9]
	v_add_f64 v[6:7], v[18:19], v[6:7]
	v_add_f64 v[6:7], v[6:7], -v[8:9]
	v_fma_f64 v[8:9], v[16:17], s[14:15], v[6:7]
	v_add_f64 v[6:7], v[22:23], v[8:9]
	v_add_f64 v[18:19], v[6:7], -v[22:23]
	v_add_f64 v[8:9], v[8:9], -v[18:19]
.LBB21_79:
	s_or_b64 exec, exec, s[4:5]
	v_mul_f64 v[16:17], v[6:7], v[6:7]
	v_add_f64 v[18:19], v[8:9], v[8:9]
	s_mov_b32 s4, 0xc751c08c
	s_mov_b32 s5, 0x3ef5e089
	v_and_b32_e32 v11, 1, v11
	v_cmp_eq_u32_e32 vcc, 0, v11
	s_mov_b32 s16, 0x54442d18
	s_mov_b32 s17, 0xc00921fb
	v_fma_f64 v[20:21], v[6:7], v[6:7], -v[16:17]
	s_mov_b64 s[14:15], exec
	v_sub_f32_e32 v15, 1.0, v15
	v_fma_f64 v[18:19], v[6:7], v[18:19], v[20:21]
	v_add_f64 v[16:17], v[16:17], v[18:19]
	v_mov_b32_e32 v18, 0xa9a29f71
	v_mov_b32_e32 v19, 0xbf078809
	v_fma_f64 v[18:19], v[16:17], s[4:5], v[18:19]
	s_mov_b32 s4, 0x90a8aae0
	s_mov_b32 s5, 0x3f17746f
	v_fma_f64 v[18:19], v[16:17], v[18:19], s[4:5]
	s_mov_b32 s4, 0xa6fbf144
	s_mov_b32 s5, 0xbefbb44d
	;; [unrolled: 3-line block ×12, first 2 shown]
	v_fma_f64 v[18:19], v[16:17], v[18:19], s[4:5]
	s_movk_i32 s4, 0x1f8
	v_cmp_class_f64_e64 s[4:5], v[2:3], s4
	v_mul_f64 v[16:17], v[16:17], v[18:19]
	v_mul_f64 v[18:19], v[6:7], v[16:17]
	v_add_f64 v[20:21], v[6:7], v[18:19]
	v_fma_f64 v[16:17], v[6:7], v[16:17], -v[18:19]
	v_add_f64 v[6:7], v[20:21], -v[6:7]
	v_add_f64 v[8:9], v[8:9], v[16:17]
	v_add_f64 v[6:7], v[18:19], -v[6:7]
	v_add_f64 v[6:7], v[8:9], v[6:7]
	v_add_f64 v[8:9], v[20:21], v[6:7]
	v_rcp_f64_e32 v[16:17], v[8:9]
	v_fma_f64 v[18:19], -v[8:9], v[16:17], 1.0
	v_fma_f64 v[16:17], v[18:19], v[16:17], v[16:17]
	v_fma_f64 v[18:19], -v[8:9], v[16:17], 1.0
	v_fma_f64 v[16:17], v[18:19], v[16:17], v[16:17]
	v_add_f64 v[18:19], v[8:9], -v[20:21]
	v_mul_f64 v[20:21], v[8:9], v[16:17]
	v_add_f64 v[6:7], v[6:7], -v[18:19]
	v_fma_f64 v[18:19], v[16:17], v[8:9], -v[20:21]
	v_fma_f64 v[6:7], v[16:17], v[6:7], v[18:19]
	v_add_f64 v[18:19], v[20:21], v[6:7]
	v_add_f64 v[22:23], -v[18:19], 1.0
	v_add_f64 v[20:21], v[18:19], -v[20:21]
	v_add_f64 v[24:25], -v[22:23], 1.0
	v_add_f64 v[6:7], v[20:21], -v[6:7]
	v_add_f64 v[18:19], v[24:25], -v[18:19]
	v_add_f64 v[6:7], v[6:7], v[18:19]
	v_add_f64 v[6:7], v[22:23], v[6:7]
	v_mul_f64 v[6:7], v[16:17], v[6:7]
	v_add_f64 v[6:7], v[16:17], v[6:7]
	v_and_b32_e32 v16, 0x80000000, v3
	v_mov_b32_e32 v3, 0x7ff80000
	v_xor_b32_e32 v2, 0x80000000, v7
	v_cndmask_b32_e32 v6, v6, v8, vcc
	v_cndmask_b32_e32 v7, v2, v9, vcc
	v_cndmask_b32_e64 v2, 0, v6, s[4:5]
	v_xor_b32_e32 v6, v7, v16
	v_cndmask_b32_e64 v3, v3, v6, s[4:5]
	v_div_scale_f64 v[6:7], s[4:5], v[2:3], v[2:3], s[16:17]
	v_div_scale_f64 v[18:19], vcc, s[16:17], v[2:3], s[16:17]
	v_rcp_f64_e32 v[8:9], v[6:7]
	v_fma_f64 v[16:17], -v[6:7], v[8:9], 1.0
	v_fma_f64 v[8:9], v[8:9], v[16:17], v[8:9]
	v_fma_f64 v[16:17], -v[6:7], v[8:9], 1.0
	v_fma_f64 v[8:9], v[8:9], v[16:17], v[8:9]
	v_mul_f64 v[16:17], v[18:19], v[8:9]
	v_fma_f64 v[6:7], -v[6:7], v[16:17], v[18:19]
	v_div_fmas_f64 v[6:7], v[6:7], v[8:9], v[16:17]
	v_div_fixup_f64 v[2:3], v[6:7], v[2:3], s[16:17]
	v_cvt_f32_f64_e32 v2, v[2:3]
.LBB21_80:
	s_or_b64 exec, exec, s[12:13]
	s_orn2_b64 s[4:5], s[14:15], exec
.LBB21_81:
	s_or_b64 exec, exec, s[10:11]
	v_mov_b32_e32 v11, 0x7e00
	s_and_saveexec_b64 s[10:11], s[4:5]
	s_cbranch_execz .LBB21_93
; %bb.82:
	s_mov_b32 s14, 0x41200000
	v_cmp_gt_f32_e32 vcc, s14, v15
	s_and_saveexec_b64 s[4:5], vcc
	s_cbranch_execz .LBB21_86
; %bb.83:
	s_mov_b64 s[12:13], 0
.LBB21_84:                              ; =>This Inner Loop Header: Depth=1
	v_div_scale_f32 v3, s[16:17], v15, v15, 1.0
	v_div_scale_f32 v6, vcc, 1.0, v15, 1.0
	v_rcp_f32_e32 v7, v3
	v_fma_f32 v8, -v3, v7, 1.0
	v_fmac_f32_e32 v7, v8, v7
	v_mul_f32_e32 v8, v6, v7
	v_fma_f32 v9, -v3, v8, v6
	v_fmac_f32_e32 v8, v9, v7
	v_fma_f32 v3, -v3, v8, v6
	v_div_fmas_f32 v3, v3, v7, v8
	v_div_fixup_f32 v3, v3, v15, 1.0
	v_add_f32_e32 v15, 1.0, v15
	v_cmp_ngt_f32_e32 vcc, s14, v15
	s_or_b64 s[12:13], vcc, s[12:13]
	v_sub_f32_e32 v2, v2, v3
	s_andn2_b64 exec, exec, s[12:13]
	s_cbranch_execnz .LBB21_84
; %bb.85:
	s_or_b64 exec, exec, s[12:13]
.LBB21_86:
	s_or_b64 exec, exec, s[4:5]
	s_mov_b32 s4, 0x41200000
	v_cmp_neq_f32_e32 vcc, s4, v15
                                        ; implicit-def: $vgpr11
	s_and_saveexec_b64 s[4:5], vcc
	s_xor_b64 s[12:13], exec, s[4:5]
	s_cbranch_execz .LBB21_90
; %bb.87:
	v_cvt_f64_f32_e32 v[6:7], v15
	s_mov_b32 s4, 0x85d8a000
	s_mov_b32 s5, 0x43763457
	v_mov_b32_e32 v3, 0
	v_cmp_gt_f64_e32 vcc, s[4:5], v[6:7]
	s_and_saveexec_b64 s[4:5], vcc
	s_cbranch_execz .LBB21_89
; %bb.88:
	v_mul_f32_e32 v3, v15, v15
	v_div_scale_f32 v6, s[14:15], v3, v3, 1.0
	v_div_scale_f32 v7, vcc, 1.0, v3, 1.0
	v_mov_b32_e32 v16, 0x3b820821
	v_rcp_f32_e32 v8, v6
	v_fma_f32 v9, -v6, v8, 1.0
	v_fmac_f32_e32 v8, v9, v8
	v_mul_f32_e32 v9, v7, v8
	v_fma_f32 v11, -v6, v9, v7
	v_fmac_f32_e32 v9, v11, v8
	v_fma_f32 v6, -v6, v9, v7
	v_div_fmas_f32 v6, v6, v8, v9
	v_mov_b32_e32 v7, 0x3daaaaab
	v_mov_b32_e32 v8, 0xbcaccacd
	;; [unrolled: 1-line block ×4, first 2 shown]
	v_div_fixup_f32 v3, v6, v3, 1.0
	v_fma_f32 v6, 0, v3, v7
	v_fmac_f32_e32 v8, v3, v6
	v_fmac_f32_e32 v9, v3, v8
	;; [unrolled: 1-line block ×4, first 2 shown]
	v_mov_b32_e32 v6, 0xbc088889
	v_fmac_f32_e32 v6, v3, v16
	v_fmac_f32_e32 v7, v3, v6
	v_mul_f32_e32 v3, v3, v7
.LBB21_89:
	s_or_b64 exec, exec, s[4:5]
	v_div_scale_f32 v6, s[4:5], v15, v15, -0.5
	v_div_scale_f32 v7, vcc, -0.5, v15, -0.5
	s_mov_b32 s4, 0x800000
	v_cmp_gt_f32_e64 s[4:5], s4, v15
	v_cndmask_b32_e64 v9, 0, 32, s[4:5]
	s_mov_b32 s14, 0x3f317217
	v_rcp_f32_e32 v8, v6
	v_fma_f32 v11, -v6, v8, 1.0
	v_fmac_f32_e32 v8, v11, v8
	v_mul_f32_e32 v11, v7, v8
	v_fma_f32 v16, -v6, v11, v7
	v_fmac_f32_e32 v11, v16, v8
	v_fma_f32 v6, -v6, v11, v7
	v_div_fmas_f32 v6, v6, v8, v11
	v_ldexp_f32 v7, v15, v9
	v_log_f32_e32 v7, v7
	v_mul_f32_e32 v8, 0x3f317217, v7
	v_fma_f32 v8, v7, s14, -v8
	v_fmac_f32_e32 v8, 0x3377d1cf, v7
	s_mov_b32 s14, 0x7f800000
	v_fmac_f32_e32 v8, 0x3f317217, v7
	v_cmp_lt_f32_e64 vcc, |v7|, s14
	v_cndmask_b32_e32 v7, v7, v8, vcc
	v_mov_b32_e32 v8, 0x41b17218
	v_cndmask_b32_e64 v8, 0, v8, s[4:5]
	v_sub_f32_e32 v7, v7, v8
	v_div_fixup_f32 v6, v6, v15, -0.5
	v_add_f32_e32 v6, v7, v6
	v_sub_f32_e32 v3, v6, v3
	v_add_f32_e32 v2, v2, v3
	v_cvt_f16_f32_e32 v11, v2
                                        ; implicit-def: $vgpr2
.LBB21_90:
	s_andn2_saveexec_b64 s[4:5], s[12:13]
; %bb.91:
	v_add_f32_e32 v2, 0x40101cb7, v2
	v_cvt_f16_f32_e32 v11, v2
; %bb.92:
	s_or_b64 exec, exec, s[4:5]
.LBB21_93:
	s_or_b64 exec, exec, s[10:11]
                                        ; implicit-def: $vgpr15
.LBB21_94:
	s_andn2_saveexec_b64 s[4:5], s[8:9]
; %bb.95:
	v_xor_b32_e32 v2, 0x80000000, v15
	v_lshrrev_b32_e32 v2, 16, v2
	s_movk_i32 s8, 0x7fff
	v_mov_b32_e32 v3, 0x7c00
	v_bfi_b32 v11, s8, v3, v2
; %bb.96:
	s_or_b64 exec, exec, s[4:5]
	v_cvt_f32_f16_e32 v16, v4
	v_cmp_neq_f16_e32 vcc, 0, v4
                                        ; implicit-def: $vgpr15
	s_and_saveexec_b64 s[4:5], vcc
	s_xor_b64 s[8:9], exec, s[4:5]
	s_cbranch_execz .LBB21_118
; %bb.97:
	v_cmp_gt_f16_e32 vcc, 0, v4
	s_mov_b64 s[4:5], -1
	v_mov_b32_e32 v2, 0
	s_and_saveexec_b64 s[10:11], vcc
	s_cbranch_execz .LBB21_105
; %bb.98:
	v_trunc_f32_e32 v2, v16
	v_cmp_neq_f32_e32 vcc, v2, v16
	s_mov_b64 s[14:15], 0
	v_mov_b32_e32 v2, 0
	s_and_saveexec_b64 s[12:13], vcc
	s_cbranch_execz .LBB21_104
; %bb.99:
	v_cvt_f32_f16_e32 v2, v4
	s_mov_b32 s16, 0
	s_mov_b32 s5, 0xc00921fb
	;; [unrolled: 1-line block ×3, first 2 shown]
	v_cvt_f64_f32_e32 v[2:3], v2
	s_mov_b32 s17, 0x7ff00000
	v_bfrev_b32_e32 v8, 1
	s_mov_b32 s14, 0
	v_trunc_f64_e32 v[6:7], v[2:3]
	v_cmp_neq_f64_e64 vcc, |v[2:3]|, s[16:17]
	s_mov_b32 s15, 0x41d00000
                                        ; implicit-def: $vgpr15
	v_add_f64 v[6:7], v[2:3], -v[6:7]
	v_mul_f64 v[6:7], |v[6:7]|, s[4:5]
	v_cndmask_b32_e32 v3, v8, v7, vcc
	v_cndmask_b32_e32 v2, 0, v6, vcc
	v_cmp_nlt_f64_e64 s[14:15], |v[2:3]|, s[14:15]
                                        ; implicit-def: $vgpr6_vgpr7
                                        ; implicit-def: $vgpr8_vgpr9
	s_and_saveexec_b64 s[18:19], s[14:15]
	s_xor_b64 s[14:15], exec, s[18:19]
	s_cbranch_execz .LBB21_101
; %bb.100:
	v_trig_preop_f64 v[6:7], |v[2:3]|, 0
	s_mov_b32 s18, 0
	s_mov_b32 s19, 0x7b000000
	s_movk_i32 s5, 0xff80
	v_cmp_ge_f64_e64 vcc, |v[2:3]|, s[18:19]
	v_ldexp_f64 v[8:9], |v[2:3]|, s5
	v_trig_preop_f64 v[17:18], |v[2:3]|, 1
	v_and_b32_e32 v15, 0x7fffffff, v3
	v_trig_preop_f64 v[23:24], |v[2:3]|, 2
	s_mov_b32 s5, 0x3ff921fb
	v_cndmask_b32_e32 v9, v15, v9, vcc
	v_cndmask_b32_e32 v8, v2, v8, vcc
	v_mov_b32_e32 v15, 0x40100000
	v_mul_f64 v[19:20], v[6:7], v[8:9]
	v_mul_f64 v[21:22], v[17:18], v[8:9]
	;; [unrolled: 1-line block ×3, first 2 shown]
	v_fma_f64 v[6:7], v[6:7], v[8:9], -v[19:20]
	v_fma_f64 v[17:18], v[17:18], v[8:9], -v[21:22]
	;; [unrolled: 1-line block ×3, first 2 shown]
	v_add_f64 v[25:26], v[21:22], v[6:7]
	v_add_f64 v[33:34], v[29:30], v[17:18]
	v_add_f64 v[27:28], v[25:26], -v[21:22]
	v_add_f64 v[31:32], v[25:26], -v[27:28]
	;; [unrolled: 1-line block ×3, first 2 shown]
	v_add_f64 v[27:28], v[19:20], v[25:26]
	v_add_f64 v[21:22], v[21:22], -v[31:32]
	v_add_f64 v[31:32], v[33:34], -v[29:30]
	;; [unrolled: 1-line block ×3, first 2 shown]
	v_ldexp_f64 v[27:28], v[27:28], -2
	v_add_f64 v[6:7], v[6:7], v[21:22]
	v_add_f64 v[21:22], v[33:34], -v[31:32]
	v_add_f64 v[17:18], v[17:18], -v[31:32]
	v_fract_f64_e32 v[31:32], v[27:28]
	v_add_f64 v[19:20], v[25:26], -v[19:20]
	v_cmp_neq_f64_e64 vcc, |v[27:28]|, s[16:17]
	s_mov_b32 s16, 0x33145c07
	s_mov_b32 s17, 0x3c91a626
	v_add_f64 v[25:26], v[33:34], v[6:7]
	v_add_f64 v[21:22], v[29:30], -v[21:22]
	v_ldexp_f64 v[27:28], v[31:32], 2
	v_add_f64 v[31:32], v[19:20], v[25:26]
	v_add_f64 v[17:18], v[17:18], v[21:22]
	v_cndmask_b32_e32 v22, 0, v28, vcc
	v_cndmask_b32_e32 v21, 0, v27, vcc
	v_add_f64 v[27:28], v[31:32], v[21:22]
	v_add_f64 v[19:20], v[31:32], -v[19:20]
	v_cmp_gt_f64_e32 vcc, 0, v[27:28]
	v_add_f64 v[27:28], v[25:26], -v[33:34]
	v_add_f64 v[19:20], v[25:26], -v[19:20]
	;; [unrolled: 1-line block ×5, first 2 shown]
	v_mov_b32_e32 v33, 0
	v_cndmask_b32_e32 v34, 0, v15, vcc
	v_add_f64 v[21:22], v[21:22], v[33:34]
	v_add_f64 v[6:7], v[6:7], v[27:28]
	;; [unrolled: 1-line block ×4, first 2 shown]
	v_cvt_i32_f64_e32 v15, v[34:35]
	v_cvt_f64_i32_e32 v[27:28], v15
	v_add_f64 v[6:7], v[8:9], v[6:7]
	v_add_f64 v[21:22], v[21:22], -v[27:28]
	v_add_f64 v[6:7], v[19:20], v[6:7]
	v_mov_b32_e32 v19, 0x3ff00000
	v_add_f64 v[17:18], v[31:32], v[21:22]
	v_add_f64 v[8:9], v[17:18], -v[21:22]
	v_cmp_le_f64_e32 vcc, 0.5, v[17:18]
	v_add_f64 v[8:9], v[31:32], -v[8:9]
	v_cndmask_b32_e32 v34, 0, v19, vcc
	v_addc_co_u32_e32 v15, vcc, 0, v15, vcc
	v_add_f64 v[6:7], v[6:7], v[8:9]
	v_add_f64 v[8:9], v[17:18], -v[33:34]
	v_add_f64 v[17:18], v[8:9], v[6:7]
	v_mul_f64 v[19:20], v[17:18], s[4:5]
	v_add_f64 v[8:9], v[17:18], -v[8:9]
	v_fma_f64 v[21:22], v[17:18], s[4:5], -v[19:20]
	v_add_f64 v[6:7], v[6:7], -v[8:9]
	v_fma_f64 v[8:9], v[17:18], s[16:17], v[21:22]
	v_fma_f64 v[8:9], v[6:7], s[4:5], v[8:9]
	v_add_f64 v[6:7], v[19:20], v[8:9]
	v_add_f64 v[17:18], v[6:7], -v[19:20]
	v_add_f64 v[8:9], v[8:9], -v[17:18]
.LBB21_101:
	s_andn2_saveexec_b64 s[4:5], s[14:15]
	s_cbranch_execz .LBB21_103
; %bb.102:
	s_mov_b32 s14, 0x6dc9c883
	s_mov_b32 s15, 0x3fe45f30
	v_mul_f64 v[6:7], |v[2:3]|, s[14:15]
	s_mov_b32 s14, 0x54442d18
	s_mov_b32 s15, 0xbff921fb
	;; [unrolled: 1-line block ×4, first 2 shown]
	v_rndne_f64_e32 v[17:18], v[6:7]
	v_fma_f64 v[6:7], v[17:18], s[14:15], |v[2:3]|
	v_mul_f64 v[8:9], v[17:18], s[16:17]
	s_mov_b32 s14, 0x252049c0
	s_mov_b32 s15, 0xb97b839a
	v_cvt_i32_f64_e32 v15, v[17:18]
	v_fma_f64 v[23:24], v[17:18], s[16:17], v[6:7]
	v_add_f64 v[19:20], v[6:7], v[8:9]
	s_mov_b32 s17, 0x3c91a626
	v_add_f64 v[21:22], v[6:7], -v[19:20]
	v_add_f64 v[19:20], v[19:20], -v[23:24]
	v_add_f64 v[6:7], v[21:22], v[8:9]
	v_fma_f64 v[8:9], v[17:18], s[16:17], v[8:9]
	v_add_f64 v[6:7], v[19:20], v[6:7]
	v_add_f64 v[6:7], v[6:7], -v[8:9]
	v_fma_f64 v[8:9], v[17:18], s[14:15], v[6:7]
	v_add_f64 v[6:7], v[23:24], v[8:9]
	v_add_f64 v[19:20], v[6:7], -v[23:24]
	v_add_f64 v[8:9], v[8:9], -v[19:20]
.LBB21_103:
	s_or_b64 exec, exec, s[4:5]
	v_mul_f64 v[17:18], v[6:7], v[6:7]
	v_add_f64 v[19:20], v[8:9], v[8:9]
	s_mov_b32 s4, 0xc751c08c
	s_mov_b32 s5, 0x3ef5e089
	v_and_b32_e32 v15, 1, v15
	v_cmp_eq_u32_e32 vcc, 0, v15
	s_mov_b32 s16, 0x54442d18
	s_mov_b32 s17, 0xc00921fb
	v_fma_f64 v[21:22], v[6:7], v[6:7], -v[17:18]
	s_mov_b64 s[14:15], exec
	v_sub_f32_e32 v16, 1.0, v16
	v_fma_f64 v[19:20], v[6:7], v[19:20], v[21:22]
	v_add_f64 v[17:18], v[17:18], v[19:20]
	v_mov_b32_e32 v19, 0xa9a29f71
	v_mov_b32_e32 v20, 0xbf078809
	v_fma_f64 v[19:20], v[17:18], s[4:5], v[19:20]
	s_mov_b32 s4, 0x90a8aae0
	s_mov_b32 s5, 0x3f17746f
	v_fma_f64 v[19:20], v[17:18], v[19:20], s[4:5]
	s_mov_b32 s4, 0xa6fbf144
	s_mov_b32 s5, 0xbefbb44d
	;; [unrolled: 3-line block ×12, first 2 shown]
	v_fma_f64 v[19:20], v[17:18], v[19:20], s[4:5]
	s_movk_i32 s4, 0x1f8
	v_cmp_class_f64_e64 s[4:5], v[2:3], s4
	v_mul_f64 v[17:18], v[17:18], v[19:20]
	v_mul_f64 v[19:20], v[6:7], v[17:18]
	v_add_f64 v[21:22], v[6:7], v[19:20]
	v_fma_f64 v[17:18], v[6:7], v[17:18], -v[19:20]
	v_add_f64 v[6:7], v[21:22], -v[6:7]
	v_add_f64 v[8:9], v[8:9], v[17:18]
	v_add_f64 v[6:7], v[19:20], -v[6:7]
	v_add_f64 v[6:7], v[8:9], v[6:7]
	v_add_f64 v[8:9], v[21:22], v[6:7]
	v_rcp_f64_e32 v[17:18], v[8:9]
	v_fma_f64 v[19:20], -v[8:9], v[17:18], 1.0
	v_fma_f64 v[17:18], v[19:20], v[17:18], v[17:18]
	v_fma_f64 v[19:20], -v[8:9], v[17:18], 1.0
	v_fma_f64 v[17:18], v[19:20], v[17:18], v[17:18]
	v_add_f64 v[19:20], v[8:9], -v[21:22]
	v_mul_f64 v[21:22], v[8:9], v[17:18]
	v_add_f64 v[6:7], v[6:7], -v[19:20]
	v_fma_f64 v[19:20], v[17:18], v[8:9], -v[21:22]
	v_fma_f64 v[6:7], v[17:18], v[6:7], v[19:20]
	v_add_f64 v[19:20], v[21:22], v[6:7]
	v_add_f64 v[23:24], -v[19:20], 1.0
	v_add_f64 v[21:22], v[19:20], -v[21:22]
	v_add_f64 v[25:26], -v[23:24], 1.0
	v_add_f64 v[6:7], v[21:22], -v[6:7]
	v_add_f64 v[19:20], v[25:26], -v[19:20]
	v_add_f64 v[6:7], v[6:7], v[19:20]
	v_add_f64 v[6:7], v[23:24], v[6:7]
	v_mul_f64 v[6:7], v[17:18], v[6:7]
	v_add_f64 v[6:7], v[17:18], v[6:7]
	v_and_b32_e32 v17, 0x80000000, v3
	v_mov_b32_e32 v3, 0x7ff80000
	v_xor_b32_e32 v2, 0x80000000, v7
	v_cndmask_b32_e32 v6, v6, v8, vcc
	v_cndmask_b32_e32 v7, v2, v9, vcc
	v_cndmask_b32_e64 v2, 0, v6, s[4:5]
	v_xor_b32_e32 v6, v7, v17
	v_cndmask_b32_e64 v3, v3, v6, s[4:5]
	v_div_scale_f64 v[6:7], s[4:5], v[2:3], v[2:3], s[16:17]
	v_div_scale_f64 v[19:20], vcc, s[16:17], v[2:3], s[16:17]
	v_rcp_f64_e32 v[8:9], v[6:7]
	v_fma_f64 v[17:18], -v[6:7], v[8:9], 1.0
	v_fma_f64 v[8:9], v[8:9], v[17:18], v[8:9]
	v_fma_f64 v[17:18], -v[6:7], v[8:9], 1.0
	v_fma_f64 v[8:9], v[8:9], v[17:18], v[8:9]
	v_mul_f64 v[17:18], v[19:20], v[8:9]
	v_fma_f64 v[6:7], -v[6:7], v[17:18], v[19:20]
	v_div_fmas_f64 v[6:7], v[6:7], v[8:9], v[17:18]
	v_div_fixup_f64 v[2:3], v[6:7], v[2:3], s[16:17]
	v_cvt_f32_f64_e32 v2, v[2:3]
.LBB21_104:
	s_or_b64 exec, exec, s[12:13]
	s_orn2_b64 s[4:5], s[14:15], exec
.LBB21_105:
	s_or_b64 exec, exec, s[10:11]
	v_mov_b32_e32 v15, 0x7e00
	s_and_saveexec_b64 s[10:11], s[4:5]
	s_cbranch_execz .LBB21_117
; %bb.106:
	s_mov_b32 s14, 0x41200000
	v_cmp_gt_f32_e32 vcc, s14, v16
	s_and_saveexec_b64 s[4:5], vcc
	s_cbranch_execz .LBB21_110
; %bb.107:
	s_mov_b64 s[12:13], 0
.LBB21_108:                             ; =>This Inner Loop Header: Depth=1
	v_div_scale_f32 v3, s[16:17], v16, v16, 1.0
	v_div_scale_f32 v6, vcc, 1.0, v16, 1.0
	v_rcp_f32_e32 v7, v3
	v_fma_f32 v8, -v3, v7, 1.0
	v_fmac_f32_e32 v7, v8, v7
	v_mul_f32_e32 v8, v6, v7
	v_fma_f32 v9, -v3, v8, v6
	v_fmac_f32_e32 v8, v9, v7
	v_fma_f32 v3, -v3, v8, v6
	v_div_fmas_f32 v3, v3, v7, v8
	v_div_fixup_f32 v3, v3, v16, 1.0
	v_add_f32_e32 v16, 1.0, v16
	v_cmp_ngt_f32_e32 vcc, s14, v16
	s_or_b64 s[12:13], vcc, s[12:13]
	v_sub_f32_e32 v2, v2, v3
	s_andn2_b64 exec, exec, s[12:13]
	s_cbranch_execnz .LBB21_108
; %bb.109:
	s_or_b64 exec, exec, s[12:13]
.LBB21_110:
	s_or_b64 exec, exec, s[4:5]
	s_mov_b32 s4, 0x41200000
	v_cmp_neq_f32_e32 vcc, s4, v16
                                        ; implicit-def: $vgpr15
	s_and_saveexec_b64 s[4:5], vcc
	s_xor_b64 s[12:13], exec, s[4:5]
	s_cbranch_execz .LBB21_114
; %bb.111:
	v_cvt_f64_f32_e32 v[6:7], v16
	s_mov_b32 s4, 0x85d8a000
	s_mov_b32 s5, 0x43763457
	v_mov_b32_e32 v3, 0
	v_cmp_gt_f64_e32 vcc, s[4:5], v[6:7]
	s_and_saveexec_b64 s[4:5], vcc
	s_cbranch_execz .LBB21_113
; %bb.112:
	v_mul_f32_e32 v3, v16, v16
	v_div_scale_f32 v6, s[14:15], v3, v3, 1.0
	v_div_scale_f32 v7, vcc, 1.0, v3, 1.0
	v_mov_b32_e32 v17, 0x3b820821
	v_rcp_f32_e32 v8, v6
	v_fma_f32 v9, -v6, v8, 1.0
	v_fmac_f32_e32 v8, v9, v8
	v_mul_f32_e32 v9, v7, v8
	v_fma_f32 v15, -v6, v9, v7
	v_fmac_f32_e32 v9, v15, v8
	v_fma_f32 v6, -v6, v9, v7
	v_div_fmas_f32 v6, v6, v8, v9
	v_mov_b32_e32 v7, 0x3daaaaab
	v_mov_b32_e32 v8, 0xbcaccacd
	;; [unrolled: 1-line block ×4, first 2 shown]
	v_div_fixup_f32 v3, v6, v3, 1.0
	v_fma_f32 v6, 0, v3, v7
	v_fmac_f32_e32 v8, v3, v6
	v_fmac_f32_e32 v9, v3, v8
	;; [unrolled: 1-line block ×4, first 2 shown]
	v_mov_b32_e32 v6, 0xbc088889
	v_fmac_f32_e32 v6, v3, v17
	v_fmac_f32_e32 v7, v3, v6
	v_mul_f32_e32 v3, v3, v7
.LBB21_113:
	s_or_b64 exec, exec, s[4:5]
	v_div_scale_f32 v6, s[4:5], v16, v16, -0.5
	v_div_scale_f32 v7, vcc, -0.5, v16, -0.5
	s_mov_b32 s4, 0x800000
	v_cmp_gt_f32_e64 s[4:5], s4, v16
	v_cndmask_b32_e64 v9, 0, 32, s[4:5]
	s_mov_b32 s14, 0x3f317217
	v_rcp_f32_e32 v8, v6
	v_fma_f32 v15, -v6, v8, 1.0
	v_fmac_f32_e32 v8, v15, v8
	v_mul_f32_e32 v15, v7, v8
	v_fma_f32 v17, -v6, v15, v7
	v_fmac_f32_e32 v15, v17, v8
	v_fma_f32 v6, -v6, v15, v7
	v_div_fmas_f32 v6, v6, v8, v15
	v_ldexp_f32 v7, v16, v9
	v_log_f32_e32 v7, v7
	v_mul_f32_e32 v8, 0x3f317217, v7
	v_fma_f32 v8, v7, s14, -v8
	v_fmac_f32_e32 v8, 0x3377d1cf, v7
	s_mov_b32 s14, 0x7f800000
	v_fmac_f32_e32 v8, 0x3f317217, v7
	v_cmp_lt_f32_e64 vcc, |v7|, s14
	v_cndmask_b32_e32 v7, v7, v8, vcc
	v_mov_b32_e32 v8, 0x41b17218
	v_cndmask_b32_e64 v8, 0, v8, s[4:5]
	v_sub_f32_e32 v7, v7, v8
	v_div_fixup_f32 v6, v6, v16, -0.5
	v_add_f32_e32 v6, v7, v6
	v_sub_f32_e32 v3, v6, v3
	v_add_f32_e32 v2, v2, v3
	v_cvt_f16_f32_e32 v15, v2
                                        ; implicit-def: $vgpr2
.LBB21_114:
	s_andn2_saveexec_b64 s[4:5], s[12:13]
; %bb.115:
	v_add_f32_e32 v2, 0x40101cb7, v2
	v_cvt_f16_f32_e32 v15, v2
; %bb.116:
	s_or_b64 exec, exec, s[4:5]
.LBB21_117:
	s_or_b64 exec, exec, s[10:11]
                                        ; implicit-def: $vgpr16
.LBB21_118:
	s_andn2_saveexec_b64 s[4:5], s[8:9]
; %bb.119:
	v_xor_b32_e32 v2, 0x80000000, v16
	v_lshrrev_b32_e32 v2, 16, v2
	s_movk_i32 s8, 0x7fff
	v_mov_b32_e32 v3, 0x7c00
	v_bfi_b32 v15, s8, v3, v2
; %bb.120:
	s_or_b64 exec, exec, s[4:5]
	v_cvt_f32_f16_sdwa v17, v4 dst_sel:DWORD dst_unused:UNUSED_PAD src0_sel:WORD_1
	v_mov_b32_e32 v2, 0
	v_cmp_neq_f16_sdwa s[4:5], v4, v2 src0_sel:WORD_1 src1_sel:DWORD
                                        ; implicit-def: $vgpr16
	s_and_saveexec_b64 s[8:9], s[4:5]
	s_xor_b64 s[8:9], exec, s[8:9]
	s_cbranch_execz .LBB21_142
; %bb.121:
	v_cmp_lt_f16_sdwa s[12:13], v4, v2 src0_sel:WORD_1 src1_sel:DWORD
	s_mov_b64 s[4:5], -1
	s_and_saveexec_b64 s[10:11], s[12:13]
	s_cbranch_execz .LBB21_129
; %bb.122:
	v_trunc_f32_e32 v2, v17
	v_cmp_neq_f32_e32 vcc, v2, v17
	s_mov_b64 s[14:15], 0
	v_mov_b32_e32 v2, 0
	s_and_saveexec_b64 s[12:13], vcc
	s_cbranch_execz .LBB21_128
; %bb.123:
	v_cvt_f32_f16_sdwa v2, v4 dst_sel:DWORD dst_unused:UNUSED_PAD src0_sel:WORD_1
	s_mov_b32 s4, 0
	s_mov_b32 s15, 0xc00921fb
	;; [unrolled: 1-line block ×3, first 2 shown]
	v_cvt_f64_f32_e32 v[2:3], v2
	s_mov_b32 s5, 0x7ff00000
	v_bfrev_b32_e32 v4, 1
	s_mov_b32 s16, 0
	v_trunc_f64_e32 v[6:7], v[2:3]
	v_cmp_neq_f64_e64 vcc, |v[2:3]|, s[4:5]
	s_mov_b32 s17, 0x41d00000
                                        ; implicit-def: $vgpr8_vgpr9
	v_add_f64 v[6:7], v[2:3], -v[6:7]
	v_mul_f64 v[6:7], |v[6:7]|, s[14:15]
	v_cndmask_b32_e32 v3, v4, v7, vcc
	v_cndmask_b32_e32 v2, 0, v6, vcc
	v_cmp_nlt_f64_e64 s[16:17], |v[2:3]|, s[16:17]
                                        ; implicit-def: $vgpr4
                                        ; implicit-def: $vgpr6_vgpr7
	s_and_saveexec_b64 s[18:19], s[16:17]
	s_xor_b64 s[16:17], exec, s[18:19]
	s_cbranch_execz .LBB21_125
; %bb.124:
	v_trig_preop_f64 v[6:7], |v[2:3]|, 0
	s_mov_b32 s18, 0
	s_mov_b32 s19, 0x7b000000
	s_movk_i32 s15, 0xff80
	v_cmp_ge_f64_e64 vcc, |v[2:3]|, s[18:19]
	v_ldexp_f64 v[18:19], |v[2:3]|, s15
	v_trig_preop_f64 v[8:9], |v[2:3]|, 1
	v_and_b32_e32 v4, 0x7fffffff, v3
	s_mov_b32 s15, 0x3ff921fb
	v_cndmask_b32_e32 v19, v4, v19, vcc
	v_cndmask_b32_e32 v18, v2, v18, vcc
	v_mov_b32_e32 v4, 0x40100000
	v_mul_f64 v[22:23], v[6:7], v[18:19]
	v_mul_f64 v[20:21], v[8:9], v[18:19]
	v_fma_f64 v[6:7], v[6:7], v[18:19], -v[22:23]
	v_fma_f64 v[8:9], v[8:9], v[18:19], -v[20:21]
	v_add_f64 v[24:25], v[20:21], v[6:7]
	v_add_f64 v[32:33], v[24:25], -v[20:21]
	v_add_f64 v[26:27], v[22:23], v[24:25]
	v_add_f64 v[6:7], v[6:7], -v[32:33]
	v_add_f64 v[32:33], v[24:25], -v[32:33]
	v_ldexp_f64 v[28:29], v[26:27], -2
	v_add_f64 v[22:23], v[26:27], -v[22:23]
	v_add_f64 v[32:33], v[20:21], -v[32:33]
	v_trig_preop_f64 v[20:21], |v[2:3]|, 2
	v_fract_f64_e32 v[30:31], v[28:29]
	v_add_f64 v[22:23], v[24:25], -v[22:23]
	v_cmp_neq_f64_e64 vcc, |v[28:29]|, s[4:5]
	v_add_f64 v[6:7], v[6:7], v[32:33]
	v_mul_f64 v[32:33], v[20:21], v[18:19]
	v_add_f64 v[34:35], v[32:33], v[8:9]
	v_add_f64 v[36:37], v[34:35], v[6:7]
	v_add_f64 v[26:27], v[36:37], -v[34:35]
	v_add_f64 v[24:25], v[22:23], v[36:37]
	v_add_f64 v[6:7], v[6:7], -v[26:27]
	v_add_f64 v[26:27], v[36:37], -v[26:27]
	;; [unrolled: 1-line block ×5, first 2 shown]
	v_add_f64 v[6:7], v[6:7], v[26:27]
	v_add_f64 v[26:27], v[34:35], -v[32:33]
	v_add_f64 v[8:9], v[8:9], -v[26:27]
	;; [unrolled: 1-line block ×4, first 2 shown]
	v_add_f64 v[8:9], v[8:9], v[26:27]
	v_add_f64 v[6:7], v[8:9], v[6:7]
	v_fma_f64 v[8:9], v[20:21], v[18:19], -v[32:33]
	v_add_f64 v[6:7], v[8:9], v[6:7]
	v_ldexp_f64 v[8:9], v[30:31], 2
	v_add_f64 v[6:7], v[22:23], v[6:7]
	v_cndmask_b32_e32 v9, 0, v9, vcc
	v_cndmask_b32_e32 v8, 0, v8, vcc
	v_add_f64 v[18:19], v[24:25], v[8:9]
	v_cmp_gt_f64_e32 vcc, 0, v[18:19]
	v_mov_b32_e32 v18, 0
	v_cndmask_b32_e32 v19, 0, v4, vcc
	v_add_f64 v[8:9], v[8:9], v[18:19]
	v_add_f64 v[19:20], v[24:25], v[8:9]
	v_cvt_i32_f64_e32 v4, v[19:20]
	v_cvt_f64_i32_e32 v[19:20], v4
	v_add_f64 v[8:9], v[8:9], -v[19:20]
	v_add_f64 v[20:21], v[24:25], v[8:9]
	v_add_f64 v[8:9], v[20:21], -v[8:9]
	v_cmp_le_f64_e32 vcc, 0.5, v[20:21]
	v_add_f64 v[8:9], v[24:25], -v[8:9]
	v_addc_co_u32_e64 v4, s[4:5], 0, v4, vcc
	s_mov_b32 s4, 0x33145c07
	s_mov_b32 s5, 0x3c91a626
	v_add_f64 v[6:7], v[6:7], v[8:9]
	v_mov_b32_e32 v8, 0x3ff00000
	v_cndmask_b32_e32 v19, 0, v8, vcc
	v_add_f64 v[8:9], v[20:21], -v[18:19]
	v_add_f64 v[18:19], v[8:9], v[6:7]
	v_add_f64 v[8:9], v[18:19], -v[8:9]
	v_add_f64 v[6:7], v[6:7], -v[8:9]
	v_mul_f64 v[8:9], v[18:19], s[14:15]
	v_fma_f64 v[20:21], v[18:19], s[14:15], -v[8:9]
	v_fma_f64 v[18:19], v[18:19], s[4:5], v[20:21]
	v_fma_f64 v[18:19], v[6:7], s[14:15], v[18:19]
	v_add_f64 v[6:7], v[8:9], v[18:19]
	v_add_f64 v[8:9], v[6:7], -v[8:9]
	v_add_f64 v[8:9], v[18:19], -v[8:9]
.LBB21_125:
	s_andn2_saveexec_b64 s[4:5], s[16:17]
	s_cbranch_execz .LBB21_127
; %bb.126:
	s_mov_b32 s14, 0x6dc9c883
	s_mov_b32 s15, 0x3fe45f30
	v_mul_f64 v[6:7], |v[2:3]|, s[14:15]
	s_mov_b32 s14, 0x54442d18
	s_mov_b32 s15, 0xbff921fb
	;; [unrolled: 1-line block ×4, first 2 shown]
	v_rndne_f64_e32 v[18:19], v[6:7]
	v_fma_f64 v[6:7], v[18:19], s[14:15], |v[2:3]|
	v_mul_f64 v[8:9], v[18:19], s[16:17]
	s_mov_b32 s14, 0x252049c0
	s_mov_b32 s15, 0xb97b839a
	v_cvt_i32_f64_e32 v4, v[18:19]
	v_fma_f64 v[24:25], v[18:19], s[16:17], v[6:7]
	v_add_f64 v[20:21], v[6:7], v[8:9]
	s_mov_b32 s17, 0x3c91a626
	v_add_f64 v[22:23], v[6:7], -v[20:21]
	v_add_f64 v[20:21], v[20:21], -v[24:25]
	v_add_f64 v[6:7], v[22:23], v[8:9]
	v_fma_f64 v[8:9], v[18:19], s[16:17], v[8:9]
	v_add_f64 v[6:7], v[20:21], v[6:7]
	v_add_f64 v[6:7], v[6:7], -v[8:9]
	v_fma_f64 v[8:9], v[18:19], s[14:15], v[6:7]
	v_add_f64 v[6:7], v[24:25], v[8:9]
	v_add_f64 v[20:21], v[6:7], -v[24:25]
	v_add_f64 v[8:9], v[8:9], -v[20:21]
.LBB21_127:
	s_or_b64 exec, exec, s[4:5]
	v_mul_f64 v[18:19], v[6:7], v[6:7]
	v_add_f64 v[20:21], v[8:9], v[8:9]
	s_mov_b32 s4, 0xc751c08c
	s_mov_b32 s5, 0x3ef5e089
	v_and_b32_e32 v4, 1, v4
	v_cmp_eq_u32_e32 vcc, 0, v4
	v_and_b32_e32 v16, 0x80000000, v3
	s_mov_b32 s16, 0x54442d18
	v_fma_f64 v[22:23], v[6:7], v[6:7], -v[18:19]
	s_mov_b32 s17, 0xc00921fb
	s_mov_b64 s[14:15], exec
	v_sub_f32_e32 v17, 1.0, v17
	v_fma_f64 v[20:21], v[6:7], v[20:21], v[22:23]
	v_add_f64 v[18:19], v[18:19], v[20:21]
	v_mov_b32_e32 v20, 0xa9a29f71
	v_mov_b32_e32 v21, 0xbf078809
	v_fma_f64 v[20:21], v[18:19], s[4:5], v[20:21]
	s_mov_b32 s4, 0x90a8aae0
	s_mov_b32 s5, 0x3f17746f
	v_fma_f64 v[20:21], v[18:19], v[20:21], s[4:5]
	s_mov_b32 s4, 0xa6fbf144
	s_mov_b32 s5, 0xbefbb44d
	;; [unrolled: 3-line block ×12, first 2 shown]
	v_fma_f64 v[20:21], v[18:19], v[20:21], s[4:5]
	s_movk_i32 s4, 0x1f8
	v_cmp_class_f64_e64 s[4:5], v[2:3], s4
	v_mov_b32_e32 v3, 0x7ff80000
	v_mul_f64 v[18:19], v[18:19], v[20:21]
	v_mul_f64 v[20:21], v[6:7], v[18:19]
	v_add_f64 v[22:23], v[6:7], v[20:21]
	v_fma_f64 v[18:19], v[6:7], v[18:19], -v[20:21]
	v_add_f64 v[6:7], v[22:23], -v[6:7]
	v_add_f64 v[8:9], v[8:9], v[18:19]
	v_add_f64 v[6:7], v[20:21], -v[6:7]
	v_add_f64 v[6:7], v[8:9], v[6:7]
	v_add_f64 v[8:9], v[22:23], v[6:7]
	v_rcp_f64_e32 v[18:19], v[8:9]
	v_fma_f64 v[20:21], -v[8:9], v[18:19], 1.0
	v_fma_f64 v[18:19], v[20:21], v[18:19], v[18:19]
	v_fma_f64 v[20:21], -v[8:9], v[18:19], 1.0
	v_fma_f64 v[18:19], v[20:21], v[18:19], v[18:19]
	v_add_f64 v[20:21], v[8:9], -v[22:23]
	v_mul_f64 v[22:23], v[8:9], v[18:19]
	v_add_f64 v[6:7], v[6:7], -v[20:21]
	v_fma_f64 v[20:21], v[18:19], v[8:9], -v[22:23]
	v_fma_f64 v[6:7], v[18:19], v[6:7], v[20:21]
	v_add_f64 v[20:21], v[22:23], v[6:7]
	v_add_f64 v[24:25], -v[20:21], 1.0
	v_add_f64 v[22:23], v[20:21], -v[22:23]
	v_add_f64 v[26:27], -v[24:25], 1.0
	v_add_f64 v[6:7], v[22:23], -v[6:7]
	v_add_f64 v[20:21], v[26:27], -v[20:21]
	v_add_f64 v[6:7], v[6:7], v[20:21]
	v_add_f64 v[6:7], v[24:25], v[6:7]
	v_mul_f64 v[6:7], v[18:19], v[6:7]
	v_add_f64 v[6:7], v[18:19], v[6:7]
	v_xor_b32_e32 v2, 0x80000000, v7
	v_cndmask_b32_e32 v4, v6, v8, vcc
	v_cndmask_b32_e32 v6, v2, v9, vcc
	v_cndmask_b32_e64 v2, 0, v4, s[4:5]
	v_xor_b32_e32 v4, v6, v16
	v_cndmask_b32_e64 v3, v3, v4, s[4:5]
	v_div_scale_f64 v[6:7], s[4:5], v[2:3], v[2:3], s[16:17]
	v_div_scale_f64 v[20:21], vcc, s[16:17], v[2:3], s[16:17]
	v_rcp_f64_e32 v[8:9], v[6:7]
	v_fma_f64 v[18:19], -v[6:7], v[8:9], 1.0
	v_fma_f64 v[8:9], v[8:9], v[18:19], v[8:9]
	v_fma_f64 v[18:19], -v[6:7], v[8:9], 1.0
	v_fma_f64 v[8:9], v[8:9], v[18:19], v[8:9]
	v_mul_f64 v[18:19], v[20:21], v[8:9]
	v_fma_f64 v[6:7], -v[6:7], v[18:19], v[20:21]
	v_div_fmas_f64 v[6:7], v[6:7], v[8:9], v[18:19]
	v_div_fixup_f64 v[2:3], v[6:7], v[2:3], s[16:17]
	v_cvt_f32_f64_e32 v2, v[2:3]
.LBB21_128:
	s_or_b64 exec, exec, s[12:13]
	s_orn2_b64 s[4:5], s[14:15], exec
.LBB21_129:
	s_or_b64 exec, exec, s[10:11]
	v_mov_b32_e32 v16, 0x7e00
	s_and_saveexec_b64 s[10:11], s[4:5]
	s_cbranch_execz .LBB21_141
; %bb.130:
	s_mov_b32 s14, 0x41200000
	v_cmp_gt_f32_e32 vcc, s14, v17
	s_and_saveexec_b64 s[4:5], vcc
	s_cbranch_execz .LBB21_134
; %bb.131:
	s_mov_b64 s[12:13], 0
.LBB21_132:                             ; =>This Inner Loop Header: Depth=1
	v_div_scale_f32 v3, s[16:17], v17, v17, 1.0
	v_div_scale_f32 v4, vcc, 1.0, v17, 1.0
	v_rcp_f32_e32 v6, v3
	v_fma_f32 v7, -v3, v6, 1.0
	v_fmac_f32_e32 v6, v7, v6
	v_mul_f32_e32 v7, v4, v6
	v_fma_f32 v8, -v3, v7, v4
	v_fmac_f32_e32 v7, v8, v6
	v_fma_f32 v3, -v3, v7, v4
	v_div_fmas_f32 v3, v3, v6, v7
	v_div_fixup_f32 v3, v3, v17, 1.0
	v_add_f32_e32 v17, 1.0, v17
	v_cmp_ngt_f32_e32 vcc, s14, v17
	s_or_b64 s[12:13], vcc, s[12:13]
	v_sub_f32_e32 v2, v2, v3
	s_andn2_b64 exec, exec, s[12:13]
	s_cbranch_execnz .LBB21_132
; %bb.133:
	s_or_b64 exec, exec, s[12:13]
.LBB21_134:
	s_or_b64 exec, exec, s[4:5]
	s_mov_b32 s4, 0x41200000
	v_cmp_neq_f32_e32 vcc, s4, v17
                                        ; implicit-def: $vgpr16
	s_and_saveexec_b64 s[4:5], vcc
	s_xor_b64 s[12:13], exec, s[4:5]
	s_cbranch_execz .LBB21_138
; %bb.135:
	v_cvt_f64_f32_e32 v[3:4], v17
	s_mov_b32 s4, 0x85d8a000
	s_mov_b32 s5, 0x43763457
	v_cmp_gt_f64_e32 vcc, s[4:5], v[3:4]
	v_mov_b32_e32 v3, 0
	s_and_saveexec_b64 s[4:5], vcc
	s_cbranch_execz .LBB21_137
; %bb.136:
	v_mul_f32_e32 v3, v17, v17
	v_div_scale_f32 v4, s[14:15], v3, v3, 1.0
	v_div_scale_f32 v6, vcc, 1.0, v3, 1.0
	v_mov_b32_e32 v16, 0x3b820821
	v_rcp_f32_e32 v7, v4
	v_fma_f32 v8, -v4, v7, 1.0
	v_fmac_f32_e32 v7, v8, v7
	v_mul_f32_e32 v8, v6, v7
	v_fma_f32 v9, -v4, v8, v6
	v_fmac_f32_e32 v8, v9, v7
	v_fma_f32 v4, -v4, v8, v6
	v_div_fmas_f32 v4, v4, v7, v8
	v_mov_b32_e32 v6, 0x3daaaaab
	v_mov_b32_e32 v7, 0xbcaccacd
	;; [unrolled: 1-line block ×4, first 2 shown]
	v_div_fixup_f32 v3, v4, v3, 1.0
	v_fma_f32 v4, 0, v3, v6
	v_fmac_f32_e32 v7, v3, v4
	v_fmac_f32_e32 v8, v3, v7
	;; [unrolled: 1-line block ×4, first 2 shown]
	v_mov_b32_e32 v4, 0xbc088889
	v_fmac_f32_e32 v4, v3, v16
	v_fmac_f32_e32 v6, v3, v4
	v_mul_f32_e32 v3, v3, v6
.LBB21_137:
	s_or_b64 exec, exec, s[4:5]
	v_div_scale_f32 v4, s[4:5], v17, v17, -0.5
	v_div_scale_f32 v6, vcc, -0.5, v17, -0.5
	s_mov_b32 s4, 0x800000
	v_cmp_gt_f32_e64 s[4:5], s4, v17
	v_cndmask_b32_e64 v8, 0, 32, s[4:5]
	s_mov_b32 s14, 0x3f317217
	v_rcp_f32_e32 v7, v4
	v_fma_f32 v9, -v4, v7, 1.0
	v_fmac_f32_e32 v7, v9, v7
	v_mul_f32_e32 v9, v6, v7
	v_fma_f32 v16, -v4, v9, v6
	v_fmac_f32_e32 v9, v16, v7
	v_fma_f32 v4, -v4, v9, v6
	v_div_fmas_f32 v4, v4, v7, v9
	v_ldexp_f32 v6, v17, v8
	v_log_f32_e32 v6, v6
	v_mul_f32_e32 v7, 0x3f317217, v6
	v_fma_f32 v7, v6, s14, -v7
	v_fmac_f32_e32 v7, 0x3377d1cf, v6
	s_mov_b32 s14, 0x7f800000
	v_fmac_f32_e32 v7, 0x3f317217, v6
	v_cmp_lt_f32_e64 vcc, |v6|, s14
	v_cndmask_b32_e32 v6, v6, v7, vcc
	v_mov_b32_e32 v7, 0x41b17218
	v_cndmask_b32_e64 v7, 0, v7, s[4:5]
	v_sub_f32_e32 v6, v6, v7
	v_div_fixup_f32 v4, v4, v17, -0.5
	v_add_f32_e32 v4, v6, v4
	v_sub_f32_e32 v3, v4, v3
	v_add_f32_e32 v2, v2, v3
	v_cvt_f16_f32_e32 v16, v2
                                        ; implicit-def: $vgpr2
.LBB21_138:
	s_andn2_saveexec_b64 s[4:5], s[12:13]
; %bb.139:
	v_add_f32_e32 v2, 0x40101cb7, v2
	v_cvt_f16_f32_e32 v16, v2
; %bb.140:
	s_or_b64 exec, exec, s[4:5]
.LBB21_141:
	s_or_b64 exec, exec, s[10:11]
                                        ; implicit-def: $vgpr17
.LBB21_142:
	s_andn2_saveexec_b64 s[4:5], s[8:9]
; %bb.143:
	v_xor_b32_e32 v2, 0x80000000, v17
	v_lshrrev_b32_e32 v2, 16, v2
	s_movk_i32 s8, 0x7fff
	v_mov_b32_e32 v3, 0x7c00
	v_bfi_b32 v16, s8, v3, v2
; %bb.144:
	s_or_b64 exec, exec, s[4:5]
	v_cvt_f32_f16_e32 v4, v5
	v_cmp_neq_f16_e32 vcc, 0, v5
                                        ; implicit-def: $vgpr8
	s_and_saveexec_b64 s[4:5], vcc
	s_xor_b64 s[8:9], exec, s[4:5]
	s_cbranch_execz .LBB21_166
; %bb.145:
	v_cmp_gt_f16_e32 vcc, 0, v5
	s_mov_b64 s[4:5], -1
	v_mov_b32_e32 v2, 0
	s_and_saveexec_b64 s[10:11], vcc
	s_cbranch_execz .LBB21_153
; %bb.146:
	v_trunc_f32_e32 v2, v4
	v_cmp_neq_f32_e32 vcc, v2, v4
	s_mov_b64 s[14:15], 0
	v_mov_b32_e32 v2, 0
	s_and_saveexec_b64 s[12:13], vcc
	s_cbranch_execz .LBB21_152
; %bb.147:
	v_cvt_f32_f16_e32 v2, v5
	s_mov_b32 s4, 0
	s_mov_b32 s15, 0xc00921fb
	;; [unrolled: 1-line block ×3, first 2 shown]
	v_cvt_f64_f32_e32 v[2:3], v2
	s_mov_b32 s5, 0x7ff00000
	v_bfrev_b32_e32 v8, 1
	s_mov_b32 s16, 0
	v_trunc_f64_e32 v[6:7], v[2:3]
	v_cmp_neq_f64_e64 vcc, |v[2:3]|, s[4:5]
	s_mov_b32 s17, 0x41d00000
                                        ; implicit-def: $vgpr17
	v_add_f64 v[6:7], v[2:3], -v[6:7]
	v_mul_f64 v[6:7], |v[6:7]|, s[14:15]
	v_cndmask_b32_e32 v3, v8, v7, vcc
	v_cndmask_b32_e32 v2, 0, v6, vcc
	v_cmp_nlt_f64_e64 s[16:17], |v[2:3]|, s[16:17]
                                        ; implicit-def: $vgpr6_vgpr7
                                        ; implicit-def: $vgpr8_vgpr9
	s_and_saveexec_b64 s[18:19], s[16:17]
	s_xor_b64 s[16:17], exec, s[18:19]
	s_cbranch_execz .LBB21_149
; %bb.148:
	v_trig_preop_f64 v[6:7], |v[2:3]|, 0
	s_mov_b32 s18, 0
	s_mov_b32 s19, 0x7b000000
	s_movk_i32 s15, 0xff80
	v_cmp_ge_f64_e64 vcc, |v[2:3]|, s[18:19]
	v_ldexp_f64 v[17:18], |v[2:3]|, s15
	v_trig_preop_f64 v[8:9], |v[2:3]|, 1
	v_and_b32_e32 v19, 0x7fffffff, v3
	s_mov_b32 s15, 0x3ff921fb
	v_cndmask_b32_e32 v18, v19, v18, vcc
	v_cndmask_b32_e32 v17, v2, v17, vcc
	v_mul_f64 v[21:22], v[6:7], v[17:18]
	v_mul_f64 v[19:20], v[8:9], v[17:18]
	v_fma_f64 v[6:7], v[6:7], v[17:18], -v[21:22]
	v_fma_f64 v[8:9], v[8:9], v[17:18], -v[19:20]
	v_add_f64 v[23:24], v[19:20], v[6:7]
	v_add_f64 v[31:32], v[23:24], -v[19:20]
	v_add_f64 v[25:26], v[21:22], v[23:24]
	v_add_f64 v[6:7], v[6:7], -v[31:32]
	v_add_f64 v[31:32], v[23:24], -v[31:32]
	v_ldexp_f64 v[27:28], v[25:26], -2
	v_add_f64 v[21:22], v[25:26], -v[21:22]
	v_add_f64 v[31:32], v[19:20], -v[31:32]
	v_trig_preop_f64 v[19:20], |v[2:3]|, 2
	v_fract_f64_e32 v[29:30], v[27:28]
	v_add_f64 v[21:22], v[23:24], -v[21:22]
	v_cmp_neq_f64_e64 vcc, |v[27:28]|, s[4:5]
	v_add_f64 v[6:7], v[6:7], v[31:32]
	v_mul_f64 v[31:32], v[19:20], v[17:18]
	v_add_f64 v[33:34], v[31:32], v[8:9]
	v_add_f64 v[35:36], v[33:34], v[6:7]
	v_add_f64 v[25:26], v[35:36], -v[33:34]
	v_add_f64 v[23:24], v[21:22], v[35:36]
	v_add_f64 v[6:7], v[6:7], -v[25:26]
	v_add_f64 v[25:26], v[35:36], -v[25:26]
	;; [unrolled: 1-line block ×5, first 2 shown]
	v_add_f64 v[6:7], v[6:7], v[25:26]
	v_add_f64 v[25:26], v[33:34], -v[31:32]
	v_add_f64 v[8:9], v[8:9], -v[25:26]
	;; [unrolled: 1-line block ×4, first 2 shown]
	v_add_f64 v[8:9], v[8:9], v[25:26]
	v_add_f64 v[6:7], v[8:9], v[6:7]
	v_fma_f64 v[8:9], v[19:20], v[17:18], -v[31:32]
	v_add_f64 v[6:7], v[8:9], v[6:7]
	v_ldexp_f64 v[8:9], v[29:30], 2
	v_add_f64 v[6:7], v[21:22], v[6:7]
	v_cndmask_b32_e32 v9, 0, v9, vcc
	v_cndmask_b32_e32 v8, 0, v8, vcc
	v_add_f64 v[17:18], v[23:24], v[8:9]
	v_cmp_gt_f64_e32 vcc, 0, v[17:18]
	v_mov_b32_e32 v17, 0x40100000
	v_mov_b32_e32 v18, 0
	v_cndmask_b32_e32 v19, 0, v17, vcc
	v_add_f64 v[8:9], v[8:9], v[18:19]
	v_add_f64 v[19:20], v[23:24], v[8:9]
	v_cvt_i32_f64_e32 v17, v[19:20]
	v_cvt_f64_i32_e32 v[19:20], v17
	v_add_f64 v[8:9], v[8:9], -v[19:20]
	v_add_f64 v[20:21], v[23:24], v[8:9]
	v_add_f64 v[8:9], v[20:21], -v[8:9]
	v_cmp_le_f64_e32 vcc, 0.5, v[20:21]
	v_add_f64 v[8:9], v[23:24], -v[8:9]
	v_addc_co_u32_e64 v17, s[4:5], 0, v17, vcc
	s_mov_b32 s4, 0x33145c07
	s_mov_b32 s5, 0x3c91a626
	v_add_f64 v[6:7], v[6:7], v[8:9]
	v_mov_b32_e32 v8, 0x3ff00000
	v_cndmask_b32_e32 v19, 0, v8, vcc
	v_add_f64 v[8:9], v[20:21], -v[18:19]
	v_add_f64 v[18:19], v[8:9], v[6:7]
	v_add_f64 v[8:9], v[18:19], -v[8:9]
	v_add_f64 v[6:7], v[6:7], -v[8:9]
	v_mul_f64 v[8:9], v[18:19], s[14:15]
	v_fma_f64 v[20:21], v[18:19], s[14:15], -v[8:9]
	v_fma_f64 v[18:19], v[18:19], s[4:5], v[20:21]
	v_fma_f64 v[18:19], v[6:7], s[14:15], v[18:19]
	v_add_f64 v[6:7], v[8:9], v[18:19]
	v_add_f64 v[8:9], v[6:7], -v[8:9]
	v_add_f64 v[8:9], v[18:19], -v[8:9]
.LBB21_149:
	s_andn2_saveexec_b64 s[4:5], s[16:17]
	s_cbranch_execz .LBB21_151
; %bb.150:
	s_mov_b32 s14, 0x6dc9c883
	s_mov_b32 s15, 0x3fe45f30
	v_mul_f64 v[6:7], |v[2:3]|, s[14:15]
	s_mov_b32 s14, 0x54442d18
	s_mov_b32 s15, 0xbff921fb
	;; [unrolled: 1-line block ×4, first 2 shown]
	v_rndne_f64_e32 v[17:18], v[6:7]
	v_fma_f64 v[6:7], v[17:18], s[14:15], |v[2:3]|
	v_mul_f64 v[8:9], v[17:18], s[16:17]
	s_mov_b32 s14, 0x252049c0
	s_mov_b32 s15, 0xb97b839a
	v_fma_f64 v[23:24], v[17:18], s[16:17], v[6:7]
	v_add_f64 v[19:20], v[6:7], v[8:9]
	s_mov_b32 s17, 0x3c91a626
	v_add_f64 v[21:22], v[6:7], -v[19:20]
	v_add_f64 v[19:20], v[19:20], -v[23:24]
	v_add_f64 v[6:7], v[21:22], v[8:9]
	v_fma_f64 v[8:9], v[17:18], s[16:17], v[8:9]
	v_add_f64 v[6:7], v[19:20], v[6:7]
	v_add_f64 v[6:7], v[6:7], -v[8:9]
	v_fma_f64 v[8:9], v[17:18], s[14:15], v[6:7]
	v_cvt_i32_f64_e32 v17, v[17:18]
	v_add_f64 v[6:7], v[23:24], v[8:9]
	v_add_f64 v[19:20], v[6:7], -v[23:24]
	v_add_f64 v[8:9], v[8:9], -v[19:20]
.LBB21_151:
	s_or_b64 exec, exec, s[4:5]
	v_mul_f64 v[18:19], v[6:7], v[6:7]
	v_add_f64 v[20:21], v[8:9], v[8:9]
	s_mov_b32 s4, 0xc751c08c
	s_mov_b32 s5, 0x3ef5e089
	v_and_b32_e32 v17, 1, v17
	v_cmp_eq_u32_e32 vcc, 0, v17
	s_mov_b32 s16, 0x54442d18
	s_mov_b32 s17, 0xc00921fb
	v_fma_f64 v[22:23], v[6:7], v[6:7], -v[18:19]
	s_mov_b64 s[14:15], exec
	v_sub_f32_e32 v4, 1.0, v4
	v_fma_f64 v[20:21], v[6:7], v[20:21], v[22:23]
	v_add_f64 v[18:19], v[18:19], v[20:21]
	v_mov_b32_e32 v20, 0xa9a29f71
	v_mov_b32_e32 v21, 0xbf078809
	v_fma_f64 v[20:21], v[18:19], s[4:5], v[20:21]
	s_mov_b32 s4, 0x90a8aae0
	s_mov_b32 s5, 0x3f17746f
	v_fma_f64 v[20:21], v[18:19], v[20:21], s[4:5]
	s_mov_b32 s4, 0xa6fbf144
	s_mov_b32 s5, 0xbefbb44d
	;; [unrolled: 3-line block ×12, first 2 shown]
	v_fma_f64 v[20:21], v[18:19], v[20:21], s[4:5]
	s_movk_i32 s4, 0x1f8
	v_cmp_class_f64_e64 s[4:5], v[2:3], s4
	v_mul_f64 v[18:19], v[18:19], v[20:21]
	v_mul_f64 v[20:21], v[6:7], v[18:19]
	v_add_f64 v[22:23], v[6:7], v[20:21]
	v_fma_f64 v[18:19], v[6:7], v[18:19], -v[20:21]
	v_add_f64 v[6:7], v[22:23], -v[6:7]
	v_add_f64 v[8:9], v[8:9], v[18:19]
	v_add_f64 v[6:7], v[20:21], -v[6:7]
	v_add_f64 v[6:7], v[8:9], v[6:7]
	v_add_f64 v[8:9], v[22:23], v[6:7]
	v_rcp_f64_e32 v[18:19], v[8:9]
	v_fma_f64 v[20:21], -v[8:9], v[18:19], 1.0
	v_fma_f64 v[18:19], v[20:21], v[18:19], v[18:19]
	v_fma_f64 v[20:21], -v[8:9], v[18:19], 1.0
	v_fma_f64 v[18:19], v[20:21], v[18:19], v[18:19]
	v_add_f64 v[20:21], v[8:9], -v[22:23]
	v_mul_f64 v[22:23], v[8:9], v[18:19]
	v_add_f64 v[6:7], v[6:7], -v[20:21]
	v_fma_f64 v[20:21], v[18:19], v[8:9], -v[22:23]
	v_fma_f64 v[6:7], v[18:19], v[6:7], v[20:21]
	v_add_f64 v[20:21], v[22:23], v[6:7]
	v_add_f64 v[24:25], -v[20:21], 1.0
	v_add_f64 v[22:23], v[20:21], -v[22:23]
	v_add_f64 v[26:27], -v[24:25], 1.0
	v_add_f64 v[6:7], v[22:23], -v[6:7]
	v_add_f64 v[20:21], v[26:27], -v[20:21]
	v_add_f64 v[6:7], v[6:7], v[20:21]
	v_add_f64 v[6:7], v[24:25], v[6:7]
	v_mul_f64 v[6:7], v[18:19], v[6:7]
	v_add_f64 v[6:7], v[18:19], v[6:7]
	v_and_b32_e32 v18, 0x80000000, v3
	v_mov_b32_e32 v3, 0x7ff80000
	v_xor_b32_e32 v2, 0x80000000, v7
	v_cndmask_b32_e32 v6, v6, v8, vcc
	v_cndmask_b32_e32 v7, v2, v9, vcc
	v_cndmask_b32_e64 v2, 0, v6, s[4:5]
	v_xor_b32_e32 v6, v7, v18
	v_cndmask_b32_e64 v3, v3, v6, s[4:5]
	v_div_scale_f64 v[6:7], s[4:5], v[2:3], v[2:3], s[16:17]
	v_div_scale_f64 v[19:20], vcc, s[16:17], v[2:3], s[16:17]
	v_rcp_f64_e32 v[8:9], v[6:7]
	v_fma_f64 v[17:18], -v[6:7], v[8:9], 1.0
	v_fma_f64 v[8:9], v[8:9], v[17:18], v[8:9]
	v_fma_f64 v[17:18], -v[6:7], v[8:9], 1.0
	v_fma_f64 v[8:9], v[8:9], v[17:18], v[8:9]
	v_mul_f64 v[17:18], v[19:20], v[8:9]
	v_fma_f64 v[6:7], -v[6:7], v[17:18], v[19:20]
	v_div_fmas_f64 v[6:7], v[6:7], v[8:9], v[17:18]
	v_div_fixup_f64 v[2:3], v[6:7], v[2:3], s[16:17]
	v_cvt_f32_f64_e32 v2, v[2:3]
.LBB21_152:
	s_or_b64 exec, exec, s[12:13]
	s_orn2_b64 s[4:5], s[14:15], exec
.LBB21_153:
	s_or_b64 exec, exec, s[10:11]
	v_mov_b32_e32 v8, 0x7e00
	s_and_saveexec_b64 s[10:11], s[4:5]
	s_cbranch_execz .LBB21_165
; %bb.154:
	s_mov_b32 s14, 0x41200000
	v_cmp_gt_f32_e32 vcc, s14, v4
	s_and_saveexec_b64 s[4:5], vcc
	s_cbranch_execz .LBB21_158
; %bb.155:
	s_mov_b64 s[12:13], 0
.LBB21_156:                             ; =>This Inner Loop Header: Depth=1
	v_div_scale_f32 v3, s[16:17], v4, v4, 1.0
	v_div_scale_f32 v6, vcc, 1.0, v4, 1.0
	v_rcp_f32_e32 v7, v3
	v_fma_f32 v8, -v3, v7, 1.0
	v_fmac_f32_e32 v7, v8, v7
	v_mul_f32_e32 v8, v6, v7
	v_fma_f32 v9, -v3, v8, v6
	v_fmac_f32_e32 v8, v9, v7
	v_fma_f32 v3, -v3, v8, v6
	v_div_fmas_f32 v3, v3, v7, v8
	v_div_fixup_f32 v3, v3, v4, 1.0
	v_add_f32_e32 v4, 1.0, v4
	v_cmp_ngt_f32_e32 vcc, s14, v4
	s_or_b64 s[12:13], vcc, s[12:13]
	v_sub_f32_e32 v2, v2, v3
	s_andn2_b64 exec, exec, s[12:13]
	s_cbranch_execnz .LBB21_156
; %bb.157:
	s_or_b64 exec, exec, s[12:13]
.LBB21_158:
	s_or_b64 exec, exec, s[4:5]
	s_mov_b32 s4, 0x41200000
	v_cmp_neq_f32_e32 vcc, s4, v4
                                        ; implicit-def: $vgpr8
	s_and_saveexec_b64 s[4:5], vcc
	s_xor_b64 s[12:13], exec, s[4:5]
	s_cbranch_execz .LBB21_162
; %bb.159:
	v_cvt_f64_f32_e32 v[6:7], v4
	s_mov_b32 s4, 0x85d8a000
	s_mov_b32 s5, 0x43763457
	v_mov_b32_e32 v3, 0
	v_cmp_gt_f64_e32 vcc, s[4:5], v[6:7]
	s_and_saveexec_b64 s[4:5], vcc
	s_cbranch_execz .LBB21_161
; %bb.160:
	v_mul_f32_e32 v3, v4, v4
	v_div_scale_f32 v6, s[14:15], v3, v3, 1.0
	v_div_scale_f32 v7, vcc, 1.0, v3, 1.0
	v_mov_b32_e32 v18, 0x3b820821
	v_rcp_f32_e32 v8, v6
	v_fma_f32 v9, -v6, v8, 1.0
	v_fmac_f32_e32 v8, v9, v8
	v_mul_f32_e32 v9, v7, v8
	v_fma_f32 v17, -v6, v9, v7
	v_fmac_f32_e32 v9, v17, v8
	v_fma_f32 v6, -v6, v9, v7
	v_div_fmas_f32 v6, v6, v8, v9
	v_mov_b32_e32 v7, 0x3daaaaab
	v_mov_b32_e32 v8, 0xbcaccacd
	v_mov_b32_e32 v9, 0x3bf83e10
	v_mov_b32_e32 v17, 0xbb888889
	v_div_fixup_f32 v3, v6, v3, 1.0
	v_fma_f32 v6, 0, v3, v7
	v_fmac_f32_e32 v8, v3, v6
	v_fmac_f32_e32 v9, v3, v8
	;; [unrolled: 1-line block ×4, first 2 shown]
	v_mov_b32_e32 v6, 0xbc088889
	v_fmac_f32_e32 v6, v3, v18
	v_fmac_f32_e32 v7, v3, v6
	v_mul_f32_e32 v3, v3, v7
.LBB21_161:
	s_or_b64 exec, exec, s[4:5]
	v_div_scale_f32 v6, s[4:5], v4, v4, -0.5
	v_div_scale_f32 v7, vcc, -0.5, v4, -0.5
	s_mov_b32 s4, 0x800000
	v_cmp_gt_f32_e64 s[4:5], s4, v4
	v_cndmask_b32_e64 v9, 0, 32, s[4:5]
	s_mov_b32 s14, 0x3f317217
	v_rcp_f32_e32 v8, v6
	v_fma_f32 v17, -v6, v8, 1.0
	v_fmac_f32_e32 v8, v17, v8
	v_mul_f32_e32 v17, v7, v8
	v_fma_f32 v18, -v6, v17, v7
	v_fmac_f32_e32 v17, v18, v8
	v_fma_f32 v6, -v6, v17, v7
	v_div_fmas_f32 v6, v6, v8, v17
	v_ldexp_f32 v7, v4, v9
	v_log_f32_e32 v7, v7
	v_mul_f32_e32 v8, 0x3f317217, v7
	v_fma_f32 v8, v7, s14, -v8
	v_fmac_f32_e32 v8, 0x3377d1cf, v7
	s_mov_b32 s14, 0x7f800000
	v_fmac_f32_e32 v8, 0x3f317217, v7
	v_cmp_lt_f32_e64 vcc, |v7|, s14
	v_cndmask_b32_e32 v7, v7, v8, vcc
	v_mov_b32_e32 v8, 0x41b17218
	v_cndmask_b32_e64 v8, 0, v8, s[4:5]
	v_sub_f32_e32 v7, v7, v8
	v_div_fixup_f32 v4, v6, v4, -0.5
	v_add_f32_e32 v4, v7, v4
	v_sub_f32_e32 v3, v4, v3
	v_add_f32_e32 v2, v2, v3
	v_cvt_f16_f32_e32 v8, v2
                                        ; implicit-def: $vgpr2
.LBB21_162:
	s_andn2_saveexec_b64 s[4:5], s[12:13]
; %bb.163:
	v_add_f32_e32 v2, 0x40101cb7, v2
	v_cvt_f16_f32_e32 v8, v2
; %bb.164:
	s_or_b64 exec, exec, s[4:5]
.LBB21_165:
	s_or_b64 exec, exec, s[10:11]
                                        ; implicit-def: $vgpr4
.LBB21_166:
	s_andn2_saveexec_b64 s[4:5], s[8:9]
; %bb.167:
	v_xor_b32_e32 v2, 0x80000000, v4
	v_lshrrev_b32_e32 v2, 16, v2
	s_movk_i32 s8, 0x7fff
	v_mov_b32_e32 v3, 0x7c00
	v_bfi_b32 v8, s8, v3, v2
; %bb.168:
	s_or_b64 exec, exec, s[4:5]
	v_cvt_f32_f16_sdwa v9, v5 dst_sel:DWORD dst_unused:UNUSED_PAD src0_sel:WORD_1
	v_mov_b32_e32 v2, 0
	v_cmp_neq_f16_sdwa s[4:5], v5, v2 src0_sel:WORD_1 src1_sel:DWORD
                                        ; implicit-def: $vgpr3
	s_and_saveexec_b64 s[8:9], s[4:5]
	s_xor_b64 s[8:9], exec, s[8:9]
	s_cbranch_execz .LBB21_190
; %bb.169:
	v_cmp_lt_f16_sdwa s[12:13], v5, v2 src0_sel:WORD_1 src1_sel:DWORD
	s_mov_b64 s[4:5], -1
	s_and_saveexec_b64 s[10:11], s[12:13]
	s_cbranch_execz .LBB21_177
; %bb.170:
	v_trunc_f32_e32 v2, v9
	v_cmp_neq_f32_e32 vcc, v2, v9
	s_mov_b64 s[14:15], 0
	v_mov_b32_e32 v2, 0
	s_and_saveexec_b64 s[12:13], vcc
	s_cbranch_execz .LBB21_176
; %bb.171:
	v_cvt_f32_f16_sdwa v2, v5 dst_sel:DWORD dst_unused:UNUSED_PAD src0_sel:WORD_1
	s_mov_b32 s4, 0
	s_mov_b32 s15, 0xc00921fb
	;; [unrolled: 1-line block ×3, first 2 shown]
	v_cvt_f64_f32_e32 v[2:3], v2
	s_mov_b32 s5, 0x7ff00000
	v_bfrev_b32_e32 v6, 1
	s_mov_b32 s16, 0
	v_trunc_f64_e32 v[4:5], v[2:3]
	v_cmp_neq_f64_e64 vcc, |v[2:3]|, s[4:5]
	s_mov_b32 s17, 0x41d00000
                                        ; implicit-def: $vgpr17
	v_add_f64 v[4:5], v[2:3], -v[4:5]
	v_mul_f64 v[4:5], |v[4:5]|, s[14:15]
	v_cndmask_b32_e32 v3, v6, v5, vcc
	v_cndmask_b32_e32 v2, 0, v4, vcc
	v_cmp_nlt_f64_e64 s[16:17], |v[2:3]|, s[16:17]
                                        ; implicit-def: $vgpr4_vgpr5
                                        ; implicit-def: $vgpr6_vgpr7
	s_and_saveexec_b64 s[18:19], s[16:17]
	s_xor_b64 s[16:17], exec, s[18:19]
	s_cbranch_execz .LBB21_173
; %bb.172:
	v_trig_preop_f64 v[4:5], |v[2:3]|, 0
	s_mov_b32 s18, 0
	s_mov_b32 s19, 0x7b000000
	s_movk_i32 s15, 0xff80
	v_cmp_ge_f64_e64 vcc, |v[2:3]|, s[18:19]
	v_ldexp_f64 v[17:18], |v[2:3]|, s15
	v_trig_preop_f64 v[6:7], |v[2:3]|, 1
	v_and_b32_e32 v19, 0x7fffffff, v3
	s_mov_b32 s15, 0x3ff921fb
	v_cndmask_b32_e32 v18, v19, v18, vcc
	v_cndmask_b32_e32 v17, v2, v17, vcc
	v_mul_f64 v[21:22], v[4:5], v[17:18]
	v_mul_f64 v[19:20], v[6:7], v[17:18]
	v_fma_f64 v[4:5], v[4:5], v[17:18], -v[21:22]
	v_fma_f64 v[6:7], v[6:7], v[17:18], -v[19:20]
	v_add_f64 v[23:24], v[19:20], v[4:5]
	v_add_f64 v[31:32], v[23:24], -v[19:20]
	v_add_f64 v[25:26], v[21:22], v[23:24]
	v_add_f64 v[4:5], v[4:5], -v[31:32]
	v_add_f64 v[31:32], v[23:24], -v[31:32]
	v_ldexp_f64 v[27:28], v[25:26], -2
	v_add_f64 v[21:22], v[25:26], -v[21:22]
	v_add_f64 v[31:32], v[19:20], -v[31:32]
	v_trig_preop_f64 v[19:20], |v[2:3]|, 2
	v_fract_f64_e32 v[29:30], v[27:28]
	v_add_f64 v[21:22], v[23:24], -v[21:22]
	v_cmp_neq_f64_e64 vcc, |v[27:28]|, s[4:5]
	v_add_f64 v[4:5], v[4:5], v[31:32]
	v_mul_f64 v[31:32], v[19:20], v[17:18]
	v_add_f64 v[33:34], v[31:32], v[6:7]
	v_add_f64 v[35:36], v[33:34], v[4:5]
	v_add_f64 v[25:26], v[35:36], -v[33:34]
	v_add_f64 v[23:24], v[21:22], v[35:36]
	v_add_f64 v[4:5], v[4:5], -v[25:26]
	v_add_f64 v[25:26], v[35:36], -v[25:26]
	;; [unrolled: 1-line block ×5, first 2 shown]
	v_add_f64 v[4:5], v[4:5], v[25:26]
	v_add_f64 v[25:26], v[33:34], -v[31:32]
	v_add_f64 v[6:7], v[6:7], -v[25:26]
	;; [unrolled: 1-line block ×4, first 2 shown]
	v_add_f64 v[6:7], v[6:7], v[25:26]
	v_add_f64 v[4:5], v[6:7], v[4:5]
	v_fma_f64 v[6:7], v[19:20], v[17:18], -v[31:32]
	v_add_f64 v[4:5], v[6:7], v[4:5]
	v_ldexp_f64 v[6:7], v[29:30], 2
	v_add_f64 v[4:5], v[21:22], v[4:5]
	v_cndmask_b32_e32 v7, 0, v7, vcc
	v_cndmask_b32_e32 v6, 0, v6, vcc
	v_add_f64 v[17:18], v[23:24], v[6:7]
	v_cmp_gt_f64_e32 vcc, 0, v[17:18]
	v_mov_b32_e32 v17, 0x40100000
	v_mov_b32_e32 v18, 0
	v_cndmask_b32_e32 v19, 0, v17, vcc
	v_add_f64 v[6:7], v[6:7], v[18:19]
	v_add_f64 v[19:20], v[23:24], v[6:7]
	v_cvt_i32_f64_e32 v17, v[19:20]
	v_cvt_f64_i32_e32 v[19:20], v17
	v_add_f64 v[6:7], v[6:7], -v[19:20]
	v_add_f64 v[20:21], v[23:24], v[6:7]
	v_add_f64 v[6:7], v[20:21], -v[6:7]
	v_cmp_le_f64_e32 vcc, 0.5, v[20:21]
	v_add_f64 v[6:7], v[23:24], -v[6:7]
	v_addc_co_u32_e64 v17, s[4:5], 0, v17, vcc
	s_mov_b32 s4, 0x33145c07
	s_mov_b32 s5, 0x3c91a626
	v_add_f64 v[4:5], v[4:5], v[6:7]
	v_mov_b32_e32 v6, 0x3ff00000
	v_cndmask_b32_e32 v19, 0, v6, vcc
	v_add_f64 v[6:7], v[20:21], -v[18:19]
	v_add_f64 v[18:19], v[6:7], v[4:5]
	v_add_f64 v[6:7], v[18:19], -v[6:7]
	v_add_f64 v[4:5], v[4:5], -v[6:7]
	v_mul_f64 v[6:7], v[18:19], s[14:15]
	v_fma_f64 v[20:21], v[18:19], s[14:15], -v[6:7]
	v_fma_f64 v[18:19], v[18:19], s[4:5], v[20:21]
	v_fma_f64 v[18:19], v[4:5], s[14:15], v[18:19]
	v_add_f64 v[4:5], v[6:7], v[18:19]
	v_add_f64 v[6:7], v[4:5], -v[6:7]
	v_add_f64 v[6:7], v[18:19], -v[6:7]
.LBB21_173:
	s_andn2_saveexec_b64 s[4:5], s[16:17]
	s_cbranch_execz .LBB21_175
; %bb.174:
	s_mov_b32 s14, 0x6dc9c883
	s_mov_b32 s15, 0x3fe45f30
	v_mul_f64 v[4:5], |v[2:3]|, s[14:15]
	s_mov_b32 s14, 0x54442d18
	s_mov_b32 s15, 0xbff921fb
	;; [unrolled: 1-line block ×4, first 2 shown]
	v_rndne_f64_e32 v[17:18], v[4:5]
	v_fma_f64 v[4:5], v[17:18], s[14:15], |v[2:3]|
	v_mul_f64 v[6:7], v[17:18], s[16:17]
	s_mov_b32 s14, 0x252049c0
	s_mov_b32 s15, 0xb97b839a
	v_fma_f64 v[23:24], v[17:18], s[16:17], v[4:5]
	v_add_f64 v[19:20], v[4:5], v[6:7]
	s_mov_b32 s17, 0x3c91a626
	v_add_f64 v[21:22], v[4:5], -v[19:20]
	v_add_f64 v[19:20], v[19:20], -v[23:24]
	v_add_f64 v[4:5], v[21:22], v[6:7]
	v_fma_f64 v[6:7], v[17:18], s[16:17], v[6:7]
	v_add_f64 v[4:5], v[19:20], v[4:5]
	v_add_f64 v[4:5], v[4:5], -v[6:7]
	v_fma_f64 v[6:7], v[17:18], s[14:15], v[4:5]
	v_cvt_i32_f64_e32 v17, v[17:18]
	v_add_f64 v[4:5], v[23:24], v[6:7]
	v_add_f64 v[19:20], v[4:5], -v[23:24]
	v_add_f64 v[6:7], v[6:7], -v[19:20]
.LBB21_175:
	s_or_b64 exec, exec, s[4:5]
	v_mul_f64 v[18:19], v[4:5], v[4:5]
	v_add_f64 v[20:21], v[6:7], v[6:7]
	s_mov_b32 s4, 0xc751c08c
	s_mov_b32 s5, 0x3ef5e089
	v_and_b32_e32 v17, 1, v17
	v_cmp_eq_u32_e32 vcc, 0, v17
	s_mov_b32 s16, 0x54442d18
	s_mov_b32 s17, 0xc00921fb
	v_fma_f64 v[22:23], v[4:5], v[4:5], -v[18:19]
	s_mov_b64 s[14:15], exec
	v_sub_f32_e32 v9, 1.0, v9
	v_fma_f64 v[20:21], v[4:5], v[20:21], v[22:23]
	v_add_f64 v[18:19], v[18:19], v[20:21]
	v_mov_b32_e32 v20, 0xa9a29f71
	v_mov_b32_e32 v21, 0xbf078809
	v_fma_f64 v[20:21], v[18:19], s[4:5], v[20:21]
	s_mov_b32 s4, 0x90a8aae0
	s_mov_b32 s5, 0x3f17746f
	v_fma_f64 v[20:21], v[18:19], v[20:21], s[4:5]
	s_mov_b32 s4, 0xa6fbf144
	s_mov_b32 s5, 0xbefbb44d
	v_fma_f64 v[20:21], v[18:19], v[20:21], s[4:5]
	s_mov_b32 s4, 0xa7943acf
	s_mov_b32 s5, 0x3f21e634
	v_fma_f64 v[20:21], v[18:19], v[20:21], s[4:5]
	s_mov_b32 s4, 0xdeb68feb
	s_mov_b32 s5, 0x3f2d250f
	v_fma_f64 v[20:21], v[18:19], v[20:21], s[4:5]
	s_mov_b32 s4, 0xb58c4d95
	s_mov_b32 s5, 0x3f437fd9
	v_fma_f64 v[20:21], v[18:19], v[20:21], s[4:5]
	s_mov_b32 s4, 0x15120e2c
	s_mov_b32 s5, 0x3f57d5af
	v_fma_f64 v[20:21], v[18:19], v[20:21], s[4:5]
	s_mov_b32 s4, 0xe09491df
	s_mov_b32 s5, 0x3f6d6d93
	v_fma_f64 v[20:21], v[18:19], v[20:21], s[4:5]
	s_mov_b32 s4, 0x2033784d
	s_mov_b32 s5, 0x3f8226e1
	v_fma_f64 v[20:21], v[18:19], v[20:21], s[4:5]
	s_mov_b32 s4, 0x9ac36ae2
	s_mov_b32 s5, 0x3f9664f4
	v_fma_f64 v[20:21], v[18:19], v[20:21], s[4:5]
	s_mov_b32 s4, 0x1b451c21
	s_mov_b32 s5, 0x3faba1ba
	v_fma_f64 v[20:21], v[18:19], v[20:21], s[4:5]
	s_mov_b32 s4, 0x111185b7
	s_mov_b32 s5, 0x3fc11111
	v_fma_f64 v[20:21], v[18:19], v[20:21], s[4:5]
	s_mov_b32 s4, 0x555554ee
	s_mov_b32 s5, 0x3fd55555
	v_fma_f64 v[20:21], v[18:19], v[20:21], s[4:5]
	s_movk_i32 s4, 0x1f8
	v_cmp_class_f64_e64 s[4:5], v[2:3], s4
	v_mul_f64 v[18:19], v[18:19], v[20:21]
	v_mul_f64 v[20:21], v[4:5], v[18:19]
	v_add_f64 v[22:23], v[4:5], v[20:21]
	v_fma_f64 v[18:19], v[4:5], v[18:19], -v[20:21]
	v_add_f64 v[4:5], v[22:23], -v[4:5]
	v_add_f64 v[6:7], v[6:7], v[18:19]
	v_add_f64 v[4:5], v[20:21], -v[4:5]
	v_add_f64 v[4:5], v[6:7], v[4:5]
	v_add_f64 v[6:7], v[22:23], v[4:5]
	v_rcp_f64_e32 v[18:19], v[6:7]
	v_fma_f64 v[20:21], -v[6:7], v[18:19], 1.0
	v_fma_f64 v[18:19], v[20:21], v[18:19], v[18:19]
	v_fma_f64 v[20:21], -v[6:7], v[18:19], 1.0
	v_fma_f64 v[18:19], v[20:21], v[18:19], v[18:19]
	v_add_f64 v[20:21], v[6:7], -v[22:23]
	v_mul_f64 v[22:23], v[6:7], v[18:19]
	v_add_f64 v[4:5], v[4:5], -v[20:21]
	v_fma_f64 v[20:21], v[18:19], v[6:7], -v[22:23]
	v_fma_f64 v[4:5], v[18:19], v[4:5], v[20:21]
	v_add_f64 v[20:21], v[22:23], v[4:5]
	v_add_f64 v[24:25], -v[20:21], 1.0
	v_add_f64 v[22:23], v[20:21], -v[22:23]
	v_add_f64 v[26:27], -v[24:25], 1.0
	v_add_f64 v[4:5], v[22:23], -v[4:5]
	v_add_f64 v[20:21], v[26:27], -v[20:21]
	v_add_f64 v[4:5], v[4:5], v[20:21]
	v_add_f64 v[4:5], v[24:25], v[4:5]
	v_mul_f64 v[4:5], v[18:19], v[4:5]
	v_add_f64 v[4:5], v[18:19], v[4:5]
	v_and_b32_e32 v18, 0x80000000, v3
	v_mov_b32_e32 v3, 0x7ff80000
	v_xor_b32_e32 v2, 0x80000000, v5
	v_cndmask_b32_e32 v4, v4, v6, vcc
	v_cndmask_b32_e32 v5, v2, v7, vcc
	v_cndmask_b32_e64 v2, 0, v4, s[4:5]
	v_xor_b32_e32 v4, v5, v18
	v_cndmask_b32_e64 v3, v3, v4, s[4:5]
	v_div_scale_f64 v[4:5], s[4:5], v[2:3], v[2:3], s[16:17]
	v_div_scale_f64 v[19:20], vcc, s[16:17], v[2:3], s[16:17]
	v_rcp_f64_e32 v[6:7], v[4:5]
	v_fma_f64 v[17:18], -v[4:5], v[6:7], 1.0
	v_fma_f64 v[6:7], v[6:7], v[17:18], v[6:7]
	v_fma_f64 v[17:18], -v[4:5], v[6:7], 1.0
	v_fma_f64 v[6:7], v[6:7], v[17:18], v[6:7]
	v_mul_f64 v[17:18], v[19:20], v[6:7]
	v_fma_f64 v[4:5], -v[4:5], v[17:18], v[19:20]
	v_div_fmas_f64 v[4:5], v[4:5], v[6:7], v[17:18]
	v_div_fixup_f64 v[2:3], v[4:5], v[2:3], s[16:17]
	v_cvt_f32_f64_e32 v2, v[2:3]
.LBB21_176:
	s_or_b64 exec, exec, s[12:13]
	s_orn2_b64 s[4:5], s[14:15], exec
.LBB21_177:
	s_or_b64 exec, exec, s[10:11]
	v_mov_b32_e32 v3, 0x7e00
	s_and_saveexec_b64 s[10:11], s[4:5]
	s_cbranch_execz .LBB21_189
; %bb.178:
	s_mov_b32 s14, 0x41200000
	v_cmp_gt_f32_e32 vcc, s14, v9
	s_and_saveexec_b64 s[4:5], vcc
	s_cbranch_execz .LBB21_182
; %bb.179:
	s_mov_b64 s[12:13], 0
.LBB21_180:                             ; =>This Inner Loop Header: Depth=1
	v_div_scale_f32 v3, s[16:17], v9, v9, 1.0
	v_div_scale_f32 v4, vcc, 1.0, v9, 1.0
	v_rcp_f32_e32 v5, v3
	v_fma_f32 v6, -v3, v5, 1.0
	v_fmac_f32_e32 v5, v6, v5
	v_mul_f32_e32 v6, v4, v5
	v_fma_f32 v7, -v3, v6, v4
	v_fmac_f32_e32 v6, v7, v5
	v_fma_f32 v3, -v3, v6, v4
	v_div_fmas_f32 v3, v3, v5, v6
	v_div_fixup_f32 v3, v3, v9, 1.0
	v_add_f32_e32 v9, 1.0, v9
	v_cmp_ngt_f32_e32 vcc, s14, v9
	s_or_b64 s[12:13], vcc, s[12:13]
	v_sub_f32_e32 v2, v2, v3
	s_andn2_b64 exec, exec, s[12:13]
	s_cbranch_execnz .LBB21_180
; %bb.181:
	s_or_b64 exec, exec, s[12:13]
.LBB21_182:
	s_or_b64 exec, exec, s[4:5]
	s_mov_b32 s4, 0x41200000
	v_cmp_neq_f32_e32 vcc, s4, v9
                                        ; implicit-def: $vgpr3
	s_and_saveexec_b64 s[4:5], vcc
	s_xor_b64 s[12:13], exec, s[4:5]
	s_cbranch_execz .LBB21_186
; %bb.183:
	v_cvt_f64_f32_e32 v[3:4], v9
	s_mov_b32 s4, 0x85d8a000
	s_mov_b32 s5, 0x43763457
	v_cmp_gt_f64_e32 vcc, s[4:5], v[3:4]
	v_mov_b32_e32 v3, 0
	s_and_saveexec_b64 s[4:5], vcc
	s_cbranch_execz .LBB21_185
; %bb.184:
	v_mul_f32_e32 v3, v9, v9
	v_div_scale_f32 v4, s[14:15], v3, v3, 1.0
	v_div_scale_f32 v5, vcc, 1.0, v3, 1.0
	v_mov_b32_e32 v18, 0x3b820821
	v_rcp_f32_e32 v6, v4
	v_fma_f32 v7, -v4, v6, 1.0
	v_fmac_f32_e32 v6, v7, v6
	v_mul_f32_e32 v7, v5, v6
	v_fma_f32 v17, -v4, v7, v5
	v_fmac_f32_e32 v7, v17, v6
	v_fma_f32 v4, -v4, v7, v5
	v_div_fmas_f32 v4, v4, v6, v7
	v_mov_b32_e32 v5, 0x3daaaaab
	v_mov_b32_e32 v6, 0xbcaccacd
	v_mov_b32_e32 v7, 0x3bf83e10
	v_mov_b32_e32 v17, 0xbb888889
	v_div_fixup_f32 v3, v4, v3, 1.0
	v_fma_f32 v4, 0, v3, v5
	v_fmac_f32_e32 v6, v3, v4
	v_fmac_f32_e32 v7, v3, v6
	;; [unrolled: 1-line block ×4, first 2 shown]
	v_mov_b32_e32 v4, 0xbc088889
	v_fmac_f32_e32 v4, v3, v18
	v_fmac_f32_e32 v5, v3, v4
	v_mul_f32_e32 v3, v3, v5
.LBB21_185:
	s_or_b64 exec, exec, s[4:5]
	v_div_scale_f32 v4, s[4:5], v9, v9, -0.5
	v_div_scale_f32 v5, vcc, -0.5, v9, -0.5
	s_mov_b32 s4, 0x800000
	v_cmp_gt_f32_e64 s[4:5], s4, v9
	v_cndmask_b32_e64 v7, 0, 32, s[4:5]
	s_mov_b32 s14, 0x3f317217
	v_rcp_f32_e32 v6, v4
	v_fma_f32 v17, -v4, v6, 1.0
	v_fmac_f32_e32 v6, v17, v6
	v_mul_f32_e32 v17, v5, v6
	v_fma_f32 v18, -v4, v17, v5
	v_fmac_f32_e32 v17, v18, v6
	v_fma_f32 v4, -v4, v17, v5
	v_div_fmas_f32 v4, v4, v6, v17
	v_ldexp_f32 v5, v9, v7
	v_log_f32_e32 v5, v5
	v_mul_f32_e32 v6, 0x3f317217, v5
	v_fma_f32 v6, v5, s14, -v6
	v_fmac_f32_e32 v6, 0x3377d1cf, v5
	s_mov_b32 s14, 0x7f800000
	v_fmac_f32_e32 v6, 0x3f317217, v5
	v_cmp_lt_f32_e64 vcc, |v5|, s14
	v_cndmask_b32_e32 v5, v5, v6, vcc
	v_mov_b32_e32 v6, 0x41b17218
	v_cndmask_b32_e64 v6, 0, v6, s[4:5]
	v_sub_f32_e32 v5, v5, v6
	v_div_fixup_f32 v4, v4, v9, -0.5
	v_add_f32_e32 v4, v5, v4
	v_sub_f32_e32 v3, v4, v3
	v_add_f32_e32 v2, v2, v3
	v_cvt_f16_f32_e32 v3, v2
                                        ; implicit-def: $vgpr2
.LBB21_186:
	s_andn2_saveexec_b64 s[4:5], s[12:13]
; %bb.187:
	v_add_f32_e32 v2, 0x40101cb7, v2
	v_cvt_f16_f32_e32 v3, v2
; %bb.188:
	s_or_b64 exec, exec, s[4:5]
.LBB21_189:
	s_or_b64 exec, exec, s[10:11]
                                        ; implicit-def: $vgpr9
.LBB21_190:
	s_andn2_saveexec_b64 s[4:5], s[8:9]
; %bb.191:
	v_xor_b32_e32 v2, 0x80000000, v9
	v_lshrrev_b32_e32 v2, 16, v2
	s_movk_i32 s8, 0x7fff
	v_mov_b32_e32 v3, 0x7c00
	v_bfi_b32 v3, s8, v3, v2
; %bb.192:
	s_or_b64 exec, exec, s[4:5]
	v_mov_b32_e32 v2, s7
	v_add_co_u32_e32 v0, vcc, s6, v0
	v_addc_co_u32_e32 v1, vcc, v1, v2, vcc
	v_add_co_u32_e32 v4, vcc, v0, v12
	s_mov_b32 s4, 0x5040100
	v_addc_co_u32_e32 v5, vcc, 0, v1, vcc
	v_perm_b32 v3, v3, v8, s4
	v_perm_b32 v2, v16, v15, s4
	;; [unrolled: 1-line block ×4, first 2 shown]
	flat_store_dwordx4 v[4:5], v[0:3]
	s_waitcnt vmcnt(0) lgkmcnt(0)
	s_setpc_b64 s[30:31]
.Lfunc_end21:
	.size	_ZN2at6native25elementwise_kernel_helperILb0EZZZNS0_19digamma_kernel_cudaERNS_18TensorIteratorBaseEENKUlvE_clEvENKUlvE1_clEvEUlN3c104HalfEE_NS0_6memory8policies10vectorizedILi8ESt5arrayIPcLm2EELi8EEEEEvT0_T1_, .Lfunc_end21-_ZN2at6native25elementwise_kernel_helperILb0EZZZNS0_19digamma_kernel_cudaERNS_18TensorIteratorBaseEENKUlvE_clEvENKUlvE1_clEvEUlN3c104HalfEE_NS0_6memory8policies10vectorizedILi8ESt5arrayIPcLm2EELi8EEEEEvT0_T1_
                                        ; -- End function
	.set .L_ZN2at6native25elementwise_kernel_helperILb0EZZZNS0_19digamma_kernel_cudaERNS_18TensorIteratorBaseEENKUlvE_clEvENKUlvE1_clEvEUlN3c104HalfEE_NS0_6memory8policies10vectorizedILi8ESt5arrayIPcLm2EELi8EEEEEvT0_T1_.num_vgpr, 38
	.set .L_ZN2at6native25elementwise_kernel_helperILb0EZZZNS0_19digamma_kernel_cudaERNS_18TensorIteratorBaseEENKUlvE_clEvENKUlvE1_clEvEUlN3c104HalfEE_NS0_6memory8policies10vectorizedILi8ESt5arrayIPcLm2EELi8EEEEEvT0_T1_.num_agpr, 0
	.set .L_ZN2at6native25elementwise_kernel_helperILb0EZZZNS0_19digamma_kernel_cudaERNS_18TensorIteratorBaseEENKUlvE_clEvENKUlvE1_clEvEUlN3c104HalfEE_NS0_6memory8policies10vectorizedILi8ESt5arrayIPcLm2EELi8EEEEEvT0_T1_.numbered_sgpr, 32
	.set .L_ZN2at6native25elementwise_kernel_helperILb0EZZZNS0_19digamma_kernel_cudaERNS_18TensorIteratorBaseEENKUlvE_clEvENKUlvE1_clEvEUlN3c104HalfEE_NS0_6memory8policies10vectorizedILi8ESt5arrayIPcLm2EELi8EEEEEvT0_T1_.num_named_barrier, 0
	.set .L_ZN2at6native25elementwise_kernel_helperILb0EZZZNS0_19digamma_kernel_cudaERNS_18TensorIteratorBaseEENKUlvE_clEvENKUlvE1_clEvEUlN3c104HalfEE_NS0_6memory8policies10vectorizedILi8ESt5arrayIPcLm2EELi8EEEEEvT0_T1_.private_seg_size, 0
	.set .L_ZN2at6native25elementwise_kernel_helperILb0EZZZNS0_19digamma_kernel_cudaERNS_18TensorIteratorBaseEENKUlvE_clEvENKUlvE1_clEvEUlN3c104HalfEE_NS0_6memory8policies10vectorizedILi8ESt5arrayIPcLm2EELi8EEEEEvT0_T1_.uses_vcc, 1
	.set .L_ZN2at6native25elementwise_kernel_helperILb0EZZZNS0_19digamma_kernel_cudaERNS_18TensorIteratorBaseEENKUlvE_clEvENKUlvE1_clEvEUlN3c104HalfEE_NS0_6memory8policies10vectorizedILi8ESt5arrayIPcLm2EELi8EEEEEvT0_T1_.uses_flat_scratch, 0
	.set .L_ZN2at6native25elementwise_kernel_helperILb0EZZZNS0_19digamma_kernel_cudaERNS_18TensorIteratorBaseEENKUlvE_clEvENKUlvE1_clEvEUlN3c104HalfEE_NS0_6memory8policies10vectorizedILi8ESt5arrayIPcLm2EELi8EEEEEvT0_T1_.has_dyn_sized_stack, 0
	.set .L_ZN2at6native25elementwise_kernel_helperILb0EZZZNS0_19digamma_kernel_cudaERNS_18TensorIteratorBaseEENKUlvE_clEvENKUlvE1_clEvEUlN3c104HalfEE_NS0_6memory8policies10vectorizedILi8ESt5arrayIPcLm2EELi8EEEEEvT0_T1_.has_recursion, 0
	.set .L_ZN2at6native25elementwise_kernel_helperILb0EZZZNS0_19digamma_kernel_cudaERNS_18TensorIteratorBaseEENKUlvE_clEvENKUlvE1_clEvEUlN3c104HalfEE_NS0_6memory8policies10vectorizedILi8ESt5arrayIPcLm2EELi8EEEEEvT0_T1_.has_indirect_call, 0
	.section	.AMDGPU.csdata,"",@progbits
; Function info:
; codeLenInByte = 19484
; TotalNumSgprs: 36
; NumVgprs: 38
; ScratchSize: 0
; MemoryBound: 0
	.section	.text._ZN2at6native29vectorized_elementwise_kernelILi16EZZZNS0_19digamma_kernel_cudaERNS_18TensorIteratorBaseEENKUlvE_clEvENKUlvE1_clEvEUlN3c104HalfEE_St5arrayIPcLm2EEEEviT0_T1_,"axG",@progbits,_ZN2at6native29vectorized_elementwise_kernelILi16EZZZNS0_19digamma_kernel_cudaERNS_18TensorIteratorBaseEENKUlvE_clEvENKUlvE1_clEvEUlN3c104HalfEE_St5arrayIPcLm2EEEEviT0_T1_,comdat
	.globl	_ZN2at6native29vectorized_elementwise_kernelILi16EZZZNS0_19digamma_kernel_cudaERNS_18TensorIteratorBaseEENKUlvE_clEvENKUlvE1_clEvEUlN3c104HalfEE_St5arrayIPcLm2EEEEviT0_T1_ ; -- Begin function _ZN2at6native29vectorized_elementwise_kernelILi16EZZZNS0_19digamma_kernel_cudaERNS_18TensorIteratorBaseEENKUlvE_clEvENKUlvE1_clEvEUlN3c104HalfEE_St5arrayIPcLm2EEEEviT0_T1_
	.p2align	8
	.type	_ZN2at6native29vectorized_elementwise_kernelILi16EZZZNS0_19digamma_kernel_cudaERNS_18TensorIteratorBaseEENKUlvE_clEvENKUlvE1_clEvEUlN3c104HalfEE_St5arrayIPcLm2EEEEviT0_T1_,@function
_ZN2at6native29vectorized_elementwise_kernelILi16EZZZNS0_19digamma_kernel_cudaERNS_18TensorIteratorBaseEENKUlvE_clEvENKUlvE1_clEvEUlN3c104HalfEE_St5arrayIPcLm2EEEEviT0_T1_: ; @_ZN2at6native29vectorized_elementwise_kernelILi16EZZZNS0_19digamma_kernel_cudaERNS_18TensorIteratorBaseEENKUlvE_clEvENKUlvE1_clEvEUlN3c104HalfEE_St5arrayIPcLm2EEEEviT0_T1_
; %bb.0:
	s_mov_b32 s20, s6
	s_load_dword s6, s[4:5], 0x0
	s_load_dwordx4 s[24:27], s[4:5], 0x8
	s_add_u32 s0, s0, s7
	s_addc_u32 s1, s1, 0
	s_lshl_b32 s4, s20, 11
	s_waitcnt lgkmcnt(0)
	s_sub_i32 s21, s6, s4
	v_mov_b32_e32 v38, v0
	s_cmpk_gt_i32 s21, 0x7ff
	s_mov_b64 s[4:5], -1
	s_mov_b32 s32, 0
	s_cbranch_scc1 .LBB22_3
; %bb.1:
	s_andn2_b64 vcc, exec, s[4:5]
	s_cbranch_vccz .LBB22_4
.LBB22_2:
	s_endpgm
.LBB22_3:
	s_getpc_b64 s[4:5]
	s_add_u32 s4, s4, _ZN2at6native25elementwise_kernel_helperILb0EZZZNS0_19digamma_kernel_cudaERNS_18TensorIteratorBaseEENKUlvE_clEvENKUlvE1_clEvEUlN3c104HalfEE_NS0_6memory8policies10vectorizedILi8ESt5arrayIPcLm2EELi8EEEEEvT0_T1_@rel32@lo+4
	s_addc_u32 s5, s5, _ZN2at6native25elementwise_kernel_helperILb0EZZZNS0_19digamma_kernel_cudaERNS_18TensorIteratorBaseEENKUlvE_clEvENKUlvE1_clEvEUlN3c104HalfEE_NS0_6memory8policies10vectorizedILi8ESt5arrayIPcLm2EELi8EEEEEvT0_T1_@rel32@hi+12
	s_mov_b32 s12, s20
	v_mov_b32_e32 v31, v38
	v_mov_b32_e32 v0, s24
	;; [unrolled: 1-line block ×5, first 2 shown]
	s_swappc_b64 s[30:31], s[4:5]
	s_cbranch_execnz .LBB22_2
.LBB22_4:
	s_getpc_b64 s[4:5]
	s_add_u32 s4, s4, _ZN2at6native25elementwise_kernel_helperILb0EZZZNS0_19digamma_kernel_cudaERNS_18TensorIteratorBaseEENKUlvE_clEvENKUlvE1_clEvEUlN3c104HalfEE_NS0_6memory8policies11unroll_baseILi256ESt5arrayIPcLm2EE23TrivialOffsetCalculatorILi1EjESG_NS9_15LoadWithoutCastENS9_16StoreWithoutCastELi8ELi1EEEEEvT0_T1_@rel32@lo+4
	s_addc_u32 s5, s5, _ZN2at6native25elementwise_kernel_helperILb0EZZZNS0_19digamma_kernel_cudaERNS_18TensorIteratorBaseEENKUlvE_clEvENKUlvE1_clEvEUlN3c104HalfEE_NS0_6memory8policies11unroll_baseILi256ESt5arrayIPcLm2EE23TrivialOffsetCalculatorILi1EjESG_NS9_15LoadWithoutCastENS9_16StoreWithoutCastELi8ELi1EEEEEvT0_T1_@rel32@hi+12
	s_mov_b32 s12, s20
	v_mov_b32_e32 v31, v38
	v_mov_b32_e32 v0, s24
	;; [unrolled: 1-line block ×6, first 2 shown]
	s_swappc_b64 s[30:31], s[4:5]
	s_endpgm
	.section	.rodata,"a",@progbits
	.p2align	6, 0x0
	.amdhsa_kernel _ZN2at6native29vectorized_elementwise_kernelILi16EZZZNS0_19digamma_kernel_cudaERNS_18TensorIteratorBaseEENKUlvE_clEvENKUlvE1_clEvEUlN3c104HalfEE_St5arrayIPcLm2EEEEviT0_T1_
		.amdhsa_group_segment_fixed_size 0
		.amdhsa_private_segment_fixed_size 0
		.amdhsa_kernarg_size 24
		.amdhsa_user_sgpr_count 6
		.amdhsa_user_sgpr_private_segment_buffer 1
		.amdhsa_user_sgpr_dispatch_ptr 0
		.amdhsa_user_sgpr_queue_ptr 0
		.amdhsa_user_sgpr_kernarg_segment_ptr 1
		.amdhsa_user_sgpr_dispatch_id 0
		.amdhsa_user_sgpr_flat_scratch_init 0
		.amdhsa_user_sgpr_private_segment_size 0
		.amdhsa_uses_dynamic_stack 0
		.amdhsa_system_sgpr_private_segment_wavefront_offset 0
		.amdhsa_system_sgpr_workgroup_id_x 1
		.amdhsa_system_sgpr_workgroup_id_y 0
		.amdhsa_system_sgpr_workgroup_id_z 0
		.amdhsa_system_sgpr_workgroup_info 0
		.amdhsa_system_vgpr_workitem_id 0
		.amdhsa_next_free_vgpr 66
		.amdhsa_next_free_sgpr 33
		.amdhsa_reserve_vcc 1
		.amdhsa_reserve_flat_scratch 0
		.amdhsa_float_round_mode_32 0
		.amdhsa_float_round_mode_16_64 0
		.amdhsa_float_denorm_mode_32 3
		.amdhsa_float_denorm_mode_16_64 3
		.amdhsa_dx10_clamp 1
		.amdhsa_ieee_mode 1
		.amdhsa_fp16_overflow 0
		.amdhsa_exception_fp_ieee_invalid_op 0
		.amdhsa_exception_fp_denorm_src 0
		.amdhsa_exception_fp_ieee_div_zero 0
		.amdhsa_exception_fp_ieee_overflow 0
		.amdhsa_exception_fp_ieee_underflow 0
		.amdhsa_exception_fp_ieee_inexact 0
		.amdhsa_exception_int_div_zero 0
	.end_amdhsa_kernel
	.section	.text._ZN2at6native29vectorized_elementwise_kernelILi16EZZZNS0_19digamma_kernel_cudaERNS_18TensorIteratorBaseEENKUlvE_clEvENKUlvE1_clEvEUlN3c104HalfEE_St5arrayIPcLm2EEEEviT0_T1_,"axG",@progbits,_ZN2at6native29vectorized_elementwise_kernelILi16EZZZNS0_19digamma_kernel_cudaERNS_18TensorIteratorBaseEENKUlvE_clEvENKUlvE1_clEvEUlN3c104HalfEE_St5arrayIPcLm2EEEEviT0_T1_,comdat
.Lfunc_end22:
	.size	_ZN2at6native29vectorized_elementwise_kernelILi16EZZZNS0_19digamma_kernel_cudaERNS_18TensorIteratorBaseEENKUlvE_clEvENKUlvE1_clEvEUlN3c104HalfEE_St5arrayIPcLm2EEEEviT0_T1_, .Lfunc_end22-_ZN2at6native29vectorized_elementwise_kernelILi16EZZZNS0_19digamma_kernel_cudaERNS_18TensorIteratorBaseEENKUlvE_clEvENKUlvE1_clEvEUlN3c104HalfEE_St5arrayIPcLm2EEEEviT0_T1_
                                        ; -- End function
	.set _ZN2at6native29vectorized_elementwise_kernelILi16EZZZNS0_19digamma_kernel_cudaERNS_18TensorIteratorBaseEENKUlvE_clEvENKUlvE1_clEvEUlN3c104HalfEE_St5arrayIPcLm2EEEEviT0_T1_.num_vgpr, max(39, .L_ZN2at6native25elementwise_kernel_helperILb0EZZZNS0_19digamma_kernel_cudaERNS_18TensorIteratorBaseEENKUlvE_clEvENKUlvE1_clEvEUlN3c104HalfEE_NS0_6memory8policies10vectorizedILi8ESt5arrayIPcLm2EELi8EEEEEvT0_T1_.num_vgpr, .L_ZN2at6native25elementwise_kernel_helperILb0EZZZNS0_19digamma_kernel_cudaERNS_18TensorIteratorBaseEENKUlvE_clEvENKUlvE1_clEvEUlN3c104HalfEE_NS0_6memory8policies11unroll_baseILi256ESt5arrayIPcLm2EE23TrivialOffsetCalculatorILi1EjESG_NS9_15LoadWithoutCastENS9_16StoreWithoutCastELi8ELi1EEEEEvT0_T1_.num_vgpr)
	.set _ZN2at6native29vectorized_elementwise_kernelILi16EZZZNS0_19digamma_kernel_cudaERNS_18TensorIteratorBaseEENKUlvE_clEvENKUlvE1_clEvEUlN3c104HalfEE_St5arrayIPcLm2EEEEviT0_T1_.num_agpr, max(0, .L_ZN2at6native25elementwise_kernel_helperILb0EZZZNS0_19digamma_kernel_cudaERNS_18TensorIteratorBaseEENKUlvE_clEvENKUlvE1_clEvEUlN3c104HalfEE_NS0_6memory8policies10vectorizedILi8ESt5arrayIPcLm2EELi8EEEEEvT0_T1_.num_agpr, .L_ZN2at6native25elementwise_kernel_helperILb0EZZZNS0_19digamma_kernel_cudaERNS_18TensorIteratorBaseEENKUlvE_clEvENKUlvE1_clEvEUlN3c104HalfEE_NS0_6memory8policies11unroll_baseILi256ESt5arrayIPcLm2EE23TrivialOffsetCalculatorILi1EjESG_NS9_15LoadWithoutCastENS9_16StoreWithoutCastELi8ELi1EEEEEvT0_T1_.num_agpr)
	.set _ZN2at6native29vectorized_elementwise_kernelILi16EZZZNS0_19digamma_kernel_cudaERNS_18TensorIteratorBaseEENKUlvE_clEvENKUlvE1_clEvEUlN3c104HalfEE_St5arrayIPcLm2EEEEviT0_T1_.numbered_sgpr, max(33, .L_ZN2at6native25elementwise_kernel_helperILb0EZZZNS0_19digamma_kernel_cudaERNS_18TensorIteratorBaseEENKUlvE_clEvENKUlvE1_clEvEUlN3c104HalfEE_NS0_6memory8policies10vectorizedILi8ESt5arrayIPcLm2EELi8EEEEEvT0_T1_.numbered_sgpr, .L_ZN2at6native25elementwise_kernel_helperILb0EZZZNS0_19digamma_kernel_cudaERNS_18TensorIteratorBaseEENKUlvE_clEvENKUlvE1_clEvEUlN3c104HalfEE_NS0_6memory8policies11unroll_baseILi256ESt5arrayIPcLm2EE23TrivialOffsetCalculatorILi1EjESG_NS9_15LoadWithoutCastENS9_16StoreWithoutCastELi8ELi1EEEEEvT0_T1_.numbered_sgpr)
	.set _ZN2at6native29vectorized_elementwise_kernelILi16EZZZNS0_19digamma_kernel_cudaERNS_18TensorIteratorBaseEENKUlvE_clEvENKUlvE1_clEvEUlN3c104HalfEE_St5arrayIPcLm2EEEEviT0_T1_.num_named_barrier, max(0, .L_ZN2at6native25elementwise_kernel_helperILb0EZZZNS0_19digamma_kernel_cudaERNS_18TensorIteratorBaseEENKUlvE_clEvENKUlvE1_clEvEUlN3c104HalfEE_NS0_6memory8policies10vectorizedILi8ESt5arrayIPcLm2EELi8EEEEEvT0_T1_.num_named_barrier, .L_ZN2at6native25elementwise_kernel_helperILb0EZZZNS0_19digamma_kernel_cudaERNS_18TensorIteratorBaseEENKUlvE_clEvENKUlvE1_clEvEUlN3c104HalfEE_NS0_6memory8policies11unroll_baseILi256ESt5arrayIPcLm2EE23TrivialOffsetCalculatorILi1EjESG_NS9_15LoadWithoutCastENS9_16StoreWithoutCastELi8ELi1EEEEEvT0_T1_.num_named_barrier)
	.set _ZN2at6native29vectorized_elementwise_kernelILi16EZZZNS0_19digamma_kernel_cudaERNS_18TensorIteratorBaseEENKUlvE_clEvENKUlvE1_clEvEUlN3c104HalfEE_St5arrayIPcLm2EEEEviT0_T1_.private_seg_size, 0+max(.L_ZN2at6native25elementwise_kernel_helperILb0EZZZNS0_19digamma_kernel_cudaERNS_18TensorIteratorBaseEENKUlvE_clEvENKUlvE1_clEvEUlN3c104HalfEE_NS0_6memory8policies10vectorizedILi8ESt5arrayIPcLm2EELi8EEEEEvT0_T1_.private_seg_size, .L_ZN2at6native25elementwise_kernel_helperILb0EZZZNS0_19digamma_kernel_cudaERNS_18TensorIteratorBaseEENKUlvE_clEvENKUlvE1_clEvEUlN3c104HalfEE_NS0_6memory8policies11unroll_baseILi256ESt5arrayIPcLm2EE23TrivialOffsetCalculatorILi1EjESG_NS9_15LoadWithoutCastENS9_16StoreWithoutCastELi8ELi1EEEEEvT0_T1_.private_seg_size)
	.set _ZN2at6native29vectorized_elementwise_kernelILi16EZZZNS0_19digamma_kernel_cudaERNS_18TensorIteratorBaseEENKUlvE_clEvENKUlvE1_clEvEUlN3c104HalfEE_St5arrayIPcLm2EEEEviT0_T1_.uses_vcc, or(1, .L_ZN2at6native25elementwise_kernel_helperILb0EZZZNS0_19digamma_kernel_cudaERNS_18TensorIteratorBaseEENKUlvE_clEvENKUlvE1_clEvEUlN3c104HalfEE_NS0_6memory8policies10vectorizedILi8ESt5arrayIPcLm2EELi8EEEEEvT0_T1_.uses_vcc, .L_ZN2at6native25elementwise_kernel_helperILb0EZZZNS0_19digamma_kernel_cudaERNS_18TensorIteratorBaseEENKUlvE_clEvENKUlvE1_clEvEUlN3c104HalfEE_NS0_6memory8policies11unroll_baseILi256ESt5arrayIPcLm2EE23TrivialOffsetCalculatorILi1EjESG_NS9_15LoadWithoutCastENS9_16StoreWithoutCastELi8ELi1EEEEEvT0_T1_.uses_vcc)
	.set _ZN2at6native29vectorized_elementwise_kernelILi16EZZZNS0_19digamma_kernel_cudaERNS_18TensorIteratorBaseEENKUlvE_clEvENKUlvE1_clEvEUlN3c104HalfEE_St5arrayIPcLm2EEEEviT0_T1_.uses_flat_scratch, or(0, .L_ZN2at6native25elementwise_kernel_helperILb0EZZZNS0_19digamma_kernel_cudaERNS_18TensorIteratorBaseEENKUlvE_clEvENKUlvE1_clEvEUlN3c104HalfEE_NS0_6memory8policies10vectorizedILi8ESt5arrayIPcLm2EELi8EEEEEvT0_T1_.uses_flat_scratch, .L_ZN2at6native25elementwise_kernel_helperILb0EZZZNS0_19digamma_kernel_cudaERNS_18TensorIteratorBaseEENKUlvE_clEvENKUlvE1_clEvEUlN3c104HalfEE_NS0_6memory8policies11unroll_baseILi256ESt5arrayIPcLm2EE23TrivialOffsetCalculatorILi1EjESG_NS9_15LoadWithoutCastENS9_16StoreWithoutCastELi8ELi1EEEEEvT0_T1_.uses_flat_scratch)
	.set _ZN2at6native29vectorized_elementwise_kernelILi16EZZZNS0_19digamma_kernel_cudaERNS_18TensorIteratorBaseEENKUlvE_clEvENKUlvE1_clEvEUlN3c104HalfEE_St5arrayIPcLm2EEEEviT0_T1_.has_dyn_sized_stack, or(0, .L_ZN2at6native25elementwise_kernel_helperILb0EZZZNS0_19digamma_kernel_cudaERNS_18TensorIteratorBaseEENKUlvE_clEvENKUlvE1_clEvEUlN3c104HalfEE_NS0_6memory8policies10vectorizedILi8ESt5arrayIPcLm2EELi8EEEEEvT0_T1_.has_dyn_sized_stack, .L_ZN2at6native25elementwise_kernel_helperILb0EZZZNS0_19digamma_kernel_cudaERNS_18TensorIteratorBaseEENKUlvE_clEvENKUlvE1_clEvEUlN3c104HalfEE_NS0_6memory8policies11unroll_baseILi256ESt5arrayIPcLm2EE23TrivialOffsetCalculatorILi1EjESG_NS9_15LoadWithoutCastENS9_16StoreWithoutCastELi8ELi1EEEEEvT0_T1_.has_dyn_sized_stack)
	.set _ZN2at6native29vectorized_elementwise_kernelILi16EZZZNS0_19digamma_kernel_cudaERNS_18TensorIteratorBaseEENKUlvE_clEvENKUlvE1_clEvEUlN3c104HalfEE_St5arrayIPcLm2EEEEviT0_T1_.has_recursion, or(0, .L_ZN2at6native25elementwise_kernel_helperILb0EZZZNS0_19digamma_kernel_cudaERNS_18TensorIteratorBaseEENKUlvE_clEvENKUlvE1_clEvEUlN3c104HalfEE_NS0_6memory8policies10vectorizedILi8ESt5arrayIPcLm2EELi8EEEEEvT0_T1_.has_recursion, .L_ZN2at6native25elementwise_kernel_helperILb0EZZZNS0_19digamma_kernel_cudaERNS_18TensorIteratorBaseEENKUlvE_clEvENKUlvE1_clEvEUlN3c104HalfEE_NS0_6memory8policies11unroll_baseILi256ESt5arrayIPcLm2EE23TrivialOffsetCalculatorILi1EjESG_NS9_15LoadWithoutCastENS9_16StoreWithoutCastELi8ELi1EEEEEvT0_T1_.has_recursion)
	.set _ZN2at6native29vectorized_elementwise_kernelILi16EZZZNS0_19digamma_kernel_cudaERNS_18TensorIteratorBaseEENKUlvE_clEvENKUlvE1_clEvEUlN3c104HalfEE_St5arrayIPcLm2EEEEviT0_T1_.has_indirect_call, or(0, .L_ZN2at6native25elementwise_kernel_helperILb0EZZZNS0_19digamma_kernel_cudaERNS_18TensorIteratorBaseEENKUlvE_clEvENKUlvE1_clEvEUlN3c104HalfEE_NS0_6memory8policies10vectorizedILi8ESt5arrayIPcLm2EELi8EEEEEvT0_T1_.has_indirect_call, .L_ZN2at6native25elementwise_kernel_helperILb0EZZZNS0_19digamma_kernel_cudaERNS_18TensorIteratorBaseEENKUlvE_clEvENKUlvE1_clEvEUlN3c104HalfEE_NS0_6memory8policies11unroll_baseILi256ESt5arrayIPcLm2EE23TrivialOffsetCalculatorILi1EjESG_NS9_15LoadWithoutCastENS9_16StoreWithoutCastELi8ELi1EEEEEvT0_T1_.has_indirect_call)
	.section	.AMDGPU.csdata,"",@progbits
; Kernel info:
; codeLenInByte = 180
; TotalNumSgprs: 37
; NumVgprs: 66
; ScratchSize: 0
; MemoryBound: 0
; FloatMode: 240
; IeeeMode: 1
; LDSByteSize: 0 bytes/workgroup (compile time only)
; SGPRBlocks: 4
; VGPRBlocks: 16
; NumSGPRsForWavesPerEU: 37
; NumVGPRsForWavesPerEU: 66
; Occupancy: 3
; WaveLimiterHint : 0
; COMPUTE_PGM_RSRC2:SCRATCH_EN: 0
; COMPUTE_PGM_RSRC2:USER_SGPR: 6
; COMPUTE_PGM_RSRC2:TRAP_HANDLER: 0
; COMPUTE_PGM_RSRC2:TGID_X_EN: 1
; COMPUTE_PGM_RSRC2:TGID_Y_EN: 0
; COMPUTE_PGM_RSRC2:TGID_Z_EN: 0
; COMPUTE_PGM_RSRC2:TIDIG_COMP_CNT: 0
	.section	.text._ZN2at6native29vectorized_elementwise_kernelILi8EZZZNS0_19digamma_kernel_cudaERNS_18TensorIteratorBaseEENKUlvE_clEvENKUlvE1_clEvEUlN3c104HalfEE_St5arrayIPcLm2EEEEviT0_T1_,"axG",@progbits,_ZN2at6native29vectorized_elementwise_kernelILi8EZZZNS0_19digamma_kernel_cudaERNS_18TensorIteratorBaseEENKUlvE_clEvENKUlvE1_clEvEUlN3c104HalfEE_St5arrayIPcLm2EEEEviT0_T1_,comdat
	.globl	_ZN2at6native29vectorized_elementwise_kernelILi8EZZZNS0_19digamma_kernel_cudaERNS_18TensorIteratorBaseEENKUlvE_clEvENKUlvE1_clEvEUlN3c104HalfEE_St5arrayIPcLm2EEEEviT0_T1_ ; -- Begin function _ZN2at6native29vectorized_elementwise_kernelILi8EZZZNS0_19digamma_kernel_cudaERNS_18TensorIteratorBaseEENKUlvE_clEvENKUlvE1_clEvEUlN3c104HalfEE_St5arrayIPcLm2EEEEviT0_T1_
	.p2align	8
	.type	_ZN2at6native29vectorized_elementwise_kernelILi8EZZZNS0_19digamma_kernel_cudaERNS_18TensorIteratorBaseEENKUlvE_clEvENKUlvE1_clEvEUlN3c104HalfEE_St5arrayIPcLm2EEEEviT0_T1_,@function
_ZN2at6native29vectorized_elementwise_kernelILi8EZZZNS0_19digamma_kernel_cudaERNS_18TensorIteratorBaseEENKUlvE_clEvENKUlvE1_clEvEUlN3c104HalfEE_St5arrayIPcLm2EEEEviT0_T1_: ; @_ZN2at6native29vectorized_elementwise_kernelILi8EZZZNS0_19digamma_kernel_cudaERNS_18TensorIteratorBaseEENKUlvE_clEvENKUlvE1_clEvEUlN3c104HalfEE_St5arrayIPcLm2EEEEviT0_T1_
; %bb.0:
	s_mov_b32 s20, s6
	s_load_dword s6, s[4:5], 0x0
	s_load_dwordx4 s[24:27], s[4:5], 0x8
	s_add_u32 s0, s0, s7
	s_addc_u32 s1, s1, 0
	s_lshl_b32 s4, s20, 11
	s_waitcnt lgkmcnt(0)
	s_sub_i32 s21, s6, s4
	v_mov_b32_e32 v38, v0
	s_cmpk_gt_i32 s21, 0x7ff
	s_mov_b64 s[4:5], -1
	s_mov_b32 s32, 0
	s_cbranch_scc1 .LBB23_3
; %bb.1:
	s_andn2_b64 vcc, exec, s[4:5]
	s_cbranch_vccz .LBB23_4
.LBB23_2:
	s_endpgm
.LBB23_3:
	s_getpc_b64 s[4:5]
	s_add_u32 s4, s4, _ZN2at6native25elementwise_kernel_helperILb0EZZZNS0_19digamma_kernel_cudaERNS_18TensorIteratorBaseEENKUlvE_clEvENKUlvE1_clEvEUlN3c104HalfEE_NS0_6memory8policies10vectorizedILi8ESt5arrayIPcLm2EELi8EEEEEvT0_T1_@rel32@lo+4
	s_addc_u32 s5, s5, _ZN2at6native25elementwise_kernel_helperILb0EZZZNS0_19digamma_kernel_cudaERNS_18TensorIteratorBaseEENKUlvE_clEvENKUlvE1_clEvEUlN3c104HalfEE_NS0_6memory8policies10vectorizedILi8ESt5arrayIPcLm2EELi8EEEEEvT0_T1_@rel32@hi+12
	s_mov_b32 s12, s20
	v_mov_b32_e32 v31, v38
	v_mov_b32_e32 v0, s24
	;; [unrolled: 1-line block ×5, first 2 shown]
	s_swappc_b64 s[30:31], s[4:5]
	s_cbranch_execnz .LBB23_2
.LBB23_4:
	s_getpc_b64 s[4:5]
	s_add_u32 s4, s4, _ZN2at6native25elementwise_kernel_helperILb0EZZZNS0_19digamma_kernel_cudaERNS_18TensorIteratorBaseEENKUlvE_clEvENKUlvE1_clEvEUlN3c104HalfEE_NS0_6memory8policies11unroll_baseILi256ESt5arrayIPcLm2EE23TrivialOffsetCalculatorILi1EjESG_NS9_15LoadWithoutCastENS9_16StoreWithoutCastELi8ELi1EEEEEvT0_T1_@rel32@lo+4
	s_addc_u32 s5, s5, _ZN2at6native25elementwise_kernel_helperILb0EZZZNS0_19digamma_kernel_cudaERNS_18TensorIteratorBaseEENKUlvE_clEvENKUlvE1_clEvEUlN3c104HalfEE_NS0_6memory8policies11unroll_baseILi256ESt5arrayIPcLm2EE23TrivialOffsetCalculatorILi1EjESG_NS9_15LoadWithoutCastENS9_16StoreWithoutCastELi8ELi1EEEEEvT0_T1_@rel32@hi+12
	s_mov_b32 s12, s20
	v_mov_b32_e32 v31, v38
	v_mov_b32_e32 v0, s24
	;; [unrolled: 1-line block ×6, first 2 shown]
	s_swappc_b64 s[30:31], s[4:5]
	s_endpgm
	.section	.rodata,"a",@progbits
	.p2align	6, 0x0
	.amdhsa_kernel _ZN2at6native29vectorized_elementwise_kernelILi8EZZZNS0_19digamma_kernel_cudaERNS_18TensorIteratorBaseEENKUlvE_clEvENKUlvE1_clEvEUlN3c104HalfEE_St5arrayIPcLm2EEEEviT0_T1_
		.amdhsa_group_segment_fixed_size 0
		.amdhsa_private_segment_fixed_size 0
		.amdhsa_kernarg_size 24
		.amdhsa_user_sgpr_count 6
		.amdhsa_user_sgpr_private_segment_buffer 1
		.amdhsa_user_sgpr_dispatch_ptr 0
		.amdhsa_user_sgpr_queue_ptr 0
		.amdhsa_user_sgpr_kernarg_segment_ptr 1
		.amdhsa_user_sgpr_dispatch_id 0
		.amdhsa_user_sgpr_flat_scratch_init 0
		.amdhsa_user_sgpr_private_segment_size 0
		.amdhsa_uses_dynamic_stack 0
		.amdhsa_system_sgpr_private_segment_wavefront_offset 0
		.amdhsa_system_sgpr_workgroup_id_x 1
		.amdhsa_system_sgpr_workgroup_id_y 0
		.amdhsa_system_sgpr_workgroup_id_z 0
		.amdhsa_system_sgpr_workgroup_info 0
		.amdhsa_system_vgpr_workitem_id 0
		.amdhsa_next_free_vgpr 66
		.amdhsa_next_free_sgpr 33
		.amdhsa_reserve_vcc 1
		.amdhsa_reserve_flat_scratch 0
		.amdhsa_float_round_mode_32 0
		.amdhsa_float_round_mode_16_64 0
		.amdhsa_float_denorm_mode_32 3
		.amdhsa_float_denorm_mode_16_64 3
		.amdhsa_dx10_clamp 1
		.amdhsa_ieee_mode 1
		.amdhsa_fp16_overflow 0
		.amdhsa_exception_fp_ieee_invalid_op 0
		.amdhsa_exception_fp_denorm_src 0
		.amdhsa_exception_fp_ieee_div_zero 0
		.amdhsa_exception_fp_ieee_overflow 0
		.amdhsa_exception_fp_ieee_underflow 0
		.amdhsa_exception_fp_ieee_inexact 0
		.amdhsa_exception_int_div_zero 0
	.end_amdhsa_kernel
	.section	.text._ZN2at6native29vectorized_elementwise_kernelILi8EZZZNS0_19digamma_kernel_cudaERNS_18TensorIteratorBaseEENKUlvE_clEvENKUlvE1_clEvEUlN3c104HalfEE_St5arrayIPcLm2EEEEviT0_T1_,"axG",@progbits,_ZN2at6native29vectorized_elementwise_kernelILi8EZZZNS0_19digamma_kernel_cudaERNS_18TensorIteratorBaseEENKUlvE_clEvENKUlvE1_clEvEUlN3c104HalfEE_St5arrayIPcLm2EEEEviT0_T1_,comdat
.Lfunc_end23:
	.size	_ZN2at6native29vectorized_elementwise_kernelILi8EZZZNS0_19digamma_kernel_cudaERNS_18TensorIteratorBaseEENKUlvE_clEvENKUlvE1_clEvEUlN3c104HalfEE_St5arrayIPcLm2EEEEviT0_T1_, .Lfunc_end23-_ZN2at6native29vectorized_elementwise_kernelILi8EZZZNS0_19digamma_kernel_cudaERNS_18TensorIteratorBaseEENKUlvE_clEvENKUlvE1_clEvEUlN3c104HalfEE_St5arrayIPcLm2EEEEviT0_T1_
                                        ; -- End function
	.set _ZN2at6native29vectorized_elementwise_kernelILi8EZZZNS0_19digamma_kernel_cudaERNS_18TensorIteratorBaseEENKUlvE_clEvENKUlvE1_clEvEUlN3c104HalfEE_St5arrayIPcLm2EEEEviT0_T1_.num_vgpr, max(39, .L_ZN2at6native25elementwise_kernel_helperILb0EZZZNS0_19digamma_kernel_cudaERNS_18TensorIteratorBaseEENKUlvE_clEvENKUlvE1_clEvEUlN3c104HalfEE_NS0_6memory8policies10vectorizedILi8ESt5arrayIPcLm2EELi8EEEEEvT0_T1_.num_vgpr, .L_ZN2at6native25elementwise_kernel_helperILb0EZZZNS0_19digamma_kernel_cudaERNS_18TensorIteratorBaseEENKUlvE_clEvENKUlvE1_clEvEUlN3c104HalfEE_NS0_6memory8policies11unroll_baseILi256ESt5arrayIPcLm2EE23TrivialOffsetCalculatorILi1EjESG_NS9_15LoadWithoutCastENS9_16StoreWithoutCastELi8ELi1EEEEEvT0_T1_.num_vgpr)
	.set _ZN2at6native29vectorized_elementwise_kernelILi8EZZZNS0_19digamma_kernel_cudaERNS_18TensorIteratorBaseEENKUlvE_clEvENKUlvE1_clEvEUlN3c104HalfEE_St5arrayIPcLm2EEEEviT0_T1_.num_agpr, max(0, .L_ZN2at6native25elementwise_kernel_helperILb0EZZZNS0_19digamma_kernel_cudaERNS_18TensorIteratorBaseEENKUlvE_clEvENKUlvE1_clEvEUlN3c104HalfEE_NS0_6memory8policies10vectorizedILi8ESt5arrayIPcLm2EELi8EEEEEvT0_T1_.num_agpr, .L_ZN2at6native25elementwise_kernel_helperILb0EZZZNS0_19digamma_kernel_cudaERNS_18TensorIteratorBaseEENKUlvE_clEvENKUlvE1_clEvEUlN3c104HalfEE_NS0_6memory8policies11unroll_baseILi256ESt5arrayIPcLm2EE23TrivialOffsetCalculatorILi1EjESG_NS9_15LoadWithoutCastENS9_16StoreWithoutCastELi8ELi1EEEEEvT0_T1_.num_agpr)
	.set _ZN2at6native29vectorized_elementwise_kernelILi8EZZZNS0_19digamma_kernel_cudaERNS_18TensorIteratorBaseEENKUlvE_clEvENKUlvE1_clEvEUlN3c104HalfEE_St5arrayIPcLm2EEEEviT0_T1_.numbered_sgpr, max(33, .L_ZN2at6native25elementwise_kernel_helperILb0EZZZNS0_19digamma_kernel_cudaERNS_18TensorIteratorBaseEENKUlvE_clEvENKUlvE1_clEvEUlN3c104HalfEE_NS0_6memory8policies10vectorizedILi8ESt5arrayIPcLm2EELi8EEEEEvT0_T1_.numbered_sgpr, .L_ZN2at6native25elementwise_kernel_helperILb0EZZZNS0_19digamma_kernel_cudaERNS_18TensorIteratorBaseEENKUlvE_clEvENKUlvE1_clEvEUlN3c104HalfEE_NS0_6memory8policies11unroll_baseILi256ESt5arrayIPcLm2EE23TrivialOffsetCalculatorILi1EjESG_NS9_15LoadWithoutCastENS9_16StoreWithoutCastELi8ELi1EEEEEvT0_T1_.numbered_sgpr)
	.set _ZN2at6native29vectorized_elementwise_kernelILi8EZZZNS0_19digamma_kernel_cudaERNS_18TensorIteratorBaseEENKUlvE_clEvENKUlvE1_clEvEUlN3c104HalfEE_St5arrayIPcLm2EEEEviT0_T1_.num_named_barrier, max(0, .L_ZN2at6native25elementwise_kernel_helperILb0EZZZNS0_19digamma_kernel_cudaERNS_18TensorIteratorBaseEENKUlvE_clEvENKUlvE1_clEvEUlN3c104HalfEE_NS0_6memory8policies10vectorizedILi8ESt5arrayIPcLm2EELi8EEEEEvT0_T1_.num_named_barrier, .L_ZN2at6native25elementwise_kernel_helperILb0EZZZNS0_19digamma_kernel_cudaERNS_18TensorIteratorBaseEENKUlvE_clEvENKUlvE1_clEvEUlN3c104HalfEE_NS0_6memory8policies11unroll_baseILi256ESt5arrayIPcLm2EE23TrivialOffsetCalculatorILi1EjESG_NS9_15LoadWithoutCastENS9_16StoreWithoutCastELi8ELi1EEEEEvT0_T1_.num_named_barrier)
	.set _ZN2at6native29vectorized_elementwise_kernelILi8EZZZNS0_19digamma_kernel_cudaERNS_18TensorIteratorBaseEENKUlvE_clEvENKUlvE1_clEvEUlN3c104HalfEE_St5arrayIPcLm2EEEEviT0_T1_.private_seg_size, 0+max(.L_ZN2at6native25elementwise_kernel_helperILb0EZZZNS0_19digamma_kernel_cudaERNS_18TensorIteratorBaseEENKUlvE_clEvENKUlvE1_clEvEUlN3c104HalfEE_NS0_6memory8policies10vectorizedILi8ESt5arrayIPcLm2EELi8EEEEEvT0_T1_.private_seg_size, .L_ZN2at6native25elementwise_kernel_helperILb0EZZZNS0_19digamma_kernel_cudaERNS_18TensorIteratorBaseEENKUlvE_clEvENKUlvE1_clEvEUlN3c104HalfEE_NS0_6memory8policies11unroll_baseILi256ESt5arrayIPcLm2EE23TrivialOffsetCalculatorILi1EjESG_NS9_15LoadWithoutCastENS9_16StoreWithoutCastELi8ELi1EEEEEvT0_T1_.private_seg_size)
	.set _ZN2at6native29vectorized_elementwise_kernelILi8EZZZNS0_19digamma_kernel_cudaERNS_18TensorIteratorBaseEENKUlvE_clEvENKUlvE1_clEvEUlN3c104HalfEE_St5arrayIPcLm2EEEEviT0_T1_.uses_vcc, or(1, .L_ZN2at6native25elementwise_kernel_helperILb0EZZZNS0_19digamma_kernel_cudaERNS_18TensorIteratorBaseEENKUlvE_clEvENKUlvE1_clEvEUlN3c104HalfEE_NS0_6memory8policies10vectorizedILi8ESt5arrayIPcLm2EELi8EEEEEvT0_T1_.uses_vcc, .L_ZN2at6native25elementwise_kernel_helperILb0EZZZNS0_19digamma_kernel_cudaERNS_18TensorIteratorBaseEENKUlvE_clEvENKUlvE1_clEvEUlN3c104HalfEE_NS0_6memory8policies11unroll_baseILi256ESt5arrayIPcLm2EE23TrivialOffsetCalculatorILi1EjESG_NS9_15LoadWithoutCastENS9_16StoreWithoutCastELi8ELi1EEEEEvT0_T1_.uses_vcc)
	.set _ZN2at6native29vectorized_elementwise_kernelILi8EZZZNS0_19digamma_kernel_cudaERNS_18TensorIteratorBaseEENKUlvE_clEvENKUlvE1_clEvEUlN3c104HalfEE_St5arrayIPcLm2EEEEviT0_T1_.uses_flat_scratch, or(0, .L_ZN2at6native25elementwise_kernel_helperILb0EZZZNS0_19digamma_kernel_cudaERNS_18TensorIteratorBaseEENKUlvE_clEvENKUlvE1_clEvEUlN3c104HalfEE_NS0_6memory8policies10vectorizedILi8ESt5arrayIPcLm2EELi8EEEEEvT0_T1_.uses_flat_scratch, .L_ZN2at6native25elementwise_kernel_helperILb0EZZZNS0_19digamma_kernel_cudaERNS_18TensorIteratorBaseEENKUlvE_clEvENKUlvE1_clEvEUlN3c104HalfEE_NS0_6memory8policies11unroll_baseILi256ESt5arrayIPcLm2EE23TrivialOffsetCalculatorILi1EjESG_NS9_15LoadWithoutCastENS9_16StoreWithoutCastELi8ELi1EEEEEvT0_T1_.uses_flat_scratch)
	.set _ZN2at6native29vectorized_elementwise_kernelILi8EZZZNS0_19digamma_kernel_cudaERNS_18TensorIteratorBaseEENKUlvE_clEvENKUlvE1_clEvEUlN3c104HalfEE_St5arrayIPcLm2EEEEviT0_T1_.has_dyn_sized_stack, or(0, .L_ZN2at6native25elementwise_kernel_helperILb0EZZZNS0_19digamma_kernel_cudaERNS_18TensorIteratorBaseEENKUlvE_clEvENKUlvE1_clEvEUlN3c104HalfEE_NS0_6memory8policies10vectorizedILi8ESt5arrayIPcLm2EELi8EEEEEvT0_T1_.has_dyn_sized_stack, .L_ZN2at6native25elementwise_kernel_helperILb0EZZZNS0_19digamma_kernel_cudaERNS_18TensorIteratorBaseEENKUlvE_clEvENKUlvE1_clEvEUlN3c104HalfEE_NS0_6memory8policies11unroll_baseILi256ESt5arrayIPcLm2EE23TrivialOffsetCalculatorILi1EjESG_NS9_15LoadWithoutCastENS9_16StoreWithoutCastELi8ELi1EEEEEvT0_T1_.has_dyn_sized_stack)
	.set _ZN2at6native29vectorized_elementwise_kernelILi8EZZZNS0_19digamma_kernel_cudaERNS_18TensorIteratorBaseEENKUlvE_clEvENKUlvE1_clEvEUlN3c104HalfEE_St5arrayIPcLm2EEEEviT0_T1_.has_recursion, or(0, .L_ZN2at6native25elementwise_kernel_helperILb0EZZZNS0_19digamma_kernel_cudaERNS_18TensorIteratorBaseEENKUlvE_clEvENKUlvE1_clEvEUlN3c104HalfEE_NS0_6memory8policies10vectorizedILi8ESt5arrayIPcLm2EELi8EEEEEvT0_T1_.has_recursion, .L_ZN2at6native25elementwise_kernel_helperILb0EZZZNS0_19digamma_kernel_cudaERNS_18TensorIteratorBaseEENKUlvE_clEvENKUlvE1_clEvEUlN3c104HalfEE_NS0_6memory8policies11unroll_baseILi256ESt5arrayIPcLm2EE23TrivialOffsetCalculatorILi1EjESG_NS9_15LoadWithoutCastENS9_16StoreWithoutCastELi8ELi1EEEEEvT0_T1_.has_recursion)
	.set _ZN2at6native29vectorized_elementwise_kernelILi8EZZZNS0_19digamma_kernel_cudaERNS_18TensorIteratorBaseEENKUlvE_clEvENKUlvE1_clEvEUlN3c104HalfEE_St5arrayIPcLm2EEEEviT0_T1_.has_indirect_call, or(0, .L_ZN2at6native25elementwise_kernel_helperILb0EZZZNS0_19digamma_kernel_cudaERNS_18TensorIteratorBaseEENKUlvE_clEvENKUlvE1_clEvEUlN3c104HalfEE_NS0_6memory8policies10vectorizedILi8ESt5arrayIPcLm2EELi8EEEEEvT0_T1_.has_indirect_call, .L_ZN2at6native25elementwise_kernel_helperILb0EZZZNS0_19digamma_kernel_cudaERNS_18TensorIteratorBaseEENKUlvE_clEvENKUlvE1_clEvEUlN3c104HalfEE_NS0_6memory8policies11unroll_baseILi256ESt5arrayIPcLm2EE23TrivialOffsetCalculatorILi1EjESG_NS9_15LoadWithoutCastENS9_16StoreWithoutCastELi8ELi1EEEEEvT0_T1_.has_indirect_call)
	.section	.AMDGPU.csdata,"",@progbits
; Kernel info:
; codeLenInByte = 180
; TotalNumSgprs: 37
; NumVgprs: 66
; ScratchSize: 0
; MemoryBound: 0
; FloatMode: 240
; IeeeMode: 1
; LDSByteSize: 0 bytes/workgroup (compile time only)
; SGPRBlocks: 4
; VGPRBlocks: 16
; NumSGPRsForWavesPerEU: 37
; NumVGPRsForWavesPerEU: 66
; Occupancy: 3
; WaveLimiterHint : 0
; COMPUTE_PGM_RSRC2:SCRATCH_EN: 0
; COMPUTE_PGM_RSRC2:USER_SGPR: 6
; COMPUTE_PGM_RSRC2:TRAP_HANDLER: 0
; COMPUTE_PGM_RSRC2:TGID_X_EN: 1
; COMPUTE_PGM_RSRC2:TGID_Y_EN: 0
; COMPUTE_PGM_RSRC2:TGID_Z_EN: 0
; COMPUTE_PGM_RSRC2:TIDIG_COMP_CNT: 0
	.section	.text._ZN2at6native29vectorized_elementwise_kernelILi4EZZZNS0_19digamma_kernel_cudaERNS_18TensorIteratorBaseEENKUlvE_clEvENKUlvE1_clEvEUlN3c104HalfEE_St5arrayIPcLm2EEEEviT0_T1_,"axG",@progbits,_ZN2at6native29vectorized_elementwise_kernelILi4EZZZNS0_19digamma_kernel_cudaERNS_18TensorIteratorBaseEENKUlvE_clEvENKUlvE1_clEvEUlN3c104HalfEE_St5arrayIPcLm2EEEEviT0_T1_,comdat
	.globl	_ZN2at6native29vectorized_elementwise_kernelILi4EZZZNS0_19digamma_kernel_cudaERNS_18TensorIteratorBaseEENKUlvE_clEvENKUlvE1_clEvEUlN3c104HalfEE_St5arrayIPcLm2EEEEviT0_T1_ ; -- Begin function _ZN2at6native29vectorized_elementwise_kernelILi4EZZZNS0_19digamma_kernel_cudaERNS_18TensorIteratorBaseEENKUlvE_clEvENKUlvE1_clEvEUlN3c104HalfEE_St5arrayIPcLm2EEEEviT0_T1_
	.p2align	8
	.type	_ZN2at6native29vectorized_elementwise_kernelILi4EZZZNS0_19digamma_kernel_cudaERNS_18TensorIteratorBaseEENKUlvE_clEvENKUlvE1_clEvEUlN3c104HalfEE_St5arrayIPcLm2EEEEviT0_T1_,@function
_ZN2at6native29vectorized_elementwise_kernelILi4EZZZNS0_19digamma_kernel_cudaERNS_18TensorIteratorBaseEENKUlvE_clEvENKUlvE1_clEvEUlN3c104HalfEE_St5arrayIPcLm2EEEEviT0_T1_: ; @_ZN2at6native29vectorized_elementwise_kernelILi4EZZZNS0_19digamma_kernel_cudaERNS_18TensorIteratorBaseEENKUlvE_clEvENKUlvE1_clEvEUlN3c104HalfEE_St5arrayIPcLm2EEEEviT0_T1_
; %bb.0:
	s_add_u32 s0, s0, s7
	s_load_dword s7, s[4:5], 0x0
	s_load_dwordx4 s[8:11], s[4:5], 0x8
	s_addc_u32 s1, s1, 0
	s_lshl_b32 s4, s6, 11
	s_mov_b64 s[12:13], -1
	s_waitcnt lgkmcnt(0)
	s_sub_i32 s7, s7, s4
	s_cmpk_gt_i32 s7, 0x7ff
	s_mov_b32 s32, 0
	s_cbranch_scc1 .LBB24_3
; %bb.1:
	s_and_b64 vcc, exec, s[12:13]
	s_cbranch_vccnz .LBB24_196
.LBB24_2:
	s_endpgm
.LBB24_3:
	s_ashr_i32 s5, s4, 31
	s_lshl_b64 s[12:13], s[4:5], 1
	s_add_u32 s4, s10, s12
	s_addc_u32 s5, s11, s13
	v_lshlrev_b32_e32 v11, 3, v0
	global_load_dwordx2 v[3:4], v11, s[4:5]
	global_load_dwordx2 v[1:2], v11, s[4:5] offset:2048
	v_mov_b32_e32 v5, 0
                                        ; implicit-def: $vgpr12
	s_waitcnt vmcnt(1)
	v_cvt_f32_f16_e32 v13, v3
	v_cmp_neq_f16_e32 vcc, 0, v3
	s_and_saveexec_b64 s[4:5], vcc
	s_xor_b64 s[14:15], exec, s[4:5]
	s_cbranch_execz .LBB24_25
; %bb.4:
	v_cmp_gt_f16_e32 vcc, 0, v3
	s_mov_b64 s[4:5], -1
	s_and_saveexec_b64 s[16:17], vcc
	s_cbranch_execz .LBB24_12
; %bb.5:
	v_trunc_f32_e32 v5, v13
	v_cmp_neq_f32_e32 vcc, v5, v13
	s_mov_b64 s[20:21], 0
	v_mov_b32_e32 v5, 0
	s_and_saveexec_b64 s[18:19], vcc
	s_cbranch_execz .LBB24_11
; %bb.6:
	v_cvt_f32_f16_e32 v5, v3
	s_mov_b32 s4, 0
	s_mov_b32 s21, 0xc00921fb
	;; [unrolled: 1-line block ×3, first 2 shown]
	v_cvt_f64_f32_e32 v[5:6], v5
	s_mov_b32 s5, 0x7ff00000
	v_bfrev_b32_e32 v9, 1
	s_mov_b32 s22, 0
	v_trunc_f64_e32 v[7:8], v[5:6]
	v_cmp_neq_f64_e64 vcc, |v[5:6]|, s[4:5]
	s_mov_b32 s23, 0x41d00000
                                        ; implicit-def: $vgpr12
	v_add_f64 v[7:8], v[5:6], -v[7:8]
	v_mul_f64 v[7:8], |v[7:8]|, s[20:21]
	v_cndmask_b32_e32 v6, v9, v8, vcc
	v_cndmask_b32_e32 v5, 0, v7, vcc
	v_cmp_nlt_f64_e64 s[22:23], |v[5:6]|, s[22:23]
                                        ; implicit-def: $vgpr7_vgpr8
                                        ; implicit-def: $vgpr9_vgpr10
	s_and_saveexec_b64 s[24:25], s[22:23]
	s_xor_b64 s[22:23], exec, s[24:25]
	s_cbranch_execz .LBB24_8
; %bb.7:
	v_trig_preop_f64 v[7:8], |v[5:6]|, 0
	s_mov_b32 s24, 0
	s_mov_b32 s25, 0x7b000000
	s_movk_i32 s21, 0xff80
	v_ldexp_f64 v[14:15], |v[5:6]|, s21
	v_cmp_ge_f64_e64 vcc, |v[5:6]|, s[24:25]
	v_trig_preop_f64 v[9:10], |v[5:6]|, 1
	v_and_b32_e32 v12, 0x7fffffff, v6
	v_trig_preop_f64 v[22:23], |v[5:6]|, 2
	v_mov_b32_e32 v32, 0
	s_mov_b32 s21, 0x3ff921fb
	v_cndmask_b32_e32 v15, v12, v15, vcc
	v_cndmask_b32_e32 v14, v5, v14, vcc
	v_mov_b32_e32 v12, 0x40100000
	v_mul_f64 v[16:17], v[7:8], v[14:15]
	v_mul_f64 v[18:19], v[9:10], v[14:15]
	;; [unrolled: 1-line block ×3, first 2 shown]
	v_fma_f64 v[7:8], v[7:8], v[14:15], -v[16:17]
	v_fma_f64 v[9:10], v[9:10], v[14:15], -v[18:19]
	;; [unrolled: 1-line block ×3, first 2 shown]
	v_add_f64 v[20:21], v[18:19], v[7:8]
	v_add_f64 v[24:25], v[20:21], -v[18:19]
	v_add_f64 v[30:31], v[16:17], v[20:21]
	v_add_f64 v[26:27], v[20:21], -v[24:25]
	v_add_f64 v[7:8], v[7:8], -v[24:25]
	v_add_f64 v[24:25], v[28:29], v[9:10]
	v_add_f64 v[16:17], v[30:31], -v[16:17]
	v_add_f64 v[18:19], v[18:19], -v[26:27]
	v_ldexp_f64 v[26:27], v[30:31], -2
	v_add_f64 v[34:35], v[24:25], -v[28:29]
	v_add_f64 v[16:17], v[20:21], -v[16:17]
	v_add_f64 v[7:8], v[7:8], v[18:19]
	v_fract_f64_e32 v[18:19], v[26:27]
	v_cmp_neq_f64_e64 vcc, |v[26:27]|, s[4:5]
	v_add_f64 v[9:10], v[9:10], -v[34:35]
	v_add_f64 v[20:21], v[24:25], v[7:8]
	v_ldexp_f64 v[18:19], v[18:19], 2
	v_add_f64 v[26:27], v[16:17], v[20:21]
	v_cndmask_b32_e32 v19, 0, v19, vcc
	v_cndmask_b32_e32 v18, 0, v18, vcc
	v_add_f64 v[36:37], v[20:21], -v[24:25]
	v_add_f64 v[30:31], v[26:27], v[18:19]
	v_add_f64 v[16:17], v[26:27], -v[16:17]
	v_add_f64 v[38:39], v[20:21], -v[36:37]
	;; [unrolled: 1-line block ×3, first 2 shown]
	v_cmp_gt_f64_e32 vcc, 0, v[30:31]
	v_add_f64 v[30:31], v[24:25], -v[34:35]
	v_add_f64 v[16:17], v[20:21], -v[16:17]
	;; [unrolled: 1-line block ×3, first 2 shown]
	v_cndmask_b32_e32 v33, 0, v12, vcc
	v_add_f64 v[18:19], v[18:19], v[32:33]
	v_add_f64 v[30:31], v[28:29], -v[30:31]
	v_add_f64 v[7:8], v[7:8], v[24:25]
	v_add_f64 v[40:41], v[26:27], v[18:19]
	;; [unrolled: 1-line block ×3, first 2 shown]
	v_cvt_i32_f64_e32 v12, v[40:41]
	v_add_f64 v[7:8], v[9:10], v[7:8]
	v_cvt_f64_i32_e32 v[33:34], v12
	v_add_f64 v[18:19], v[18:19], -v[33:34]
	v_add_f64 v[7:8], v[14:15], v[7:8]
	v_add_f64 v[9:10], v[26:27], v[18:19]
	;; [unrolled: 1-line block ×3, first 2 shown]
	v_mov_b32_e32 v16, 0x3ff00000
	v_add_f64 v[14:15], v[9:10], -v[18:19]
	v_cmp_le_f64_e32 vcc, 0.5, v[9:10]
	v_add_f64 v[14:15], v[26:27], -v[14:15]
	v_cndmask_b32_e32 v33, 0, v16, vcc
	v_add_f64 v[9:10], v[9:10], -v[32:33]
	v_addc_co_u32_e64 v12, s[4:5], 0, v12, vcc
	s_mov_b32 s4, 0x33145c07
	s_mov_b32 s5, 0x3c91a626
	v_add_f64 v[7:8], v[7:8], v[14:15]
	v_add_f64 v[14:15], v[9:10], v[7:8]
	v_mul_f64 v[16:17], v[14:15], s[20:21]
	v_add_f64 v[9:10], v[14:15], -v[9:10]
	v_fma_f64 v[18:19], v[14:15], s[20:21], -v[16:17]
	v_add_f64 v[7:8], v[7:8], -v[9:10]
	v_fma_f64 v[9:10], v[14:15], s[4:5], v[18:19]
	v_fma_f64 v[9:10], v[7:8], s[20:21], v[9:10]
	v_add_f64 v[7:8], v[16:17], v[9:10]
	v_add_f64 v[14:15], v[7:8], -v[16:17]
	v_add_f64 v[9:10], v[9:10], -v[14:15]
.LBB24_8:
	s_andn2_saveexec_b64 s[4:5], s[22:23]
	s_cbranch_execz .LBB24_10
; %bb.9:
	s_mov_b32 s20, 0x6dc9c883
	s_mov_b32 s21, 0x3fe45f30
	v_mul_f64 v[7:8], |v[5:6]|, s[20:21]
	s_mov_b32 s20, 0x54442d18
	s_mov_b32 s21, 0xbff921fb
	;; [unrolled: 1-line block ×4, first 2 shown]
	v_rndne_f64_e32 v[14:15], v[7:8]
	v_fma_f64 v[7:8], v[14:15], s[20:21], |v[5:6]|
	v_mul_f64 v[9:10], v[14:15], s[22:23]
	s_mov_b32 s20, 0x252049c0
	s_mov_b32 s21, 0xb97b839a
	v_cvt_i32_f64_e32 v12, v[14:15]
	v_fma_f64 v[20:21], v[14:15], s[22:23], v[7:8]
	v_add_f64 v[16:17], v[7:8], v[9:10]
	s_mov_b32 s23, 0x3c91a626
	v_add_f64 v[18:19], v[7:8], -v[16:17]
	v_add_f64 v[16:17], v[16:17], -v[20:21]
	v_add_f64 v[7:8], v[18:19], v[9:10]
	v_fma_f64 v[9:10], v[14:15], s[22:23], v[9:10]
	v_add_f64 v[7:8], v[16:17], v[7:8]
	v_add_f64 v[7:8], v[7:8], -v[9:10]
	v_fma_f64 v[9:10], v[14:15], s[20:21], v[7:8]
	v_add_f64 v[7:8], v[20:21], v[9:10]
	v_add_f64 v[16:17], v[7:8], -v[20:21]
	v_add_f64 v[9:10], v[9:10], -v[16:17]
.LBB24_10:
	s_or_b64 exec, exec, s[4:5]
	v_mul_f64 v[14:15], v[7:8], v[7:8]
	v_add_f64 v[16:17], v[9:10], v[9:10]
	s_mov_b32 s4, 0xc751c08c
	s_mov_b32 s5, 0x3ef5e089
	v_and_b32_e32 v12, 1, v12
	v_cmp_eq_u32_e32 vcc, 0, v12
	s_mov_b32 s22, 0x54442d18
	s_mov_b32 s23, 0xc00921fb
	v_fma_f64 v[18:19], v[7:8], v[7:8], -v[14:15]
	s_mov_b64 s[20:21], exec
	v_sub_f32_e32 v13, 1.0, v13
	v_fma_f64 v[16:17], v[7:8], v[16:17], v[18:19]
	v_add_f64 v[14:15], v[14:15], v[16:17]
	v_mov_b32_e32 v16, 0xa9a29f71
	v_mov_b32_e32 v17, 0xbf078809
	v_fma_f64 v[16:17], v[14:15], s[4:5], v[16:17]
	s_mov_b32 s4, 0x90a8aae0
	s_mov_b32 s5, 0x3f17746f
	v_fma_f64 v[16:17], v[14:15], v[16:17], s[4:5]
	s_mov_b32 s4, 0xa6fbf144
	s_mov_b32 s5, 0xbefbb44d
	;; [unrolled: 3-line block ×12, first 2 shown]
	v_fma_f64 v[16:17], v[14:15], v[16:17], s[4:5]
	s_movk_i32 s4, 0x1f8
	v_cmp_class_f64_e64 s[4:5], v[5:6], s4
	v_mul_f64 v[14:15], v[14:15], v[16:17]
	v_mul_f64 v[16:17], v[7:8], v[14:15]
	v_add_f64 v[18:19], v[7:8], v[16:17]
	v_fma_f64 v[14:15], v[7:8], v[14:15], -v[16:17]
	v_add_f64 v[7:8], v[18:19], -v[7:8]
	v_add_f64 v[9:10], v[9:10], v[14:15]
	v_add_f64 v[7:8], v[16:17], -v[7:8]
	v_add_f64 v[7:8], v[9:10], v[7:8]
	v_add_f64 v[9:10], v[18:19], v[7:8]
	v_rcp_f64_e32 v[14:15], v[9:10]
	v_fma_f64 v[16:17], -v[9:10], v[14:15], 1.0
	v_fma_f64 v[14:15], v[16:17], v[14:15], v[14:15]
	v_fma_f64 v[16:17], -v[9:10], v[14:15], 1.0
	v_fma_f64 v[14:15], v[16:17], v[14:15], v[14:15]
	v_add_f64 v[16:17], v[9:10], -v[18:19]
	v_mul_f64 v[18:19], v[9:10], v[14:15]
	v_add_f64 v[7:8], v[7:8], -v[16:17]
	v_fma_f64 v[16:17], v[14:15], v[9:10], -v[18:19]
	v_fma_f64 v[7:8], v[14:15], v[7:8], v[16:17]
	v_add_f64 v[16:17], v[18:19], v[7:8]
	v_add_f64 v[20:21], -v[16:17], 1.0
	v_add_f64 v[18:19], v[16:17], -v[18:19]
	v_add_f64 v[22:23], -v[20:21], 1.0
	v_add_f64 v[7:8], v[18:19], -v[7:8]
	v_add_f64 v[16:17], v[22:23], -v[16:17]
	v_add_f64 v[7:8], v[7:8], v[16:17]
	v_add_f64 v[7:8], v[20:21], v[7:8]
	v_mul_f64 v[7:8], v[14:15], v[7:8]
	v_add_f64 v[7:8], v[14:15], v[7:8]
	v_and_b32_e32 v14, 0x80000000, v6
	v_mov_b32_e32 v6, 0x7ff80000
	v_xor_b32_e32 v5, 0x80000000, v8
	v_cndmask_b32_e32 v7, v7, v9, vcc
	v_cndmask_b32_e32 v8, v5, v10, vcc
	v_cndmask_b32_e64 v5, 0, v7, s[4:5]
	v_xor_b32_e32 v7, v8, v14
	v_cndmask_b32_e64 v6, v6, v7, s[4:5]
	v_div_scale_f64 v[7:8], s[4:5], v[5:6], v[5:6], s[22:23]
	v_div_scale_f64 v[16:17], vcc, s[22:23], v[5:6], s[22:23]
	v_rcp_f64_e32 v[9:10], v[7:8]
	v_fma_f64 v[14:15], -v[7:8], v[9:10], 1.0
	v_fma_f64 v[9:10], v[9:10], v[14:15], v[9:10]
	v_fma_f64 v[14:15], -v[7:8], v[9:10], 1.0
	v_fma_f64 v[9:10], v[9:10], v[14:15], v[9:10]
	v_mul_f64 v[14:15], v[16:17], v[9:10]
	v_fma_f64 v[7:8], -v[7:8], v[14:15], v[16:17]
	v_div_fmas_f64 v[7:8], v[7:8], v[9:10], v[14:15]
	v_div_fixup_f64 v[5:6], v[7:8], v[5:6], s[22:23]
	v_cvt_f32_f64_e32 v5, v[5:6]
.LBB24_11:
	s_or_b64 exec, exec, s[18:19]
	s_orn2_b64 s[4:5], s[20:21], exec
.LBB24_12:
	s_or_b64 exec, exec, s[16:17]
	v_mov_b32_e32 v12, 0x7e00
	s_and_saveexec_b64 s[16:17], s[4:5]
	s_cbranch_execz .LBB24_24
; %bb.13:
	s_mov_b32 s20, 0x41200000
	v_cmp_gt_f32_e32 vcc, s20, v13
	s_and_saveexec_b64 s[4:5], vcc
	s_cbranch_execz .LBB24_17
; %bb.14:
	s_mov_b64 s[18:19], 0
.LBB24_15:                              ; =>This Inner Loop Header: Depth=1
	v_div_scale_f32 v6, s[22:23], v13, v13, 1.0
	v_div_scale_f32 v7, vcc, 1.0, v13, 1.0
	v_rcp_f32_e32 v8, v6
	v_fma_f32 v9, -v6, v8, 1.0
	v_fmac_f32_e32 v8, v9, v8
	v_mul_f32_e32 v9, v7, v8
	v_fma_f32 v10, -v6, v9, v7
	v_fmac_f32_e32 v9, v10, v8
	v_fma_f32 v6, -v6, v9, v7
	v_div_fmas_f32 v6, v6, v8, v9
	v_div_fixup_f32 v6, v6, v13, 1.0
	v_add_f32_e32 v13, 1.0, v13
	v_cmp_ngt_f32_e32 vcc, s20, v13
	s_or_b64 s[18:19], vcc, s[18:19]
	v_sub_f32_e32 v5, v5, v6
	s_andn2_b64 exec, exec, s[18:19]
	s_cbranch_execnz .LBB24_15
; %bb.16:
	s_or_b64 exec, exec, s[18:19]
.LBB24_17:
	s_or_b64 exec, exec, s[4:5]
	s_mov_b32 s4, 0x41200000
	v_cmp_neq_f32_e32 vcc, s4, v13
                                        ; implicit-def: $vgpr12
	s_and_saveexec_b64 s[4:5], vcc
	s_xor_b64 s[18:19], exec, s[4:5]
	s_cbranch_execz .LBB24_21
; %bb.18:
	v_cvt_f64_f32_e32 v[6:7], v13
	s_mov_b32 s4, 0x85d8a000
	s_mov_b32 s5, 0x43763457
	v_cmp_gt_f64_e32 vcc, s[4:5], v[6:7]
	v_mov_b32_e32 v6, 0
	s_and_saveexec_b64 s[4:5], vcc
	s_cbranch_execz .LBB24_20
; %bb.19:
	v_mul_f32_e32 v6, v13, v13
	v_div_scale_f32 v7, s[20:21], v6, v6, 1.0
	v_div_scale_f32 v8, vcc, 1.0, v6, 1.0
	v_mov_b32_e32 v14, 0x3b820821
	v_rcp_f32_e32 v9, v7
	v_fma_f32 v10, -v7, v9, 1.0
	v_fmac_f32_e32 v9, v10, v9
	v_mul_f32_e32 v10, v8, v9
	v_fma_f32 v12, -v7, v10, v8
	v_fmac_f32_e32 v10, v12, v9
	v_fma_f32 v7, -v7, v10, v8
	v_div_fmas_f32 v7, v7, v9, v10
	v_mov_b32_e32 v8, 0x3daaaaab
	v_mov_b32_e32 v9, 0xbcaccacd
	;; [unrolled: 1-line block ×4, first 2 shown]
	v_div_fixup_f32 v6, v7, v6, 1.0
	v_fma_f32 v7, 0, v6, v8
	v_fmac_f32_e32 v9, v6, v7
	v_fmac_f32_e32 v10, v6, v9
	;; [unrolled: 1-line block ×4, first 2 shown]
	v_mov_b32_e32 v7, 0xbc088889
	v_fmac_f32_e32 v7, v6, v14
	v_fmac_f32_e32 v8, v6, v7
	v_mul_f32_e32 v6, v6, v8
.LBB24_20:
	s_or_b64 exec, exec, s[4:5]
	v_div_scale_f32 v7, s[4:5], v13, v13, -0.5
	v_div_scale_f32 v8, vcc, -0.5, v13, -0.5
	s_mov_b32 s4, 0x800000
	v_cmp_gt_f32_e64 s[4:5], s4, v13
	v_cndmask_b32_e64 v10, 0, 32, s[4:5]
	s_mov_b32 s20, 0x3f317217
	v_rcp_f32_e32 v9, v7
	v_fma_f32 v12, -v7, v9, 1.0
	v_fmac_f32_e32 v9, v12, v9
	v_mul_f32_e32 v12, v8, v9
	v_fma_f32 v14, -v7, v12, v8
	v_fmac_f32_e32 v12, v14, v9
	v_fma_f32 v7, -v7, v12, v8
	v_div_fmas_f32 v7, v7, v9, v12
	v_ldexp_f32 v8, v13, v10
	v_log_f32_e32 v8, v8
	v_mul_f32_e32 v9, 0x3f317217, v8
	v_fma_f32 v9, v8, s20, -v9
	v_fmac_f32_e32 v9, 0x3377d1cf, v8
	s_mov_b32 s20, 0x7f800000
	v_fmac_f32_e32 v9, 0x3f317217, v8
	v_cmp_lt_f32_e64 vcc, |v8|, s20
	v_cndmask_b32_e32 v8, v8, v9, vcc
	v_mov_b32_e32 v9, 0x41b17218
	v_cndmask_b32_e64 v9, 0, v9, s[4:5]
	v_sub_f32_e32 v8, v8, v9
	v_div_fixup_f32 v7, v7, v13, -0.5
	v_add_f32_e32 v7, v8, v7
	v_sub_f32_e32 v6, v7, v6
	v_add_f32_e32 v5, v5, v6
	v_cvt_f16_f32_e32 v12, v5
                                        ; implicit-def: $vgpr5
.LBB24_21:
	s_andn2_saveexec_b64 s[4:5], s[18:19]
; %bb.22:
	v_add_f32_e32 v5, 0x40101cb7, v5
	v_cvt_f16_f32_e32 v12, v5
; %bb.23:
	s_or_b64 exec, exec, s[4:5]
.LBB24_24:
	s_or_b64 exec, exec, s[16:17]
                                        ; implicit-def: $vgpr13
.LBB24_25:
	s_andn2_saveexec_b64 s[4:5], s[14:15]
; %bb.26:
	v_xor_b32_e32 v5, 0x80000000, v13
	s_movk_i32 s14, 0x8000
	v_and_b32_sdwa v5, v5, s14 dst_sel:DWORD dst_unused:UNUSED_PAD src0_sel:WORD_1 src1_sel:DWORD
	v_or_b32_e32 v12, 0x7c00, v5
; %bb.27:
	s_or_b64 exec, exec, s[4:5]
	v_cvt_f32_f16_sdwa v14, v3 dst_sel:DWORD dst_unused:UNUSED_PAD src0_sel:WORD_1
	v_mov_b32_e32 v5, 0
	v_cmp_neq_f16_sdwa s[4:5], v3, v5 src0_sel:WORD_1 src1_sel:DWORD
                                        ; implicit-def: $vgpr13
	s_and_saveexec_b64 s[14:15], s[4:5]
	s_xor_b64 s[14:15], exec, s[14:15]
	s_cbranch_execz .LBB24_49
; %bb.28:
	v_cmp_lt_f16_sdwa s[18:19], v3, v5 src0_sel:WORD_1 src1_sel:DWORD
	s_mov_b64 s[4:5], -1
	s_and_saveexec_b64 s[16:17], s[18:19]
	s_cbranch_execz .LBB24_36
; %bb.29:
	v_trunc_f32_e32 v5, v14
	v_cmp_neq_f32_e32 vcc, v5, v14
	s_mov_b64 s[20:21], 0
	v_mov_b32_e32 v5, 0
	s_and_saveexec_b64 s[18:19], vcc
	s_cbranch_execz .LBB24_35
; %bb.30:
	v_cvt_f32_f16_sdwa v3, v3 dst_sel:DWORD dst_unused:UNUSED_PAD src0_sel:WORD_1
	s_mov_b32 s4, 0
	s_mov_b32 s21, 0xc00921fb
	;; [unrolled: 1-line block ×3, first 2 shown]
	v_cvt_f64_f32_e32 v[5:6], v3
	s_mov_b32 s5, 0x7ff00000
	v_bfrev_b32_e32 v3, 1
	s_mov_b32 s22, 0
	v_trunc_f64_e32 v[7:8], v[5:6]
	v_cmp_neq_f64_e64 vcc, |v[5:6]|, s[4:5]
	s_mov_b32 s23, 0x41d00000
                                        ; implicit-def: $vgpr9_vgpr10
	v_add_f64 v[7:8], v[5:6], -v[7:8]
	v_mul_f64 v[7:8], |v[7:8]|, s[20:21]
	v_cndmask_b32_e32 v6, v3, v8, vcc
	v_cndmask_b32_e32 v5, 0, v7, vcc
	v_cmp_nlt_f64_e64 s[22:23], |v[5:6]|, s[22:23]
                                        ; implicit-def: $vgpr3
                                        ; implicit-def: $vgpr7_vgpr8
	s_and_saveexec_b64 s[24:25], s[22:23]
	s_xor_b64 s[22:23], exec, s[24:25]
	s_cbranch_execz .LBB24_32
; %bb.31:
	v_trig_preop_f64 v[7:8], |v[5:6]|, 0
	s_mov_b32 s24, 0
	s_mov_b32 s25, 0x7b000000
	s_movk_i32 s21, 0xff80
	v_ldexp_f64 v[15:16], |v[5:6]|, s21
	v_cmp_ge_f64_e64 vcc, |v[5:6]|, s[24:25]
	v_trig_preop_f64 v[9:10], |v[5:6]|, 1
	v_and_b32_e32 v3, 0x7fffffff, v6
	v_trig_preop_f64 v[23:24], |v[5:6]|, 2
	v_mov_b32_e32 v33, 0
	v_mov_b32_e32 v13, 0x3ff00000
	s_mov_b32 s21, 0x3ff921fb
	v_cndmask_b32_e32 v16, v3, v16, vcc
	v_cndmask_b32_e32 v15, v5, v15, vcc
	v_mov_b32_e32 v3, 0x40100000
	v_mul_f64 v[17:18], v[7:8], v[15:16]
	v_mul_f64 v[19:20], v[9:10], v[15:16]
	;; [unrolled: 1-line block ×3, first 2 shown]
	v_fma_f64 v[7:8], v[7:8], v[15:16], -v[17:18]
	v_fma_f64 v[9:10], v[9:10], v[15:16], -v[19:20]
	;; [unrolled: 1-line block ×3, first 2 shown]
	v_add_f64 v[21:22], v[19:20], v[7:8]
	v_add_f64 v[25:26], v[21:22], -v[19:20]
	v_add_f64 v[31:32], v[17:18], v[21:22]
	v_add_f64 v[27:28], v[21:22], -v[25:26]
	v_add_f64 v[7:8], v[7:8], -v[25:26]
	v_add_f64 v[25:26], v[29:30], v[9:10]
	v_add_f64 v[17:18], v[31:32], -v[17:18]
	v_add_f64 v[19:20], v[19:20], -v[27:28]
	v_ldexp_f64 v[27:28], v[31:32], -2
	v_add_f64 v[35:36], v[25:26], -v[29:30]
	v_add_f64 v[17:18], v[21:22], -v[17:18]
	v_add_f64 v[7:8], v[7:8], v[19:20]
	v_fract_f64_e32 v[19:20], v[27:28]
	v_cmp_neq_f64_e64 vcc, |v[27:28]|, s[4:5]
	v_add_f64 v[9:10], v[9:10], -v[35:36]
	v_add_f64 v[21:22], v[25:26], v[7:8]
	v_ldexp_f64 v[19:20], v[19:20], 2
	v_add_f64 v[27:28], v[17:18], v[21:22]
	v_cndmask_b32_e32 v20, 0, v20, vcc
	v_cndmask_b32_e32 v19, 0, v19, vcc
	v_add_f64 v[37:38], v[21:22], -v[25:26]
	v_add_f64 v[31:32], v[27:28], v[19:20]
	v_add_f64 v[17:18], v[27:28], -v[17:18]
	v_add_f64 v[39:40], v[21:22], -v[37:38]
	;; [unrolled: 1-line block ×3, first 2 shown]
	v_cmp_gt_f64_e32 vcc, 0, v[31:32]
	v_add_f64 v[31:32], v[25:26], -v[35:36]
	v_add_f64 v[17:18], v[21:22], -v[17:18]
	v_add_f64 v[25:26], v[25:26], -v[39:40]
	v_cndmask_b32_e32 v34, 0, v3, vcc
	v_add_f64 v[19:20], v[19:20], v[33:34]
	v_add_f64 v[31:32], v[29:30], -v[31:32]
	v_add_f64 v[7:8], v[7:8], v[25:26]
	v_add_f64 v[41:42], v[27:28], v[19:20]
	;; [unrolled: 1-line block ×3, first 2 shown]
	v_cvt_i32_f64_e32 v3, v[41:42]
	v_add_f64 v[7:8], v[9:10], v[7:8]
	v_cvt_f64_i32_e32 v[34:35], v3
	v_add_f64 v[19:20], v[19:20], -v[34:35]
	v_add_f64 v[7:8], v[15:16], v[7:8]
	v_add_f64 v[9:10], v[27:28], v[19:20]
	;; [unrolled: 1-line block ×3, first 2 shown]
	v_add_f64 v[15:16], v[9:10], -v[19:20]
	v_cmp_le_f64_e32 vcc, 0.5, v[9:10]
	v_add_f64 v[15:16], v[27:28], -v[15:16]
	v_cndmask_b32_e32 v34, 0, v13, vcc
	v_add_f64 v[9:10], v[9:10], -v[33:34]
	v_addc_co_u32_e64 v3, s[4:5], 0, v3, vcc
	s_mov_b32 s4, 0x33145c07
	s_mov_b32 s5, 0x3c91a626
	v_add_f64 v[7:8], v[7:8], v[15:16]
	v_add_f64 v[15:16], v[9:10], v[7:8]
	v_mul_f64 v[17:18], v[15:16], s[20:21]
	v_add_f64 v[9:10], v[15:16], -v[9:10]
	v_fma_f64 v[19:20], v[15:16], s[20:21], -v[17:18]
	v_add_f64 v[7:8], v[7:8], -v[9:10]
	v_fma_f64 v[9:10], v[15:16], s[4:5], v[19:20]
	v_fma_f64 v[9:10], v[7:8], s[20:21], v[9:10]
	v_add_f64 v[7:8], v[17:18], v[9:10]
	v_add_f64 v[15:16], v[7:8], -v[17:18]
	v_add_f64 v[9:10], v[9:10], -v[15:16]
.LBB24_32:
	s_andn2_saveexec_b64 s[4:5], s[22:23]
	s_cbranch_execz .LBB24_34
; %bb.33:
	s_mov_b32 s20, 0x6dc9c883
	s_mov_b32 s21, 0x3fe45f30
	v_mul_f64 v[7:8], |v[5:6]|, s[20:21]
	s_mov_b32 s20, 0x54442d18
	s_mov_b32 s21, 0xbff921fb
	;; [unrolled: 1-line block ×4, first 2 shown]
	v_rndne_f64_e32 v[15:16], v[7:8]
	v_fma_f64 v[7:8], v[15:16], s[20:21], |v[5:6]|
	v_mul_f64 v[9:10], v[15:16], s[22:23]
	s_mov_b32 s20, 0x252049c0
	s_mov_b32 s21, 0xb97b839a
	v_cvt_i32_f64_e32 v3, v[15:16]
	v_fma_f64 v[21:22], v[15:16], s[22:23], v[7:8]
	v_add_f64 v[17:18], v[7:8], v[9:10]
	s_mov_b32 s23, 0x3c91a626
	v_add_f64 v[19:20], v[7:8], -v[17:18]
	v_add_f64 v[17:18], v[17:18], -v[21:22]
	v_add_f64 v[7:8], v[19:20], v[9:10]
	v_fma_f64 v[9:10], v[15:16], s[22:23], v[9:10]
	v_add_f64 v[7:8], v[17:18], v[7:8]
	v_add_f64 v[7:8], v[7:8], -v[9:10]
	v_fma_f64 v[9:10], v[15:16], s[20:21], v[7:8]
	v_add_f64 v[7:8], v[21:22], v[9:10]
	v_add_f64 v[17:18], v[7:8], -v[21:22]
	v_add_f64 v[9:10], v[9:10], -v[17:18]
.LBB24_34:
	s_or_b64 exec, exec, s[4:5]
	v_mul_f64 v[15:16], v[7:8], v[7:8]
	v_add_f64 v[17:18], v[9:10], v[9:10]
	s_mov_b32 s4, 0xc751c08c
	s_mov_b32 s5, 0x3ef5e089
	v_and_b32_e32 v3, 1, v3
	v_cmp_eq_u32_e32 vcc, 0, v3
	v_and_b32_e32 v13, 0x80000000, v6
	s_mov_b32 s22, 0x54442d18
	v_fma_f64 v[19:20], v[7:8], v[7:8], -v[15:16]
	s_mov_b32 s23, 0xc00921fb
	s_mov_b64 s[20:21], exec
	v_sub_f32_e32 v14, 1.0, v14
	v_fma_f64 v[17:18], v[7:8], v[17:18], v[19:20]
	v_add_f64 v[15:16], v[15:16], v[17:18]
	v_mov_b32_e32 v17, 0xa9a29f71
	v_mov_b32_e32 v18, 0xbf078809
	v_fma_f64 v[17:18], v[15:16], s[4:5], v[17:18]
	s_mov_b32 s4, 0x90a8aae0
	s_mov_b32 s5, 0x3f17746f
	v_fma_f64 v[17:18], v[15:16], v[17:18], s[4:5]
	s_mov_b32 s4, 0xa6fbf144
	s_mov_b32 s5, 0xbefbb44d
	;; [unrolled: 3-line block ×12, first 2 shown]
	v_fma_f64 v[17:18], v[15:16], v[17:18], s[4:5]
	s_movk_i32 s4, 0x1f8
	v_cmp_class_f64_e64 s[4:5], v[5:6], s4
	v_mov_b32_e32 v6, 0x7ff80000
	v_mul_f64 v[15:16], v[15:16], v[17:18]
	v_mul_f64 v[17:18], v[7:8], v[15:16]
	v_add_f64 v[19:20], v[7:8], v[17:18]
	v_fma_f64 v[15:16], v[7:8], v[15:16], -v[17:18]
	v_add_f64 v[7:8], v[19:20], -v[7:8]
	v_add_f64 v[9:10], v[9:10], v[15:16]
	v_add_f64 v[7:8], v[17:18], -v[7:8]
	v_add_f64 v[7:8], v[9:10], v[7:8]
	v_add_f64 v[9:10], v[19:20], v[7:8]
	v_rcp_f64_e32 v[15:16], v[9:10]
	v_fma_f64 v[17:18], -v[9:10], v[15:16], 1.0
	v_fma_f64 v[15:16], v[17:18], v[15:16], v[15:16]
	v_fma_f64 v[17:18], -v[9:10], v[15:16], 1.0
	v_fma_f64 v[15:16], v[17:18], v[15:16], v[15:16]
	v_add_f64 v[17:18], v[9:10], -v[19:20]
	v_mul_f64 v[19:20], v[9:10], v[15:16]
	v_add_f64 v[7:8], v[7:8], -v[17:18]
	v_fma_f64 v[17:18], v[15:16], v[9:10], -v[19:20]
	v_fma_f64 v[7:8], v[15:16], v[7:8], v[17:18]
	v_add_f64 v[17:18], v[19:20], v[7:8]
	v_add_f64 v[21:22], -v[17:18], 1.0
	v_add_f64 v[19:20], v[17:18], -v[19:20]
	v_add_f64 v[23:24], -v[21:22], 1.0
	v_add_f64 v[7:8], v[19:20], -v[7:8]
	v_add_f64 v[17:18], v[23:24], -v[17:18]
	v_add_f64 v[7:8], v[7:8], v[17:18]
	v_add_f64 v[7:8], v[21:22], v[7:8]
	v_mul_f64 v[7:8], v[15:16], v[7:8]
	v_add_f64 v[7:8], v[15:16], v[7:8]
	v_xor_b32_e32 v5, 0x80000000, v8
	v_cndmask_b32_e32 v3, v7, v9, vcc
	v_cndmask_b32_e32 v7, v5, v10, vcc
	v_cndmask_b32_e64 v5, 0, v3, s[4:5]
	v_xor_b32_e32 v3, v7, v13
	v_cndmask_b32_e64 v6, v6, v3, s[4:5]
	v_div_scale_f64 v[7:8], s[4:5], v[5:6], v[5:6], s[22:23]
	v_div_scale_f64 v[17:18], vcc, s[22:23], v[5:6], s[22:23]
	v_rcp_f64_e32 v[9:10], v[7:8]
	v_fma_f64 v[15:16], -v[7:8], v[9:10], 1.0
	v_fma_f64 v[9:10], v[9:10], v[15:16], v[9:10]
	v_fma_f64 v[15:16], -v[7:8], v[9:10], 1.0
	v_fma_f64 v[9:10], v[9:10], v[15:16], v[9:10]
	v_mul_f64 v[15:16], v[17:18], v[9:10]
	v_fma_f64 v[7:8], -v[7:8], v[15:16], v[17:18]
	v_div_fmas_f64 v[7:8], v[7:8], v[9:10], v[15:16]
	v_div_fixup_f64 v[5:6], v[7:8], v[5:6], s[22:23]
	v_cvt_f32_f64_e32 v5, v[5:6]
.LBB24_35:
	s_or_b64 exec, exec, s[18:19]
	s_orn2_b64 s[4:5], s[20:21], exec
.LBB24_36:
	s_or_b64 exec, exec, s[16:17]
	v_mov_b32_e32 v13, 0x7e00
	s_and_saveexec_b64 s[16:17], s[4:5]
	s_cbranch_execz .LBB24_48
; %bb.37:
	s_mov_b32 s20, 0x41200000
	v_cmp_gt_f32_e32 vcc, s20, v14
	s_and_saveexec_b64 s[4:5], vcc
	s_cbranch_execz .LBB24_41
; %bb.38:
	s_mov_b64 s[18:19], 0
.LBB24_39:                              ; =>This Inner Loop Header: Depth=1
	v_div_scale_f32 v3, s[22:23], v14, v14, 1.0
	v_div_scale_f32 v6, vcc, 1.0, v14, 1.0
	v_rcp_f32_e32 v7, v3
	v_fma_f32 v8, -v3, v7, 1.0
	v_fmac_f32_e32 v7, v8, v7
	v_mul_f32_e32 v8, v6, v7
	v_fma_f32 v9, -v3, v8, v6
	v_fmac_f32_e32 v8, v9, v7
	v_fma_f32 v3, -v3, v8, v6
	v_div_fmas_f32 v3, v3, v7, v8
	v_div_fixup_f32 v3, v3, v14, 1.0
	v_add_f32_e32 v14, 1.0, v14
	v_cmp_ngt_f32_e32 vcc, s20, v14
	s_or_b64 s[18:19], vcc, s[18:19]
	v_sub_f32_e32 v5, v5, v3
	s_andn2_b64 exec, exec, s[18:19]
	s_cbranch_execnz .LBB24_39
; %bb.40:
	s_or_b64 exec, exec, s[18:19]
.LBB24_41:
	s_or_b64 exec, exec, s[4:5]
	s_mov_b32 s4, 0x41200000
	v_cmp_neq_f32_e32 vcc, s4, v14
                                        ; implicit-def: $vgpr13
	s_and_saveexec_b64 s[4:5], vcc
	s_xor_b64 s[18:19], exec, s[4:5]
	s_cbranch_execz .LBB24_45
; %bb.42:
	v_cvt_f64_f32_e32 v[6:7], v14
	s_mov_b32 s4, 0x85d8a000
	s_mov_b32 s5, 0x43763457
	v_mov_b32_e32 v3, 0
	v_cmp_gt_f64_e32 vcc, s[4:5], v[6:7]
	s_and_saveexec_b64 s[4:5], vcc
	s_cbranch_execz .LBB24_44
; %bb.43:
	v_mul_f32_e32 v3, v14, v14
	v_div_scale_f32 v6, s[20:21], v3, v3, 1.0
	v_div_scale_f32 v7, vcc, 1.0, v3, 1.0
	v_mov_b32_e32 v13, 0x3b820821
	v_rcp_f32_e32 v8, v6
	v_fma_f32 v9, -v6, v8, 1.0
	v_fmac_f32_e32 v8, v9, v8
	v_mul_f32_e32 v9, v7, v8
	v_fma_f32 v10, -v6, v9, v7
	v_fmac_f32_e32 v9, v10, v8
	v_fma_f32 v6, -v6, v9, v7
	v_div_fmas_f32 v6, v6, v8, v9
	v_mov_b32_e32 v7, 0x3daaaaab
	v_mov_b32_e32 v8, 0xbcaccacd
	;; [unrolled: 1-line block ×4, first 2 shown]
	v_div_fixup_f32 v3, v6, v3, 1.0
	v_fma_f32 v6, 0, v3, v7
	v_fmac_f32_e32 v8, v3, v6
	v_fmac_f32_e32 v9, v3, v8
	;; [unrolled: 1-line block ×4, first 2 shown]
	v_mov_b32_e32 v6, 0xbc088889
	v_fmac_f32_e32 v6, v3, v13
	v_fmac_f32_e32 v7, v3, v6
	v_mul_f32_e32 v3, v3, v7
.LBB24_44:
	s_or_b64 exec, exec, s[4:5]
	v_div_scale_f32 v6, s[4:5], v14, v14, -0.5
	v_div_scale_f32 v7, vcc, -0.5, v14, -0.5
	s_mov_b32 s4, 0x800000
	v_cmp_gt_f32_e64 s[4:5], s4, v14
	v_cndmask_b32_e64 v9, 0, 32, s[4:5]
	s_mov_b32 s20, 0x3f317217
	v_rcp_f32_e32 v8, v6
	v_fma_f32 v10, -v6, v8, 1.0
	v_fmac_f32_e32 v8, v10, v8
	v_mul_f32_e32 v10, v7, v8
	v_fma_f32 v13, -v6, v10, v7
	v_fmac_f32_e32 v10, v13, v8
	v_fma_f32 v6, -v6, v10, v7
	v_div_fmas_f32 v6, v6, v8, v10
	v_ldexp_f32 v7, v14, v9
	v_log_f32_e32 v7, v7
	v_mul_f32_e32 v8, 0x3f317217, v7
	v_fma_f32 v8, v7, s20, -v8
	v_fmac_f32_e32 v8, 0x3377d1cf, v7
	s_mov_b32 s20, 0x7f800000
	v_fmac_f32_e32 v8, 0x3f317217, v7
	v_cmp_lt_f32_e64 vcc, |v7|, s20
	v_cndmask_b32_e32 v7, v7, v8, vcc
	v_mov_b32_e32 v8, 0x41b17218
	v_cndmask_b32_e64 v8, 0, v8, s[4:5]
	v_sub_f32_e32 v7, v7, v8
	v_div_fixup_f32 v6, v6, v14, -0.5
	v_add_f32_e32 v6, v7, v6
	v_sub_f32_e32 v3, v6, v3
	v_add_f32_e32 v3, v5, v3
	v_cvt_f16_f32_e32 v13, v3
                                        ; implicit-def: $vgpr5
.LBB24_45:
	s_andn2_saveexec_b64 s[4:5], s[18:19]
; %bb.46:
	v_add_f32_e32 v3, 0x40101cb7, v5
	v_cvt_f16_f32_e32 v13, v3
; %bb.47:
	s_or_b64 exec, exec, s[4:5]
.LBB24_48:
	s_or_b64 exec, exec, s[16:17]
                                        ; implicit-def: $vgpr14
.LBB24_49:
	s_andn2_saveexec_b64 s[4:5], s[14:15]
; %bb.50:
	v_xor_b32_e32 v3, 0x80000000, v14
	s_movk_i32 s14, 0x8000
	v_and_b32_sdwa v3, v3, s14 dst_sel:DWORD dst_unused:UNUSED_PAD src0_sel:WORD_1 src1_sel:DWORD
	v_or_b32_e32 v13, 0x7c00, v3
; %bb.51:
	s_or_b64 exec, exec, s[4:5]
	v_cvt_f32_f16_e32 v3, v4
	v_cmp_neq_f16_e32 vcc, 0, v4
                                        ; implicit-def: $vgpr9
	s_and_saveexec_b64 s[4:5], vcc
	s_xor_b64 s[14:15], exec, s[4:5]
	s_cbranch_execz .LBB24_73
; %bb.52:
	v_cmp_gt_f16_e32 vcc, 0, v4
	s_mov_b64 s[4:5], -1
	v_mov_b32_e32 v5, 0
	s_and_saveexec_b64 s[16:17], vcc
	s_cbranch_execz .LBB24_60
; %bb.53:
	v_trunc_f32_e32 v5, v3
	v_cmp_neq_f32_e32 vcc, v5, v3
	s_mov_b64 s[20:21], 0
	v_mov_b32_e32 v5, 0
	s_and_saveexec_b64 s[18:19], vcc
	s_cbranch_execz .LBB24_59
; %bb.54:
	v_cvt_f32_f16_e32 v5, v4
	s_mov_b32 s22, 0
	s_mov_b32 s5, 0xc00921fb
	;; [unrolled: 1-line block ×3, first 2 shown]
	v_cvt_f64_f32_e32 v[5:6], v5
	s_mov_b32 s23, 0x7ff00000
	v_bfrev_b32_e32 v9, 1
	s_mov_b32 s20, 0
	v_trunc_f64_e32 v[7:8], v[5:6]
	v_cmp_neq_f64_e64 vcc, |v[5:6]|, s[22:23]
	s_mov_b32 s21, 0x41d00000
                                        ; implicit-def: $vgpr14
	v_add_f64 v[7:8], v[5:6], -v[7:8]
	v_mul_f64 v[7:8], |v[7:8]|, s[4:5]
	v_cndmask_b32_e32 v6, v9, v8, vcc
	v_cndmask_b32_e32 v5, 0, v7, vcc
	v_cmp_nlt_f64_e64 s[20:21], |v[5:6]|, s[20:21]
                                        ; implicit-def: $vgpr7_vgpr8
                                        ; implicit-def: $vgpr9_vgpr10
	s_and_saveexec_b64 s[24:25], s[20:21]
	s_xor_b64 s[20:21], exec, s[24:25]
	s_cbranch_execz .LBB24_56
; %bb.55:
	v_trig_preop_f64 v[7:8], |v[5:6]|, 0
	s_mov_b32 s24, 0
	s_mov_b32 s25, 0x7b000000
	s_movk_i32 s5, 0xff80
	v_ldexp_f64 v[14:15], |v[5:6]|, s5
	v_cmp_ge_f64_e64 vcc, |v[5:6]|, s[24:25]
	v_trig_preop_f64 v[9:10], |v[5:6]|, 1
	v_and_b32_e32 v16, 0x7fffffff, v6
	v_trig_preop_f64 v[22:23], |v[5:6]|, 2
	v_mov_b32_e32 v33, 0x40100000
	v_mov_b32_e32 v32, 0
	s_mov_b32 s5, 0x3ff921fb
	v_cndmask_b32_e32 v15, v16, v15, vcc
	v_cndmask_b32_e32 v14, v5, v14, vcc
	v_mul_f64 v[16:17], v[7:8], v[14:15]
	v_mul_f64 v[18:19], v[9:10], v[14:15]
	;; [unrolled: 1-line block ×3, first 2 shown]
	v_fma_f64 v[7:8], v[7:8], v[14:15], -v[16:17]
	v_fma_f64 v[9:10], v[9:10], v[14:15], -v[18:19]
	;; [unrolled: 1-line block ×3, first 2 shown]
	v_add_f64 v[20:21], v[18:19], v[7:8]
	v_add_f64 v[24:25], v[20:21], -v[18:19]
	v_add_f64 v[30:31], v[16:17], v[20:21]
	v_add_f64 v[26:27], v[20:21], -v[24:25]
	v_add_f64 v[7:8], v[7:8], -v[24:25]
	v_add_f64 v[24:25], v[28:29], v[9:10]
	v_add_f64 v[16:17], v[30:31], -v[16:17]
	v_add_f64 v[18:19], v[18:19], -v[26:27]
	v_ldexp_f64 v[26:27], v[30:31], -2
	v_add_f64 v[34:35], v[24:25], -v[28:29]
	v_add_f64 v[16:17], v[20:21], -v[16:17]
	v_add_f64 v[7:8], v[7:8], v[18:19]
	v_fract_f64_e32 v[18:19], v[26:27]
	v_cmp_neq_f64_e64 vcc, |v[26:27]|, s[22:23]
	v_add_f64 v[9:10], v[9:10], -v[34:35]
	s_mov_b32 s22, 0x33145c07
	s_mov_b32 s23, 0x3c91a626
	v_add_f64 v[20:21], v[24:25], v[7:8]
	v_ldexp_f64 v[18:19], v[18:19], 2
	v_add_f64 v[26:27], v[16:17], v[20:21]
	v_cndmask_b32_e32 v19, 0, v19, vcc
	v_cndmask_b32_e32 v18, 0, v18, vcc
	v_add_f64 v[36:37], v[20:21], -v[24:25]
	v_add_f64 v[30:31], v[26:27], v[18:19]
	v_add_f64 v[16:17], v[26:27], -v[16:17]
	v_add_f64 v[38:39], v[20:21], -v[36:37]
	;; [unrolled: 1-line block ×3, first 2 shown]
	v_cmp_gt_f64_e32 vcc, 0, v[30:31]
	v_add_f64 v[30:31], v[24:25], -v[34:35]
	v_add_f64 v[16:17], v[20:21], -v[16:17]
	;; [unrolled: 1-line block ×3, first 2 shown]
	v_cndmask_b32_e32 v33, 0, v33, vcc
	v_add_f64 v[18:19], v[18:19], v[32:33]
	v_add_f64 v[30:31], v[28:29], -v[30:31]
	v_add_f64 v[7:8], v[7:8], v[24:25]
	v_add_f64 v[40:41], v[26:27], v[18:19]
	;; [unrolled: 1-line block ×3, first 2 shown]
	v_cvt_i32_f64_e32 v35, v[40:41]
	v_add_f64 v[7:8], v[9:10], v[7:8]
	v_cvt_f64_i32_e32 v[33:34], v35
	v_add_f64 v[18:19], v[18:19], -v[33:34]
	v_add_f64 v[7:8], v[14:15], v[7:8]
	v_add_f64 v[9:10], v[26:27], v[18:19]
	v_add_f64 v[7:8], v[16:17], v[7:8]
	v_mov_b32_e32 v16, 0x3ff00000
	v_add_f64 v[14:15], v[9:10], -v[18:19]
	v_cmp_le_f64_e32 vcc, 0.5, v[9:10]
	v_add_f64 v[14:15], v[26:27], -v[14:15]
	v_cndmask_b32_e32 v33, 0, v16, vcc
	v_add_f64 v[9:10], v[9:10], -v[32:33]
	v_add_f64 v[7:8], v[7:8], v[14:15]
	v_add_f64 v[14:15], v[9:10], v[7:8]
	v_mul_f64 v[16:17], v[14:15], s[4:5]
	v_add_f64 v[9:10], v[14:15], -v[9:10]
	v_fma_f64 v[18:19], v[14:15], s[4:5], -v[16:17]
	v_add_f64 v[7:8], v[7:8], -v[9:10]
	v_fma_f64 v[9:10], v[14:15], s[22:23], v[18:19]
	v_fma_f64 v[9:10], v[7:8], s[4:5], v[9:10]
	v_add_f64 v[7:8], v[16:17], v[9:10]
	v_add_f64 v[14:15], v[7:8], -v[16:17]
	v_add_f64 v[9:10], v[9:10], -v[14:15]
	v_addc_co_u32_e32 v14, vcc, 0, v35, vcc
.LBB24_56:
	s_andn2_saveexec_b64 s[4:5], s[20:21]
	s_cbranch_execz .LBB24_58
; %bb.57:
	s_mov_b32 s20, 0x6dc9c883
	s_mov_b32 s21, 0x3fe45f30
	v_mul_f64 v[7:8], |v[5:6]|, s[20:21]
	s_mov_b32 s20, 0x54442d18
	s_mov_b32 s21, 0xbff921fb
	;; [unrolled: 1-line block ×4, first 2 shown]
	v_rndne_f64_e32 v[14:15], v[7:8]
	v_fma_f64 v[7:8], v[14:15], s[20:21], |v[5:6]|
	v_mul_f64 v[9:10], v[14:15], s[22:23]
	s_mov_b32 s20, 0x252049c0
	s_mov_b32 s21, 0xb97b839a
	v_fma_f64 v[20:21], v[14:15], s[22:23], v[7:8]
	v_add_f64 v[16:17], v[7:8], v[9:10]
	s_mov_b32 s23, 0x3c91a626
	v_add_f64 v[18:19], v[7:8], -v[16:17]
	v_add_f64 v[16:17], v[16:17], -v[20:21]
	v_add_f64 v[7:8], v[18:19], v[9:10]
	v_fma_f64 v[9:10], v[14:15], s[22:23], v[9:10]
	v_add_f64 v[7:8], v[16:17], v[7:8]
	v_add_f64 v[7:8], v[7:8], -v[9:10]
	v_fma_f64 v[9:10], v[14:15], s[20:21], v[7:8]
	v_cvt_i32_f64_e32 v14, v[14:15]
	v_add_f64 v[7:8], v[20:21], v[9:10]
	v_add_f64 v[16:17], v[7:8], -v[20:21]
	v_add_f64 v[9:10], v[9:10], -v[16:17]
.LBB24_58:
	s_or_b64 exec, exec, s[4:5]
	v_mul_f64 v[15:16], v[7:8], v[7:8]
	v_add_f64 v[17:18], v[9:10], v[9:10]
	s_mov_b32 s4, 0xc751c08c
	s_mov_b32 s5, 0x3ef5e089
	v_and_b32_e32 v14, 1, v14
	v_cmp_eq_u32_e32 vcc, 0, v14
	s_mov_b32 s22, 0x54442d18
	s_mov_b32 s23, 0xc00921fb
	v_fma_f64 v[19:20], v[7:8], v[7:8], -v[15:16]
	s_mov_b64 s[20:21], exec
	v_sub_f32_e32 v3, 1.0, v3
	v_fma_f64 v[17:18], v[7:8], v[17:18], v[19:20]
	v_add_f64 v[15:16], v[15:16], v[17:18]
	v_mov_b32_e32 v17, 0xa9a29f71
	v_mov_b32_e32 v18, 0xbf078809
	v_fma_f64 v[17:18], v[15:16], s[4:5], v[17:18]
	s_mov_b32 s4, 0x90a8aae0
	s_mov_b32 s5, 0x3f17746f
	v_fma_f64 v[17:18], v[15:16], v[17:18], s[4:5]
	s_mov_b32 s4, 0xa6fbf144
	s_mov_b32 s5, 0xbefbb44d
	;; [unrolled: 3-line block ×12, first 2 shown]
	v_fma_f64 v[17:18], v[15:16], v[17:18], s[4:5]
	s_movk_i32 s4, 0x1f8
	v_cmp_class_f64_e64 s[4:5], v[5:6], s4
	v_mul_f64 v[15:16], v[15:16], v[17:18]
	v_mul_f64 v[17:18], v[7:8], v[15:16]
	v_add_f64 v[19:20], v[7:8], v[17:18]
	v_fma_f64 v[15:16], v[7:8], v[15:16], -v[17:18]
	v_add_f64 v[7:8], v[19:20], -v[7:8]
	v_add_f64 v[9:10], v[9:10], v[15:16]
	v_add_f64 v[7:8], v[17:18], -v[7:8]
	v_add_f64 v[7:8], v[9:10], v[7:8]
	v_add_f64 v[9:10], v[19:20], v[7:8]
	v_rcp_f64_e32 v[15:16], v[9:10]
	v_fma_f64 v[17:18], -v[9:10], v[15:16], 1.0
	v_fma_f64 v[15:16], v[17:18], v[15:16], v[15:16]
	v_fma_f64 v[17:18], -v[9:10], v[15:16], 1.0
	v_fma_f64 v[15:16], v[17:18], v[15:16], v[15:16]
	v_add_f64 v[17:18], v[9:10], -v[19:20]
	v_mul_f64 v[19:20], v[9:10], v[15:16]
	v_add_f64 v[7:8], v[7:8], -v[17:18]
	v_fma_f64 v[17:18], v[15:16], v[9:10], -v[19:20]
	v_fma_f64 v[7:8], v[15:16], v[7:8], v[17:18]
	v_add_f64 v[17:18], v[19:20], v[7:8]
	v_add_f64 v[21:22], -v[17:18], 1.0
	v_add_f64 v[19:20], v[17:18], -v[19:20]
	v_add_f64 v[23:24], -v[21:22], 1.0
	v_add_f64 v[7:8], v[19:20], -v[7:8]
	v_add_f64 v[17:18], v[23:24], -v[17:18]
	v_add_f64 v[7:8], v[7:8], v[17:18]
	v_add_f64 v[7:8], v[21:22], v[7:8]
	v_mul_f64 v[7:8], v[15:16], v[7:8]
	v_add_f64 v[7:8], v[15:16], v[7:8]
	v_and_b32_e32 v15, 0x80000000, v6
	v_mov_b32_e32 v6, 0x7ff80000
	v_xor_b32_e32 v5, 0x80000000, v8
	v_cndmask_b32_e32 v7, v7, v9, vcc
	v_cndmask_b32_e32 v8, v5, v10, vcc
	v_cndmask_b32_e64 v5, 0, v7, s[4:5]
	v_xor_b32_e32 v7, v8, v15
	v_cndmask_b32_e64 v6, v6, v7, s[4:5]
	v_div_scale_f64 v[7:8], s[4:5], v[5:6], v[5:6], s[22:23]
	v_div_scale_f64 v[16:17], vcc, s[22:23], v[5:6], s[22:23]
	v_rcp_f64_e32 v[9:10], v[7:8]
	v_fma_f64 v[14:15], -v[7:8], v[9:10], 1.0
	v_fma_f64 v[9:10], v[9:10], v[14:15], v[9:10]
	v_fma_f64 v[14:15], -v[7:8], v[9:10], 1.0
	v_fma_f64 v[9:10], v[9:10], v[14:15], v[9:10]
	v_mul_f64 v[14:15], v[16:17], v[9:10]
	v_fma_f64 v[7:8], -v[7:8], v[14:15], v[16:17]
	v_div_fmas_f64 v[7:8], v[7:8], v[9:10], v[14:15]
	v_div_fixup_f64 v[5:6], v[7:8], v[5:6], s[22:23]
	v_cvt_f32_f64_e32 v5, v[5:6]
.LBB24_59:
	s_or_b64 exec, exec, s[18:19]
	s_orn2_b64 s[4:5], s[20:21], exec
.LBB24_60:
	s_or_b64 exec, exec, s[16:17]
	v_mov_b32_e32 v9, 0x7e00
	s_and_saveexec_b64 s[16:17], s[4:5]
	s_cbranch_execz .LBB24_72
; %bb.61:
	s_mov_b32 s20, 0x41200000
	v_cmp_gt_f32_e32 vcc, s20, v3
	s_and_saveexec_b64 s[4:5], vcc
	s_cbranch_execz .LBB24_65
; %bb.62:
	s_mov_b64 s[18:19], 0
.LBB24_63:                              ; =>This Inner Loop Header: Depth=1
	v_div_scale_f32 v6, s[22:23], v3, v3, 1.0
	v_div_scale_f32 v7, vcc, 1.0, v3, 1.0
	v_rcp_f32_e32 v8, v6
	v_fma_f32 v9, -v6, v8, 1.0
	v_fmac_f32_e32 v8, v9, v8
	v_mul_f32_e32 v9, v7, v8
	v_fma_f32 v10, -v6, v9, v7
	v_fmac_f32_e32 v9, v10, v8
	v_fma_f32 v6, -v6, v9, v7
	v_div_fmas_f32 v6, v6, v8, v9
	v_div_fixup_f32 v6, v6, v3, 1.0
	v_add_f32_e32 v3, 1.0, v3
	v_cmp_ngt_f32_e32 vcc, s20, v3
	s_or_b64 s[18:19], vcc, s[18:19]
	v_sub_f32_e32 v5, v5, v6
	s_andn2_b64 exec, exec, s[18:19]
	s_cbranch_execnz .LBB24_63
; %bb.64:
	s_or_b64 exec, exec, s[18:19]
.LBB24_65:
	s_or_b64 exec, exec, s[4:5]
	s_mov_b32 s4, 0x41200000
	v_cmp_neq_f32_e32 vcc, s4, v3
                                        ; implicit-def: $vgpr9
	s_and_saveexec_b64 s[4:5], vcc
	s_xor_b64 s[18:19], exec, s[4:5]
	s_cbranch_execz .LBB24_69
; %bb.66:
	v_cvt_f64_f32_e32 v[6:7], v3
	s_mov_b32 s4, 0x85d8a000
	s_mov_b32 s5, 0x43763457
	v_cmp_gt_f64_e32 vcc, s[4:5], v[6:7]
	v_mov_b32_e32 v6, 0
	s_and_saveexec_b64 s[4:5], vcc
	s_cbranch_execz .LBB24_68
; %bb.67:
	v_mul_f32_e32 v6, v3, v3
	v_div_scale_f32 v7, s[20:21], v6, v6, 1.0
	v_div_scale_f32 v8, vcc, 1.0, v6, 1.0
	v_mov_b32_e32 v15, 0x3b820821
	v_rcp_f32_e32 v9, v7
	v_fma_f32 v10, -v7, v9, 1.0
	v_fmac_f32_e32 v9, v10, v9
	v_mul_f32_e32 v10, v8, v9
	v_fma_f32 v14, -v7, v10, v8
	v_fmac_f32_e32 v10, v14, v9
	v_fma_f32 v7, -v7, v10, v8
	v_div_fmas_f32 v7, v7, v9, v10
	v_mov_b32_e32 v8, 0x3daaaaab
	v_mov_b32_e32 v9, 0xbcaccacd
	;; [unrolled: 1-line block ×4, first 2 shown]
	v_div_fixup_f32 v6, v7, v6, 1.0
	v_fma_f32 v7, 0, v6, v8
	v_fmac_f32_e32 v9, v6, v7
	v_fmac_f32_e32 v10, v6, v9
	;; [unrolled: 1-line block ×4, first 2 shown]
	v_mov_b32_e32 v7, 0xbc088889
	v_fmac_f32_e32 v7, v6, v15
	v_fmac_f32_e32 v8, v6, v7
	v_mul_f32_e32 v6, v6, v8
.LBB24_68:
	s_or_b64 exec, exec, s[4:5]
	v_div_scale_f32 v7, s[4:5], v3, v3, -0.5
	v_div_scale_f32 v8, vcc, -0.5, v3, -0.5
	s_mov_b32 s4, 0x800000
	v_cmp_gt_f32_e64 s[4:5], s4, v3
	v_cndmask_b32_e64 v10, 0, 32, s[4:5]
	s_mov_b32 s20, 0x3f317217
	v_rcp_f32_e32 v9, v7
	v_fma_f32 v14, -v7, v9, 1.0
	v_fmac_f32_e32 v9, v14, v9
	v_mul_f32_e32 v14, v8, v9
	v_fma_f32 v15, -v7, v14, v8
	v_fmac_f32_e32 v14, v15, v9
	v_fma_f32 v7, -v7, v14, v8
	v_div_fmas_f32 v7, v7, v9, v14
	v_ldexp_f32 v8, v3, v10
	v_log_f32_e32 v8, v8
	v_mul_f32_e32 v9, 0x3f317217, v8
	v_fma_f32 v9, v8, s20, -v9
	v_fmac_f32_e32 v9, 0x3377d1cf, v8
	s_mov_b32 s20, 0x7f800000
	v_fmac_f32_e32 v9, 0x3f317217, v8
	v_cmp_lt_f32_e64 vcc, |v8|, s20
	v_cndmask_b32_e32 v8, v8, v9, vcc
	v_mov_b32_e32 v9, 0x41b17218
	v_cndmask_b32_e64 v9, 0, v9, s[4:5]
	v_sub_f32_e32 v8, v8, v9
	v_div_fixup_f32 v3, v7, v3, -0.5
	v_add_f32_e32 v3, v8, v3
	v_sub_f32_e32 v3, v3, v6
	v_add_f32_e32 v3, v5, v3
	v_cvt_f16_f32_e32 v9, v3
                                        ; implicit-def: $vgpr5
.LBB24_69:
	s_andn2_saveexec_b64 s[4:5], s[18:19]
; %bb.70:
	v_add_f32_e32 v3, 0x40101cb7, v5
	v_cvt_f16_f32_e32 v9, v3
; %bb.71:
	s_or_b64 exec, exec, s[4:5]
.LBB24_72:
	s_or_b64 exec, exec, s[16:17]
                                        ; implicit-def: $vgpr3
.LBB24_73:
	s_andn2_saveexec_b64 s[4:5], s[14:15]
; %bb.74:
	v_xor_b32_e32 v3, 0x80000000, v3
	s_movk_i32 s14, 0x8000
	v_and_b32_sdwa v3, v3, s14 dst_sel:DWORD dst_unused:UNUSED_PAD src0_sel:WORD_1 src1_sel:DWORD
	v_or_b32_e32 v9, 0x7c00, v3
; %bb.75:
	s_or_b64 exec, exec, s[4:5]
	v_cvt_f32_f16_sdwa v14, v4 dst_sel:DWORD dst_unused:UNUSED_PAD src0_sel:WORD_1
	v_mov_b32_e32 v3, 0
	v_cmp_neq_f16_sdwa s[4:5], v4, v3 src0_sel:WORD_1 src1_sel:DWORD
                                        ; implicit-def: $vgpr10
	s_and_saveexec_b64 s[14:15], s[4:5]
	s_xor_b64 s[14:15], exec, s[14:15]
	s_cbranch_execz .LBB24_97
; %bb.76:
	v_cmp_lt_f16_sdwa s[18:19], v4, v3 src0_sel:WORD_1 src1_sel:DWORD
	s_mov_b64 s[4:5], -1
	s_and_saveexec_b64 s[16:17], s[18:19]
	s_cbranch_execz .LBB24_84
; %bb.77:
	v_trunc_f32_e32 v3, v14
	v_cmp_neq_f32_e32 vcc, v3, v14
	s_mov_b64 s[20:21], 0
	v_mov_b32_e32 v3, 0
	s_and_saveexec_b64 s[18:19], vcc
	s_cbranch_execz .LBB24_83
; %bb.78:
	v_cvt_f32_f16_sdwa v3, v4 dst_sel:DWORD dst_unused:UNUSED_PAD src0_sel:WORD_1
	s_mov_b32 s22, 0
	s_mov_b32 s5, 0xc00921fb
	;; [unrolled: 1-line block ×3, first 2 shown]
	v_cvt_f64_f32_e32 v[3:4], v3
	s_mov_b32 s23, 0x7ff00000
	v_bfrev_b32_e32 v7, 1
	s_mov_b32 s20, 0
	v_trunc_f64_e32 v[5:6], v[3:4]
	v_cmp_neq_f64_e64 vcc, |v[3:4]|, s[22:23]
	s_mov_b32 s21, 0x41d00000
                                        ; implicit-def: $vgpr10
	v_add_f64 v[5:6], v[3:4], -v[5:6]
	v_mul_f64 v[5:6], |v[5:6]|, s[4:5]
	v_cndmask_b32_e32 v4, v7, v6, vcc
	v_cndmask_b32_e32 v3, 0, v5, vcc
	v_cmp_nlt_f64_e64 s[20:21], |v[3:4]|, s[20:21]
                                        ; implicit-def: $vgpr5_vgpr6
                                        ; implicit-def: $vgpr7_vgpr8
	s_and_saveexec_b64 s[24:25], s[20:21]
	s_xor_b64 s[20:21], exec, s[24:25]
	s_cbranch_execz .LBB24_80
; %bb.79:
	v_trig_preop_f64 v[5:6], |v[3:4]|, 0
	s_mov_b32 s24, 0
	s_mov_b32 s25, 0x7b000000
	s_movk_i32 s5, 0xff80
	v_ldexp_f64 v[15:16], |v[3:4]|, s5
	v_cmp_ge_f64_e64 vcc, |v[3:4]|, s[24:25]
	v_trig_preop_f64 v[7:8], |v[3:4]|, 1
	v_and_b32_e32 v10, 0x7fffffff, v4
	v_trig_preop_f64 v[23:24], |v[3:4]|, 2
	v_mov_b32_e32 v33, 0
	s_mov_b32 s5, 0x3ff921fb
	v_cndmask_b32_e32 v16, v10, v16, vcc
	v_cndmask_b32_e32 v15, v3, v15, vcc
	v_mov_b32_e32 v10, 0x40100000
	v_mul_f64 v[17:18], v[5:6], v[15:16]
	v_mul_f64 v[19:20], v[7:8], v[15:16]
	;; [unrolled: 1-line block ×3, first 2 shown]
	v_fma_f64 v[5:6], v[5:6], v[15:16], -v[17:18]
	v_fma_f64 v[7:8], v[7:8], v[15:16], -v[19:20]
	;; [unrolled: 1-line block ×3, first 2 shown]
	v_add_f64 v[21:22], v[19:20], v[5:6]
	v_add_f64 v[25:26], v[21:22], -v[19:20]
	v_add_f64 v[31:32], v[17:18], v[21:22]
	v_add_f64 v[27:28], v[21:22], -v[25:26]
	v_add_f64 v[5:6], v[5:6], -v[25:26]
	v_add_f64 v[25:26], v[29:30], v[7:8]
	v_add_f64 v[17:18], v[31:32], -v[17:18]
	v_add_f64 v[19:20], v[19:20], -v[27:28]
	v_ldexp_f64 v[27:28], v[31:32], -2
	v_add_f64 v[35:36], v[25:26], -v[29:30]
	v_add_f64 v[17:18], v[21:22], -v[17:18]
	v_add_f64 v[5:6], v[5:6], v[19:20]
	v_fract_f64_e32 v[19:20], v[27:28]
	v_cmp_neq_f64_e64 vcc, |v[27:28]|, s[22:23]
	v_add_f64 v[7:8], v[7:8], -v[35:36]
	s_mov_b32 s22, 0x33145c07
	s_mov_b32 s23, 0x3c91a626
	v_add_f64 v[21:22], v[25:26], v[5:6]
	v_ldexp_f64 v[19:20], v[19:20], 2
	v_add_f64 v[27:28], v[17:18], v[21:22]
	v_cndmask_b32_e32 v20, 0, v20, vcc
	v_cndmask_b32_e32 v19, 0, v19, vcc
	v_add_f64 v[37:38], v[21:22], -v[25:26]
	v_add_f64 v[31:32], v[27:28], v[19:20]
	v_add_f64 v[17:18], v[27:28], -v[17:18]
	v_add_f64 v[39:40], v[21:22], -v[37:38]
	;; [unrolled: 1-line block ×3, first 2 shown]
	v_cmp_gt_f64_e32 vcc, 0, v[31:32]
	v_add_f64 v[31:32], v[25:26], -v[35:36]
	v_add_f64 v[17:18], v[21:22], -v[17:18]
	;; [unrolled: 1-line block ×3, first 2 shown]
	v_cndmask_b32_e32 v34, 0, v10, vcc
	v_add_f64 v[19:20], v[19:20], v[33:34]
	v_add_f64 v[31:32], v[29:30], -v[31:32]
	v_add_f64 v[5:6], v[5:6], v[25:26]
	v_add_f64 v[41:42], v[27:28], v[19:20]
	;; [unrolled: 1-line block ×3, first 2 shown]
	v_cvt_i32_f64_e32 v10, v[41:42]
	v_add_f64 v[5:6], v[7:8], v[5:6]
	v_cvt_f64_i32_e32 v[34:35], v10
	v_add_f64 v[19:20], v[19:20], -v[34:35]
	v_add_f64 v[5:6], v[15:16], v[5:6]
	v_add_f64 v[7:8], v[27:28], v[19:20]
	;; [unrolled: 1-line block ×3, first 2 shown]
	v_mov_b32_e32 v17, 0x3ff00000
	v_add_f64 v[15:16], v[7:8], -v[19:20]
	v_cmp_le_f64_e32 vcc, 0.5, v[7:8]
	v_add_f64 v[15:16], v[27:28], -v[15:16]
	v_cndmask_b32_e32 v34, 0, v17, vcc
	v_add_f64 v[7:8], v[7:8], -v[33:34]
	v_addc_co_u32_e32 v10, vcc, 0, v10, vcc
	v_add_f64 v[5:6], v[5:6], v[15:16]
	v_add_f64 v[15:16], v[7:8], v[5:6]
	v_mul_f64 v[17:18], v[15:16], s[4:5]
	v_add_f64 v[7:8], v[15:16], -v[7:8]
	v_fma_f64 v[19:20], v[15:16], s[4:5], -v[17:18]
	v_add_f64 v[5:6], v[5:6], -v[7:8]
	v_fma_f64 v[7:8], v[15:16], s[22:23], v[19:20]
	v_fma_f64 v[7:8], v[5:6], s[4:5], v[7:8]
	v_add_f64 v[5:6], v[17:18], v[7:8]
	v_add_f64 v[15:16], v[5:6], -v[17:18]
	v_add_f64 v[7:8], v[7:8], -v[15:16]
.LBB24_80:
	s_andn2_saveexec_b64 s[4:5], s[20:21]
	s_cbranch_execz .LBB24_82
; %bb.81:
	s_mov_b32 s20, 0x6dc9c883
	s_mov_b32 s21, 0x3fe45f30
	v_mul_f64 v[5:6], |v[3:4]|, s[20:21]
	s_mov_b32 s20, 0x54442d18
	s_mov_b32 s21, 0xbff921fb
	;; [unrolled: 1-line block ×4, first 2 shown]
	v_rndne_f64_e32 v[15:16], v[5:6]
	v_fma_f64 v[5:6], v[15:16], s[20:21], |v[3:4]|
	v_mul_f64 v[7:8], v[15:16], s[22:23]
	s_mov_b32 s20, 0x252049c0
	s_mov_b32 s21, 0xb97b839a
	v_cvt_i32_f64_e32 v10, v[15:16]
	v_fma_f64 v[21:22], v[15:16], s[22:23], v[5:6]
	v_add_f64 v[17:18], v[5:6], v[7:8]
	s_mov_b32 s23, 0x3c91a626
	v_add_f64 v[19:20], v[5:6], -v[17:18]
	v_add_f64 v[17:18], v[17:18], -v[21:22]
	v_add_f64 v[5:6], v[19:20], v[7:8]
	v_fma_f64 v[7:8], v[15:16], s[22:23], v[7:8]
	v_add_f64 v[5:6], v[17:18], v[5:6]
	v_add_f64 v[5:6], v[5:6], -v[7:8]
	v_fma_f64 v[7:8], v[15:16], s[20:21], v[5:6]
	v_add_f64 v[5:6], v[21:22], v[7:8]
	v_add_f64 v[17:18], v[5:6], -v[21:22]
	v_add_f64 v[7:8], v[7:8], -v[17:18]
.LBB24_82:
	s_or_b64 exec, exec, s[4:5]
	v_mul_f64 v[15:16], v[5:6], v[5:6]
	v_add_f64 v[17:18], v[7:8], v[7:8]
	s_mov_b32 s4, 0xc751c08c
	s_mov_b32 s5, 0x3ef5e089
	v_and_b32_e32 v10, 1, v10
	v_cmp_eq_u32_e32 vcc, 0, v10
	s_mov_b32 s22, 0x54442d18
	s_mov_b32 s23, 0xc00921fb
	v_fma_f64 v[19:20], v[5:6], v[5:6], -v[15:16]
	s_mov_b64 s[20:21], exec
	v_sub_f32_e32 v14, 1.0, v14
	v_fma_f64 v[17:18], v[5:6], v[17:18], v[19:20]
	v_add_f64 v[15:16], v[15:16], v[17:18]
	v_mov_b32_e32 v17, 0xa9a29f71
	v_mov_b32_e32 v18, 0xbf078809
	v_fma_f64 v[17:18], v[15:16], s[4:5], v[17:18]
	s_mov_b32 s4, 0x90a8aae0
	s_mov_b32 s5, 0x3f17746f
	v_fma_f64 v[17:18], v[15:16], v[17:18], s[4:5]
	s_mov_b32 s4, 0xa6fbf144
	s_mov_b32 s5, 0xbefbb44d
	;; [unrolled: 3-line block ×12, first 2 shown]
	v_fma_f64 v[17:18], v[15:16], v[17:18], s[4:5]
	s_movk_i32 s4, 0x1f8
	v_cmp_class_f64_e64 s[4:5], v[3:4], s4
	v_mul_f64 v[15:16], v[15:16], v[17:18]
	v_mul_f64 v[17:18], v[5:6], v[15:16]
	v_add_f64 v[19:20], v[5:6], v[17:18]
	v_fma_f64 v[15:16], v[5:6], v[15:16], -v[17:18]
	v_add_f64 v[5:6], v[19:20], -v[5:6]
	v_add_f64 v[7:8], v[7:8], v[15:16]
	v_add_f64 v[5:6], v[17:18], -v[5:6]
	v_add_f64 v[5:6], v[7:8], v[5:6]
	v_add_f64 v[7:8], v[19:20], v[5:6]
	v_rcp_f64_e32 v[15:16], v[7:8]
	v_fma_f64 v[17:18], -v[7:8], v[15:16], 1.0
	v_fma_f64 v[15:16], v[17:18], v[15:16], v[15:16]
	v_fma_f64 v[17:18], -v[7:8], v[15:16], 1.0
	v_fma_f64 v[15:16], v[17:18], v[15:16], v[15:16]
	v_add_f64 v[17:18], v[7:8], -v[19:20]
	v_mul_f64 v[19:20], v[7:8], v[15:16]
	v_add_f64 v[5:6], v[5:6], -v[17:18]
	v_fma_f64 v[17:18], v[15:16], v[7:8], -v[19:20]
	v_fma_f64 v[5:6], v[15:16], v[5:6], v[17:18]
	v_add_f64 v[17:18], v[19:20], v[5:6]
	v_add_f64 v[21:22], -v[17:18], 1.0
	v_add_f64 v[19:20], v[17:18], -v[19:20]
	v_add_f64 v[23:24], -v[21:22], 1.0
	v_add_f64 v[5:6], v[19:20], -v[5:6]
	v_add_f64 v[17:18], v[23:24], -v[17:18]
	v_add_f64 v[5:6], v[5:6], v[17:18]
	v_add_f64 v[5:6], v[21:22], v[5:6]
	v_mul_f64 v[5:6], v[15:16], v[5:6]
	v_add_f64 v[5:6], v[15:16], v[5:6]
	v_and_b32_e32 v15, 0x80000000, v4
	v_mov_b32_e32 v4, 0x7ff80000
	v_xor_b32_e32 v3, 0x80000000, v6
	v_cndmask_b32_e32 v5, v5, v7, vcc
	v_cndmask_b32_e32 v6, v3, v8, vcc
	v_cndmask_b32_e64 v3, 0, v5, s[4:5]
	v_xor_b32_e32 v5, v6, v15
	v_cndmask_b32_e64 v4, v4, v5, s[4:5]
	v_div_scale_f64 v[5:6], s[4:5], v[3:4], v[3:4], s[22:23]
	v_div_scale_f64 v[17:18], vcc, s[22:23], v[3:4], s[22:23]
	v_rcp_f64_e32 v[7:8], v[5:6]
	v_fma_f64 v[15:16], -v[5:6], v[7:8], 1.0
	v_fma_f64 v[7:8], v[7:8], v[15:16], v[7:8]
	v_fma_f64 v[15:16], -v[5:6], v[7:8], 1.0
	v_fma_f64 v[7:8], v[7:8], v[15:16], v[7:8]
	v_mul_f64 v[15:16], v[17:18], v[7:8]
	v_fma_f64 v[5:6], -v[5:6], v[15:16], v[17:18]
	v_div_fmas_f64 v[5:6], v[5:6], v[7:8], v[15:16]
	v_div_fixup_f64 v[3:4], v[5:6], v[3:4], s[22:23]
	v_cvt_f32_f64_e32 v3, v[3:4]
.LBB24_83:
	s_or_b64 exec, exec, s[18:19]
	s_orn2_b64 s[4:5], s[20:21], exec
.LBB24_84:
	s_or_b64 exec, exec, s[16:17]
	v_mov_b32_e32 v10, 0x7e00
	s_and_saveexec_b64 s[16:17], s[4:5]
	s_cbranch_execz .LBB24_96
; %bb.85:
	s_mov_b32 s20, 0x41200000
	v_cmp_gt_f32_e32 vcc, s20, v14
	s_and_saveexec_b64 s[4:5], vcc
	s_cbranch_execz .LBB24_89
; %bb.86:
	s_mov_b64 s[18:19], 0
.LBB24_87:                              ; =>This Inner Loop Header: Depth=1
	v_div_scale_f32 v4, s[22:23], v14, v14, 1.0
	v_div_scale_f32 v5, vcc, 1.0, v14, 1.0
	v_rcp_f32_e32 v6, v4
	v_fma_f32 v7, -v4, v6, 1.0
	v_fmac_f32_e32 v6, v7, v6
	v_mul_f32_e32 v7, v5, v6
	v_fma_f32 v8, -v4, v7, v5
	v_fmac_f32_e32 v7, v8, v6
	v_fma_f32 v4, -v4, v7, v5
	v_div_fmas_f32 v4, v4, v6, v7
	v_div_fixup_f32 v4, v4, v14, 1.0
	v_add_f32_e32 v14, 1.0, v14
	v_cmp_ngt_f32_e32 vcc, s20, v14
	s_or_b64 s[18:19], vcc, s[18:19]
	v_sub_f32_e32 v3, v3, v4
	s_andn2_b64 exec, exec, s[18:19]
	s_cbranch_execnz .LBB24_87
; %bb.88:
	s_or_b64 exec, exec, s[18:19]
.LBB24_89:
	s_or_b64 exec, exec, s[4:5]
	s_mov_b32 s4, 0x41200000
	v_cmp_neq_f32_e32 vcc, s4, v14
                                        ; implicit-def: $vgpr10
	s_and_saveexec_b64 s[4:5], vcc
	s_xor_b64 s[18:19], exec, s[4:5]
	s_cbranch_execz .LBB24_93
; %bb.90:
	v_cvt_f64_f32_e32 v[4:5], v14
	s_mov_b32 s4, 0x85d8a000
	s_mov_b32 s5, 0x43763457
	v_cmp_gt_f64_e32 vcc, s[4:5], v[4:5]
	v_mov_b32_e32 v4, 0
	s_and_saveexec_b64 s[4:5], vcc
	s_cbranch_execz .LBB24_92
; %bb.91:
	v_mul_f32_e32 v4, v14, v14
	v_div_scale_f32 v5, s[20:21], v4, v4, 1.0
	v_div_scale_f32 v6, vcc, 1.0, v4, 1.0
	v_mov_b32_e32 v15, 0x3b820821
	v_rcp_f32_e32 v7, v5
	v_fma_f32 v8, -v5, v7, 1.0
	v_fmac_f32_e32 v7, v8, v7
	v_mul_f32_e32 v8, v6, v7
	v_fma_f32 v10, -v5, v8, v6
	v_fmac_f32_e32 v8, v10, v7
	v_fma_f32 v5, -v5, v8, v6
	v_div_fmas_f32 v5, v5, v7, v8
	v_mov_b32_e32 v6, 0x3daaaaab
	v_mov_b32_e32 v7, 0xbcaccacd
	;; [unrolled: 1-line block ×4, first 2 shown]
	v_div_fixup_f32 v4, v5, v4, 1.0
	v_fma_f32 v5, 0, v4, v6
	v_fmac_f32_e32 v7, v4, v5
	v_fmac_f32_e32 v8, v4, v7
	;; [unrolled: 1-line block ×4, first 2 shown]
	v_mov_b32_e32 v5, 0xbc088889
	v_fmac_f32_e32 v5, v4, v15
	v_fmac_f32_e32 v6, v4, v5
	v_mul_f32_e32 v4, v4, v6
.LBB24_92:
	s_or_b64 exec, exec, s[4:5]
	v_div_scale_f32 v5, s[4:5], v14, v14, -0.5
	v_div_scale_f32 v6, vcc, -0.5, v14, -0.5
	s_mov_b32 s4, 0x800000
	v_cmp_gt_f32_e64 s[4:5], s4, v14
	v_cndmask_b32_e64 v8, 0, 32, s[4:5]
	s_mov_b32 s20, 0x3f317217
	v_rcp_f32_e32 v7, v5
	v_fma_f32 v10, -v5, v7, 1.0
	v_fmac_f32_e32 v7, v10, v7
	v_mul_f32_e32 v10, v6, v7
	v_fma_f32 v15, -v5, v10, v6
	v_fmac_f32_e32 v10, v15, v7
	v_fma_f32 v5, -v5, v10, v6
	v_div_fmas_f32 v5, v5, v7, v10
	v_ldexp_f32 v6, v14, v8
	v_log_f32_e32 v6, v6
	v_mul_f32_e32 v7, 0x3f317217, v6
	v_fma_f32 v7, v6, s20, -v7
	v_fmac_f32_e32 v7, 0x3377d1cf, v6
	s_mov_b32 s20, 0x7f800000
	v_fmac_f32_e32 v7, 0x3f317217, v6
	v_cmp_lt_f32_e64 vcc, |v6|, s20
	v_cndmask_b32_e32 v6, v6, v7, vcc
	v_mov_b32_e32 v7, 0x41b17218
	v_cndmask_b32_e64 v7, 0, v7, s[4:5]
	v_sub_f32_e32 v6, v6, v7
	v_div_fixup_f32 v5, v5, v14, -0.5
	v_add_f32_e32 v5, v6, v5
	v_sub_f32_e32 v4, v5, v4
	v_add_f32_e32 v3, v3, v4
	v_cvt_f16_f32_e32 v10, v3
                                        ; implicit-def: $vgpr3
.LBB24_93:
	s_andn2_saveexec_b64 s[4:5], s[18:19]
; %bb.94:
	v_add_f32_e32 v3, 0x40101cb7, v3
	v_cvt_f16_f32_e32 v10, v3
; %bb.95:
	s_or_b64 exec, exec, s[4:5]
.LBB24_96:
	s_or_b64 exec, exec, s[16:17]
                                        ; implicit-def: $vgpr14
.LBB24_97:
	s_andn2_saveexec_b64 s[4:5], s[14:15]
; %bb.98:
	v_xor_b32_e32 v3, 0x80000000, v14
	s_movk_i32 s14, 0x8000
	v_and_b32_sdwa v3, v3, s14 dst_sel:DWORD dst_unused:UNUSED_PAD src0_sel:WORD_1 src1_sel:DWORD
	v_or_b32_e32 v10, 0x7c00, v3
; %bb.99:
	s_or_b64 exec, exec, s[4:5]
	s_waitcnt vmcnt(0)
	v_cvt_f32_f16_e32 v15, v1
	v_cmp_neq_f16_e32 vcc, 0, v1
                                        ; implicit-def: $vgpr14
	s_and_saveexec_b64 s[4:5], vcc
	s_xor_b64 s[14:15], exec, s[4:5]
	s_cbranch_execz .LBB24_121
; %bb.100:
	v_cmp_gt_f16_e32 vcc, 0, v1
	s_mov_b64 s[4:5], -1
	v_mov_b32_e32 v3, 0
	s_and_saveexec_b64 s[16:17], vcc
	s_cbranch_execz .LBB24_108
; %bb.101:
	v_trunc_f32_e32 v3, v15
	v_cmp_neq_f32_e32 vcc, v3, v15
	s_mov_b64 s[20:21], 0
	v_mov_b32_e32 v3, 0
	s_and_saveexec_b64 s[18:19], vcc
	s_cbranch_execz .LBB24_107
; %bb.102:
	v_cvt_f32_f16_e32 v3, v1
	s_mov_b32 s22, 0
	s_mov_b32 s5, 0xc00921fb
	;; [unrolled: 1-line block ×3, first 2 shown]
	v_cvt_f64_f32_e32 v[3:4], v3
	s_mov_b32 s23, 0x7ff00000
	v_bfrev_b32_e32 v7, 1
	s_mov_b32 s20, 0
	v_trunc_f64_e32 v[5:6], v[3:4]
	v_cmp_neq_f64_e64 vcc, |v[3:4]|, s[22:23]
	s_mov_b32 s21, 0x41d00000
                                        ; implicit-def: $vgpr14
	v_add_f64 v[5:6], v[3:4], -v[5:6]
	v_mul_f64 v[5:6], |v[5:6]|, s[4:5]
	v_cndmask_b32_e32 v4, v7, v6, vcc
	v_cndmask_b32_e32 v3, 0, v5, vcc
	v_cmp_nlt_f64_e64 s[20:21], |v[3:4]|, s[20:21]
                                        ; implicit-def: $vgpr5_vgpr6
                                        ; implicit-def: $vgpr7_vgpr8
	s_and_saveexec_b64 s[24:25], s[20:21]
	s_xor_b64 s[20:21], exec, s[24:25]
	s_cbranch_execz .LBB24_104
; %bb.103:
	v_trig_preop_f64 v[5:6], |v[3:4]|, 0
	s_mov_b32 s24, 0
	s_mov_b32 s25, 0x7b000000
	s_movk_i32 s5, 0xff80
	v_ldexp_f64 v[16:17], |v[3:4]|, s5
	v_cmp_ge_f64_e64 vcc, |v[3:4]|, s[24:25]
	v_trig_preop_f64 v[7:8], |v[3:4]|, 1
	v_and_b32_e32 v14, 0x7fffffff, v4
	v_trig_preop_f64 v[24:25], |v[3:4]|, 2
	v_mov_b32_e32 v34, 0
	s_mov_b32 s5, 0x3ff921fb
	v_cndmask_b32_e32 v17, v14, v17, vcc
	v_cndmask_b32_e32 v16, v3, v16, vcc
	v_mov_b32_e32 v14, 0x40100000
	v_mul_f64 v[18:19], v[5:6], v[16:17]
	v_mul_f64 v[20:21], v[7:8], v[16:17]
	;; [unrolled: 1-line block ×3, first 2 shown]
	v_fma_f64 v[5:6], v[5:6], v[16:17], -v[18:19]
	v_fma_f64 v[7:8], v[7:8], v[16:17], -v[20:21]
	;; [unrolled: 1-line block ×3, first 2 shown]
	v_add_f64 v[22:23], v[20:21], v[5:6]
	v_add_f64 v[26:27], v[22:23], -v[20:21]
	v_add_f64 v[32:33], v[18:19], v[22:23]
	v_add_f64 v[28:29], v[22:23], -v[26:27]
	v_add_f64 v[5:6], v[5:6], -v[26:27]
	v_add_f64 v[26:27], v[30:31], v[7:8]
	v_add_f64 v[18:19], v[32:33], -v[18:19]
	v_add_f64 v[20:21], v[20:21], -v[28:29]
	v_ldexp_f64 v[28:29], v[32:33], -2
	v_add_f64 v[36:37], v[26:27], -v[30:31]
	v_add_f64 v[18:19], v[22:23], -v[18:19]
	v_add_f64 v[5:6], v[5:6], v[20:21]
	v_fract_f64_e32 v[20:21], v[28:29]
	v_cmp_neq_f64_e64 vcc, |v[28:29]|, s[22:23]
	v_add_f64 v[7:8], v[7:8], -v[36:37]
	s_mov_b32 s22, 0x33145c07
	s_mov_b32 s23, 0x3c91a626
	v_add_f64 v[22:23], v[26:27], v[5:6]
	v_ldexp_f64 v[20:21], v[20:21], 2
	v_add_f64 v[28:29], v[18:19], v[22:23]
	v_cndmask_b32_e32 v21, 0, v21, vcc
	v_cndmask_b32_e32 v20, 0, v20, vcc
	v_add_f64 v[38:39], v[22:23], -v[26:27]
	v_add_f64 v[32:33], v[28:29], v[20:21]
	v_add_f64 v[18:19], v[28:29], -v[18:19]
	v_add_f64 v[40:41], v[22:23], -v[38:39]
	;; [unrolled: 1-line block ×3, first 2 shown]
	v_cmp_gt_f64_e32 vcc, 0, v[32:33]
	v_add_f64 v[32:33], v[26:27], -v[36:37]
	v_add_f64 v[18:19], v[22:23], -v[18:19]
	;; [unrolled: 1-line block ×3, first 2 shown]
	v_cndmask_b32_e32 v35, 0, v14, vcc
	v_add_f64 v[20:21], v[20:21], v[34:35]
	v_add_f64 v[32:33], v[30:31], -v[32:33]
	v_add_f64 v[5:6], v[5:6], v[26:27]
	v_add_f64 v[42:43], v[28:29], v[20:21]
	;; [unrolled: 1-line block ×3, first 2 shown]
	v_cvt_i32_f64_e32 v14, v[42:43]
	v_add_f64 v[5:6], v[7:8], v[5:6]
	v_cvt_f64_i32_e32 v[35:36], v14
	v_add_f64 v[20:21], v[20:21], -v[35:36]
	v_add_f64 v[5:6], v[16:17], v[5:6]
	v_add_f64 v[7:8], v[28:29], v[20:21]
	;; [unrolled: 1-line block ×3, first 2 shown]
	v_mov_b32_e32 v18, 0x3ff00000
	v_add_f64 v[16:17], v[7:8], -v[20:21]
	v_cmp_le_f64_e32 vcc, 0.5, v[7:8]
	v_add_f64 v[16:17], v[28:29], -v[16:17]
	v_cndmask_b32_e32 v35, 0, v18, vcc
	v_add_f64 v[7:8], v[7:8], -v[34:35]
	v_addc_co_u32_e32 v14, vcc, 0, v14, vcc
	v_add_f64 v[5:6], v[5:6], v[16:17]
	v_add_f64 v[16:17], v[7:8], v[5:6]
	v_mul_f64 v[18:19], v[16:17], s[4:5]
	v_add_f64 v[7:8], v[16:17], -v[7:8]
	v_fma_f64 v[20:21], v[16:17], s[4:5], -v[18:19]
	v_add_f64 v[5:6], v[5:6], -v[7:8]
	v_fma_f64 v[7:8], v[16:17], s[22:23], v[20:21]
	v_fma_f64 v[7:8], v[5:6], s[4:5], v[7:8]
	v_add_f64 v[5:6], v[18:19], v[7:8]
	v_add_f64 v[16:17], v[5:6], -v[18:19]
	v_add_f64 v[7:8], v[7:8], -v[16:17]
.LBB24_104:
	s_andn2_saveexec_b64 s[4:5], s[20:21]
	s_cbranch_execz .LBB24_106
; %bb.105:
	s_mov_b32 s20, 0x6dc9c883
	s_mov_b32 s21, 0x3fe45f30
	v_mul_f64 v[5:6], |v[3:4]|, s[20:21]
	s_mov_b32 s20, 0x54442d18
	s_mov_b32 s21, 0xbff921fb
	;; [unrolled: 1-line block ×4, first 2 shown]
	v_rndne_f64_e32 v[16:17], v[5:6]
	v_fma_f64 v[5:6], v[16:17], s[20:21], |v[3:4]|
	v_mul_f64 v[7:8], v[16:17], s[22:23]
	s_mov_b32 s20, 0x252049c0
	s_mov_b32 s21, 0xb97b839a
	v_cvt_i32_f64_e32 v14, v[16:17]
	v_fma_f64 v[22:23], v[16:17], s[22:23], v[5:6]
	v_add_f64 v[18:19], v[5:6], v[7:8]
	s_mov_b32 s23, 0x3c91a626
	v_add_f64 v[20:21], v[5:6], -v[18:19]
	v_add_f64 v[18:19], v[18:19], -v[22:23]
	v_add_f64 v[5:6], v[20:21], v[7:8]
	v_fma_f64 v[7:8], v[16:17], s[22:23], v[7:8]
	v_add_f64 v[5:6], v[18:19], v[5:6]
	v_add_f64 v[5:6], v[5:6], -v[7:8]
	v_fma_f64 v[7:8], v[16:17], s[20:21], v[5:6]
	v_add_f64 v[5:6], v[22:23], v[7:8]
	v_add_f64 v[18:19], v[5:6], -v[22:23]
	v_add_f64 v[7:8], v[7:8], -v[18:19]
.LBB24_106:
	s_or_b64 exec, exec, s[4:5]
	v_mul_f64 v[16:17], v[5:6], v[5:6]
	v_add_f64 v[18:19], v[7:8], v[7:8]
	s_mov_b32 s4, 0xc751c08c
	s_mov_b32 s5, 0x3ef5e089
	v_and_b32_e32 v14, 1, v14
	v_cmp_eq_u32_e32 vcc, 0, v14
	s_mov_b32 s22, 0x54442d18
	s_mov_b32 s23, 0xc00921fb
	v_fma_f64 v[20:21], v[5:6], v[5:6], -v[16:17]
	s_mov_b64 s[20:21], exec
	v_sub_f32_e32 v15, 1.0, v15
	v_fma_f64 v[18:19], v[5:6], v[18:19], v[20:21]
	v_add_f64 v[16:17], v[16:17], v[18:19]
	v_mov_b32_e32 v18, 0xa9a29f71
	v_mov_b32_e32 v19, 0xbf078809
	v_fma_f64 v[18:19], v[16:17], s[4:5], v[18:19]
	s_mov_b32 s4, 0x90a8aae0
	s_mov_b32 s5, 0x3f17746f
	v_fma_f64 v[18:19], v[16:17], v[18:19], s[4:5]
	s_mov_b32 s4, 0xa6fbf144
	s_mov_b32 s5, 0xbefbb44d
	;; [unrolled: 3-line block ×12, first 2 shown]
	v_fma_f64 v[18:19], v[16:17], v[18:19], s[4:5]
	s_movk_i32 s4, 0x1f8
	v_cmp_class_f64_e64 s[4:5], v[3:4], s4
	v_mul_f64 v[16:17], v[16:17], v[18:19]
	v_mul_f64 v[18:19], v[5:6], v[16:17]
	v_add_f64 v[20:21], v[5:6], v[18:19]
	v_fma_f64 v[16:17], v[5:6], v[16:17], -v[18:19]
	v_add_f64 v[5:6], v[20:21], -v[5:6]
	v_add_f64 v[7:8], v[7:8], v[16:17]
	v_add_f64 v[5:6], v[18:19], -v[5:6]
	v_add_f64 v[5:6], v[7:8], v[5:6]
	v_add_f64 v[7:8], v[20:21], v[5:6]
	v_rcp_f64_e32 v[16:17], v[7:8]
	v_fma_f64 v[18:19], -v[7:8], v[16:17], 1.0
	v_fma_f64 v[16:17], v[18:19], v[16:17], v[16:17]
	v_fma_f64 v[18:19], -v[7:8], v[16:17], 1.0
	v_fma_f64 v[16:17], v[18:19], v[16:17], v[16:17]
	v_add_f64 v[18:19], v[7:8], -v[20:21]
	v_mul_f64 v[20:21], v[7:8], v[16:17]
	v_add_f64 v[5:6], v[5:6], -v[18:19]
	v_fma_f64 v[18:19], v[16:17], v[7:8], -v[20:21]
	v_fma_f64 v[5:6], v[16:17], v[5:6], v[18:19]
	v_add_f64 v[18:19], v[20:21], v[5:6]
	v_add_f64 v[22:23], -v[18:19], 1.0
	v_add_f64 v[20:21], v[18:19], -v[20:21]
	v_add_f64 v[24:25], -v[22:23], 1.0
	v_add_f64 v[5:6], v[20:21], -v[5:6]
	v_add_f64 v[18:19], v[24:25], -v[18:19]
	v_add_f64 v[5:6], v[5:6], v[18:19]
	v_add_f64 v[5:6], v[22:23], v[5:6]
	v_mul_f64 v[5:6], v[16:17], v[5:6]
	v_add_f64 v[5:6], v[16:17], v[5:6]
	v_and_b32_e32 v16, 0x80000000, v4
	v_mov_b32_e32 v4, 0x7ff80000
	v_xor_b32_e32 v3, 0x80000000, v6
	v_cndmask_b32_e32 v5, v5, v7, vcc
	v_cndmask_b32_e32 v6, v3, v8, vcc
	v_cndmask_b32_e64 v3, 0, v5, s[4:5]
	v_xor_b32_e32 v5, v6, v16
	v_cndmask_b32_e64 v4, v4, v5, s[4:5]
	v_div_scale_f64 v[5:6], s[4:5], v[3:4], v[3:4], s[22:23]
	v_div_scale_f64 v[18:19], vcc, s[22:23], v[3:4], s[22:23]
	v_rcp_f64_e32 v[7:8], v[5:6]
	v_fma_f64 v[16:17], -v[5:6], v[7:8], 1.0
	v_fma_f64 v[7:8], v[7:8], v[16:17], v[7:8]
	v_fma_f64 v[16:17], -v[5:6], v[7:8], 1.0
	v_fma_f64 v[7:8], v[7:8], v[16:17], v[7:8]
	v_mul_f64 v[16:17], v[18:19], v[7:8]
	v_fma_f64 v[5:6], -v[5:6], v[16:17], v[18:19]
	v_div_fmas_f64 v[5:6], v[5:6], v[7:8], v[16:17]
	v_div_fixup_f64 v[3:4], v[5:6], v[3:4], s[22:23]
	v_cvt_f32_f64_e32 v3, v[3:4]
.LBB24_107:
	s_or_b64 exec, exec, s[18:19]
	s_orn2_b64 s[4:5], s[20:21], exec
.LBB24_108:
	s_or_b64 exec, exec, s[16:17]
	v_mov_b32_e32 v14, 0x7e00
	s_and_saveexec_b64 s[16:17], s[4:5]
	s_cbranch_execz .LBB24_120
; %bb.109:
	s_mov_b32 s20, 0x41200000
	v_cmp_gt_f32_e32 vcc, s20, v15
	s_and_saveexec_b64 s[4:5], vcc
	s_cbranch_execz .LBB24_113
; %bb.110:
	s_mov_b64 s[18:19], 0
.LBB24_111:                             ; =>This Inner Loop Header: Depth=1
	v_div_scale_f32 v4, s[22:23], v15, v15, 1.0
	v_div_scale_f32 v5, vcc, 1.0, v15, 1.0
	v_rcp_f32_e32 v6, v4
	v_fma_f32 v7, -v4, v6, 1.0
	v_fmac_f32_e32 v6, v7, v6
	v_mul_f32_e32 v7, v5, v6
	v_fma_f32 v8, -v4, v7, v5
	v_fmac_f32_e32 v7, v8, v6
	v_fma_f32 v4, -v4, v7, v5
	v_div_fmas_f32 v4, v4, v6, v7
	v_div_fixup_f32 v4, v4, v15, 1.0
	v_add_f32_e32 v15, 1.0, v15
	v_cmp_ngt_f32_e32 vcc, s20, v15
	s_or_b64 s[18:19], vcc, s[18:19]
	v_sub_f32_e32 v3, v3, v4
	s_andn2_b64 exec, exec, s[18:19]
	s_cbranch_execnz .LBB24_111
; %bb.112:
	s_or_b64 exec, exec, s[18:19]
.LBB24_113:
	s_or_b64 exec, exec, s[4:5]
	s_mov_b32 s4, 0x41200000
	v_cmp_neq_f32_e32 vcc, s4, v15
                                        ; implicit-def: $vgpr14
	s_and_saveexec_b64 s[4:5], vcc
	s_xor_b64 s[18:19], exec, s[4:5]
	s_cbranch_execz .LBB24_117
; %bb.114:
	v_cvt_f64_f32_e32 v[4:5], v15
	s_mov_b32 s4, 0x85d8a000
	s_mov_b32 s5, 0x43763457
	v_cmp_gt_f64_e32 vcc, s[4:5], v[4:5]
	v_mov_b32_e32 v4, 0
	s_and_saveexec_b64 s[4:5], vcc
	s_cbranch_execz .LBB24_116
; %bb.115:
	v_mul_f32_e32 v4, v15, v15
	v_div_scale_f32 v5, s[20:21], v4, v4, 1.0
	v_div_scale_f32 v6, vcc, 1.0, v4, 1.0
	v_mov_b32_e32 v16, 0x3b820821
	v_rcp_f32_e32 v7, v5
	v_fma_f32 v8, -v5, v7, 1.0
	v_fmac_f32_e32 v7, v8, v7
	v_mul_f32_e32 v8, v6, v7
	v_fma_f32 v14, -v5, v8, v6
	v_fmac_f32_e32 v8, v14, v7
	v_fma_f32 v5, -v5, v8, v6
	v_div_fmas_f32 v5, v5, v7, v8
	v_mov_b32_e32 v6, 0x3daaaaab
	v_mov_b32_e32 v7, 0xbcaccacd
	;; [unrolled: 1-line block ×4, first 2 shown]
	v_div_fixup_f32 v4, v5, v4, 1.0
	v_fma_f32 v5, 0, v4, v6
	v_fmac_f32_e32 v7, v4, v5
	v_fmac_f32_e32 v8, v4, v7
	;; [unrolled: 1-line block ×4, first 2 shown]
	v_mov_b32_e32 v5, 0xbc088889
	v_fmac_f32_e32 v5, v4, v16
	v_fmac_f32_e32 v6, v4, v5
	v_mul_f32_e32 v4, v4, v6
.LBB24_116:
	s_or_b64 exec, exec, s[4:5]
	v_div_scale_f32 v5, s[4:5], v15, v15, -0.5
	v_div_scale_f32 v6, vcc, -0.5, v15, -0.5
	s_mov_b32 s4, 0x800000
	v_cmp_gt_f32_e64 s[4:5], s4, v15
	v_cndmask_b32_e64 v8, 0, 32, s[4:5]
	s_mov_b32 s20, 0x3f317217
	v_rcp_f32_e32 v7, v5
	v_fma_f32 v14, -v5, v7, 1.0
	v_fmac_f32_e32 v7, v14, v7
	v_mul_f32_e32 v14, v6, v7
	v_fma_f32 v16, -v5, v14, v6
	v_fmac_f32_e32 v14, v16, v7
	v_fma_f32 v5, -v5, v14, v6
	v_div_fmas_f32 v5, v5, v7, v14
	v_ldexp_f32 v6, v15, v8
	v_log_f32_e32 v6, v6
	v_mul_f32_e32 v7, 0x3f317217, v6
	v_fma_f32 v7, v6, s20, -v7
	v_fmac_f32_e32 v7, 0x3377d1cf, v6
	s_mov_b32 s20, 0x7f800000
	v_fmac_f32_e32 v7, 0x3f317217, v6
	v_cmp_lt_f32_e64 vcc, |v6|, s20
	v_cndmask_b32_e32 v6, v6, v7, vcc
	v_mov_b32_e32 v7, 0x41b17218
	v_cndmask_b32_e64 v7, 0, v7, s[4:5]
	v_sub_f32_e32 v6, v6, v7
	v_div_fixup_f32 v5, v5, v15, -0.5
	v_add_f32_e32 v5, v6, v5
	v_sub_f32_e32 v4, v5, v4
	v_add_f32_e32 v3, v3, v4
	v_cvt_f16_f32_e32 v14, v3
                                        ; implicit-def: $vgpr3
.LBB24_117:
	s_andn2_saveexec_b64 s[4:5], s[18:19]
; %bb.118:
	v_add_f32_e32 v3, 0x40101cb7, v3
	v_cvt_f16_f32_e32 v14, v3
; %bb.119:
	s_or_b64 exec, exec, s[4:5]
.LBB24_120:
	s_or_b64 exec, exec, s[16:17]
                                        ; implicit-def: $vgpr15
.LBB24_121:
	s_andn2_saveexec_b64 s[4:5], s[14:15]
; %bb.122:
	v_xor_b32_e32 v3, 0x80000000, v15
	s_movk_i32 s14, 0x8000
	v_and_b32_sdwa v3, v3, s14 dst_sel:DWORD dst_unused:UNUSED_PAD src0_sel:WORD_1 src1_sel:DWORD
	v_or_b32_e32 v14, 0x7c00, v3
; %bb.123:
	s_or_b64 exec, exec, s[4:5]
	v_cvt_f32_f16_sdwa v16, v1 dst_sel:DWORD dst_unused:UNUSED_PAD src0_sel:WORD_1
	v_mov_b32_e32 v3, 0
	v_cmp_neq_f16_sdwa s[4:5], v1, v3 src0_sel:WORD_1 src1_sel:DWORD
                                        ; implicit-def: $vgpr15
	s_and_saveexec_b64 s[14:15], s[4:5]
	s_xor_b64 s[14:15], exec, s[14:15]
	s_cbranch_execz .LBB24_145
; %bb.124:
	v_cmp_lt_f16_sdwa s[18:19], v1, v3 src0_sel:WORD_1 src1_sel:DWORD
	s_mov_b64 s[4:5], -1
	s_and_saveexec_b64 s[16:17], s[18:19]
	s_cbranch_execz .LBB24_132
; %bb.125:
	v_trunc_f32_e32 v3, v16
	v_cmp_neq_f32_e32 vcc, v3, v16
	s_mov_b64 s[20:21], 0
	v_mov_b32_e32 v3, 0
	s_and_saveexec_b64 s[18:19], vcc
	s_cbranch_execz .LBB24_131
; %bb.126:
	v_cvt_f32_f16_sdwa v1, v1 dst_sel:DWORD dst_unused:UNUSED_PAD src0_sel:WORD_1
	s_mov_b32 s22, 0
	s_mov_b32 s5, 0xc00921fb
	;; [unrolled: 1-line block ×3, first 2 shown]
	v_cvt_f64_f32_e32 v[3:4], v1
	s_mov_b32 s23, 0x7ff00000
	v_bfrev_b32_e32 v1, 1
	s_mov_b32 s20, 0
	v_trunc_f64_e32 v[5:6], v[3:4]
	v_cmp_neq_f64_e64 vcc, |v[3:4]|, s[22:23]
	s_mov_b32 s21, 0x41d00000
                                        ; implicit-def: $vgpr7_vgpr8
	v_add_f64 v[5:6], v[3:4], -v[5:6]
	v_mul_f64 v[5:6], |v[5:6]|, s[4:5]
	v_cndmask_b32_e32 v4, v1, v6, vcc
	v_cndmask_b32_e32 v3, 0, v5, vcc
	v_cmp_nlt_f64_e64 s[20:21], |v[3:4]|, s[20:21]
                                        ; implicit-def: $vgpr1
                                        ; implicit-def: $vgpr5_vgpr6
	s_and_saveexec_b64 s[24:25], s[20:21]
	s_xor_b64 s[20:21], exec, s[24:25]
	s_cbranch_execz .LBB24_128
; %bb.127:
	v_trig_preop_f64 v[5:6], |v[3:4]|, 0
	s_mov_b32 s24, 0
	s_mov_b32 s25, 0x7b000000
	s_movk_i32 s5, 0xff80
	v_ldexp_f64 v[17:18], |v[3:4]|, s5
	v_cmp_ge_f64_e64 vcc, |v[3:4]|, s[24:25]
	v_trig_preop_f64 v[7:8], |v[3:4]|, 1
	v_and_b32_e32 v1, 0x7fffffff, v4
	v_trig_preop_f64 v[25:26], |v[3:4]|, 2
	v_mov_b32_e32 v35, 0
	v_mov_b32_e32 v15, 0x3ff00000
	s_mov_b32 s5, 0x3ff921fb
	v_cndmask_b32_e32 v18, v1, v18, vcc
	v_cndmask_b32_e32 v17, v3, v17, vcc
	v_mov_b32_e32 v1, 0x40100000
	v_mul_f64 v[19:20], v[5:6], v[17:18]
	v_mul_f64 v[21:22], v[7:8], v[17:18]
	;; [unrolled: 1-line block ×3, first 2 shown]
	v_fma_f64 v[5:6], v[5:6], v[17:18], -v[19:20]
	v_fma_f64 v[7:8], v[7:8], v[17:18], -v[21:22]
	;; [unrolled: 1-line block ×3, first 2 shown]
	v_add_f64 v[23:24], v[21:22], v[5:6]
	v_add_f64 v[27:28], v[23:24], -v[21:22]
	v_add_f64 v[33:34], v[19:20], v[23:24]
	v_add_f64 v[29:30], v[23:24], -v[27:28]
	v_add_f64 v[5:6], v[5:6], -v[27:28]
	v_add_f64 v[27:28], v[31:32], v[7:8]
	v_add_f64 v[19:20], v[33:34], -v[19:20]
	v_add_f64 v[21:22], v[21:22], -v[29:30]
	v_ldexp_f64 v[29:30], v[33:34], -2
	v_add_f64 v[37:38], v[27:28], -v[31:32]
	v_add_f64 v[19:20], v[23:24], -v[19:20]
	v_add_f64 v[5:6], v[5:6], v[21:22]
	v_fract_f64_e32 v[21:22], v[29:30]
	v_cmp_neq_f64_e64 vcc, |v[29:30]|, s[22:23]
	v_add_f64 v[7:8], v[7:8], -v[37:38]
	s_mov_b32 s22, 0x33145c07
	s_mov_b32 s23, 0x3c91a626
	v_add_f64 v[23:24], v[27:28], v[5:6]
	v_ldexp_f64 v[21:22], v[21:22], 2
	v_add_f64 v[29:30], v[19:20], v[23:24]
	v_cndmask_b32_e32 v22, 0, v22, vcc
	v_cndmask_b32_e32 v21, 0, v21, vcc
	v_add_f64 v[39:40], v[23:24], -v[27:28]
	v_add_f64 v[33:34], v[29:30], v[21:22]
	v_add_f64 v[19:20], v[29:30], -v[19:20]
	v_add_f64 v[41:42], v[23:24], -v[39:40]
	;; [unrolled: 1-line block ×3, first 2 shown]
	v_cmp_gt_f64_e32 vcc, 0, v[33:34]
	v_add_f64 v[33:34], v[27:28], -v[37:38]
	v_add_f64 v[19:20], v[23:24], -v[19:20]
	;; [unrolled: 1-line block ×3, first 2 shown]
	v_cndmask_b32_e32 v36, 0, v1, vcc
	v_add_f64 v[21:22], v[21:22], v[35:36]
	v_add_f64 v[33:34], v[31:32], -v[33:34]
	v_add_f64 v[5:6], v[5:6], v[27:28]
	v_add_f64 v[43:44], v[29:30], v[21:22]
	v_add_f64 v[7:8], v[7:8], v[33:34]
	v_cvt_i32_f64_e32 v1, v[43:44]
	v_add_f64 v[5:6], v[7:8], v[5:6]
	v_cvt_f64_i32_e32 v[36:37], v1
	v_add_f64 v[21:22], v[21:22], -v[36:37]
	v_add_f64 v[5:6], v[17:18], v[5:6]
	v_add_f64 v[7:8], v[29:30], v[21:22]
	;; [unrolled: 1-line block ×3, first 2 shown]
	v_add_f64 v[17:18], v[7:8], -v[21:22]
	v_cmp_le_f64_e32 vcc, 0.5, v[7:8]
	v_add_f64 v[17:18], v[29:30], -v[17:18]
	v_cndmask_b32_e32 v36, 0, v15, vcc
	v_add_f64 v[7:8], v[7:8], -v[35:36]
	v_addc_co_u32_e32 v1, vcc, 0, v1, vcc
	v_add_f64 v[5:6], v[5:6], v[17:18]
	v_add_f64 v[17:18], v[7:8], v[5:6]
	v_mul_f64 v[19:20], v[17:18], s[4:5]
	v_add_f64 v[7:8], v[17:18], -v[7:8]
	v_fma_f64 v[21:22], v[17:18], s[4:5], -v[19:20]
	v_add_f64 v[5:6], v[5:6], -v[7:8]
	v_fma_f64 v[7:8], v[17:18], s[22:23], v[21:22]
	v_fma_f64 v[7:8], v[5:6], s[4:5], v[7:8]
	v_add_f64 v[5:6], v[19:20], v[7:8]
	v_add_f64 v[17:18], v[5:6], -v[19:20]
	v_add_f64 v[7:8], v[7:8], -v[17:18]
.LBB24_128:
	s_andn2_saveexec_b64 s[4:5], s[20:21]
	s_cbranch_execz .LBB24_130
; %bb.129:
	s_mov_b32 s20, 0x6dc9c883
	s_mov_b32 s21, 0x3fe45f30
	v_mul_f64 v[5:6], |v[3:4]|, s[20:21]
	s_mov_b32 s20, 0x54442d18
	s_mov_b32 s21, 0xbff921fb
	;; [unrolled: 1-line block ×4, first 2 shown]
	v_rndne_f64_e32 v[17:18], v[5:6]
	v_fma_f64 v[5:6], v[17:18], s[20:21], |v[3:4]|
	v_mul_f64 v[7:8], v[17:18], s[22:23]
	s_mov_b32 s20, 0x252049c0
	s_mov_b32 s21, 0xb97b839a
	v_cvt_i32_f64_e32 v1, v[17:18]
	v_fma_f64 v[23:24], v[17:18], s[22:23], v[5:6]
	v_add_f64 v[19:20], v[5:6], v[7:8]
	s_mov_b32 s23, 0x3c91a626
	v_add_f64 v[21:22], v[5:6], -v[19:20]
	v_add_f64 v[19:20], v[19:20], -v[23:24]
	v_add_f64 v[5:6], v[21:22], v[7:8]
	v_fma_f64 v[7:8], v[17:18], s[22:23], v[7:8]
	v_add_f64 v[5:6], v[19:20], v[5:6]
	v_add_f64 v[5:6], v[5:6], -v[7:8]
	v_fma_f64 v[7:8], v[17:18], s[20:21], v[5:6]
	v_add_f64 v[5:6], v[23:24], v[7:8]
	v_add_f64 v[19:20], v[5:6], -v[23:24]
	v_add_f64 v[7:8], v[7:8], -v[19:20]
.LBB24_130:
	s_or_b64 exec, exec, s[4:5]
	v_mul_f64 v[17:18], v[5:6], v[5:6]
	v_add_f64 v[19:20], v[7:8], v[7:8]
	s_mov_b32 s4, 0xc751c08c
	s_mov_b32 s5, 0x3ef5e089
	v_and_b32_e32 v1, 1, v1
	v_cmp_eq_u32_e32 vcc, 0, v1
	v_and_b32_e32 v15, 0x80000000, v4
	s_mov_b32 s22, 0x54442d18
	v_fma_f64 v[21:22], v[5:6], v[5:6], -v[17:18]
	s_mov_b32 s23, 0xc00921fb
	s_mov_b64 s[20:21], exec
	v_sub_f32_e32 v16, 1.0, v16
	v_fma_f64 v[19:20], v[5:6], v[19:20], v[21:22]
	v_add_f64 v[17:18], v[17:18], v[19:20]
	v_mov_b32_e32 v19, 0xa9a29f71
	v_mov_b32_e32 v20, 0xbf078809
	v_fma_f64 v[19:20], v[17:18], s[4:5], v[19:20]
	s_mov_b32 s4, 0x90a8aae0
	s_mov_b32 s5, 0x3f17746f
	v_fma_f64 v[19:20], v[17:18], v[19:20], s[4:5]
	s_mov_b32 s4, 0xa6fbf144
	s_mov_b32 s5, 0xbefbb44d
	v_fma_f64 v[19:20], v[17:18], v[19:20], s[4:5]
	s_mov_b32 s4, 0xa7943acf
	s_mov_b32 s5, 0x3f21e634
	v_fma_f64 v[19:20], v[17:18], v[19:20], s[4:5]
	s_mov_b32 s4, 0xdeb68feb
	s_mov_b32 s5, 0x3f2d250f
	v_fma_f64 v[19:20], v[17:18], v[19:20], s[4:5]
	s_mov_b32 s4, 0xb58c4d95
	s_mov_b32 s5, 0x3f437fd9
	v_fma_f64 v[19:20], v[17:18], v[19:20], s[4:5]
	s_mov_b32 s4, 0x15120e2c
	s_mov_b32 s5, 0x3f57d5af
	v_fma_f64 v[19:20], v[17:18], v[19:20], s[4:5]
	s_mov_b32 s4, 0xe09491df
	s_mov_b32 s5, 0x3f6d6d93
	v_fma_f64 v[19:20], v[17:18], v[19:20], s[4:5]
	s_mov_b32 s4, 0x2033784d
	s_mov_b32 s5, 0x3f8226e1
	v_fma_f64 v[19:20], v[17:18], v[19:20], s[4:5]
	s_mov_b32 s4, 0x9ac36ae2
	s_mov_b32 s5, 0x3f9664f4
	v_fma_f64 v[19:20], v[17:18], v[19:20], s[4:5]
	s_mov_b32 s4, 0x1b451c21
	s_mov_b32 s5, 0x3faba1ba
	v_fma_f64 v[19:20], v[17:18], v[19:20], s[4:5]
	s_mov_b32 s4, 0x111185b7
	s_mov_b32 s5, 0x3fc11111
	v_fma_f64 v[19:20], v[17:18], v[19:20], s[4:5]
	s_mov_b32 s4, 0x555554ee
	s_mov_b32 s5, 0x3fd55555
	v_fma_f64 v[19:20], v[17:18], v[19:20], s[4:5]
	s_movk_i32 s4, 0x1f8
	v_cmp_class_f64_e64 s[4:5], v[3:4], s4
	v_mov_b32_e32 v4, 0x7ff80000
	v_mul_f64 v[17:18], v[17:18], v[19:20]
	v_mul_f64 v[19:20], v[5:6], v[17:18]
	v_add_f64 v[21:22], v[5:6], v[19:20]
	v_fma_f64 v[17:18], v[5:6], v[17:18], -v[19:20]
	v_add_f64 v[5:6], v[21:22], -v[5:6]
	v_add_f64 v[7:8], v[7:8], v[17:18]
	v_add_f64 v[5:6], v[19:20], -v[5:6]
	v_add_f64 v[5:6], v[7:8], v[5:6]
	v_add_f64 v[7:8], v[21:22], v[5:6]
	v_rcp_f64_e32 v[17:18], v[7:8]
	v_fma_f64 v[19:20], -v[7:8], v[17:18], 1.0
	v_fma_f64 v[17:18], v[19:20], v[17:18], v[17:18]
	v_fma_f64 v[19:20], -v[7:8], v[17:18], 1.0
	v_fma_f64 v[17:18], v[19:20], v[17:18], v[17:18]
	v_add_f64 v[19:20], v[7:8], -v[21:22]
	v_mul_f64 v[21:22], v[7:8], v[17:18]
	v_add_f64 v[5:6], v[5:6], -v[19:20]
	v_fma_f64 v[19:20], v[17:18], v[7:8], -v[21:22]
	v_fma_f64 v[5:6], v[17:18], v[5:6], v[19:20]
	v_add_f64 v[19:20], v[21:22], v[5:6]
	v_add_f64 v[23:24], -v[19:20], 1.0
	v_add_f64 v[21:22], v[19:20], -v[21:22]
	v_add_f64 v[25:26], -v[23:24], 1.0
	v_add_f64 v[5:6], v[21:22], -v[5:6]
	v_add_f64 v[19:20], v[25:26], -v[19:20]
	v_add_f64 v[5:6], v[5:6], v[19:20]
	v_add_f64 v[5:6], v[23:24], v[5:6]
	v_mul_f64 v[5:6], v[17:18], v[5:6]
	v_add_f64 v[5:6], v[17:18], v[5:6]
	v_xor_b32_e32 v3, 0x80000000, v6
	v_cndmask_b32_e32 v1, v5, v7, vcc
	v_cndmask_b32_e32 v5, v3, v8, vcc
	v_cndmask_b32_e64 v3, 0, v1, s[4:5]
	v_xor_b32_e32 v1, v5, v15
	v_cndmask_b32_e64 v4, v4, v1, s[4:5]
	v_div_scale_f64 v[5:6], s[4:5], v[3:4], v[3:4], s[22:23]
	v_div_scale_f64 v[19:20], vcc, s[22:23], v[3:4], s[22:23]
	v_rcp_f64_e32 v[7:8], v[5:6]
	v_fma_f64 v[17:18], -v[5:6], v[7:8], 1.0
	v_fma_f64 v[7:8], v[7:8], v[17:18], v[7:8]
	v_fma_f64 v[17:18], -v[5:6], v[7:8], 1.0
	v_fma_f64 v[7:8], v[7:8], v[17:18], v[7:8]
	v_mul_f64 v[17:18], v[19:20], v[7:8]
	v_fma_f64 v[5:6], -v[5:6], v[17:18], v[19:20]
	v_div_fmas_f64 v[5:6], v[5:6], v[7:8], v[17:18]
	v_div_fixup_f64 v[3:4], v[5:6], v[3:4], s[22:23]
	v_cvt_f32_f64_e32 v3, v[3:4]
.LBB24_131:
	s_or_b64 exec, exec, s[18:19]
	s_orn2_b64 s[4:5], s[20:21], exec
.LBB24_132:
	s_or_b64 exec, exec, s[16:17]
	v_mov_b32_e32 v15, 0x7e00
	s_and_saveexec_b64 s[16:17], s[4:5]
	s_cbranch_execz .LBB24_144
; %bb.133:
	s_mov_b32 s20, 0x41200000
	v_cmp_gt_f32_e32 vcc, s20, v16
	s_and_saveexec_b64 s[4:5], vcc
	s_cbranch_execz .LBB24_137
; %bb.134:
	s_mov_b64 s[18:19], 0
.LBB24_135:                             ; =>This Inner Loop Header: Depth=1
	v_div_scale_f32 v1, s[22:23], v16, v16, 1.0
	v_div_scale_f32 v4, vcc, 1.0, v16, 1.0
	v_rcp_f32_e32 v5, v1
	v_fma_f32 v6, -v1, v5, 1.0
	v_fmac_f32_e32 v5, v6, v5
	v_mul_f32_e32 v6, v4, v5
	v_fma_f32 v7, -v1, v6, v4
	v_fmac_f32_e32 v6, v7, v5
	v_fma_f32 v1, -v1, v6, v4
	v_div_fmas_f32 v1, v1, v5, v6
	v_div_fixup_f32 v1, v1, v16, 1.0
	v_add_f32_e32 v16, 1.0, v16
	v_cmp_ngt_f32_e32 vcc, s20, v16
	s_or_b64 s[18:19], vcc, s[18:19]
	v_sub_f32_e32 v3, v3, v1
	s_andn2_b64 exec, exec, s[18:19]
	s_cbranch_execnz .LBB24_135
; %bb.136:
	s_or_b64 exec, exec, s[18:19]
.LBB24_137:
	s_or_b64 exec, exec, s[4:5]
	s_mov_b32 s4, 0x41200000
	v_cmp_neq_f32_e32 vcc, s4, v16
                                        ; implicit-def: $vgpr15
	s_and_saveexec_b64 s[4:5], vcc
	s_xor_b64 s[18:19], exec, s[4:5]
	s_cbranch_execz .LBB24_141
; %bb.138:
	v_cvt_f64_f32_e32 v[4:5], v16
	s_mov_b32 s4, 0x85d8a000
	s_mov_b32 s5, 0x43763457
	v_mov_b32_e32 v1, 0
	v_cmp_gt_f64_e32 vcc, s[4:5], v[4:5]
	s_and_saveexec_b64 s[4:5], vcc
	s_cbranch_execz .LBB24_140
; %bb.139:
	v_mul_f32_e32 v1, v16, v16
	v_div_scale_f32 v4, s[20:21], v1, v1, 1.0
	v_div_scale_f32 v5, vcc, 1.0, v1, 1.0
	v_mov_b32_e32 v15, 0x3b820821
	v_rcp_f32_e32 v6, v4
	v_fma_f32 v7, -v4, v6, 1.0
	v_fmac_f32_e32 v6, v7, v6
	v_mul_f32_e32 v7, v5, v6
	v_fma_f32 v8, -v4, v7, v5
	v_fmac_f32_e32 v7, v8, v6
	v_fma_f32 v4, -v4, v7, v5
	v_div_fmas_f32 v4, v4, v6, v7
	v_mov_b32_e32 v5, 0x3daaaaab
	v_mov_b32_e32 v6, 0xbcaccacd
	;; [unrolled: 1-line block ×4, first 2 shown]
	v_div_fixup_f32 v1, v4, v1, 1.0
	v_fma_f32 v4, 0, v1, v5
	v_fmac_f32_e32 v6, v1, v4
	v_fmac_f32_e32 v7, v1, v6
	;; [unrolled: 1-line block ×4, first 2 shown]
	v_mov_b32_e32 v4, 0xbc088889
	v_fmac_f32_e32 v4, v1, v15
	v_fmac_f32_e32 v5, v1, v4
	v_mul_f32_e32 v1, v1, v5
.LBB24_140:
	s_or_b64 exec, exec, s[4:5]
	v_div_scale_f32 v4, s[4:5], v16, v16, -0.5
	v_div_scale_f32 v5, vcc, -0.5, v16, -0.5
	s_mov_b32 s4, 0x800000
	v_cmp_gt_f32_e64 s[4:5], s4, v16
	v_cndmask_b32_e64 v7, 0, 32, s[4:5]
	s_mov_b32 s20, 0x3f317217
	v_rcp_f32_e32 v6, v4
	v_fma_f32 v8, -v4, v6, 1.0
	v_fmac_f32_e32 v6, v8, v6
	v_mul_f32_e32 v8, v5, v6
	v_fma_f32 v15, -v4, v8, v5
	v_fmac_f32_e32 v8, v15, v6
	v_fma_f32 v4, -v4, v8, v5
	v_div_fmas_f32 v4, v4, v6, v8
	v_ldexp_f32 v5, v16, v7
	v_log_f32_e32 v5, v5
	v_mul_f32_e32 v6, 0x3f317217, v5
	v_fma_f32 v6, v5, s20, -v6
	v_fmac_f32_e32 v6, 0x3377d1cf, v5
	s_mov_b32 s20, 0x7f800000
	v_fmac_f32_e32 v6, 0x3f317217, v5
	v_cmp_lt_f32_e64 vcc, |v5|, s20
	v_cndmask_b32_e32 v5, v5, v6, vcc
	v_mov_b32_e32 v6, 0x41b17218
	v_cndmask_b32_e64 v6, 0, v6, s[4:5]
	v_sub_f32_e32 v5, v5, v6
	v_div_fixup_f32 v4, v4, v16, -0.5
	v_add_f32_e32 v4, v5, v4
	v_sub_f32_e32 v1, v4, v1
	v_add_f32_e32 v1, v3, v1
	v_cvt_f16_f32_e32 v15, v1
                                        ; implicit-def: $vgpr3
.LBB24_141:
	s_andn2_saveexec_b64 s[4:5], s[18:19]
; %bb.142:
	v_add_f32_e32 v1, 0x40101cb7, v3
	v_cvt_f16_f32_e32 v15, v1
; %bb.143:
	s_or_b64 exec, exec, s[4:5]
.LBB24_144:
	s_or_b64 exec, exec, s[16:17]
                                        ; implicit-def: $vgpr16
.LBB24_145:
	s_andn2_saveexec_b64 s[4:5], s[14:15]
; %bb.146:
	v_xor_b32_e32 v1, 0x80000000, v16
	s_movk_i32 s14, 0x8000
	v_and_b32_sdwa v1, v1, s14 dst_sel:DWORD dst_unused:UNUSED_PAD src0_sel:WORD_1 src1_sel:DWORD
	v_or_b32_e32 v15, 0x7c00, v1
; %bb.147:
	s_or_b64 exec, exec, s[4:5]
	v_cvt_f32_f16_e32 v1, v2
	v_cmp_neq_f16_e32 vcc, 0, v2
                                        ; implicit-def: $vgpr7
	s_and_saveexec_b64 s[4:5], vcc
	s_xor_b64 s[14:15], exec, s[4:5]
	s_cbranch_execz .LBB24_169
; %bb.148:
	v_cmp_gt_f16_e32 vcc, 0, v2
	s_mov_b64 s[4:5], -1
	v_mov_b32_e32 v3, 0
	s_and_saveexec_b64 s[16:17], vcc
	s_cbranch_execz .LBB24_156
; %bb.149:
	v_trunc_f32_e32 v3, v1
	v_cmp_neq_f32_e32 vcc, v3, v1
	s_mov_b64 s[20:21], 0
	v_mov_b32_e32 v3, 0
	s_and_saveexec_b64 s[18:19], vcc
	s_cbranch_execz .LBB24_155
; %bb.150:
	v_cvt_f32_f16_e32 v3, v2
	s_mov_b32 s22, 0
	s_mov_b32 s5, 0xc00921fb
	;; [unrolled: 1-line block ×3, first 2 shown]
	v_cvt_f64_f32_e32 v[3:4], v3
	s_mov_b32 s23, 0x7ff00000
	v_bfrev_b32_e32 v7, 1
	s_mov_b32 s20, 0
	v_trunc_f64_e32 v[5:6], v[3:4]
	v_cmp_neq_f64_e64 vcc, |v[3:4]|, s[22:23]
	s_mov_b32 s21, 0x41d00000
                                        ; implicit-def: $vgpr16
	v_add_f64 v[5:6], v[3:4], -v[5:6]
	v_mul_f64 v[5:6], |v[5:6]|, s[4:5]
	v_cndmask_b32_e32 v4, v7, v6, vcc
	v_cndmask_b32_e32 v3, 0, v5, vcc
	v_cmp_nlt_f64_e64 s[20:21], |v[3:4]|, s[20:21]
                                        ; implicit-def: $vgpr5_vgpr6
                                        ; implicit-def: $vgpr7_vgpr8
	s_and_saveexec_b64 s[24:25], s[20:21]
	s_xor_b64 s[20:21], exec, s[24:25]
	s_cbranch_execz .LBB24_152
; %bb.151:
	v_trig_preop_f64 v[5:6], |v[3:4]|, 0
	s_mov_b32 s24, 0
	s_mov_b32 s25, 0x7b000000
	s_movk_i32 s5, 0xff80
	v_ldexp_f64 v[16:17], |v[3:4]|, s5
	v_cmp_ge_f64_e64 vcc, |v[3:4]|, s[24:25]
	v_trig_preop_f64 v[7:8], |v[3:4]|, 1
	v_and_b32_e32 v18, 0x7fffffff, v4
	v_trig_preop_f64 v[24:25], |v[3:4]|, 2
	v_mov_b32_e32 v35, 0x40100000
	v_mov_b32_e32 v34, 0
	s_mov_b32 s5, 0x3ff921fb
	v_cndmask_b32_e32 v17, v18, v17, vcc
	v_cndmask_b32_e32 v16, v3, v16, vcc
	v_mul_f64 v[18:19], v[5:6], v[16:17]
	v_mul_f64 v[20:21], v[7:8], v[16:17]
	;; [unrolled: 1-line block ×3, first 2 shown]
	v_fma_f64 v[5:6], v[5:6], v[16:17], -v[18:19]
	v_fma_f64 v[7:8], v[7:8], v[16:17], -v[20:21]
	;; [unrolled: 1-line block ×3, first 2 shown]
	v_add_f64 v[22:23], v[20:21], v[5:6]
	v_add_f64 v[26:27], v[22:23], -v[20:21]
	v_add_f64 v[32:33], v[18:19], v[22:23]
	v_add_f64 v[28:29], v[22:23], -v[26:27]
	v_add_f64 v[5:6], v[5:6], -v[26:27]
	v_add_f64 v[26:27], v[30:31], v[7:8]
	v_add_f64 v[18:19], v[32:33], -v[18:19]
	v_add_f64 v[20:21], v[20:21], -v[28:29]
	v_ldexp_f64 v[28:29], v[32:33], -2
	v_add_f64 v[36:37], v[26:27], -v[30:31]
	v_add_f64 v[18:19], v[22:23], -v[18:19]
	v_add_f64 v[5:6], v[5:6], v[20:21]
	v_fract_f64_e32 v[20:21], v[28:29]
	v_cmp_neq_f64_e64 vcc, |v[28:29]|, s[22:23]
	v_add_f64 v[7:8], v[7:8], -v[36:37]
	s_mov_b32 s22, 0x33145c07
	s_mov_b32 s23, 0x3c91a626
	v_add_f64 v[22:23], v[26:27], v[5:6]
	v_ldexp_f64 v[20:21], v[20:21], 2
	v_add_f64 v[28:29], v[18:19], v[22:23]
	v_cndmask_b32_e32 v21, 0, v21, vcc
	v_cndmask_b32_e32 v20, 0, v20, vcc
	v_add_f64 v[38:39], v[22:23], -v[26:27]
	v_add_f64 v[32:33], v[28:29], v[20:21]
	v_add_f64 v[18:19], v[28:29], -v[18:19]
	v_add_f64 v[40:41], v[22:23], -v[38:39]
	;; [unrolled: 1-line block ×3, first 2 shown]
	v_cmp_gt_f64_e32 vcc, 0, v[32:33]
	v_add_f64 v[32:33], v[26:27], -v[36:37]
	v_add_f64 v[18:19], v[22:23], -v[18:19]
	;; [unrolled: 1-line block ×3, first 2 shown]
	v_cndmask_b32_e32 v35, 0, v35, vcc
	v_add_f64 v[20:21], v[20:21], v[34:35]
	v_add_f64 v[32:33], v[30:31], -v[32:33]
	v_add_f64 v[5:6], v[5:6], v[26:27]
	v_add_f64 v[42:43], v[28:29], v[20:21]
	v_add_f64 v[7:8], v[7:8], v[32:33]
	v_cvt_i32_f64_e32 v37, v[42:43]
	v_add_f64 v[5:6], v[7:8], v[5:6]
	v_cvt_f64_i32_e32 v[35:36], v37
	v_add_f64 v[20:21], v[20:21], -v[35:36]
	v_add_f64 v[5:6], v[16:17], v[5:6]
	v_add_f64 v[7:8], v[28:29], v[20:21]
	;; [unrolled: 1-line block ×3, first 2 shown]
	v_mov_b32_e32 v18, 0x3ff00000
	v_add_f64 v[16:17], v[7:8], -v[20:21]
	v_cmp_le_f64_e32 vcc, 0.5, v[7:8]
	v_add_f64 v[16:17], v[28:29], -v[16:17]
	v_cndmask_b32_e32 v35, 0, v18, vcc
	v_add_f64 v[7:8], v[7:8], -v[34:35]
	v_add_f64 v[5:6], v[5:6], v[16:17]
	v_add_f64 v[16:17], v[7:8], v[5:6]
	v_mul_f64 v[18:19], v[16:17], s[4:5]
	v_add_f64 v[7:8], v[16:17], -v[7:8]
	v_fma_f64 v[20:21], v[16:17], s[4:5], -v[18:19]
	v_add_f64 v[5:6], v[5:6], -v[7:8]
	v_fma_f64 v[7:8], v[16:17], s[22:23], v[20:21]
	v_fma_f64 v[7:8], v[5:6], s[4:5], v[7:8]
	v_add_f64 v[5:6], v[18:19], v[7:8]
	v_add_f64 v[16:17], v[5:6], -v[18:19]
	v_add_f64 v[7:8], v[7:8], -v[16:17]
	v_addc_co_u32_e32 v16, vcc, 0, v37, vcc
.LBB24_152:
	s_andn2_saveexec_b64 s[4:5], s[20:21]
	s_cbranch_execz .LBB24_154
; %bb.153:
	s_mov_b32 s20, 0x6dc9c883
	s_mov_b32 s21, 0x3fe45f30
	v_mul_f64 v[5:6], |v[3:4]|, s[20:21]
	s_mov_b32 s20, 0x54442d18
	s_mov_b32 s21, 0xbff921fb
	;; [unrolled: 1-line block ×4, first 2 shown]
	v_rndne_f64_e32 v[16:17], v[5:6]
	v_fma_f64 v[5:6], v[16:17], s[20:21], |v[3:4]|
	v_mul_f64 v[7:8], v[16:17], s[22:23]
	s_mov_b32 s20, 0x252049c0
	s_mov_b32 s21, 0xb97b839a
	v_fma_f64 v[22:23], v[16:17], s[22:23], v[5:6]
	v_add_f64 v[18:19], v[5:6], v[7:8]
	s_mov_b32 s23, 0x3c91a626
	v_add_f64 v[20:21], v[5:6], -v[18:19]
	v_add_f64 v[18:19], v[18:19], -v[22:23]
	v_add_f64 v[5:6], v[20:21], v[7:8]
	v_fma_f64 v[7:8], v[16:17], s[22:23], v[7:8]
	v_add_f64 v[5:6], v[18:19], v[5:6]
	v_add_f64 v[5:6], v[5:6], -v[7:8]
	v_fma_f64 v[7:8], v[16:17], s[20:21], v[5:6]
	v_cvt_i32_f64_e32 v16, v[16:17]
	v_add_f64 v[5:6], v[22:23], v[7:8]
	v_add_f64 v[18:19], v[5:6], -v[22:23]
	v_add_f64 v[7:8], v[7:8], -v[18:19]
.LBB24_154:
	s_or_b64 exec, exec, s[4:5]
	v_mul_f64 v[17:18], v[5:6], v[5:6]
	v_add_f64 v[19:20], v[7:8], v[7:8]
	s_mov_b32 s4, 0xc751c08c
	s_mov_b32 s5, 0x3ef5e089
	v_and_b32_e32 v16, 1, v16
	v_cmp_eq_u32_e32 vcc, 0, v16
	s_mov_b32 s22, 0x54442d18
	s_mov_b32 s23, 0xc00921fb
	v_fma_f64 v[21:22], v[5:6], v[5:6], -v[17:18]
	s_mov_b64 s[20:21], exec
	v_sub_f32_e32 v1, 1.0, v1
	v_fma_f64 v[19:20], v[5:6], v[19:20], v[21:22]
	v_add_f64 v[17:18], v[17:18], v[19:20]
	v_mov_b32_e32 v19, 0xa9a29f71
	v_mov_b32_e32 v20, 0xbf078809
	v_fma_f64 v[19:20], v[17:18], s[4:5], v[19:20]
	s_mov_b32 s4, 0x90a8aae0
	s_mov_b32 s5, 0x3f17746f
	v_fma_f64 v[19:20], v[17:18], v[19:20], s[4:5]
	s_mov_b32 s4, 0xa6fbf144
	s_mov_b32 s5, 0xbefbb44d
	;; [unrolled: 3-line block ×12, first 2 shown]
	v_fma_f64 v[19:20], v[17:18], v[19:20], s[4:5]
	s_movk_i32 s4, 0x1f8
	v_cmp_class_f64_e64 s[4:5], v[3:4], s4
	v_mul_f64 v[17:18], v[17:18], v[19:20]
	v_mul_f64 v[19:20], v[5:6], v[17:18]
	v_add_f64 v[21:22], v[5:6], v[19:20]
	v_fma_f64 v[17:18], v[5:6], v[17:18], -v[19:20]
	v_add_f64 v[5:6], v[21:22], -v[5:6]
	v_add_f64 v[7:8], v[7:8], v[17:18]
	v_add_f64 v[5:6], v[19:20], -v[5:6]
	v_add_f64 v[5:6], v[7:8], v[5:6]
	v_add_f64 v[7:8], v[21:22], v[5:6]
	v_rcp_f64_e32 v[17:18], v[7:8]
	v_fma_f64 v[19:20], -v[7:8], v[17:18], 1.0
	v_fma_f64 v[17:18], v[19:20], v[17:18], v[17:18]
	v_fma_f64 v[19:20], -v[7:8], v[17:18], 1.0
	v_fma_f64 v[17:18], v[19:20], v[17:18], v[17:18]
	v_add_f64 v[19:20], v[7:8], -v[21:22]
	v_mul_f64 v[21:22], v[7:8], v[17:18]
	v_add_f64 v[5:6], v[5:6], -v[19:20]
	v_fma_f64 v[19:20], v[17:18], v[7:8], -v[21:22]
	v_fma_f64 v[5:6], v[17:18], v[5:6], v[19:20]
	v_add_f64 v[19:20], v[21:22], v[5:6]
	v_add_f64 v[23:24], -v[19:20], 1.0
	v_add_f64 v[21:22], v[19:20], -v[21:22]
	v_add_f64 v[25:26], -v[23:24], 1.0
	v_add_f64 v[5:6], v[21:22], -v[5:6]
	v_add_f64 v[19:20], v[25:26], -v[19:20]
	v_add_f64 v[5:6], v[5:6], v[19:20]
	v_add_f64 v[5:6], v[23:24], v[5:6]
	v_mul_f64 v[5:6], v[17:18], v[5:6]
	v_add_f64 v[5:6], v[17:18], v[5:6]
	v_and_b32_e32 v17, 0x80000000, v4
	v_mov_b32_e32 v4, 0x7ff80000
	v_xor_b32_e32 v3, 0x80000000, v6
	v_cndmask_b32_e32 v5, v5, v7, vcc
	v_cndmask_b32_e32 v6, v3, v8, vcc
	v_cndmask_b32_e64 v3, 0, v5, s[4:5]
	v_xor_b32_e32 v5, v6, v17
	v_cndmask_b32_e64 v4, v4, v5, s[4:5]
	v_div_scale_f64 v[5:6], s[4:5], v[3:4], v[3:4], s[22:23]
	v_div_scale_f64 v[18:19], vcc, s[22:23], v[3:4], s[22:23]
	v_rcp_f64_e32 v[7:8], v[5:6]
	v_fma_f64 v[16:17], -v[5:6], v[7:8], 1.0
	v_fma_f64 v[7:8], v[7:8], v[16:17], v[7:8]
	v_fma_f64 v[16:17], -v[5:6], v[7:8], 1.0
	v_fma_f64 v[7:8], v[7:8], v[16:17], v[7:8]
	v_mul_f64 v[16:17], v[18:19], v[7:8]
	v_fma_f64 v[5:6], -v[5:6], v[16:17], v[18:19]
	v_div_fmas_f64 v[5:6], v[5:6], v[7:8], v[16:17]
	v_div_fixup_f64 v[3:4], v[5:6], v[3:4], s[22:23]
	v_cvt_f32_f64_e32 v3, v[3:4]
.LBB24_155:
	s_or_b64 exec, exec, s[18:19]
	s_orn2_b64 s[4:5], s[20:21], exec
.LBB24_156:
	s_or_b64 exec, exec, s[16:17]
	v_mov_b32_e32 v7, 0x7e00
	s_and_saveexec_b64 s[16:17], s[4:5]
	s_cbranch_execz .LBB24_168
; %bb.157:
	s_mov_b32 s20, 0x41200000
	v_cmp_gt_f32_e32 vcc, s20, v1
	s_and_saveexec_b64 s[4:5], vcc
	s_cbranch_execz .LBB24_161
; %bb.158:
	s_mov_b64 s[18:19], 0
.LBB24_159:                             ; =>This Inner Loop Header: Depth=1
	v_div_scale_f32 v4, s[22:23], v1, v1, 1.0
	v_div_scale_f32 v5, vcc, 1.0, v1, 1.0
	v_rcp_f32_e32 v6, v4
	v_fma_f32 v7, -v4, v6, 1.0
	v_fmac_f32_e32 v6, v7, v6
	v_mul_f32_e32 v7, v5, v6
	v_fma_f32 v8, -v4, v7, v5
	v_fmac_f32_e32 v7, v8, v6
	v_fma_f32 v4, -v4, v7, v5
	v_div_fmas_f32 v4, v4, v6, v7
	v_div_fixup_f32 v4, v4, v1, 1.0
	v_add_f32_e32 v1, 1.0, v1
	v_cmp_ngt_f32_e32 vcc, s20, v1
	s_or_b64 s[18:19], vcc, s[18:19]
	v_sub_f32_e32 v3, v3, v4
	s_andn2_b64 exec, exec, s[18:19]
	s_cbranch_execnz .LBB24_159
; %bb.160:
	s_or_b64 exec, exec, s[18:19]
.LBB24_161:
	s_or_b64 exec, exec, s[4:5]
	s_mov_b32 s4, 0x41200000
	v_cmp_neq_f32_e32 vcc, s4, v1
                                        ; implicit-def: $vgpr7
	s_and_saveexec_b64 s[4:5], vcc
	s_xor_b64 s[18:19], exec, s[4:5]
	s_cbranch_execz .LBB24_165
; %bb.162:
	v_cvt_f64_f32_e32 v[4:5], v1
	s_mov_b32 s4, 0x85d8a000
	s_mov_b32 s5, 0x43763457
	v_cmp_gt_f64_e32 vcc, s[4:5], v[4:5]
	v_mov_b32_e32 v4, 0
	s_and_saveexec_b64 s[4:5], vcc
	s_cbranch_execz .LBB24_164
; %bb.163:
	v_mul_f32_e32 v4, v1, v1
	v_div_scale_f32 v5, s[20:21], v4, v4, 1.0
	v_div_scale_f32 v6, vcc, 1.0, v4, 1.0
	v_mov_b32_e32 v17, 0x3b820821
	v_rcp_f32_e32 v7, v5
	v_fma_f32 v8, -v5, v7, 1.0
	v_fmac_f32_e32 v7, v8, v7
	v_mul_f32_e32 v8, v6, v7
	v_fma_f32 v16, -v5, v8, v6
	v_fmac_f32_e32 v8, v16, v7
	v_fma_f32 v5, -v5, v8, v6
	v_div_fmas_f32 v5, v5, v7, v8
	v_mov_b32_e32 v6, 0x3daaaaab
	v_mov_b32_e32 v7, 0xbcaccacd
	;; [unrolled: 1-line block ×4, first 2 shown]
	v_div_fixup_f32 v4, v5, v4, 1.0
	v_fma_f32 v5, 0, v4, v6
	v_fmac_f32_e32 v7, v4, v5
	v_fmac_f32_e32 v8, v4, v7
	;; [unrolled: 1-line block ×4, first 2 shown]
	v_mov_b32_e32 v5, 0xbc088889
	v_fmac_f32_e32 v5, v4, v17
	v_fmac_f32_e32 v6, v4, v5
	v_mul_f32_e32 v4, v4, v6
.LBB24_164:
	s_or_b64 exec, exec, s[4:5]
	v_div_scale_f32 v5, s[4:5], v1, v1, -0.5
	v_div_scale_f32 v6, vcc, -0.5, v1, -0.5
	s_mov_b32 s4, 0x800000
	v_cmp_gt_f32_e64 s[4:5], s4, v1
	v_cndmask_b32_e64 v8, 0, 32, s[4:5]
	s_mov_b32 s20, 0x3f317217
	v_rcp_f32_e32 v7, v5
	v_fma_f32 v16, -v5, v7, 1.0
	v_fmac_f32_e32 v7, v16, v7
	v_mul_f32_e32 v16, v6, v7
	v_fma_f32 v17, -v5, v16, v6
	v_fmac_f32_e32 v16, v17, v7
	v_fma_f32 v5, -v5, v16, v6
	v_div_fmas_f32 v5, v5, v7, v16
	v_ldexp_f32 v6, v1, v8
	v_log_f32_e32 v6, v6
	v_mul_f32_e32 v7, 0x3f317217, v6
	v_fma_f32 v7, v6, s20, -v7
	v_fmac_f32_e32 v7, 0x3377d1cf, v6
	s_mov_b32 s20, 0x7f800000
	v_fmac_f32_e32 v7, 0x3f317217, v6
	v_cmp_lt_f32_e64 vcc, |v6|, s20
	v_cndmask_b32_e32 v6, v6, v7, vcc
	v_mov_b32_e32 v7, 0x41b17218
	v_cndmask_b32_e64 v7, 0, v7, s[4:5]
	v_sub_f32_e32 v6, v6, v7
	v_div_fixup_f32 v1, v5, v1, -0.5
	v_add_f32_e32 v1, v6, v1
	v_sub_f32_e32 v1, v1, v4
	v_add_f32_e32 v1, v3, v1
	v_cvt_f16_f32_e32 v7, v1
                                        ; implicit-def: $vgpr3
.LBB24_165:
	s_andn2_saveexec_b64 s[4:5], s[18:19]
; %bb.166:
	v_add_f32_e32 v1, 0x40101cb7, v3
	v_cvt_f16_f32_e32 v7, v1
; %bb.167:
	s_or_b64 exec, exec, s[4:5]
.LBB24_168:
	s_or_b64 exec, exec, s[16:17]
                                        ; implicit-def: $vgpr1
.LBB24_169:
	s_andn2_saveexec_b64 s[4:5], s[14:15]
; %bb.170:
	v_xor_b32_e32 v1, 0x80000000, v1
	s_movk_i32 s14, 0x8000
	v_and_b32_sdwa v1, v1, s14 dst_sel:DWORD dst_unused:UNUSED_PAD src0_sel:WORD_1 src1_sel:DWORD
	v_or_b32_e32 v7, 0x7c00, v1
; %bb.171:
	s_or_b64 exec, exec, s[4:5]
	v_cvt_f32_f16_sdwa v8, v2 dst_sel:DWORD dst_unused:UNUSED_PAD src0_sel:WORD_1
	v_mov_b32_e32 v1, 0
	v_cmp_neq_f16_sdwa s[4:5], v2, v1 src0_sel:WORD_1 src1_sel:DWORD
                                        ; implicit-def: $vgpr3
	s_and_saveexec_b64 s[14:15], s[4:5]
	s_xor_b64 s[14:15], exec, s[14:15]
	s_cbranch_execz .LBB24_193
; %bb.172:
	v_cmp_lt_f16_sdwa s[18:19], v2, v1 src0_sel:WORD_1 src1_sel:DWORD
	s_mov_b64 s[4:5], -1
	s_and_saveexec_b64 s[16:17], s[18:19]
	s_cbranch_execz .LBB24_180
; %bb.173:
	v_trunc_f32_e32 v1, v8
	v_cmp_neq_f32_e32 vcc, v1, v8
	s_mov_b64 s[20:21], 0
	v_mov_b32_e32 v1, 0
	s_and_saveexec_b64 s[18:19], vcc
	s_cbranch_execz .LBB24_179
; %bb.174:
	v_cvt_f32_f16_sdwa v1, v2 dst_sel:DWORD dst_unused:UNUSED_PAD src0_sel:WORD_1
	s_mov_b32 s22, 0
	s_mov_b32 s5, 0xc00921fb
	;; [unrolled: 1-line block ×3, first 2 shown]
	v_cvt_f64_f32_e32 v[1:2], v1
	s_mov_b32 s23, 0x7ff00000
	v_bfrev_b32_e32 v5, 1
	s_mov_b32 s20, 0
	v_trunc_f64_e32 v[3:4], v[1:2]
	v_cmp_neq_f64_e64 vcc, |v[1:2]|, s[22:23]
	s_mov_b32 s21, 0x41d00000
                                        ; implicit-def: $vgpr16
	v_add_f64 v[3:4], v[1:2], -v[3:4]
	v_mul_f64 v[3:4], |v[3:4]|, s[4:5]
	v_cndmask_b32_e32 v2, v5, v4, vcc
	v_cndmask_b32_e32 v1, 0, v3, vcc
	v_cmp_nlt_f64_e64 s[20:21], |v[1:2]|, s[20:21]
                                        ; implicit-def: $vgpr3_vgpr4
                                        ; implicit-def: $vgpr5_vgpr6
	s_and_saveexec_b64 s[24:25], s[20:21]
	s_xor_b64 s[20:21], exec, s[24:25]
	s_cbranch_execz .LBB24_176
; %bb.175:
	v_trig_preop_f64 v[3:4], |v[1:2]|, 0
	s_mov_b32 s24, 0
	s_mov_b32 s25, 0x7b000000
	s_movk_i32 s5, 0xff80
	v_ldexp_f64 v[16:17], |v[1:2]|, s5
	v_cmp_ge_f64_e64 vcc, |v[1:2]|, s[24:25]
	v_trig_preop_f64 v[5:6], |v[1:2]|, 1
	v_and_b32_e32 v18, 0x7fffffff, v2
	v_trig_preop_f64 v[24:25], |v[1:2]|, 2
	v_mov_b32_e32 v35, 0x40100000
	v_mov_b32_e32 v34, 0
	s_mov_b32 s5, 0x3ff921fb
	v_cndmask_b32_e32 v17, v18, v17, vcc
	v_cndmask_b32_e32 v16, v1, v16, vcc
	v_mul_f64 v[18:19], v[3:4], v[16:17]
	v_mul_f64 v[20:21], v[5:6], v[16:17]
	;; [unrolled: 1-line block ×3, first 2 shown]
	v_fma_f64 v[3:4], v[3:4], v[16:17], -v[18:19]
	v_fma_f64 v[5:6], v[5:6], v[16:17], -v[20:21]
	;; [unrolled: 1-line block ×3, first 2 shown]
	v_add_f64 v[22:23], v[20:21], v[3:4]
	v_add_f64 v[26:27], v[22:23], -v[20:21]
	v_add_f64 v[32:33], v[18:19], v[22:23]
	v_add_f64 v[28:29], v[22:23], -v[26:27]
	v_add_f64 v[3:4], v[3:4], -v[26:27]
	v_add_f64 v[26:27], v[30:31], v[5:6]
	v_add_f64 v[18:19], v[32:33], -v[18:19]
	v_add_f64 v[20:21], v[20:21], -v[28:29]
	v_ldexp_f64 v[28:29], v[32:33], -2
	v_add_f64 v[36:37], v[26:27], -v[30:31]
	v_add_f64 v[18:19], v[22:23], -v[18:19]
	v_add_f64 v[3:4], v[3:4], v[20:21]
	v_fract_f64_e32 v[20:21], v[28:29]
	v_cmp_neq_f64_e64 vcc, |v[28:29]|, s[22:23]
	v_add_f64 v[5:6], v[5:6], -v[36:37]
	s_mov_b32 s22, 0x33145c07
	s_mov_b32 s23, 0x3c91a626
	v_add_f64 v[22:23], v[26:27], v[3:4]
	v_ldexp_f64 v[20:21], v[20:21], 2
	v_add_f64 v[28:29], v[18:19], v[22:23]
	v_cndmask_b32_e32 v21, 0, v21, vcc
	v_cndmask_b32_e32 v20, 0, v20, vcc
	v_add_f64 v[38:39], v[22:23], -v[26:27]
	v_add_f64 v[32:33], v[28:29], v[20:21]
	v_add_f64 v[18:19], v[28:29], -v[18:19]
	v_add_f64 v[40:41], v[22:23], -v[38:39]
	;; [unrolled: 1-line block ×3, first 2 shown]
	v_cmp_gt_f64_e32 vcc, 0, v[32:33]
	v_add_f64 v[32:33], v[26:27], -v[36:37]
	v_add_f64 v[18:19], v[22:23], -v[18:19]
	;; [unrolled: 1-line block ×3, first 2 shown]
	v_cndmask_b32_e32 v35, 0, v35, vcc
	v_add_f64 v[20:21], v[20:21], v[34:35]
	v_add_f64 v[32:33], v[30:31], -v[32:33]
	v_add_f64 v[3:4], v[3:4], v[26:27]
	v_add_f64 v[42:43], v[28:29], v[20:21]
	;; [unrolled: 1-line block ×3, first 2 shown]
	v_cvt_i32_f64_e32 v37, v[42:43]
	v_add_f64 v[3:4], v[5:6], v[3:4]
	v_cvt_f64_i32_e32 v[35:36], v37
	v_add_f64 v[20:21], v[20:21], -v[35:36]
	v_add_f64 v[3:4], v[16:17], v[3:4]
	v_add_f64 v[5:6], v[28:29], v[20:21]
	;; [unrolled: 1-line block ×3, first 2 shown]
	v_mov_b32_e32 v18, 0x3ff00000
	v_add_f64 v[16:17], v[5:6], -v[20:21]
	v_cmp_le_f64_e32 vcc, 0.5, v[5:6]
	v_add_f64 v[16:17], v[28:29], -v[16:17]
	v_cndmask_b32_e32 v35, 0, v18, vcc
	v_add_f64 v[5:6], v[5:6], -v[34:35]
	v_add_f64 v[3:4], v[3:4], v[16:17]
	v_add_f64 v[16:17], v[5:6], v[3:4]
	v_mul_f64 v[18:19], v[16:17], s[4:5]
	v_add_f64 v[5:6], v[16:17], -v[5:6]
	v_fma_f64 v[20:21], v[16:17], s[4:5], -v[18:19]
	v_add_f64 v[3:4], v[3:4], -v[5:6]
	v_fma_f64 v[5:6], v[16:17], s[22:23], v[20:21]
	v_fma_f64 v[5:6], v[3:4], s[4:5], v[5:6]
	v_add_f64 v[3:4], v[18:19], v[5:6]
	v_add_f64 v[16:17], v[3:4], -v[18:19]
	v_add_f64 v[5:6], v[5:6], -v[16:17]
	v_addc_co_u32_e32 v16, vcc, 0, v37, vcc
.LBB24_176:
	s_andn2_saveexec_b64 s[4:5], s[20:21]
	s_cbranch_execz .LBB24_178
; %bb.177:
	s_mov_b32 s20, 0x6dc9c883
	s_mov_b32 s21, 0x3fe45f30
	v_mul_f64 v[3:4], |v[1:2]|, s[20:21]
	s_mov_b32 s20, 0x54442d18
	s_mov_b32 s21, 0xbff921fb
	;; [unrolled: 1-line block ×4, first 2 shown]
	v_rndne_f64_e32 v[16:17], v[3:4]
	v_fma_f64 v[3:4], v[16:17], s[20:21], |v[1:2]|
	v_mul_f64 v[5:6], v[16:17], s[22:23]
	s_mov_b32 s20, 0x252049c0
	s_mov_b32 s21, 0xb97b839a
	v_fma_f64 v[22:23], v[16:17], s[22:23], v[3:4]
	v_add_f64 v[18:19], v[3:4], v[5:6]
	s_mov_b32 s23, 0x3c91a626
	v_add_f64 v[20:21], v[3:4], -v[18:19]
	v_add_f64 v[18:19], v[18:19], -v[22:23]
	v_add_f64 v[3:4], v[20:21], v[5:6]
	v_fma_f64 v[5:6], v[16:17], s[22:23], v[5:6]
	v_add_f64 v[3:4], v[18:19], v[3:4]
	v_add_f64 v[3:4], v[3:4], -v[5:6]
	v_fma_f64 v[5:6], v[16:17], s[20:21], v[3:4]
	v_cvt_i32_f64_e32 v16, v[16:17]
	v_add_f64 v[3:4], v[22:23], v[5:6]
	v_add_f64 v[18:19], v[3:4], -v[22:23]
	v_add_f64 v[5:6], v[5:6], -v[18:19]
.LBB24_178:
	s_or_b64 exec, exec, s[4:5]
	v_mul_f64 v[17:18], v[3:4], v[3:4]
	v_add_f64 v[19:20], v[5:6], v[5:6]
	s_mov_b32 s4, 0xc751c08c
	s_mov_b32 s5, 0x3ef5e089
	v_and_b32_e32 v16, 1, v16
	v_cmp_eq_u32_e32 vcc, 0, v16
	s_mov_b32 s22, 0x54442d18
	s_mov_b32 s23, 0xc00921fb
	v_fma_f64 v[21:22], v[3:4], v[3:4], -v[17:18]
	s_mov_b64 s[20:21], exec
	v_sub_f32_e32 v8, 1.0, v8
	v_fma_f64 v[19:20], v[3:4], v[19:20], v[21:22]
	v_add_f64 v[17:18], v[17:18], v[19:20]
	v_mov_b32_e32 v19, 0xa9a29f71
	v_mov_b32_e32 v20, 0xbf078809
	v_fma_f64 v[19:20], v[17:18], s[4:5], v[19:20]
	s_mov_b32 s4, 0x90a8aae0
	s_mov_b32 s5, 0x3f17746f
	v_fma_f64 v[19:20], v[17:18], v[19:20], s[4:5]
	s_mov_b32 s4, 0xa6fbf144
	s_mov_b32 s5, 0xbefbb44d
	v_fma_f64 v[19:20], v[17:18], v[19:20], s[4:5]
	s_mov_b32 s4, 0xa7943acf
	s_mov_b32 s5, 0x3f21e634
	v_fma_f64 v[19:20], v[17:18], v[19:20], s[4:5]
	s_mov_b32 s4, 0xdeb68feb
	s_mov_b32 s5, 0x3f2d250f
	v_fma_f64 v[19:20], v[17:18], v[19:20], s[4:5]
	s_mov_b32 s4, 0xb58c4d95
	s_mov_b32 s5, 0x3f437fd9
	v_fma_f64 v[19:20], v[17:18], v[19:20], s[4:5]
	s_mov_b32 s4, 0x15120e2c
	s_mov_b32 s5, 0x3f57d5af
	v_fma_f64 v[19:20], v[17:18], v[19:20], s[4:5]
	s_mov_b32 s4, 0xe09491df
	s_mov_b32 s5, 0x3f6d6d93
	v_fma_f64 v[19:20], v[17:18], v[19:20], s[4:5]
	s_mov_b32 s4, 0x2033784d
	s_mov_b32 s5, 0x3f8226e1
	v_fma_f64 v[19:20], v[17:18], v[19:20], s[4:5]
	s_mov_b32 s4, 0x9ac36ae2
	s_mov_b32 s5, 0x3f9664f4
	v_fma_f64 v[19:20], v[17:18], v[19:20], s[4:5]
	s_mov_b32 s4, 0x1b451c21
	s_mov_b32 s5, 0x3faba1ba
	v_fma_f64 v[19:20], v[17:18], v[19:20], s[4:5]
	s_mov_b32 s4, 0x111185b7
	s_mov_b32 s5, 0x3fc11111
	v_fma_f64 v[19:20], v[17:18], v[19:20], s[4:5]
	s_mov_b32 s4, 0x555554ee
	s_mov_b32 s5, 0x3fd55555
	v_fma_f64 v[19:20], v[17:18], v[19:20], s[4:5]
	s_movk_i32 s4, 0x1f8
	v_cmp_class_f64_e64 s[4:5], v[1:2], s4
	v_mul_f64 v[17:18], v[17:18], v[19:20]
	v_mul_f64 v[19:20], v[3:4], v[17:18]
	v_add_f64 v[21:22], v[3:4], v[19:20]
	v_fma_f64 v[17:18], v[3:4], v[17:18], -v[19:20]
	v_add_f64 v[3:4], v[21:22], -v[3:4]
	v_add_f64 v[5:6], v[5:6], v[17:18]
	v_add_f64 v[3:4], v[19:20], -v[3:4]
	v_add_f64 v[3:4], v[5:6], v[3:4]
	v_add_f64 v[5:6], v[21:22], v[3:4]
	v_rcp_f64_e32 v[17:18], v[5:6]
	v_fma_f64 v[19:20], -v[5:6], v[17:18], 1.0
	v_fma_f64 v[17:18], v[19:20], v[17:18], v[17:18]
	v_fma_f64 v[19:20], -v[5:6], v[17:18], 1.0
	v_fma_f64 v[17:18], v[19:20], v[17:18], v[17:18]
	v_add_f64 v[19:20], v[5:6], -v[21:22]
	v_mul_f64 v[21:22], v[5:6], v[17:18]
	v_add_f64 v[3:4], v[3:4], -v[19:20]
	v_fma_f64 v[19:20], v[17:18], v[5:6], -v[21:22]
	v_fma_f64 v[3:4], v[17:18], v[3:4], v[19:20]
	v_add_f64 v[19:20], v[21:22], v[3:4]
	v_add_f64 v[23:24], -v[19:20], 1.0
	v_add_f64 v[21:22], v[19:20], -v[21:22]
	v_add_f64 v[25:26], -v[23:24], 1.0
	v_add_f64 v[3:4], v[21:22], -v[3:4]
	v_add_f64 v[19:20], v[25:26], -v[19:20]
	v_add_f64 v[3:4], v[3:4], v[19:20]
	v_add_f64 v[3:4], v[23:24], v[3:4]
	v_mul_f64 v[3:4], v[17:18], v[3:4]
	v_add_f64 v[3:4], v[17:18], v[3:4]
	v_and_b32_e32 v17, 0x80000000, v2
	v_mov_b32_e32 v2, 0x7ff80000
	v_xor_b32_e32 v1, 0x80000000, v4
	v_cndmask_b32_e32 v3, v3, v5, vcc
	v_cndmask_b32_e32 v4, v1, v6, vcc
	v_cndmask_b32_e64 v1, 0, v3, s[4:5]
	v_xor_b32_e32 v3, v4, v17
	v_cndmask_b32_e64 v2, v2, v3, s[4:5]
	v_div_scale_f64 v[3:4], s[4:5], v[1:2], v[1:2], s[22:23]
	v_div_scale_f64 v[18:19], vcc, s[22:23], v[1:2], s[22:23]
	v_rcp_f64_e32 v[5:6], v[3:4]
	v_fma_f64 v[16:17], -v[3:4], v[5:6], 1.0
	v_fma_f64 v[5:6], v[5:6], v[16:17], v[5:6]
	v_fma_f64 v[16:17], -v[3:4], v[5:6], 1.0
	v_fma_f64 v[5:6], v[5:6], v[16:17], v[5:6]
	v_mul_f64 v[16:17], v[18:19], v[5:6]
	v_fma_f64 v[3:4], -v[3:4], v[16:17], v[18:19]
	v_div_fmas_f64 v[3:4], v[3:4], v[5:6], v[16:17]
	v_div_fixup_f64 v[1:2], v[3:4], v[1:2], s[22:23]
	v_cvt_f32_f64_e32 v1, v[1:2]
.LBB24_179:
	s_or_b64 exec, exec, s[18:19]
	s_orn2_b64 s[4:5], s[20:21], exec
.LBB24_180:
	s_or_b64 exec, exec, s[16:17]
	v_mov_b32_e32 v3, 0x7e00
	s_and_saveexec_b64 s[16:17], s[4:5]
	s_cbranch_execz .LBB24_192
; %bb.181:
	s_mov_b32 s20, 0x41200000
	v_cmp_gt_f32_e32 vcc, s20, v8
	s_and_saveexec_b64 s[4:5], vcc
	s_cbranch_execz .LBB24_185
; %bb.182:
	s_mov_b64 s[18:19], 0
.LBB24_183:                             ; =>This Inner Loop Header: Depth=1
	v_div_scale_f32 v2, s[22:23], v8, v8, 1.0
	v_div_scale_f32 v3, vcc, 1.0, v8, 1.0
	v_rcp_f32_e32 v4, v2
	v_fma_f32 v5, -v2, v4, 1.0
	v_fmac_f32_e32 v4, v5, v4
	v_mul_f32_e32 v5, v3, v4
	v_fma_f32 v6, -v2, v5, v3
	v_fmac_f32_e32 v5, v6, v4
	v_fma_f32 v2, -v2, v5, v3
	v_div_fmas_f32 v2, v2, v4, v5
	v_div_fixup_f32 v2, v2, v8, 1.0
	v_add_f32_e32 v8, 1.0, v8
	v_cmp_ngt_f32_e32 vcc, s20, v8
	s_or_b64 s[18:19], vcc, s[18:19]
	v_sub_f32_e32 v1, v1, v2
	s_andn2_b64 exec, exec, s[18:19]
	s_cbranch_execnz .LBB24_183
; %bb.184:
	s_or_b64 exec, exec, s[18:19]
.LBB24_185:
	s_or_b64 exec, exec, s[4:5]
	s_mov_b32 s4, 0x41200000
	v_cmp_neq_f32_e32 vcc, s4, v8
                                        ; implicit-def: $vgpr3
	s_and_saveexec_b64 s[4:5], vcc
	s_xor_b64 s[18:19], exec, s[4:5]
	s_cbranch_execz .LBB24_189
; %bb.186:
	v_cvt_f64_f32_e32 v[2:3], v8
	s_mov_b32 s4, 0x85d8a000
	s_mov_b32 s5, 0x43763457
	v_cmp_gt_f64_e32 vcc, s[4:5], v[2:3]
	v_mov_b32_e32 v2, 0
	s_and_saveexec_b64 s[4:5], vcc
	s_cbranch_execz .LBB24_188
; %bb.187:
	v_mul_f32_e32 v2, v8, v8
	v_div_scale_f32 v3, s[20:21], v2, v2, 1.0
	v_div_scale_f32 v4, vcc, 1.0, v2, 1.0
	v_mov_b32_e32 v17, 0x3b820821
	v_rcp_f32_e32 v5, v3
	v_fma_f32 v6, -v3, v5, 1.0
	v_fmac_f32_e32 v5, v6, v5
	v_mul_f32_e32 v6, v4, v5
	v_fma_f32 v16, -v3, v6, v4
	v_fmac_f32_e32 v6, v16, v5
	v_fma_f32 v3, -v3, v6, v4
	v_div_fmas_f32 v3, v3, v5, v6
	v_mov_b32_e32 v4, 0x3daaaaab
	v_mov_b32_e32 v5, 0xbcaccacd
	;; [unrolled: 1-line block ×4, first 2 shown]
	v_div_fixup_f32 v2, v3, v2, 1.0
	v_fma_f32 v3, 0, v2, v4
	v_fmac_f32_e32 v5, v2, v3
	v_fmac_f32_e32 v6, v2, v5
	;; [unrolled: 1-line block ×4, first 2 shown]
	v_mov_b32_e32 v3, 0xbc088889
	v_fmac_f32_e32 v3, v2, v17
	v_fmac_f32_e32 v4, v2, v3
	v_mul_f32_e32 v2, v2, v4
.LBB24_188:
	s_or_b64 exec, exec, s[4:5]
	v_div_scale_f32 v3, s[4:5], v8, v8, -0.5
	v_div_scale_f32 v4, vcc, -0.5, v8, -0.5
	s_mov_b32 s4, 0x800000
	v_cmp_gt_f32_e64 s[4:5], s4, v8
	v_cndmask_b32_e64 v6, 0, 32, s[4:5]
	s_mov_b32 s20, 0x3f317217
	v_rcp_f32_e32 v5, v3
	v_fma_f32 v16, -v3, v5, 1.0
	v_fmac_f32_e32 v5, v16, v5
	v_mul_f32_e32 v16, v4, v5
	v_fma_f32 v17, -v3, v16, v4
	v_fmac_f32_e32 v16, v17, v5
	v_fma_f32 v3, -v3, v16, v4
	v_div_fmas_f32 v3, v3, v5, v16
	v_ldexp_f32 v4, v8, v6
	v_log_f32_e32 v4, v4
	v_mul_f32_e32 v5, 0x3f317217, v4
	v_fma_f32 v5, v4, s20, -v5
	v_fmac_f32_e32 v5, 0x3377d1cf, v4
	s_mov_b32 s20, 0x7f800000
	v_fmac_f32_e32 v5, 0x3f317217, v4
	v_cmp_lt_f32_e64 vcc, |v4|, s20
	v_cndmask_b32_e32 v4, v4, v5, vcc
	v_mov_b32_e32 v5, 0x41b17218
	v_cndmask_b32_e64 v5, 0, v5, s[4:5]
	v_sub_f32_e32 v4, v4, v5
	v_div_fixup_f32 v3, v3, v8, -0.5
	v_add_f32_e32 v3, v4, v3
	v_sub_f32_e32 v2, v3, v2
	v_add_f32_e32 v1, v1, v2
	v_cvt_f16_f32_e32 v3, v1
                                        ; implicit-def: $vgpr1
.LBB24_189:
	s_andn2_saveexec_b64 s[4:5], s[18:19]
; %bb.190:
	v_add_f32_e32 v1, 0x40101cb7, v1
	v_cvt_f16_f32_e32 v3, v1
; %bb.191:
	s_or_b64 exec, exec, s[4:5]
.LBB24_192:
	s_or_b64 exec, exec, s[16:17]
                                        ; implicit-def: $vgpr8
.LBB24_193:
	s_andn2_saveexec_b64 s[4:5], s[14:15]
; %bb.194:
	v_xor_b32_e32 v1, 0x80000000, v8
	s_movk_i32 s14, 0x8000
	v_and_b32_sdwa v1, v1, s14 dst_sel:DWORD dst_unused:UNUSED_PAD src0_sel:WORD_1 src1_sel:DWORD
	v_or_b32_e32 v3, 0x7c00, v1
; %bb.195:
	s_or_b64 exec, exec, s[4:5]
	v_lshlrev_b32_e32 v1, 16, v15
	v_and_b32_e32 v2, 0xffff, v14
	v_or_b32_e32 v5, v1, v2
	v_lshlrev_b32_e32 v1, 16, v13
	v_and_b32_e32 v2, 0xffff, v12
	v_or_b32_e32 v1, v1, v2
	v_and_b32_e32 v2, 0xffff, v9
	v_lshlrev_b32_e32 v6, 16, v10
	s_add_u32 s4, s8, s12
	v_and_b32_e32 v4, 0xffff, v7
	v_or3_b32 v2, v2, 0, v6
	v_or3_b32 v1, 0, v1, 0
	v_lshlrev_b32_e32 v3, 16, v3
	s_addc_u32 s5, s9, s13
	v_or3_b32 v4, v4, 0, v3
	v_or3_b32 v3, 0, v5, 0
	global_store_dwordx2 v11, v[1:2], s[4:5]
	global_store_dwordx2 v11, v[3:4], s[4:5] offset:2048
	s_branch .LBB24_2
.LBB24_196:
	s_getpc_b64 s[4:5]
	s_add_u32 s4, s4, _ZN2at6native25elementwise_kernel_helperILb0EZZZNS0_19digamma_kernel_cudaERNS_18TensorIteratorBaseEENKUlvE_clEvENKUlvE1_clEvEUlN3c104HalfEE_NS0_6memory8policies11unroll_baseILi256ESt5arrayIPcLm2EE23TrivialOffsetCalculatorILi1EjESG_NS9_15LoadWithoutCastENS9_16StoreWithoutCastELi8ELi1EEEEEvT0_T1_@rel32@lo+4
	s_addc_u32 s5, s5, _ZN2at6native25elementwise_kernel_helperILb0EZZZNS0_19digamma_kernel_cudaERNS_18TensorIteratorBaseEENKUlvE_clEvENKUlvE1_clEvEUlN3c104HalfEE_NS0_6memory8policies11unroll_baseILi256ESt5arrayIPcLm2EE23TrivialOffsetCalculatorILi1EjESG_NS9_15LoadWithoutCastENS9_16StoreWithoutCastELi8ELi1EEEEEvT0_T1_@rel32@hi+12
	s_mov_b32 s12, s6
	v_mov_b32_e32 v31, v0
	v_mov_b32_e32 v0, s8
	;; [unrolled: 1-line block ×6, first 2 shown]
	s_swappc_b64 s[30:31], s[4:5]
	s_endpgm
	.section	.rodata,"a",@progbits
	.p2align	6, 0x0
	.amdhsa_kernel _ZN2at6native29vectorized_elementwise_kernelILi4EZZZNS0_19digamma_kernel_cudaERNS_18TensorIteratorBaseEENKUlvE_clEvENKUlvE1_clEvEUlN3c104HalfEE_St5arrayIPcLm2EEEEviT0_T1_
		.amdhsa_group_segment_fixed_size 0
		.amdhsa_private_segment_fixed_size 0
		.amdhsa_kernarg_size 24
		.amdhsa_user_sgpr_count 6
		.amdhsa_user_sgpr_private_segment_buffer 1
		.amdhsa_user_sgpr_dispatch_ptr 0
		.amdhsa_user_sgpr_queue_ptr 0
		.amdhsa_user_sgpr_kernarg_segment_ptr 1
		.amdhsa_user_sgpr_dispatch_id 0
		.amdhsa_user_sgpr_flat_scratch_init 0
		.amdhsa_user_sgpr_private_segment_size 0
		.amdhsa_uses_dynamic_stack 0
		.amdhsa_system_sgpr_private_segment_wavefront_offset 0
		.amdhsa_system_sgpr_workgroup_id_x 1
		.amdhsa_system_sgpr_workgroup_id_y 0
		.amdhsa_system_sgpr_workgroup_id_z 0
		.amdhsa_system_sgpr_workgroup_info 0
		.amdhsa_system_vgpr_workitem_id 0
		.amdhsa_next_free_vgpr 66
		.amdhsa_next_free_sgpr 33
		.amdhsa_reserve_vcc 1
		.amdhsa_reserve_flat_scratch 0
		.amdhsa_float_round_mode_32 0
		.amdhsa_float_round_mode_16_64 0
		.amdhsa_float_denorm_mode_32 3
		.amdhsa_float_denorm_mode_16_64 3
		.amdhsa_dx10_clamp 1
		.amdhsa_ieee_mode 1
		.amdhsa_fp16_overflow 0
		.amdhsa_exception_fp_ieee_invalid_op 0
		.amdhsa_exception_fp_denorm_src 0
		.amdhsa_exception_fp_ieee_div_zero 0
		.amdhsa_exception_fp_ieee_overflow 0
		.amdhsa_exception_fp_ieee_underflow 0
		.amdhsa_exception_fp_ieee_inexact 0
		.amdhsa_exception_int_div_zero 0
	.end_amdhsa_kernel
	.section	.text._ZN2at6native29vectorized_elementwise_kernelILi4EZZZNS0_19digamma_kernel_cudaERNS_18TensorIteratorBaseEENKUlvE_clEvENKUlvE1_clEvEUlN3c104HalfEE_St5arrayIPcLm2EEEEviT0_T1_,"axG",@progbits,_ZN2at6native29vectorized_elementwise_kernelILi4EZZZNS0_19digamma_kernel_cudaERNS_18TensorIteratorBaseEENKUlvE_clEvENKUlvE1_clEvEUlN3c104HalfEE_St5arrayIPcLm2EEEEviT0_T1_,comdat
.Lfunc_end24:
	.size	_ZN2at6native29vectorized_elementwise_kernelILi4EZZZNS0_19digamma_kernel_cudaERNS_18TensorIteratorBaseEENKUlvE_clEvENKUlvE1_clEvEUlN3c104HalfEE_St5arrayIPcLm2EEEEviT0_T1_, .Lfunc_end24-_ZN2at6native29vectorized_elementwise_kernelILi4EZZZNS0_19digamma_kernel_cudaERNS_18TensorIteratorBaseEENKUlvE_clEvENKUlvE1_clEvEUlN3c104HalfEE_St5arrayIPcLm2EEEEviT0_T1_
                                        ; -- End function
	.set _ZN2at6native29vectorized_elementwise_kernelILi4EZZZNS0_19digamma_kernel_cudaERNS_18TensorIteratorBaseEENKUlvE_clEvENKUlvE1_clEvEUlN3c104HalfEE_St5arrayIPcLm2EEEEviT0_T1_.num_vgpr, max(45, .L_ZN2at6native25elementwise_kernel_helperILb0EZZZNS0_19digamma_kernel_cudaERNS_18TensorIteratorBaseEENKUlvE_clEvENKUlvE1_clEvEUlN3c104HalfEE_NS0_6memory8policies11unroll_baseILi256ESt5arrayIPcLm2EE23TrivialOffsetCalculatorILi1EjESG_NS9_15LoadWithoutCastENS9_16StoreWithoutCastELi8ELi1EEEEEvT0_T1_.num_vgpr)
	.set _ZN2at6native29vectorized_elementwise_kernelILi4EZZZNS0_19digamma_kernel_cudaERNS_18TensorIteratorBaseEENKUlvE_clEvENKUlvE1_clEvEUlN3c104HalfEE_St5arrayIPcLm2EEEEviT0_T1_.num_agpr, max(0, .L_ZN2at6native25elementwise_kernel_helperILb0EZZZNS0_19digamma_kernel_cudaERNS_18TensorIteratorBaseEENKUlvE_clEvENKUlvE1_clEvEUlN3c104HalfEE_NS0_6memory8policies11unroll_baseILi256ESt5arrayIPcLm2EE23TrivialOffsetCalculatorILi1EjESG_NS9_15LoadWithoutCastENS9_16StoreWithoutCastELi8ELi1EEEEEvT0_T1_.num_agpr)
	.set _ZN2at6native29vectorized_elementwise_kernelILi4EZZZNS0_19digamma_kernel_cudaERNS_18TensorIteratorBaseEENKUlvE_clEvENKUlvE1_clEvEUlN3c104HalfEE_St5arrayIPcLm2EEEEviT0_T1_.numbered_sgpr, max(33, .L_ZN2at6native25elementwise_kernel_helperILb0EZZZNS0_19digamma_kernel_cudaERNS_18TensorIteratorBaseEENKUlvE_clEvENKUlvE1_clEvEUlN3c104HalfEE_NS0_6memory8policies11unroll_baseILi256ESt5arrayIPcLm2EE23TrivialOffsetCalculatorILi1EjESG_NS9_15LoadWithoutCastENS9_16StoreWithoutCastELi8ELi1EEEEEvT0_T1_.numbered_sgpr)
	.set _ZN2at6native29vectorized_elementwise_kernelILi4EZZZNS0_19digamma_kernel_cudaERNS_18TensorIteratorBaseEENKUlvE_clEvENKUlvE1_clEvEUlN3c104HalfEE_St5arrayIPcLm2EEEEviT0_T1_.num_named_barrier, max(0, .L_ZN2at6native25elementwise_kernel_helperILb0EZZZNS0_19digamma_kernel_cudaERNS_18TensorIteratorBaseEENKUlvE_clEvENKUlvE1_clEvEUlN3c104HalfEE_NS0_6memory8policies11unroll_baseILi256ESt5arrayIPcLm2EE23TrivialOffsetCalculatorILi1EjESG_NS9_15LoadWithoutCastENS9_16StoreWithoutCastELi8ELi1EEEEEvT0_T1_.num_named_barrier)
	.set _ZN2at6native29vectorized_elementwise_kernelILi4EZZZNS0_19digamma_kernel_cudaERNS_18TensorIteratorBaseEENKUlvE_clEvENKUlvE1_clEvEUlN3c104HalfEE_St5arrayIPcLm2EEEEviT0_T1_.private_seg_size, 0+max(.L_ZN2at6native25elementwise_kernel_helperILb0EZZZNS0_19digamma_kernel_cudaERNS_18TensorIteratorBaseEENKUlvE_clEvENKUlvE1_clEvEUlN3c104HalfEE_NS0_6memory8policies11unroll_baseILi256ESt5arrayIPcLm2EE23TrivialOffsetCalculatorILi1EjESG_NS9_15LoadWithoutCastENS9_16StoreWithoutCastELi8ELi1EEEEEvT0_T1_.private_seg_size)
	.set _ZN2at6native29vectorized_elementwise_kernelILi4EZZZNS0_19digamma_kernel_cudaERNS_18TensorIteratorBaseEENKUlvE_clEvENKUlvE1_clEvEUlN3c104HalfEE_St5arrayIPcLm2EEEEviT0_T1_.uses_vcc, or(1, .L_ZN2at6native25elementwise_kernel_helperILb0EZZZNS0_19digamma_kernel_cudaERNS_18TensorIteratorBaseEENKUlvE_clEvENKUlvE1_clEvEUlN3c104HalfEE_NS0_6memory8policies11unroll_baseILi256ESt5arrayIPcLm2EE23TrivialOffsetCalculatorILi1EjESG_NS9_15LoadWithoutCastENS9_16StoreWithoutCastELi8ELi1EEEEEvT0_T1_.uses_vcc)
	.set _ZN2at6native29vectorized_elementwise_kernelILi4EZZZNS0_19digamma_kernel_cudaERNS_18TensorIteratorBaseEENKUlvE_clEvENKUlvE1_clEvEUlN3c104HalfEE_St5arrayIPcLm2EEEEviT0_T1_.uses_flat_scratch, or(0, .L_ZN2at6native25elementwise_kernel_helperILb0EZZZNS0_19digamma_kernel_cudaERNS_18TensorIteratorBaseEENKUlvE_clEvENKUlvE1_clEvEUlN3c104HalfEE_NS0_6memory8policies11unroll_baseILi256ESt5arrayIPcLm2EE23TrivialOffsetCalculatorILi1EjESG_NS9_15LoadWithoutCastENS9_16StoreWithoutCastELi8ELi1EEEEEvT0_T1_.uses_flat_scratch)
	.set _ZN2at6native29vectorized_elementwise_kernelILi4EZZZNS0_19digamma_kernel_cudaERNS_18TensorIteratorBaseEENKUlvE_clEvENKUlvE1_clEvEUlN3c104HalfEE_St5arrayIPcLm2EEEEviT0_T1_.has_dyn_sized_stack, or(0, .L_ZN2at6native25elementwise_kernel_helperILb0EZZZNS0_19digamma_kernel_cudaERNS_18TensorIteratorBaseEENKUlvE_clEvENKUlvE1_clEvEUlN3c104HalfEE_NS0_6memory8policies11unroll_baseILi256ESt5arrayIPcLm2EE23TrivialOffsetCalculatorILi1EjESG_NS9_15LoadWithoutCastENS9_16StoreWithoutCastELi8ELi1EEEEEvT0_T1_.has_dyn_sized_stack)
	.set _ZN2at6native29vectorized_elementwise_kernelILi4EZZZNS0_19digamma_kernel_cudaERNS_18TensorIteratorBaseEENKUlvE_clEvENKUlvE1_clEvEUlN3c104HalfEE_St5arrayIPcLm2EEEEviT0_T1_.has_recursion, or(0, .L_ZN2at6native25elementwise_kernel_helperILb0EZZZNS0_19digamma_kernel_cudaERNS_18TensorIteratorBaseEENKUlvE_clEvENKUlvE1_clEvEUlN3c104HalfEE_NS0_6memory8policies11unroll_baseILi256ESt5arrayIPcLm2EE23TrivialOffsetCalculatorILi1EjESG_NS9_15LoadWithoutCastENS9_16StoreWithoutCastELi8ELi1EEEEEvT0_T1_.has_recursion)
	.set _ZN2at6native29vectorized_elementwise_kernelILi4EZZZNS0_19digamma_kernel_cudaERNS_18TensorIteratorBaseEENKUlvE_clEvENKUlvE1_clEvEUlN3c104HalfEE_St5arrayIPcLm2EEEEviT0_T1_.has_indirect_call, or(0, .L_ZN2at6native25elementwise_kernel_helperILb0EZZZNS0_19digamma_kernel_cudaERNS_18TensorIteratorBaseEENKUlvE_clEvENKUlvE1_clEvEUlN3c104HalfEE_NS0_6memory8policies11unroll_baseILi256ESt5arrayIPcLm2EE23TrivialOffsetCalculatorILi1EjESG_NS9_15LoadWithoutCastENS9_16StoreWithoutCastELi8ELi1EEEEEvT0_T1_.has_indirect_call)
	.section	.AMDGPU.csdata,"",@progbits
; Kernel info:
; codeLenInByte = 19584
; TotalNumSgprs: 37
; NumVgprs: 66
; ScratchSize: 0
; MemoryBound: 0
; FloatMode: 240
; IeeeMode: 1
; LDSByteSize: 0 bytes/workgroup (compile time only)
; SGPRBlocks: 4
; VGPRBlocks: 16
; NumSGPRsForWavesPerEU: 37
; NumVGPRsForWavesPerEU: 66
; Occupancy: 3
; WaveLimiterHint : 1
; COMPUTE_PGM_RSRC2:SCRATCH_EN: 0
; COMPUTE_PGM_RSRC2:USER_SGPR: 6
; COMPUTE_PGM_RSRC2:TRAP_HANDLER: 0
; COMPUTE_PGM_RSRC2:TGID_X_EN: 1
; COMPUTE_PGM_RSRC2:TGID_Y_EN: 0
; COMPUTE_PGM_RSRC2:TGID_Z_EN: 0
; COMPUTE_PGM_RSRC2:TIDIG_COMP_CNT: 0
	.section	.text._ZN2at6native29vectorized_elementwise_kernelILi2EZZZNS0_19digamma_kernel_cudaERNS_18TensorIteratorBaseEENKUlvE_clEvENKUlvE1_clEvEUlN3c104HalfEE_St5arrayIPcLm2EEEEviT0_T1_,"axG",@progbits,_ZN2at6native29vectorized_elementwise_kernelILi2EZZZNS0_19digamma_kernel_cudaERNS_18TensorIteratorBaseEENKUlvE_clEvENKUlvE1_clEvEUlN3c104HalfEE_St5arrayIPcLm2EEEEviT0_T1_,comdat
	.globl	_ZN2at6native29vectorized_elementwise_kernelILi2EZZZNS0_19digamma_kernel_cudaERNS_18TensorIteratorBaseEENKUlvE_clEvENKUlvE1_clEvEUlN3c104HalfEE_St5arrayIPcLm2EEEEviT0_T1_ ; -- Begin function _ZN2at6native29vectorized_elementwise_kernelILi2EZZZNS0_19digamma_kernel_cudaERNS_18TensorIteratorBaseEENKUlvE_clEvENKUlvE1_clEvEUlN3c104HalfEE_St5arrayIPcLm2EEEEviT0_T1_
	.p2align	8
	.type	_ZN2at6native29vectorized_elementwise_kernelILi2EZZZNS0_19digamma_kernel_cudaERNS_18TensorIteratorBaseEENKUlvE_clEvENKUlvE1_clEvEUlN3c104HalfEE_St5arrayIPcLm2EEEEviT0_T1_,@function
_ZN2at6native29vectorized_elementwise_kernelILi2EZZZNS0_19digamma_kernel_cudaERNS_18TensorIteratorBaseEENKUlvE_clEvENKUlvE1_clEvEUlN3c104HalfEE_St5arrayIPcLm2EEEEviT0_T1_: ; @_ZN2at6native29vectorized_elementwise_kernelILi2EZZZNS0_19digamma_kernel_cudaERNS_18TensorIteratorBaseEENKUlvE_clEvENKUlvE1_clEvEUlN3c104HalfEE_St5arrayIPcLm2EEEEviT0_T1_
; %bb.0:
	s_add_u32 s0, s0, s7
	s_load_dword s7, s[4:5], 0x0
	s_load_dwordx4 s[8:11], s[4:5], 0x8
	s_addc_u32 s1, s1, 0
	s_lshl_b32 s4, s6, 11
	s_mov_b64 s[12:13], -1
	s_waitcnt lgkmcnt(0)
	s_sub_i32 s7, s7, s4
	s_cmpk_gt_i32 s7, 0x7ff
	s_mov_b32 s32, 0
	s_cbranch_scc1 .LBB25_3
; %bb.1:
	s_and_b64 vcc, exec, s[12:13]
	s_cbranch_vccnz .LBB25_196
.LBB25_2:
	s_endpgm
.LBB25_3:
	s_ashr_i32 s5, s4, 31
	s_lshl_b64 s[12:13], s[4:5], 1
	s_add_u32 s4, s10, s12
	s_addc_u32 s5, s11, s13
	v_lshlrev_b32_e32 v7, 2, v0
	global_load_dword v11, v7, s[4:5]
	global_load_dword v14, v7, s[4:5] offset:1024
	global_load_dword v12, v7, s[4:5] offset:2048
	;; [unrolled: 1-line block ×3, first 2 shown]
	v_mov_b32_e32 v1, 0
                                        ; implicit-def: $vgpr8
	s_waitcnt vmcnt(3)
	v_cvt_f32_f16_e32 v10, v11
	v_cmp_neq_f16_e32 vcc, 0, v11
	s_and_saveexec_b64 s[4:5], vcc
	s_xor_b64 s[14:15], exec, s[4:5]
	s_cbranch_execz .LBB25_25
; %bb.4:
	v_cmp_gt_f16_e32 vcc, 0, v11
	s_mov_b64 s[4:5], -1
	s_and_saveexec_b64 s[16:17], vcc
	s_cbranch_execz .LBB25_12
; %bb.5:
	v_trunc_f32_e32 v1, v10
	v_cmp_neq_f32_e32 vcc, v1, v10
	s_mov_b64 s[20:21], 0
	v_mov_b32_e32 v1, 0
	s_and_saveexec_b64 s[18:19], vcc
	s_cbranch_execz .LBB25_11
; %bb.6:
	v_cvt_f32_f16_e32 v1, v11
	s_mov_b32 s4, 0
	s_mov_b32 s21, 0xc00921fb
	;; [unrolled: 1-line block ×3, first 2 shown]
	v_cvt_f64_f32_e32 v[1:2], v1
	s_mov_b32 s5, 0x7ff00000
	v_bfrev_b32_e32 v5, 1
	s_mov_b32 s22, 0
	v_trunc_f64_e32 v[3:4], v[1:2]
	v_cmp_neq_f64_e64 vcc, |v[1:2]|, s[4:5]
	s_mov_b32 s23, 0x41d00000
                                        ; implicit-def: $vgpr8
	v_add_f64 v[3:4], v[1:2], -v[3:4]
	v_mul_f64 v[3:4], |v[3:4]|, s[20:21]
	v_cndmask_b32_e32 v2, v5, v4, vcc
	v_cndmask_b32_e32 v1, 0, v3, vcc
	v_cmp_nlt_f64_e64 s[22:23], |v[1:2]|, s[22:23]
                                        ; implicit-def: $vgpr3_vgpr4
                                        ; implicit-def: $vgpr5_vgpr6
	s_and_saveexec_b64 s[24:25], s[22:23]
	s_xor_b64 s[22:23], exec, s[24:25]
	s_cbranch_execz .LBB25_8
; %bb.7:
	v_trig_preop_f64 v[3:4], |v[1:2]|, 0
	s_mov_b32 s24, 0
	s_mov_b32 s25, 0x7b000000
	s_movk_i32 s21, 0xff80
	v_ldexp_f64 v[15:16], |v[1:2]|, s21
	v_cmp_ge_f64_e64 vcc, |v[1:2]|, s[24:25]
	v_trig_preop_f64 v[5:6], |v[1:2]|, 1
	v_and_b32_e32 v8, 0x7fffffff, v2
	v_trig_preop_f64 v[23:24], |v[1:2]|, 2
	v_mov_b32_e32 v33, 0
	v_mov_b32_e32 v13, 0x3ff00000
	s_mov_b32 s21, 0x3ff921fb
	v_cndmask_b32_e32 v16, v8, v16, vcc
	v_cndmask_b32_e32 v15, v1, v15, vcc
	v_mov_b32_e32 v8, 0x40100000
	v_mul_f64 v[17:18], v[3:4], v[15:16]
	v_mul_f64 v[19:20], v[5:6], v[15:16]
	v_mul_f64 v[29:30], v[23:24], v[15:16]
	v_fma_f64 v[3:4], v[3:4], v[15:16], -v[17:18]
	v_fma_f64 v[5:6], v[5:6], v[15:16], -v[19:20]
	;; [unrolled: 1-line block ×3, first 2 shown]
	v_add_f64 v[21:22], v[19:20], v[3:4]
	v_add_f64 v[25:26], v[21:22], -v[19:20]
	v_add_f64 v[31:32], v[17:18], v[21:22]
	v_add_f64 v[27:28], v[21:22], -v[25:26]
	v_add_f64 v[3:4], v[3:4], -v[25:26]
	v_add_f64 v[25:26], v[29:30], v[5:6]
	v_add_f64 v[17:18], v[31:32], -v[17:18]
	v_add_f64 v[19:20], v[19:20], -v[27:28]
	v_ldexp_f64 v[27:28], v[31:32], -2
	v_add_f64 v[35:36], v[25:26], -v[29:30]
	v_add_f64 v[17:18], v[21:22], -v[17:18]
	v_add_f64 v[3:4], v[3:4], v[19:20]
	v_fract_f64_e32 v[19:20], v[27:28]
	v_cmp_neq_f64_e64 vcc, |v[27:28]|, s[4:5]
	v_add_f64 v[5:6], v[5:6], -v[35:36]
	v_add_f64 v[21:22], v[25:26], v[3:4]
	v_ldexp_f64 v[19:20], v[19:20], 2
	v_add_f64 v[27:28], v[17:18], v[21:22]
	v_cndmask_b32_e32 v20, 0, v20, vcc
	v_cndmask_b32_e32 v19, 0, v19, vcc
	v_add_f64 v[37:38], v[21:22], -v[25:26]
	v_add_f64 v[31:32], v[27:28], v[19:20]
	v_add_f64 v[17:18], v[27:28], -v[17:18]
	v_add_f64 v[39:40], v[21:22], -v[37:38]
	;; [unrolled: 1-line block ×3, first 2 shown]
	v_cmp_gt_f64_e32 vcc, 0, v[31:32]
	v_add_f64 v[31:32], v[25:26], -v[35:36]
	v_add_f64 v[17:18], v[21:22], -v[17:18]
	;; [unrolled: 1-line block ×3, first 2 shown]
	v_cndmask_b32_e32 v34, 0, v8, vcc
	v_add_f64 v[19:20], v[19:20], v[33:34]
	v_add_f64 v[31:32], v[29:30], -v[31:32]
	v_add_f64 v[3:4], v[3:4], v[25:26]
	v_add_f64 v[41:42], v[27:28], v[19:20]
	;; [unrolled: 1-line block ×3, first 2 shown]
	v_cvt_i32_f64_e32 v8, v[41:42]
	v_add_f64 v[3:4], v[5:6], v[3:4]
	v_cvt_f64_i32_e32 v[34:35], v8
	v_add_f64 v[19:20], v[19:20], -v[34:35]
	v_add_f64 v[3:4], v[15:16], v[3:4]
	v_add_f64 v[5:6], v[27:28], v[19:20]
	;; [unrolled: 1-line block ×3, first 2 shown]
	v_add_f64 v[15:16], v[5:6], -v[19:20]
	v_cmp_le_f64_e32 vcc, 0.5, v[5:6]
	v_add_f64 v[15:16], v[27:28], -v[15:16]
	v_cndmask_b32_e32 v34, 0, v13, vcc
	v_add_f64 v[5:6], v[5:6], -v[33:34]
	v_addc_co_u32_e64 v8, s[4:5], 0, v8, vcc
	s_mov_b32 s4, 0x33145c07
	s_mov_b32 s5, 0x3c91a626
	v_add_f64 v[3:4], v[3:4], v[15:16]
	v_add_f64 v[15:16], v[5:6], v[3:4]
	v_mul_f64 v[17:18], v[15:16], s[20:21]
	v_add_f64 v[5:6], v[15:16], -v[5:6]
	v_fma_f64 v[19:20], v[15:16], s[20:21], -v[17:18]
	v_add_f64 v[3:4], v[3:4], -v[5:6]
	v_fma_f64 v[5:6], v[15:16], s[4:5], v[19:20]
	v_fma_f64 v[5:6], v[3:4], s[20:21], v[5:6]
	v_add_f64 v[3:4], v[17:18], v[5:6]
	v_add_f64 v[15:16], v[3:4], -v[17:18]
	v_add_f64 v[5:6], v[5:6], -v[15:16]
.LBB25_8:
	s_andn2_saveexec_b64 s[4:5], s[22:23]
	s_cbranch_execz .LBB25_10
; %bb.9:
	s_mov_b32 s20, 0x6dc9c883
	s_mov_b32 s21, 0x3fe45f30
	v_mul_f64 v[3:4], |v[1:2]|, s[20:21]
	s_mov_b32 s20, 0x54442d18
	s_mov_b32 s21, 0xbff921fb
	;; [unrolled: 1-line block ×4, first 2 shown]
	v_rndne_f64_e32 v[15:16], v[3:4]
	v_fma_f64 v[3:4], v[15:16], s[20:21], |v[1:2]|
	v_mul_f64 v[5:6], v[15:16], s[22:23]
	s_mov_b32 s20, 0x252049c0
	s_mov_b32 s21, 0xb97b839a
	v_cvt_i32_f64_e32 v8, v[15:16]
	v_fma_f64 v[21:22], v[15:16], s[22:23], v[3:4]
	v_add_f64 v[17:18], v[3:4], v[5:6]
	s_mov_b32 s23, 0x3c91a626
	v_add_f64 v[19:20], v[3:4], -v[17:18]
	v_add_f64 v[17:18], v[17:18], -v[21:22]
	v_add_f64 v[3:4], v[19:20], v[5:6]
	v_fma_f64 v[5:6], v[15:16], s[22:23], v[5:6]
	v_add_f64 v[3:4], v[17:18], v[3:4]
	v_add_f64 v[3:4], v[3:4], -v[5:6]
	v_fma_f64 v[5:6], v[15:16], s[20:21], v[3:4]
	v_add_f64 v[3:4], v[21:22], v[5:6]
	v_add_f64 v[17:18], v[3:4], -v[21:22]
	v_add_f64 v[5:6], v[5:6], -v[17:18]
.LBB25_10:
	s_or_b64 exec, exec, s[4:5]
	v_mul_f64 v[15:16], v[3:4], v[3:4]
	v_add_f64 v[17:18], v[5:6], v[5:6]
	s_mov_b32 s4, 0xc751c08c
	s_mov_b32 s5, 0x3ef5e089
	v_and_b32_e32 v8, 1, v8
	v_cmp_eq_u32_e32 vcc, 0, v8
	v_and_b32_e32 v13, 0x80000000, v2
	s_mov_b32 s22, 0x54442d18
	v_fma_f64 v[19:20], v[3:4], v[3:4], -v[15:16]
	s_mov_b32 s23, 0xc00921fb
	s_mov_b64 s[20:21], exec
	v_sub_f32_e32 v10, 1.0, v10
	v_fma_f64 v[17:18], v[3:4], v[17:18], v[19:20]
	v_add_f64 v[15:16], v[15:16], v[17:18]
	v_mov_b32_e32 v17, 0xa9a29f71
	v_mov_b32_e32 v18, 0xbf078809
	v_fma_f64 v[17:18], v[15:16], s[4:5], v[17:18]
	s_mov_b32 s4, 0x90a8aae0
	s_mov_b32 s5, 0x3f17746f
	v_fma_f64 v[17:18], v[15:16], v[17:18], s[4:5]
	s_mov_b32 s4, 0xa6fbf144
	s_mov_b32 s5, 0xbefbb44d
	v_fma_f64 v[17:18], v[15:16], v[17:18], s[4:5]
	s_mov_b32 s4, 0xa7943acf
	s_mov_b32 s5, 0x3f21e634
	v_fma_f64 v[17:18], v[15:16], v[17:18], s[4:5]
	s_mov_b32 s4, 0xdeb68feb
	s_mov_b32 s5, 0x3f2d250f
	v_fma_f64 v[17:18], v[15:16], v[17:18], s[4:5]
	s_mov_b32 s4, 0xb58c4d95
	s_mov_b32 s5, 0x3f437fd9
	v_fma_f64 v[17:18], v[15:16], v[17:18], s[4:5]
	s_mov_b32 s4, 0x15120e2c
	s_mov_b32 s5, 0x3f57d5af
	v_fma_f64 v[17:18], v[15:16], v[17:18], s[4:5]
	s_mov_b32 s4, 0xe09491df
	s_mov_b32 s5, 0x3f6d6d93
	v_fma_f64 v[17:18], v[15:16], v[17:18], s[4:5]
	s_mov_b32 s4, 0x2033784d
	s_mov_b32 s5, 0x3f8226e1
	v_fma_f64 v[17:18], v[15:16], v[17:18], s[4:5]
	s_mov_b32 s4, 0x9ac36ae2
	s_mov_b32 s5, 0x3f9664f4
	v_fma_f64 v[17:18], v[15:16], v[17:18], s[4:5]
	s_mov_b32 s4, 0x1b451c21
	s_mov_b32 s5, 0x3faba1ba
	v_fma_f64 v[17:18], v[15:16], v[17:18], s[4:5]
	s_mov_b32 s4, 0x111185b7
	s_mov_b32 s5, 0x3fc11111
	v_fma_f64 v[17:18], v[15:16], v[17:18], s[4:5]
	s_mov_b32 s4, 0x555554ee
	s_mov_b32 s5, 0x3fd55555
	v_fma_f64 v[17:18], v[15:16], v[17:18], s[4:5]
	s_movk_i32 s4, 0x1f8
	v_cmp_class_f64_e64 s[4:5], v[1:2], s4
	v_mov_b32_e32 v2, 0x7ff80000
	v_mul_f64 v[15:16], v[15:16], v[17:18]
	v_mul_f64 v[17:18], v[3:4], v[15:16]
	v_add_f64 v[19:20], v[3:4], v[17:18]
	v_fma_f64 v[15:16], v[3:4], v[15:16], -v[17:18]
	v_add_f64 v[3:4], v[19:20], -v[3:4]
	v_add_f64 v[5:6], v[5:6], v[15:16]
	v_add_f64 v[3:4], v[17:18], -v[3:4]
	v_add_f64 v[3:4], v[5:6], v[3:4]
	v_add_f64 v[5:6], v[19:20], v[3:4]
	v_rcp_f64_e32 v[15:16], v[5:6]
	v_fma_f64 v[17:18], -v[5:6], v[15:16], 1.0
	v_fma_f64 v[15:16], v[17:18], v[15:16], v[15:16]
	v_fma_f64 v[17:18], -v[5:6], v[15:16], 1.0
	v_fma_f64 v[15:16], v[17:18], v[15:16], v[15:16]
	v_add_f64 v[17:18], v[5:6], -v[19:20]
	v_mul_f64 v[19:20], v[5:6], v[15:16]
	v_add_f64 v[3:4], v[3:4], -v[17:18]
	v_fma_f64 v[17:18], v[15:16], v[5:6], -v[19:20]
	v_fma_f64 v[3:4], v[15:16], v[3:4], v[17:18]
	v_add_f64 v[17:18], v[19:20], v[3:4]
	v_add_f64 v[21:22], -v[17:18], 1.0
	v_add_f64 v[19:20], v[17:18], -v[19:20]
	v_add_f64 v[23:24], -v[21:22], 1.0
	v_add_f64 v[3:4], v[19:20], -v[3:4]
	v_add_f64 v[17:18], v[23:24], -v[17:18]
	v_add_f64 v[3:4], v[3:4], v[17:18]
	v_add_f64 v[3:4], v[21:22], v[3:4]
	v_mul_f64 v[3:4], v[15:16], v[3:4]
	v_add_f64 v[3:4], v[15:16], v[3:4]
	v_xor_b32_e32 v1, 0x80000000, v4
	v_cndmask_b32_e32 v3, v3, v5, vcc
	v_cndmask_b32_e32 v4, v1, v6, vcc
	v_cndmask_b32_e64 v1, 0, v3, s[4:5]
	v_xor_b32_e32 v3, v4, v13
	v_cndmask_b32_e64 v2, v2, v3, s[4:5]
	v_div_scale_f64 v[3:4], s[4:5], v[1:2], v[1:2], s[22:23]
	v_div_scale_f64 v[17:18], vcc, s[22:23], v[1:2], s[22:23]
	v_rcp_f64_e32 v[5:6], v[3:4]
	v_fma_f64 v[15:16], -v[3:4], v[5:6], 1.0
	v_fma_f64 v[5:6], v[5:6], v[15:16], v[5:6]
	v_fma_f64 v[15:16], -v[3:4], v[5:6], 1.0
	v_fma_f64 v[5:6], v[5:6], v[15:16], v[5:6]
	v_mul_f64 v[15:16], v[17:18], v[5:6]
	v_fma_f64 v[3:4], -v[3:4], v[15:16], v[17:18]
	v_div_fmas_f64 v[3:4], v[3:4], v[5:6], v[15:16]
	v_div_fixup_f64 v[1:2], v[3:4], v[1:2], s[22:23]
	v_cvt_f32_f64_e32 v1, v[1:2]
.LBB25_11:
	s_or_b64 exec, exec, s[18:19]
	s_orn2_b64 s[4:5], s[20:21], exec
.LBB25_12:
	s_or_b64 exec, exec, s[16:17]
	v_mov_b32_e32 v8, 0x7e00
	s_and_saveexec_b64 s[16:17], s[4:5]
	s_cbranch_execz .LBB25_24
; %bb.13:
	s_mov_b32 s20, 0x41200000
	v_cmp_gt_f32_e32 vcc, s20, v10
	s_and_saveexec_b64 s[4:5], vcc
	s_cbranch_execz .LBB25_17
; %bb.14:
	s_mov_b64 s[18:19], 0
.LBB25_15:                              ; =>This Inner Loop Header: Depth=1
	v_div_scale_f32 v2, s[22:23], v10, v10, 1.0
	v_div_scale_f32 v3, vcc, 1.0, v10, 1.0
	v_rcp_f32_e32 v4, v2
	v_fma_f32 v5, -v2, v4, 1.0
	v_fmac_f32_e32 v4, v5, v4
	v_mul_f32_e32 v5, v3, v4
	v_fma_f32 v6, -v2, v5, v3
	v_fmac_f32_e32 v5, v6, v4
	v_fma_f32 v2, -v2, v5, v3
	v_div_fmas_f32 v2, v2, v4, v5
	v_div_fixup_f32 v2, v2, v10, 1.0
	v_add_f32_e32 v10, 1.0, v10
	v_cmp_ngt_f32_e32 vcc, s20, v10
	s_or_b64 s[18:19], vcc, s[18:19]
	v_sub_f32_e32 v1, v1, v2
	s_andn2_b64 exec, exec, s[18:19]
	s_cbranch_execnz .LBB25_15
; %bb.16:
	s_or_b64 exec, exec, s[18:19]
.LBB25_17:
	s_or_b64 exec, exec, s[4:5]
	s_mov_b32 s4, 0x41200000
	v_cmp_neq_f32_e32 vcc, s4, v10
                                        ; implicit-def: $vgpr8
	s_and_saveexec_b64 s[4:5], vcc
	s_xor_b64 s[18:19], exec, s[4:5]
	s_cbranch_execz .LBB25_21
; %bb.18:
	v_cvt_f64_f32_e32 v[2:3], v10
	s_mov_b32 s4, 0x85d8a000
	s_mov_b32 s5, 0x43763457
	v_cmp_gt_f64_e32 vcc, s[4:5], v[2:3]
	v_mov_b32_e32 v2, 0
	s_and_saveexec_b64 s[4:5], vcc
	s_cbranch_execz .LBB25_20
; %bb.19:
	v_mul_f32_e32 v2, v10, v10
	v_div_scale_f32 v3, s[20:21], v2, v2, 1.0
	v_div_scale_f32 v4, vcc, 1.0, v2, 1.0
	v_mov_b32_e32 v13, 0x3b820821
	v_rcp_f32_e32 v5, v3
	v_fma_f32 v6, -v3, v5, 1.0
	v_fmac_f32_e32 v5, v6, v5
	v_mul_f32_e32 v6, v4, v5
	v_fma_f32 v8, -v3, v6, v4
	v_fmac_f32_e32 v6, v8, v5
	v_fma_f32 v3, -v3, v6, v4
	v_div_fmas_f32 v3, v3, v5, v6
	v_mov_b32_e32 v4, 0x3daaaaab
	v_mov_b32_e32 v5, 0xbcaccacd
	;; [unrolled: 1-line block ×4, first 2 shown]
	v_div_fixup_f32 v2, v3, v2, 1.0
	v_fma_f32 v3, 0, v2, v4
	v_fmac_f32_e32 v5, v2, v3
	v_fmac_f32_e32 v6, v2, v5
	;; [unrolled: 1-line block ×4, first 2 shown]
	v_mov_b32_e32 v3, 0xbc088889
	v_fmac_f32_e32 v3, v2, v13
	v_fmac_f32_e32 v4, v2, v3
	v_mul_f32_e32 v2, v2, v4
.LBB25_20:
	s_or_b64 exec, exec, s[4:5]
	v_div_scale_f32 v3, s[4:5], v10, v10, -0.5
	v_div_scale_f32 v4, vcc, -0.5, v10, -0.5
	s_mov_b32 s4, 0x800000
	v_cmp_gt_f32_e64 s[4:5], s4, v10
	v_cndmask_b32_e64 v6, 0, 32, s[4:5]
	s_mov_b32 s20, 0x3f317217
	v_rcp_f32_e32 v5, v3
	v_fma_f32 v8, -v3, v5, 1.0
	v_fmac_f32_e32 v5, v8, v5
	v_mul_f32_e32 v8, v4, v5
	v_fma_f32 v13, -v3, v8, v4
	v_fmac_f32_e32 v8, v13, v5
	v_fma_f32 v3, -v3, v8, v4
	v_div_fmas_f32 v3, v3, v5, v8
	v_ldexp_f32 v4, v10, v6
	v_log_f32_e32 v4, v4
	v_mul_f32_e32 v5, 0x3f317217, v4
	v_fma_f32 v5, v4, s20, -v5
	v_fmac_f32_e32 v5, 0x3377d1cf, v4
	s_mov_b32 s20, 0x7f800000
	v_fmac_f32_e32 v5, 0x3f317217, v4
	v_cmp_lt_f32_e64 vcc, |v4|, s20
	v_cndmask_b32_e32 v4, v4, v5, vcc
	v_mov_b32_e32 v5, 0x41b17218
	v_cndmask_b32_e64 v5, 0, v5, s[4:5]
	v_sub_f32_e32 v4, v4, v5
	v_div_fixup_f32 v3, v3, v10, -0.5
	v_add_f32_e32 v3, v4, v3
	v_sub_f32_e32 v2, v3, v2
	v_add_f32_e32 v1, v1, v2
	v_cvt_f16_f32_e32 v8, v1
                                        ; implicit-def: $vgpr1
.LBB25_21:
	s_andn2_saveexec_b64 s[4:5], s[18:19]
; %bb.22:
	v_add_f32_e32 v1, 0x40101cb7, v1
	v_cvt_f16_f32_e32 v8, v1
; %bb.23:
	s_or_b64 exec, exec, s[4:5]
.LBB25_24:
	s_or_b64 exec, exec, s[16:17]
                                        ; implicit-def: $vgpr10
.LBB25_25:
	s_andn2_saveexec_b64 s[4:5], s[14:15]
; %bb.26:
	v_xor_b32_e32 v1, 0x80000000, v10
	s_movk_i32 s14, 0x8000
	v_and_b32_sdwa v1, v1, s14 dst_sel:DWORD dst_unused:UNUSED_PAD src0_sel:WORD_1 src1_sel:DWORD
	v_or_b32_e32 v8, 0x7c00, v1
; %bb.27:
	s_or_b64 exec, exec, s[4:5]
	v_cvt_f32_f16_sdwa v13, v11 dst_sel:DWORD dst_unused:UNUSED_PAD src0_sel:WORD_1
	v_mov_b32_e32 v1, 0
	v_cmp_neq_f16_sdwa s[4:5], v11, v1 src0_sel:WORD_1 src1_sel:DWORD
                                        ; implicit-def: $vgpr10
	s_and_saveexec_b64 s[14:15], s[4:5]
	s_xor_b64 s[14:15], exec, s[14:15]
	s_cbranch_execz .LBB25_49
; %bb.28:
	v_cmp_lt_f16_sdwa s[18:19], v11, v1 src0_sel:WORD_1 src1_sel:DWORD
	s_mov_b64 s[4:5], -1
	s_and_saveexec_b64 s[16:17], s[18:19]
	s_cbranch_execz .LBB25_36
; %bb.29:
	v_trunc_f32_e32 v1, v13
	v_cmp_neq_f32_e32 vcc, v1, v13
	s_mov_b64 s[20:21], 0
	v_mov_b32_e32 v1, 0
	s_and_saveexec_b64 s[18:19], vcc
	s_cbranch_execz .LBB25_35
; %bb.30:
	v_cvt_f32_f16_sdwa v1, v11 dst_sel:DWORD dst_unused:UNUSED_PAD src0_sel:WORD_1
	s_mov_b32 s4, 0
	s_mov_b32 s21, 0xc00921fb
	;; [unrolled: 1-line block ×3, first 2 shown]
	v_cvt_f64_f32_e32 v[1:2], v1
	s_mov_b32 s5, 0x7ff00000
	v_bfrev_b32_e32 v5, 1
	s_mov_b32 s22, 0
	v_trunc_f64_e32 v[3:4], v[1:2]
	v_cmp_neq_f64_e64 vcc, |v[1:2]|, s[4:5]
	s_mov_b32 s23, 0x41d00000
                                        ; implicit-def: $vgpr10
	v_add_f64 v[3:4], v[1:2], -v[3:4]
	v_mul_f64 v[3:4], |v[3:4]|, s[20:21]
	v_cndmask_b32_e32 v2, v5, v4, vcc
	v_cndmask_b32_e32 v1, 0, v3, vcc
	v_cmp_nlt_f64_e64 s[22:23], |v[1:2]|, s[22:23]
                                        ; implicit-def: $vgpr3_vgpr4
                                        ; implicit-def: $vgpr5_vgpr6
	s_and_saveexec_b64 s[24:25], s[22:23]
	s_xor_b64 s[22:23], exec, s[24:25]
	s_cbranch_execz .LBB25_32
; %bb.31:
	v_trig_preop_f64 v[3:4], |v[1:2]|, 0
	s_mov_b32 s24, 0
	s_mov_b32 s25, 0x7b000000
	s_movk_i32 s21, 0xff80
	v_ldexp_f64 v[10:11], |v[1:2]|, s21
	v_cmp_ge_f64_e64 vcc, |v[1:2]|, s[24:25]
	v_trig_preop_f64 v[5:6], |v[1:2]|, 1
	v_and_b32_e32 v15, 0x7fffffff, v2
	v_trig_preop_f64 v[21:22], |v[1:2]|, 2
	v_mov_b32_e32 v32, 0x40100000
	v_mov_b32_e32 v31, 0
	s_mov_b32 s21, 0x3ff921fb
	v_cndmask_b32_e32 v11, v15, v11, vcc
	v_cndmask_b32_e32 v10, v1, v10, vcc
	v_mul_f64 v[15:16], v[3:4], v[10:11]
	v_mul_f64 v[17:18], v[5:6], v[10:11]
	;; [unrolled: 1-line block ×3, first 2 shown]
	v_fma_f64 v[3:4], v[3:4], v[10:11], -v[15:16]
	v_fma_f64 v[5:6], v[5:6], v[10:11], -v[17:18]
	;; [unrolled: 1-line block ×3, first 2 shown]
	v_add_f64 v[19:20], v[17:18], v[3:4]
	v_add_f64 v[23:24], v[19:20], -v[17:18]
	v_add_f64 v[29:30], v[15:16], v[19:20]
	v_add_f64 v[25:26], v[19:20], -v[23:24]
	v_add_f64 v[3:4], v[3:4], -v[23:24]
	v_add_f64 v[23:24], v[27:28], v[5:6]
	v_add_f64 v[15:16], v[29:30], -v[15:16]
	v_add_f64 v[17:18], v[17:18], -v[25:26]
	v_ldexp_f64 v[25:26], v[29:30], -2
	v_add_f64 v[33:34], v[23:24], -v[27:28]
	v_add_f64 v[15:16], v[19:20], -v[15:16]
	v_add_f64 v[3:4], v[3:4], v[17:18]
	v_fract_f64_e32 v[17:18], v[25:26]
	v_cmp_neq_f64_e64 vcc, |v[25:26]|, s[4:5]
	v_add_f64 v[5:6], v[5:6], -v[33:34]
	v_add_f64 v[19:20], v[23:24], v[3:4]
	v_ldexp_f64 v[17:18], v[17:18], 2
	v_add_f64 v[25:26], v[15:16], v[19:20]
	v_cndmask_b32_e32 v18, 0, v18, vcc
	v_cndmask_b32_e32 v17, 0, v17, vcc
	v_add_f64 v[35:36], v[19:20], -v[23:24]
	v_add_f64 v[29:30], v[25:26], v[17:18]
	v_add_f64 v[15:16], v[25:26], -v[15:16]
	v_add_f64 v[37:38], v[19:20], -v[35:36]
	;; [unrolled: 1-line block ×3, first 2 shown]
	v_cmp_gt_f64_e32 vcc, 0, v[29:30]
	v_add_f64 v[29:30], v[23:24], -v[33:34]
	v_add_f64 v[15:16], v[19:20], -v[15:16]
	;; [unrolled: 1-line block ×3, first 2 shown]
	v_cndmask_b32_e32 v32, 0, v32, vcc
	v_add_f64 v[17:18], v[17:18], v[31:32]
	v_add_f64 v[29:30], v[27:28], -v[29:30]
	v_add_f64 v[3:4], v[3:4], v[23:24]
	v_add_f64 v[39:40], v[25:26], v[17:18]
	;; [unrolled: 1-line block ×3, first 2 shown]
	v_cvt_i32_f64_e32 v34, v[39:40]
	v_add_f64 v[3:4], v[5:6], v[3:4]
	v_cvt_f64_i32_e32 v[32:33], v34
	v_add_f64 v[17:18], v[17:18], -v[32:33]
	v_add_f64 v[3:4], v[10:11], v[3:4]
	v_add_f64 v[5:6], v[25:26], v[17:18]
	;; [unrolled: 1-line block ×3, first 2 shown]
	v_add_f64 v[10:11], v[5:6], -v[17:18]
	v_cmp_le_f64_e32 vcc, 0.5, v[5:6]
	v_add_f64 v[15:16], v[25:26], -v[10:11]
	v_mov_b32_e32 v11, 0x3ff00000
	v_cndmask_b32_e32 v32, 0, v11, vcc
	v_add_f64 v[5:6], v[5:6], -v[31:32]
	v_addc_co_u32_e64 v10, s[4:5], 0, v34, vcc
	s_mov_b32 s4, 0x33145c07
	s_mov_b32 s5, 0x3c91a626
	v_add_f64 v[3:4], v[3:4], v[15:16]
	v_add_f64 v[15:16], v[5:6], v[3:4]
	v_mul_f64 v[17:18], v[15:16], s[20:21]
	v_add_f64 v[5:6], v[15:16], -v[5:6]
	v_fma_f64 v[19:20], v[15:16], s[20:21], -v[17:18]
	v_add_f64 v[3:4], v[3:4], -v[5:6]
	v_fma_f64 v[5:6], v[15:16], s[4:5], v[19:20]
	v_fma_f64 v[5:6], v[3:4], s[20:21], v[5:6]
	v_add_f64 v[3:4], v[17:18], v[5:6]
	v_add_f64 v[15:16], v[3:4], -v[17:18]
	v_add_f64 v[5:6], v[5:6], -v[15:16]
.LBB25_32:
	s_andn2_saveexec_b64 s[4:5], s[22:23]
	s_cbranch_execz .LBB25_34
; %bb.33:
	s_mov_b32 s20, 0x6dc9c883
	s_mov_b32 s21, 0x3fe45f30
	v_mul_f64 v[3:4], |v[1:2]|, s[20:21]
	s_mov_b32 s20, 0x54442d18
	s_mov_b32 s21, 0xbff921fb
	;; [unrolled: 1-line block ×4, first 2 shown]
	v_rndne_f64_e32 v[10:11], v[3:4]
	v_fma_f64 v[3:4], v[10:11], s[20:21], |v[1:2]|
	v_mul_f64 v[5:6], v[10:11], s[22:23]
	s_mov_b32 s20, 0x252049c0
	s_mov_b32 s21, 0xb97b839a
	v_fma_f64 v[19:20], v[10:11], s[22:23], v[3:4]
	v_add_f64 v[15:16], v[3:4], v[5:6]
	s_mov_b32 s23, 0x3c91a626
	v_add_f64 v[17:18], v[3:4], -v[15:16]
	v_add_f64 v[15:16], v[15:16], -v[19:20]
	v_add_f64 v[3:4], v[17:18], v[5:6]
	v_fma_f64 v[5:6], v[10:11], s[22:23], v[5:6]
	v_add_f64 v[3:4], v[15:16], v[3:4]
	v_add_f64 v[3:4], v[3:4], -v[5:6]
	v_fma_f64 v[5:6], v[10:11], s[20:21], v[3:4]
	v_cvt_i32_f64_e32 v10, v[10:11]
	v_add_f64 v[3:4], v[19:20], v[5:6]
	v_add_f64 v[15:16], v[3:4], -v[19:20]
	v_add_f64 v[5:6], v[5:6], -v[15:16]
.LBB25_34:
	s_or_b64 exec, exec, s[4:5]
	v_mul_f64 v[15:16], v[3:4], v[3:4]
	v_add_f64 v[17:18], v[5:6], v[5:6]
	s_mov_b32 s4, 0xc751c08c
	s_mov_b32 s5, 0x3ef5e089
	v_and_b32_e32 v10, 1, v10
	v_cmp_eq_u32_e32 vcc, 0, v10
	v_and_b32_e32 v11, 0x80000000, v2
	s_mov_b32 s22, 0x54442d18
	v_fma_f64 v[19:20], v[3:4], v[3:4], -v[15:16]
	s_mov_b32 s23, 0xc00921fb
	s_mov_b64 s[20:21], exec
	v_sub_f32_e32 v13, 1.0, v13
	v_fma_f64 v[17:18], v[3:4], v[17:18], v[19:20]
	v_add_f64 v[15:16], v[15:16], v[17:18]
	v_mov_b32_e32 v17, 0xa9a29f71
	v_mov_b32_e32 v18, 0xbf078809
	v_fma_f64 v[17:18], v[15:16], s[4:5], v[17:18]
	s_mov_b32 s4, 0x90a8aae0
	s_mov_b32 s5, 0x3f17746f
	v_fma_f64 v[17:18], v[15:16], v[17:18], s[4:5]
	s_mov_b32 s4, 0xa6fbf144
	s_mov_b32 s5, 0xbefbb44d
	;; [unrolled: 3-line block ×12, first 2 shown]
	v_fma_f64 v[17:18], v[15:16], v[17:18], s[4:5]
	s_movk_i32 s4, 0x1f8
	v_cmp_class_f64_e64 s[4:5], v[1:2], s4
	v_mov_b32_e32 v2, 0x7ff80000
	v_mul_f64 v[15:16], v[15:16], v[17:18]
	v_mul_f64 v[17:18], v[3:4], v[15:16]
	v_add_f64 v[19:20], v[3:4], v[17:18]
	v_fma_f64 v[15:16], v[3:4], v[15:16], -v[17:18]
	v_add_f64 v[3:4], v[19:20], -v[3:4]
	v_add_f64 v[5:6], v[5:6], v[15:16]
	v_add_f64 v[3:4], v[17:18], -v[3:4]
	v_add_f64 v[3:4], v[5:6], v[3:4]
	v_add_f64 v[5:6], v[19:20], v[3:4]
	v_rcp_f64_e32 v[15:16], v[5:6]
	v_fma_f64 v[17:18], -v[5:6], v[15:16], 1.0
	v_fma_f64 v[15:16], v[17:18], v[15:16], v[15:16]
	v_fma_f64 v[17:18], -v[5:6], v[15:16], 1.0
	v_fma_f64 v[15:16], v[17:18], v[15:16], v[15:16]
	v_add_f64 v[17:18], v[5:6], -v[19:20]
	v_mul_f64 v[19:20], v[5:6], v[15:16]
	v_add_f64 v[3:4], v[3:4], -v[17:18]
	v_fma_f64 v[17:18], v[15:16], v[5:6], -v[19:20]
	v_fma_f64 v[3:4], v[15:16], v[3:4], v[17:18]
	v_add_f64 v[17:18], v[19:20], v[3:4]
	v_add_f64 v[21:22], -v[17:18], 1.0
	v_add_f64 v[19:20], v[17:18], -v[19:20]
	v_add_f64 v[23:24], -v[21:22], 1.0
	v_add_f64 v[3:4], v[19:20], -v[3:4]
	v_add_f64 v[17:18], v[23:24], -v[17:18]
	v_add_f64 v[3:4], v[3:4], v[17:18]
	v_add_f64 v[3:4], v[21:22], v[3:4]
	v_mul_f64 v[3:4], v[15:16], v[3:4]
	v_add_f64 v[3:4], v[15:16], v[3:4]
	v_xor_b32_e32 v1, 0x80000000, v4
	v_cndmask_b32_e32 v3, v3, v5, vcc
	v_cndmask_b32_e32 v4, v1, v6, vcc
	v_cndmask_b32_e64 v1, 0, v3, s[4:5]
	v_xor_b32_e32 v3, v4, v11
	v_cndmask_b32_e64 v2, v2, v3, s[4:5]
	v_div_scale_f64 v[3:4], s[4:5], v[1:2], v[1:2], s[22:23]
	v_div_scale_f64 v[15:16], vcc, s[22:23], v[1:2], s[22:23]
	v_rcp_f64_e32 v[5:6], v[3:4]
	v_fma_f64 v[10:11], -v[3:4], v[5:6], 1.0
	v_fma_f64 v[5:6], v[5:6], v[10:11], v[5:6]
	v_fma_f64 v[10:11], -v[3:4], v[5:6], 1.0
	v_fma_f64 v[5:6], v[5:6], v[10:11], v[5:6]
	v_mul_f64 v[10:11], v[15:16], v[5:6]
	v_fma_f64 v[3:4], -v[3:4], v[10:11], v[15:16]
	v_div_fmas_f64 v[3:4], v[3:4], v[5:6], v[10:11]
	v_div_fixup_f64 v[1:2], v[3:4], v[1:2], s[22:23]
	v_cvt_f32_f64_e32 v1, v[1:2]
.LBB25_35:
	s_or_b64 exec, exec, s[18:19]
	s_orn2_b64 s[4:5], s[20:21], exec
.LBB25_36:
	s_or_b64 exec, exec, s[16:17]
	v_mov_b32_e32 v10, 0x7e00
	s_and_saveexec_b64 s[16:17], s[4:5]
	s_cbranch_execz .LBB25_48
; %bb.37:
	s_mov_b32 s20, 0x41200000
	v_cmp_gt_f32_e32 vcc, s20, v13
	s_and_saveexec_b64 s[4:5], vcc
	s_cbranch_execz .LBB25_41
; %bb.38:
	s_mov_b64 s[18:19], 0
.LBB25_39:                              ; =>This Inner Loop Header: Depth=1
	v_div_scale_f32 v2, s[22:23], v13, v13, 1.0
	v_div_scale_f32 v3, vcc, 1.0, v13, 1.0
	v_rcp_f32_e32 v4, v2
	v_fma_f32 v5, -v2, v4, 1.0
	v_fmac_f32_e32 v4, v5, v4
	v_mul_f32_e32 v5, v3, v4
	v_fma_f32 v6, -v2, v5, v3
	v_fmac_f32_e32 v5, v6, v4
	v_fma_f32 v2, -v2, v5, v3
	v_div_fmas_f32 v2, v2, v4, v5
	v_div_fixup_f32 v2, v2, v13, 1.0
	v_add_f32_e32 v13, 1.0, v13
	v_cmp_ngt_f32_e32 vcc, s20, v13
	s_or_b64 s[18:19], vcc, s[18:19]
	v_sub_f32_e32 v1, v1, v2
	s_andn2_b64 exec, exec, s[18:19]
	s_cbranch_execnz .LBB25_39
; %bb.40:
	s_or_b64 exec, exec, s[18:19]
.LBB25_41:
	s_or_b64 exec, exec, s[4:5]
	s_mov_b32 s4, 0x41200000
	v_cmp_neq_f32_e32 vcc, s4, v13
                                        ; implicit-def: $vgpr10
	s_and_saveexec_b64 s[4:5], vcc
	s_xor_b64 s[18:19], exec, s[4:5]
	s_cbranch_execz .LBB25_45
; %bb.42:
	v_cvt_f64_f32_e32 v[2:3], v13
	s_mov_b32 s4, 0x85d8a000
	s_mov_b32 s5, 0x43763457
	v_cmp_gt_f64_e32 vcc, s[4:5], v[2:3]
	v_mov_b32_e32 v2, 0
	s_and_saveexec_b64 s[4:5], vcc
	s_cbranch_execz .LBB25_44
; %bb.43:
	v_mul_f32_e32 v2, v13, v13
	v_div_scale_f32 v3, s[20:21], v2, v2, 1.0
	v_div_scale_f32 v4, vcc, 1.0, v2, 1.0
	v_mov_b32_e32 v11, 0x3b820821
	v_rcp_f32_e32 v5, v3
	v_fma_f32 v6, -v3, v5, 1.0
	v_fmac_f32_e32 v5, v6, v5
	v_mul_f32_e32 v6, v4, v5
	v_fma_f32 v10, -v3, v6, v4
	v_fmac_f32_e32 v6, v10, v5
	v_fma_f32 v3, -v3, v6, v4
	v_div_fmas_f32 v3, v3, v5, v6
	v_mov_b32_e32 v4, 0x3daaaaab
	v_mov_b32_e32 v5, 0xbcaccacd
	v_mov_b32_e32 v6, 0x3bf83e10
	v_mov_b32_e32 v10, 0xbb888889
	v_div_fixup_f32 v2, v3, v2, 1.0
	v_fma_f32 v3, 0, v2, v4
	v_fmac_f32_e32 v5, v2, v3
	v_fmac_f32_e32 v6, v2, v5
	;; [unrolled: 1-line block ×4, first 2 shown]
	v_mov_b32_e32 v3, 0xbc088889
	v_fmac_f32_e32 v3, v2, v11
	v_fmac_f32_e32 v4, v2, v3
	v_mul_f32_e32 v2, v2, v4
.LBB25_44:
	s_or_b64 exec, exec, s[4:5]
	v_div_scale_f32 v3, s[4:5], v13, v13, -0.5
	v_div_scale_f32 v4, vcc, -0.5, v13, -0.5
	s_mov_b32 s4, 0x800000
	v_cmp_gt_f32_e64 s[4:5], s4, v13
	v_cndmask_b32_e64 v6, 0, 32, s[4:5]
	s_mov_b32 s20, 0x3f317217
	v_rcp_f32_e32 v5, v3
	v_fma_f32 v10, -v3, v5, 1.0
	v_fmac_f32_e32 v5, v10, v5
	v_mul_f32_e32 v10, v4, v5
	v_fma_f32 v11, -v3, v10, v4
	v_fmac_f32_e32 v10, v11, v5
	v_fma_f32 v3, -v3, v10, v4
	v_div_fmas_f32 v3, v3, v5, v10
	v_ldexp_f32 v4, v13, v6
	v_log_f32_e32 v4, v4
	v_mul_f32_e32 v5, 0x3f317217, v4
	v_fma_f32 v5, v4, s20, -v5
	v_fmac_f32_e32 v5, 0x3377d1cf, v4
	s_mov_b32 s20, 0x7f800000
	v_fmac_f32_e32 v5, 0x3f317217, v4
	v_cmp_lt_f32_e64 vcc, |v4|, s20
	v_cndmask_b32_e32 v4, v4, v5, vcc
	v_mov_b32_e32 v5, 0x41b17218
	v_cndmask_b32_e64 v5, 0, v5, s[4:5]
	v_sub_f32_e32 v4, v4, v5
	v_div_fixup_f32 v3, v3, v13, -0.5
	v_add_f32_e32 v3, v4, v3
	v_sub_f32_e32 v2, v3, v2
	v_add_f32_e32 v1, v1, v2
	v_cvt_f16_f32_e32 v10, v1
                                        ; implicit-def: $vgpr1
.LBB25_45:
	s_andn2_saveexec_b64 s[4:5], s[18:19]
; %bb.46:
	v_add_f32_e32 v1, 0x40101cb7, v1
	v_cvt_f16_f32_e32 v10, v1
; %bb.47:
	s_or_b64 exec, exec, s[4:5]
.LBB25_48:
	s_or_b64 exec, exec, s[16:17]
                                        ; implicit-def: $vgpr13
.LBB25_49:
	s_andn2_saveexec_b64 s[4:5], s[14:15]
; %bb.50:
	v_xor_b32_e32 v1, 0x80000000, v13
	s_movk_i32 s14, 0x8000
	v_and_b32_sdwa v1, v1, s14 dst_sel:DWORD dst_unused:UNUSED_PAD src0_sel:WORD_1 src1_sel:DWORD
	v_or_b32_e32 v10, 0x7c00, v1
; %bb.51:
	s_or_b64 exec, exec, s[4:5]
	s_waitcnt vmcnt(2)
	v_cvt_f32_f16_e32 v13, v14
	v_cmp_neq_f16_e32 vcc, 0, v14
                                        ; implicit-def: $vgpr11
	s_and_saveexec_b64 s[4:5], vcc
	s_xor_b64 s[14:15], exec, s[4:5]
	s_cbranch_execz .LBB25_73
; %bb.52:
	v_cmp_gt_f16_e32 vcc, 0, v14
	s_mov_b64 s[4:5], -1
	v_mov_b32_e32 v1, 0
	s_and_saveexec_b64 s[16:17], vcc
	s_cbranch_execz .LBB25_60
; %bb.53:
	v_trunc_f32_e32 v1, v13
	v_cmp_neq_f32_e32 vcc, v1, v13
	s_mov_b64 s[20:21], 0
	v_mov_b32_e32 v1, 0
	s_and_saveexec_b64 s[18:19], vcc
	s_cbranch_execz .LBB25_59
; %bb.54:
	v_cvt_f32_f16_e32 v1, v14
	s_mov_b32 s22, 0
	s_mov_b32 s5, 0xc00921fb
	;; [unrolled: 1-line block ×3, first 2 shown]
	v_cvt_f64_f32_e32 v[1:2], v1
	s_mov_b32 s23, 0x7ff00000
	v_bfrev_b32_e32 v5, 1
	s_mov_b32 s20, 0
	v_trunc_f64_e32 v[3:4], v[1:2]
	v_cmp_neq_f64_e64 vcc, |v[1:2]|, s[22:23]
	s_mov_b32 s21, 0x41d00000
                                        ; implicit-def: $vgpr11
	v_add_f64 v[3:4], v[1:2], -v[3:4]
	v_mul_f64 v[3:4], |v[3:4]|, s[4:5]
	v_cndmask_b32_e32 v2, v5, v4, vcc
	v_cndmask_b32_e32 v1, 0, v3, vcc
	v_cmp_nlt_f64_e64 s[20:21], |v[1:2]|, s[20:21]
                                        ; implicit-def: $vgpr3_vgpr4
                                        ; implicit-def: $vgpr5_vgpr6
	s_and_saveexec_b64 s[24:25], s[20:21]
	s_xor_b64 s[20:21], exec, s[24:25]
	s_cbranch_execz .LBB25_56
; %bb.55:
	v_trig_preop_f64 v[3:4], |v[1:2]|, 0
	s_mov_b32 s24, 0
	s_mov_b32 s25, 0x7b000000
	s_movk_i32 s5, 0xff80
	v_ldexp_f64 v[15:16], |v[1:2]|, s5
	v_cmp_ge_f64_e64 vcc, |v[1:2]|, s[24:25]
	v_trig_preop_f64 v[5:6], |v[1:2]|, 1
	v_and_b32_e32 v11, 0x7fffffff, v2
	v_trig_preop_f64 v[23:24], |v[1:2]|, 2
	v_mov_b32_e32 v33, 0
	s_mov_b32 s5, 0x3ff921fb
	v_cndmask_b32_e32 v16, v11, v16, vcc
	v_cndmask_b32_e32 v15, v1, v15, vcc
	v_mov_b32_e32 v11, 0x40100000
	v_mul_f64 v[17:18], v[3:4], v[15:16]
	v_mul_f64 v[19:20], v[5:6], v[15:16]
	;; [unrolled: 1-line block ×3, first 2 shown]
	v_fma_f64 v[3:4], v[3:4], v[15:16], -v[17:18]
	v_fma_f64 v[5:6], v[5:6], v[15:16], -v[19:20]
	;; [unrolled: 1-line block ×3, first 2 shown]
	v_add_f64 v[21:22], v[19:20], v[3:4]
	v_add_f64 v[25:26], v[21:22], -v[19:20]
	v_add_f64 v[31:32], v[17:18], v[21:22]
	v_add_f64 v[27:28], v[21:22], -v[25:26]
	v_add_f64 v[3:4], v[3:4], -v[25:26]
	v_add_f64 v[25:26], v[29:30], v[5:6]
	v_add_f64 v[17:18], v[31:32], -v[17:18]
	v_add_f64 v[19:20], v[19:20], -v[27:28]
	v_ldexp_f64 v[27:28], v[31:32], -2
	v_add_f64 v[35:36], v[25:26], -v[29:30]
	v_add_f64 v[17:18], v[21:22], -v[17:18]
	v_add_f64 v[3:4], v[3:4], v[19:20]
	v_fract_f64_e32 v[19:20], v[27:28]
	v_cmp_neq_f64_e64 vcc, |v[27:28]|, s[22:23]
	v_add_f64 v[5:6], v[5:6], -v[35:36]
	s_mov_b32 s22, 0x33145c07
	s_mov_b32 s23, 0x3c91a626
	v_add_f64 v[21:22], v[25:26], v[3:4]
	v_ldexp_f64 v[19:20], v[19:20], 2
	v_add_f64 v[27:28], v[17:18], v[21:22]
	v_cndmask_b32_e32 v20, 0, v20, vcc
	v_cndmask_b32_e32 v19, 0, v19, vcc
	v_add_f64 v[37:38], v[21:22], -v[25:26]
	v_add_f64 v[31:32], v[27:28], v[19:20]
	v_add_f64 v[17:18], v[27:28], -v[17:18]
	v_add_f64 v[39:40], v[21:22], -v[37:38]
	;; [unrolled: 1-line block ×3, first 2 shown]
	v_cmp_gt_f64_e32 vcc, 0, v[31:32]
	v_add_f64 v[31:32], v[25:26], -v[35:36]
	v_add_f64 v[17:18], v[21:22], -v[17:18]
	;; [unrolled: 1-line block ×3, first 2 shown]
	v_cndmask_b32_e32 v34, 0, v11, vcc
	v_add_f64 v[19:20], v[19:20], v[33:34]
	v_add_f64 v[31:32], v[29:30], -v[31:32]
	v_add_f64 v[3:4], v[3:4], v[25:26]
	v_add_f64 v[41:42], v[27:28], v[19:20]
	;; [unrolled: 1-line block ×3, first 2 shown]
	v_cvt_i32_f64_e32 v11, v[41:42]
	v_add_f64 v[3:4], v[5:6], v[3:4]
	v_cvt_f64_i32_e32 v[34:35], v11
	v_add_f64 v[19:20], v[19:20], -v[34:35]
	v_add_f64 v[3:4], v[15:16], v[3:4]
	v_add_f64 v[5:6], v[27:28], v[19:20]
	;; [unrolled: 1-line block ×3, first 2 shown]
	v_mov_b32_e32 v17, 0x3ff00000
	v_add_f64 v[15:16], v[5:6], -v[19:20]
	v_cmp_le_f64_e32 vcc, 0.5, v[5:6]
	v_add_f64 v[15:16], v[27:28], -v[15:16]
	v_cndmask_b32_e32 v34, 0, v17, vcc
	v_add_f64 v[5:6], v[5:6], -v[33:34]
	v_addc_co_u32_e32 v11, vcc, 0, v11, vcc
	v_add_f64 v[3:4], v[3:4], v[15:16]
	v_add_f64 v[15:16], v[5:6], v[3:4]
	v_mul_f64 v[17:18], v[15:16], s[4:5]
	v_add_f64 v[5:6], v[15:16], -v[5:6]
	v_fma_f64 v[19:20], v[15:16], s[4:5], -v[17:18]
	v_add_f64 v[3:4], v[3:4], -v[5:6]
	v_fma_f64 v[5:6], v[15:16], s[22:23], v[19:20]
	v_fma_f64 v[5:6], v[3:4], s[4:5], v[5:6]
	v_add_f64 v[3:4], v[17:18], v[5:6]
	v_add_f64 v[15:16], v[3:4], -v[17:18]
	v_add_f64 v[5:6], v[5:6], -v[15:16]
.LBB25_56:
	s_andn2_saveexec_b64 s[4:5], s[20:21]
	s_cbranch_execz .LBB25_58
; %bb.57:
	s_mov_b32 s20, 0x6dc9c883
	s_mov_b32 s21, 0x3fe45f30
	v_mul_f64 v[3:4], |v[1:2]|, s[20:21]
	s_mov_b32 s20, 0x54442d18
	s_mov_b32 s21, 0xbff921fb
	;; [unrolled: 1-line block ×4, first 2 shown]
	v_rndne_f64_e32 v[15:16], v[3:4]
	v_fma_f64 v[3:4], v[15:16], s[20:21], |v[1:2]|
	v_mul_f64 v[5:6], v[15:16], s[22:23]
	s_mov_b32 s20, 0x252049c0
	s_mov_b32 s21, 0xb97b839a
	v_cvt_i32_f64_e32 v11, v[15:16]
	v_fma_f64 v[21:22], v[15:16], s[22:23], v[3:4]
	v_add_f64 v[17:18], v[3:4], v[5:6]
	s_mov_b32 s23, 0x3c91a626
	v_add_f64 v[19:20], v[3:4], -v[17:18]
	v_add_f64 v[17:18], v[17:18], -v[21:22]
	v_add_f64 v[3:4], v[19:20], v[5:6]
	v_fma_f64 v[5:6], v[15:16], s[22:23], v[5:6]
	v_add_f64 v[3:4], v[17:18], v[3:4]
	v_add_f64 v[3:4], v[3:4], -v[5:6]
	v_fma_f64 v[5:6], v[15:16], s[20:21], v[3:4]
	v_add_f64 v[3:4], v[21:22], v[5:6]
	v_add_f64 v[17:18], v[3:4], -v[21:22]
	v_add_f64 v[5:6], v[5:6], -v[17:18]
.LBB25_58:
	s_or_b64 exec, exec, s[4:5]
	v_mul_f64 v[15:16], v[3:4], v[3:4]
	v_add_f64 v[17:18], v[5:6], v[5:6]
	s_mov_b32 s4, 0xc751c08c
	s_mov_b32 s5, 0x3ef5e089
	v_and_b32_e32 v11, 1, v11
	v_cmp_eq_u32_e32 vcc, 0, v11
	s_mov_b32 s22, 0x54442d18
	s_mov_b32 s23, 0xc00921fb
	v_fma_f64 v[19:20], v[3:4], v[3:4], -v[15:16]
	s_mov_b64 s[20:21], exec
	v_sub_f32_e32 v13, 1.0, v13
	v_fma_f64 v[17:18], v[3:4], v[17:18], v[19:20]
	v_add_f64 v[15:16], v[15:16], v[17:18]
	v_mov_b32_e32 v17, 0xa9a29f71
	v_mov_b32_e32 v18, 0xbf078809
	v_fma_f64 v[17:18], v[15:16], s[4:5], v[17:18]
	s_mov_b32 s4, 0x90a8aae0
	s_mov_b32 s5, 0x3f17746f
	v_fma_f64 v[17:18], v[15:16], v[17:18], s[4:5]
	s_mov_b32 s4, 0xa6fbf144
	s_mov_b32 s5, 0xbefbb44d
	;; [unrolled: 3-line block ×12, first 2 shown]
	v_fma_f64 v[17:18], v[15:16], v[17:18], s[4:5]
	s_movk_i32 s4, 0x1f8
	v_cmp_class_f64_e64 s[4:5], v[1:2], s4
	v_mul_f64 v[15:16], v[15:16], v[17:18]
	v_mul_f64 v[17:18], v[3:4], v[15:16]
	v_add_f64 v[19:20], v[3:4], v[17:18]
	v_fma_f64 v[15:16], v[3:4], v[15:16], -v[17:18]
	v_add_f64 v[3:4], v[19:20], -v[3:4]
	v_add_f64 v[5:6], v[5:6], v[15:16]
	v_add_f64 v[3:4], v[17:18], -v[3:4]
	v_add_f64 v[3:4], v[5:6], v[3:4]
	v_add_f64 v[5:6], v[19:20], v[3:4]
	v_rcp_f64_e32 v[15:16], v[5:6]
	v_fma_f64 v[17:18], -v[5:6], v[15:16], 1.0
	v_fma_f64 v[15:16], v[17:18], v[15:16], v[15:16]
	v_fma_f64 v[17:18], -v[5:6], v[15:16], 1.0
	v_fma_f64 v[15:16], v[17:18], v[15:16], v[15:16]
	v_add_f64 v[17:18], v[5:6], -v[19:20]
	v_mul_f64 v[19:20], v[5:6], v[15:16]
	v_add_f64 v[3:4], v[3:4], -v[17:18]
	v_fma_f64 v[17:18], v[15:16], v[5:6], -v[19:20]
	v_fma_f64 v[3:4], v[15:16], v[3:4], v[17:18]
	v_add_f64 v[17:18], v[19:20], v[3:4]
	v_add_f64 v[21:22], -v[17:18], 1.0
	v_add_f64 v[19:20], v[17:18], -v[19:20]
	v_add_f64 v[23:24], -v[21:22], 1.0
	v_add_f64 v[3:4], v[19:20], -v[3:4]
	v_add_f64 v[17:18], v[23:24], -v[17:18]
	v_add_f64 v[3:4], v[3:4], v[17:18]
	v_add_f64 v[3:4], v[21:22], v[3:4]
	v_mul_f64 v[3:4], v[15:16], v[3:4]
	v_add_f64 v[3:4], v[15:16], v[3:4]
	v_and_b32_e32 v15, 0x80000000, v2
	v_mov_b32_e32 v2, 0x7ff80000
	v_xor_b32_e32 v1, 0x80000000, v4
	v_cndmask_b32_e32 v3, v3, v5, vcc
	v_cndmask_b32_e32 v4, v1, v6, vcc
	v_cndmask_b32_e64 v1, 0, v3, s[4:5]
	v_xor_b32_e32 v3, v4, v15
	v_cndmask_b32_e64 v2, v2, v3, s[4:5]
	v_div_scale_f64 v[3:4], s[4:5], v[1:2], v[1:2], s[22:23]
	v_div_scale_f64 v[17:18], vcc, s[22:23], v[1:2], s[22:23]
	v_rcp_f64_e32 v[5:6], v[3:4]
	v_fma_f64 v[15:16], -v[3:4], v[5:6], 1.0
	v_fma_f64 v[5:6], v[5:6], v[15:16], v[5:6]
	v_fma_f64 v[15:16], -v[3:4], v[5:6], 1.0
	v_fma_f64 v[5:6], v[5:6], v[15:16], v[5:6]
	v_mul_f64 v[15:16], v[17:18], v[5:6]
	v_fma_f64 v[3:4], -v[3:4], v[15:16], v[17:18]
	v_div_fmas_f64 v[3:4], v[3:4], v[5:6], v[15:16]
	v_div_fixup_f64 v[1:2], v[3:4], v[1:2], s[22:23]
	v_cvt_f32_f64_e32 v1, v[1:2]
.LBB25_59:
	s_or_b64 exec, exec, s[18:19]
	s_orn2_b64 s[4:5], s[20:21], exec
.LBB25_60:
	s_or_b64 exec, exec, s[16:17]
	v_mov_b32_e32 v11, 0x7e00
	s_and_saveexec_b64 s[16:17], s[4:5]
	s_cbranch_execz .LBB25_72
; %bb.61:
	s_mov_b32 s20, 0x41200000
	v_cmp_gt_f32_e32 vcc, s20, v13
	s_and_saveexec_b64 s[4:5], vcc
	s_cbranch_execz .LBB25_65
; %bb.62:
	s_mov_b64 s[18:19], 0
.LBB25_63:                              ; =>This Inner Loop Header: Depth=1
	v_div_scale_f32 v2, s[22:23], v13, v13, 1.0
	v_div_scale_f32 v3, vcc, 1.0, v13, 1.0
	v_rcp_f32_e32 v4, v2
	v_fma_f32 v5, -v2, v4, 1.0
	v_fmac_f32_e32 v4, v5, v4
	v_mul_f32_e32 v5, v3, v4
	v_fma_f32 v6, -v2, v5, v3
	v_fmac_f32_e32 v5, v6, v4
	v_fma_f32 v2, -v2, v5, v3
	v_div_fmas_f32 v2, v2, v4, v5
	v_div_fixup_f32 v2, v2, v13, 1.0
	v_add_f32_e32 v13, 1.0, v13
	v_cmp_ngt_f32_e32 vcc, s20, v13
	s_or_b64 s[18:19], vcc, s[18:19]
	v_sub_f32_e32 v1, v1, v2
	s_andn2_b64 exec, exec, s[18:19]
	s_cbranch_execnz .LBB25_63
; %bb.64:
	s_or_b64 exec, exec, s[18:19]
.LBB25_65:
	s_or_b64 exec, exec, s[4:5]
	s_mov_b32 s4, 0x41200000
	v_cmp_neq_f32_e32 vcc, s4, v13
                                        ; implicit-def: $vgpr11
	s_and_saveexec_b64 s[4:5], vcc
	s_xor_b64 s[18:19], exec, s[4:5]
	s_cbranch_execz .LBB25_69
; %bb.66:
	v_cvt_f64_f32_e32 v[2:3], v13
	s_mov_b32 s4, 0x85d8a000
	s_mov_b32 s5, 0x43763457
	v_cmp_gt_f64_e32 vcc, s[4:5], v[2:3]
	v_mov_b32_e32 v2, 0
	s_and_saveexec_b64 s[4:5], vcc
	s_cbranch_execz .LBB25_68
; %bb.67:
	v_mul_f32_e32 v2, v13, v13
	v_div_scale_f32 v3, s[20:21], v2, v2, 1.0
	v_div_scale_f32 v4, vcc, 1.0, v2, 1.0
	v_mov_b32_e32 v15, 0x3b820821
	v_rcp_f32_e32 v5, v3
	v_fma_f32 v6, -v3, v5, 1.0
	v_fmac_f32_e32 v5, v6, v5
	v_mul_f32_e32 v6, v4, v5
	v_fma_f32 v11, -v3, v6, v4
	v_fmac_f32_e32 v6, v11, v5
	v_fma_f32 v3, -v3, v6, v4
	v_div_fmas_f32 v3, v3, v5, v6
	v_mov_b32_e32 v4, 0x3daaaaab
	v_mov_b32_e32 v5, 0xbcaccacd
	;; [unrolled: 1-line block ×4, first 2 shown]
	v_div_fixup_f32 v2, v3, v2, 1.0
	v_fma_f32 v3, 0, v2, v4
	v_fmac_f32_e32 v5, v2, v3
	v_fmac_f32_e32 v6, v2, v5
	;; [unrolled: 1-line block ×4, first 2 shown]
	v_mov_b32_e32 v3, 0xbc088889
	v_fmac_f32_e32 v3, v2, v15
	v_fmac_f32_e32 v4, v2, v3
	v_mul_f32_e32 v2, v2, v4
.LBB25_68:
	s_or_b64 exec, exec, s[4:5]
	v_div_scale_f32 v3, s[4:5], v13, v13, -0.5
	v_div_scale_f32 v4, vcc, -0.5, v13, -0.5
	s_mov_b32 s4, 0x800000
	v_cmp_gt_f32_e64 s[4:5], s4, v13
	v_cndmask_b32_e64 v6, 0, 32, s[4:5]
	s_mov_b32 s20, 0x3f317217
	v_rcp_f32_e32 v5, v3
	v_fma_f32 v11, -v3, v5, 1.0
	v_fmac_f32_e32 v5, v11, v5
	v_mul_f32_e32 v11, v4, v5
	v_fma_f32 v15, -v3, v11, v4
	v_fmac_f32_e32 v11, v15, v5
	v_fma_f32 v3, -v3, v11, v4
	v_div_fmas_f32 v3, v3, v5, v11
	v_ldexp_f32 v4, v13, v6
	v_log_f32_e32 v4, v4
	v_mul_f32_e32 v5, 0x3f317217, v4
	v_fma_f32 v5, v4, s20, -v5
	v_fmac_f32_e32 v5, 0x3377d1cf, v4
	s_mov_b32 s20, 0x7f800000
	v_fmac_f32_e32 v5, 0x3f317217, v4
	v_cmp_lt_f32_e64 vcc, |v4|, s20
	v_cndmask_b32_e32 v4, v4, v5, vcc
	v_mov_b32_e32 v5, 0x41b17218
	v_cndmask_b32_e64 v5, 0, v5, s[4:5]
	v_sub_f32_e32 v4, v4, v5
	v_div_fixup_f32 v3, v3, v13, -0.5
	v_add_f32_e32 v3, v4, v3
	v_sub_f32_e32 v2, v3, v2
	v_add_f32_e32 v1, v1, v2
	v_cvt_f16_f32_e32 v11, v1
                                        ; implicit-def: $vgpr1
.LBB25_69:
	s_andn2_saveexec_b64 s[4:5], s[18:19]
; %bb.70:
	v_add_f32_e32 v1, 0x40101cb7, v1
	v_cvt_f16_f32_e32 v11, v1
; %bb.71:
	s_or_b64 exec, exec, s[4:5]
.LBB25_72:
	s_or_b64 exec, exec, s[16:17]
                                        ; implicit-def: $vgpr13
.LBB25_73:
	s_andn2_saveexec_b64 s[4:5], s[14:15]
; %bb.74:
	v_xor_b32_e32 v1, 0x80000000, v13
	s_movk_i32 s14, 0x8000
	v_and_b32_sdwa v1, v1, s14 dst_sel:DWORD dst_unused:UNUSED_PAD src0_sel:WORD_1 src1_sel:DWORD
	v_or_b32_e32 v11, 0x7c00, v1
; %bb.75:
	s_or_b64 exec, exec, s[4:5]
	v_cvt_f32_f16_sdwa v15, v14 dst_sel:DWORD dst_unused:UNUSED_PAD src0_sel:WORD_1
	v_mov_b32_e32 v1, 0
	v_cmp_neq_f16_sdwa s[4:5], v14, v1 src0_sel:WORD_1 src1_sel:DWORD
                                        ; implicit-def: $vgpr13
	s_and_saveexec_b64 s[14:15], s[4:5]
	s_xor_b64 s[14:15], exec, s[14:15]
	s_cbranch_execz .LBB25_97
; %bb.76:
	v_cmp_lt_f16_sdwa s[18:19], v14, v1 src0_sel:WORD_1 src1_sel:DWORD
	s_mov_b64 s[4:5], -1
	s_and_saveexec_b64 s[16:17], s[18:19]
	s_cbranch_execz .LBB25_84
; %bb.77:
	v_trunc_f32_e32 v1, v15
	v_cmp_neq_f32_e32 vcc, v1, v15
	s_mov_b64 s[20:21], 0
	v_mov_b32_e32 v1, 0
	s_and_saveexec_b64 s[18:19], vcc
	s_cbranch_execz .LBB25_83
; %bb.78:
	v_cvt_f32_f16_sdwa v1, v14 dst_sel:DWORD dst_unused:UNUSED_PAD src0_sel:WORD_1
	s_mov_b32 s22, 0
	s_mov_b32 s5, 0xc00921fb
	;; [unrolled: 1-line block ×3, first 2 shown]
	v_cvt_f64_f32_e32 v[1:2], v1
	s_mov_b32 s23, 0x7ff00000
	v_bfrev_b32_e32 v5, 1
	s_mov_b32 s20, 0
	v_trunc_f64_e32 v[3:4], v[1:2]
	v_cmp_neq_f64_e64 vcc, |v[1:2]|, s[22:23]
	s_mov_b32 s21, 0x41d00000
                                        ; implicit-def: $vgpr13
	v_add_f64 v[3:4], v[1:2], -v[3:4]
	v_mul_f64 v[3:4], |v[3:4]|, s[4:5]
	v_cndmask_b32_e32 v2, v5, v4, vcc
	v_cndmask_b32_e32 v1, 0, v3, vcc
	v_cmp_nlt_f64_e64 s[20:21], |v[1:2]|, s[20:21]
                                        ; implicit-def: $vgpr3_vgpr4
                                        ; implicit-def: $vgpr5_vgpr6
	s_and_saveexec_b64 s[24:25], s[20:21]
	s_xor_b64 s[20:21], exec, s[24:25]
	s_cbranch_execz .LBB25_80
; %bb.79:
	v_trig_preop_f64 v[3:4], |v[1:2]|, 0
	s_mov_b32 s24, 0
	s_mov_b32 s25, 0x7b000000
	s_movk_i32 s5, 0xff80
	v_ldexp_f64 v[13:14], |v[1:2]|, s5
	v_cmp_ge_f64_e64 vcc, |v[1:2]|, s[24:25]
	v_trig_preop_f64 v[5:6], |v[1:2]|, 1
	v_and_b32_e32 v16, 0x7fffffff, v2
	v_trig_preop_f64 v[22:23], |v[1:2]|, 2
	v_mov_b32_e32 v33, 0x40100000
	v_mov_b32_e32 v32, 0
	s_mov_b32 s5, 0x3ff921fb
	v_cndmask_b32_e32 v14, v16, v14, vcc
	v_cndmask_b32_e32 v13, v1, v13, vcc
	v_mul_f64 v[16:17], v[3:4], v[13:14]
	v_mul_f64 v[18:19], v[5:6], v[13:14]
	;; [unrolled: 1-line block ×3, first 2 shown]
	v_fma_f64 v[3:4], v[3:4], v[13:14], -v[16:17]
	v_fma_f64 v[5:6], v[5:6], v[13:14], -v[18:19]
	;; [unrolled: 1-line block ×3, first 2 shown]
	v_add_f64 v[20:21], v[18:19], v[3:4]
	v_add_f64 v[24:25], v[20:21], -v[18:19]
	v_add_f64 v[30:31], v[16:17], v[20:21]
	v_add_f64 v[26:27], v[20:21], -v[24:25]
	v_add_f64 v[3:4], v[3:4], -v[24:25]
	v_add_f64 v[24:25], v[28:29], v[5:6]
	v_add_f64 v[16:17], v[30:31], -v[16:17]
	v_add_f64 v[18:19], v[18:19], -v[26:27]
	v_ldexp_f64 v[26:27], v[30:31], -2
	v_add_f64 v[34:35], v[24:25], -v[28:29]
	v_add_f64 v[16:17], v[20:21], -v[16:17]
	v_add_f64 v[3:4], v[3:4], v[18:19]
	v_fract_f64_e32 v[18:19], v[26:27]
	v_cmp_neq_f64_e64 vcc, |v[26:27]|, s[22:23]
	v_add_f64 v[5:6], v[5:6], -v[34:35]
	s_mov_b32 s22, 0x33145c07
	s_mov_b32 s23, 0x3c91a626
	v_add_f64 v[20:21], v[24:25], v[3:4]
	v_ldexp_f64 v[18:19], v[18:19], 2
	v_add_f64 v[26:27], v[16:17], v[20:21]
	v_cndmask_b32_e32 v19, 0, v19, vcc
	v_cndmask_b32_e32 v18, 0, v18, vcc
	v_add_f64 v[36:37], v[20:21], -v[24:25]
	v_add_f64 v[30:31], v[26:27], v[18:19]
	v_add_f64 v[16:17], v[26:27], -v[16:17]
	v_add_f64 v[38:39], v[20:21], -v[36:37]
	;; [unrolled: 1-line block ×3, first 2 shown]
	v_cmp_gt_f64_e32 vcc, 0, v[30:31]
	v_add_f64 v[30:31], v[24:25], -v[34:35]
	v_add_f64 v[16:17], v[20:21], -v[16:17]
	;; [unrolled: 1-line block ×3, first 2 shown]
	v_cndmask_b32_e32 v33, 0, v33, vcc
	v_add_f64 v[18:19], v[18:19], v[32:33]
	v_add_f64 v[30:31], v[28:29], -v[30:31]
	v_add_f64 v[3:4], v[3:4], v[24:25]
	v_add_f64 v[40:41], v[26:27], v[18:19]
	;; [unrolled: 1-line block ×3, first 2 shown]
	v_cvt_i32_f64_e32 v35, v[40:41]
	v_add_f64 v[3:4], v[5:6], v[3:4]
	v_cvt_f64_i32_e32 v[33:34], v35
	v_add_f64 v[18:19], v[18:19], -v[33:34]
	v_add_f64 v[3:4], v[13:14], v[3:4]
	v_add_f64 v[5:6], v[26:27], v[18:19]
	;; [unrolled: 1-line block ×3, first 2 shown]
	v_mov_b32_e32 v16, 0x3ff00000
	v_add_f64 v[13:14], v[5:6], -v[18:19]
	v_cmp_le_f64_e32 vcc, 0.5, v[5:6]
	v_add_f64 v[13:14], v[26:27], -v[13:14]
	v_cndmask_b32_e32 v33, 0, v16, vcc
	v_add_f64 v[5:6], v[5:6], -v[32:33]
	v_add_f64 v[3:4], v[3:4], v[13:14]
	v_add_f64 v[13:14], v[5:6], v[3:4]
	v_mul_f64 v[16:17], v[13:14], s[4:5]
	v_add_f64 v[5:6], v[13:14], -v[5:6]
	v_fma_f64 v[18:19], v[13:14], s[4:5], -v[16:17]
	v_add_f64 v[3:4], v[3:4], -v[5:6]
	v_fma_f64 v[5:6], v[13:14], s[22:23], v[18:19]
	v_fma_f64 v[5:6], v[3:4], s[4:5], v[5:6]
	v_add_f64 v[3:4], v[16:17], v[5:6]
	v_add_f64 v[13:14], v[3:4], -v[16:17]
	v_add_f64 v[5:6], v[5:6], -v[13:14]
	v_addc_co_u32_e32 v13, vcc, 0, v35, vcc
.LBB25_80:
	s_andn2_saveexec_b64 s[4:5], s[20:21]
	s_cbranch_execz .LBB25_82
; %bb.81:
	s_mov_b32 s20, 0x6dc9c883
	s_mov_b32 s21, 0x3fe45f30
	v_mul_f64 v[3:4], |v[1:2]|, s[20:21]
	s_mov_b32 s20, 0x54442d18
	s_mov_b32 s21, 0xbff921fb
	s_mov_b32 s23, 0xbc91a626
	s_mov_b32 s22, 0x33145c00
	v_rndne_f64_e32 v[13:14], v[3:4]
	v_fma_f64 v[3:4], v[13:14], s[20:21], |v[1:2]|
	v_mul_f64 v[5:6], v[13:14], s[22:23]
	s_mov_b32 s20, 0x252049c0
	s_mov_b32 s21, 0xb97b839a
	v_fma_f64 v[20:21], v[13:14], s[22:23], v[3:4]
	v_add_f64 v[16:17], v[3:4], v[5:6]
	s_mov_b32 s23, 0x3c91a626
	v_add_f64 v[18:19], v[3:4], -v[16:17]
	v_add_f64 v[16:17], v[16:17], -v[20:21]
	v_add_f64 v[3:4], v[18:19], v[5:6]
	v_fma_f64 v[5:6], v[13:14], s[22:23], v[5:6]
	v_add_f64 v[3:4], v[16:17], v[3:4]
	v_add_f64 v[3:4], v[3:4], -v[5:6]
	v_fma_f64 v[5:6], v[13:14], s[20:21], v[3:4]
	v_cvt_i32_f64_e32 v13, v[13:14]
	v_add_f64 v[3:4], v[20:21], v[5:6]
	v_add_f64 v[16:17], v[3:4], -v[20:21]
	v_add_f64 v[5:6], v[5:6], -v[16:17]
.LBB25_82:
	s_or_b64 exec, exec, s[4:5]
	v_mul_f64 v[16:17], v[3:4], v[3:4]
	v_add_f64 v[18:19], v[5:6], v[5:6]
	s_mov_b32 s4, 0xc751c08c
	s_mov_b32 s5, 0x3ef5e089
	v_and_b32_e32 v13, 1, v13
	v_cmp_eq_u32_e32 vcc, 0, v13
	v_and_b32_e32 v14, 0x80000000, v2
	s_mov_b32 s22, 0x54442d18
	v_fma_f64 v[20:21], v[3:4], v[3:4], -v[16:17]
	s_mov_b32 s23, 0xc00921fb
	s_mov_b64 s[20:21], exec
	v_sub_f32_e32 v15, 1.0, v15
	v_fma_f64 v[18:19], v[3:4], v[18:19], v[20:21]
	v_add_f64 v[16:17], v[16:17], v[18:19]
	v_mov_b32_e32 v18, 0xa9a29f71
	v_mov_b32_e32 v19, 0xbf078809
	v_fma_f64 v[18:19], v[16:17], s[4:5], v[18:19]
	s_mov_b32 s4, 0x90a8aae0
	s_mov_b32 s5, 0x3f17746f
	v_fma_f64 v[18:19], v[16:17], v[18:19], s[4:5]
	s_mov_b32 s4, 0xa6fbf144
	s_mov_b32 s5, 0xbefbb44d
	;; [unrolled: 3-line block ×12, first 2 shown]
	v_fma_f64 v[18:19], v[16:17], v[18:19], s[4:5]
	s_movk_i32 s4, 0x1f8
	v_cmp_class_f64_e64 s[4:5], v[1:2], s4
	v_mov_b32_e32 v2, 0x7ff80000
	v_mul_f64 v[16:17], v[16:17], v[18:19]
	v_mul_f64 v[18:19], v[3:4], v[16:17]
	v_add_f64 v[20:21], v[3:4], v[18:19]
	v_fma_f64 v[16:17], v[3:4], v[16:17], -v[18:19]
	v_add_f64 v[3:4], v[20:21], -v[3:4]
	v_add_f64 v[5:6], v[5:6], v[16:17]
	v_add_f64 v[3:4], v[18:19], -v[3:4]
	v_add_f64 v[3:4], v[5:6], v[3:4]
	v_add_f64 v[5:6], v[20:21], v[3:4]
	v_rcp_f64_e32 v[16:17], v[5:6]
	v_fma_f64 v[18:19], -v[5:6], v[16:17], 1.0
	v_fma_f64 v[16:17], v[18:19], v[16:17], v[16:17]
	v_fma_f64 v[18:19], -v[5:6], v[16:17], 1.0
	v_fma_f64 v[16:17], v[18:19], v[16:17], v[16:17]
	v_add_f64 v[18:19], v[5:6], -v[20:21]
	v_mul_f64 v[20:21], v[5:6], v[16:17]
	v_add_f64 v[3:4], v[3:4], -v[18:19]
	v_fma_f64 v[18:19], v[16:17], v[5:6], -v[20:21]
	v_fma_f64 v[3:4], v[16:17], v[3:4], v[18:19]
	v_add_f64 v[18:19], v[20:21], v[3:4]
	v_add_f64 v[22:23], -v[18:19], 1.0
	v_add_f64 v[20:21], v[18:19], -v[20:21]
	v_add_f64 v[24:25], -v[22:23], 1.0
	v_add_f64 v[3:4], v[20:21], -v[3:4]
	v_add_f64 v[18:19], v[24:25], -v[18:19]
	v_add_f64 v[3:4], v[3:4], v[18:19]
	v_add_f64 v[3:4], v[22:23], v[3:4]
	v_mul_f64 v[3:4], v[16:17], v[3:4]
	v_add_f64 v[3:4], v[16:17], v[3:4]
	v_xor_b32_e32 v1, 0x80000000, v4
	v_cndmask_b32_e32 v3, v3, v5, vcc
	v_cndmask_b32_e32 v4, v1, v6, vcc
	v_cndmask_b32_e64 v1, 0, v3, s[4:5]
	v_xor_b32_e32 v3, v4, v14
	v_cndmask_b32_e64 v2, v2, v3, s[4:5]
	v_div_scale_f64 v[3:4], s[4:5], v[1:2], v[1:2], s[22:23]
	v_div_scale_f64 v[16:17], vcc, s[22:23], v[1:2], s[22:23]
	v_rcp_f64_e32 v[5:6], v[3:4]
	v_fma_f64 v[13:14], -v[3:4], v[5:6], 1.0
	v_fma_f64 v[5:6], v[5:6], v[13:14], v[5:6]
	v_fma_f64 v[13:14], -v[3:4], v[5:6], 1.0
	v_fma_f64 v[5:6], v[5:6], v[13:14], v[5:6]
	v_mul_f64 v[13:14], v[16:17], v[5:6]
	v_fma_f64 v[3:4], -v[3:4], v[13:14], v[16:17]
	v_div_fmas_f64 v[3:4], v[3:4], v[5:6], v[13:14]
	v_div_fixup_f64 v[1:2], v[3:4], v[1:2], s[22:23]
	v_cvt_f32_f64_e32 v1, v[1:2]
.LBB25_83:
	s_or_b64 exec, exec, s[18:19]
	s_orn2_b64 s[4:5], s[20:21], exec
.LBB25_84:
	s_or_b64 exec, exec, s[16:17]
	v_mov_b32_e32 v13, 0x7e00
	s_and_saveexec_b64 s[16:17], s[4:5]
	s_cbranch_execz .LBB25_96
; %bb.85:
	s_mov_b32 s20, 0x41200000
	v_cmp_gt_f32_e32 vcc, s20, v15
	s_and_saveexec_b64 s[4:5], vcc
	s_cbranch_execz .LBB25_89
; %bb.86:
	s_mov_b64 s[18:19], 0
.LBB25_87:                              ; =>This Inner Loop Header: Depth=1
	v_div_scale_f32 v2, s[22:23], v15, v15, 1.0
	v_div_scale_f32 v3, vcc, 1.0, v15, 1.0
	v_rcp_f32_e32 v4, v2
	v_fma_f32 v5, -v2, v4, 1.0
	v_fmac_f32_e32 v4, v5, v4
	v_mul_f32_e32 v5, v3, v4
	v_fma_f32 v6, -v2, v5, v3
	v_fmac_f32_e32 v5, v6, v4
	v_fma_f32 v2, -v2, v5, v3
	v_div_fmas_f32 v2, v2, v4, v5
	v_div_fixup_f32 v2, v2, v15, 1.0
	v_add_f32_e32 v15, 1.0, v15
	v_cmp_ngt_f32_e32 vcc, s20, v15
	s_or_b64 s[18:19], vcc, s[18:19]
	v_sub_f32_e32 v1, v1, v2
	s_andn2_b64 exec, exec, s[18:19]
	s_cbranch_execnz .LBB25_87
; %bb.88:
	s_or_b64 exec, exec, s[18:19]
.LBB25_89:
	s_or_b64 exec, exec, s[4:5]
	s_mov_b32 s4, 0x41200000
	v_cmp_neq_f32_e32 vcc, s4, v15
                                        ; implicit-def: $vgpr13
	s_and_saveexec_b64 s[4:5], vcc
	s_xor_b64 s[18:19], exec, s[4:5]
	s_cbranch_execz .LBB25_93
; %bb.90:
	v_cvt_f64_f32_e32 v[2:3], v15
	s_mov_b32 s4, 0x85d8a000
	s_mov_b32 s5, 0x43763457
	v_cmp_gt_f64_e32 vcc, s[4:5], v[2:3]
	v_mov_b32_e32 v2, 0
	s_and_saveexec_b64 s[4:5], vcc
	s_cbranch_execz .LBB25_92
; %bb.91:
	v_mul_f32_e32 v2, v15, v15
	v_div_scale_f32 v3, s[20:21], v2, v2, 1.0
	v_div_scale_f32 v4, vcc, 1.0, v2, 1.0
	v_mov_b32_e32 v14, 0x3b820821
	v_rcp_f32_e32 v5, v3
	v_fma_f32 v6, -v3, v5, 1.0
	v_fmac_f32_e32 v5, v6, v5
	v_mul_f32_e32 v6, v4, v5
	v_fma_f32 v13, -v3, v6, v4
	v_fmac_f32_e32 v6, v13, v5
	v_fma_f32 v3, -v3, v6, v4
	v_div_fmas_f32 v3, v3, v5, v6
	v_mov_b32_e32 v4, 0x3daaaaab
	v_mov_b32_e32 v5, 0xbcaccacd
	;; [unrolled: 1-line block ×4, first 2 shown]
	v_div_fixup_f32 v2, v3, v2, 1.0
	v_fma_f32 v3, 0, v2, v4
	v_fmac_f32_e32 v5, v2, v3
	v_fmac_f32_e32 v6, v2, v5
	;; [unrolled: 1-line block ×4, first 2 shown]
	v_mov_b32_e32 v3, 0xbc088889
	v_fmac_f32_e32 v3, v2, v14
	v_fmac_f32_e32 v4, v2, v3
	v_mul_f32_e32 v2, v2, v4
.LBB25_92:
	s_or_b64 exec, exec, s[4:5]
	v_div_scale_f32 v3, s[4:5], v15, v15, -0.5
	v_div_scale_f32 v4, vcc, -0.5, v15, -0.5
	s_mov_b32 s4, 0x800000
	v_cmp_gt_f32_e64 s[4:5], s4, v15
	v_cndmask_b32_e64 v6, 0, 32, s[4:5]
	s_mov_b32 s20, 0x3f317217
	v_rcp_f32_e32 v5, v3
	v_fma_f32 v13, -v3, v5, 1.0
	v_fmac_f32_e32 v5, v13, v5
	v_mul_f32_e32 v13, v4, v5
	v_fma_f32 v14, -v3, v13, v4
	v_fmac_f32_e32 v13, v14, v5
	v_fma_f32 v3, -v3, v13, v4
	v_div_fmas_f32 v3, v3, v5, v13
	v_ldexp_f32 v4, v15, v6
	v_log_f32_e32 v4, v4
	v_mul_f32_e32 v5, 0x3f317217, v4
	v_fma_f32 v5, v4, s20, -v5
	v_fmac_f32_e32 v5, 0x3377d1cf, v4
	s_mov_b32 s20, 0x7f800000
	v_fmac_f32_e32 v5, 0x3f317217, v4
	v_cmp_lt_f32_e64 vcc, |v4|, s20
	v_cndmask_b32_e32 v4, v4, v5, vcc
	v_mov_b32_e32 v5, 0x41b17218
	v_cndmask_b32_e64 v5, 0, v5, s[4:5]
	v_sub_f32_e32 v4, v4, v5
	v_div_fixup_f32 v3, v3, v15, -0.5
	v_add_f32_e32 v3, v4, v3
	v_sub_f32_e32 v2, v3, v2
	v_add_f32_e32 v1, v1, v2
	v_cvt_f16_f32_e32 v13, v1
                                        ; implicit-def: $vgpr1
.LBB25_93:
	s_andn2_saveexec_b64 s[4:5], s[18:19]
; %bb.94:
	v_add_f32_e32 v1, 0x40101cb7, v1
	v_cvt_f16_f32_e32 v13, v1
; %bb.95:
	s_or_b64 exec, exec, s[4:5]
.LBB25_96:
	s_or_b64 exec, exec, s[16:17]
                                        ; implicit-def: $vgpr15
.LBB25_97:
	s_andn2_saveexec_b64 s[4:5], s[14:15]
; %bb.98:
	v_xor_b32_e32 v1, 0x80000000, v15
	s_movk_i32 s14, 0x8000
	v_and_b32_sdwa v1, v1, s14 dst_sel:DWORD dst_unused:UNUSED_PAD src0_sel:WORD_1 src1_sel:DWORD
	v_or_b32_e32 v13, 0x7c00, v1
; %bb.99:
	s_or_b64 exec, exec, s[4:5]
	s_waitcnt vmcnt(1)
	v_cvt_f32_f16_e32 v15, v12
	v_cmp_neq_f16_e32 vcc, 0, v12
                                        ; implicit-def: $vgpr14
	s_and_saveexec_b64 s[4:5], vcc
	s_xor_b64 s[14:15], exec, s[4:5]
	s_cbranch_execz .LBB25_121
; %bb.100:
	v_cmp_gt_f16_e32 vcc, 0, v12
	s_mov_b64 s[4:5], -1
	v_mov_b32_e32 v1, 0
	s_and_saveexec_b64 s[16:17], vcc
	s_cbranch_execz .LBB25_108
; %bb.101:
	v_trunc_f32_e32 v1, v15
	v_cmp_neq_f32_e32 vcc, v1, v15
	s_mov_b64 s[20:21], 0
	v_mov_b32_e32 v1, 0
	s_and_saveexec_b64 s[18:19], vcc
	s_cbranch_execz .LBB25_107
; %bb.102:
	v_cvt_f32_f16_e32 v1, v12
	s_mov_b32 s22, 0
	s_mov_b32 s5, 0xc00921fb
	;; [unrolled: 1-line block ×3, first 2 shown]
	v_cvt_f64_f32_e32 v[1:2], v1
	s_mov_b32 s23, 0x7ff00000
	v_bfrev_b32_e32 v5, 1
	s_mov_b32 s20, 0
	v_trunc_f64_e32 v[3:4], v[1:2]
	v_cmp_neq_f64_e64 vcc, |v[1:2]|, s[22:23]
	s_mov_b32 s21, 0x41d00000
                                        ; implicit-def: $vgpr14
	v_add_f64 v[3:4], v[1:2], -v[3:4]
	v_mul_f64 v[3:4], |v[3:4]|, s[4:5]
	v_cndmask_b32_e32 v2, v5, v4, vcc
	v_cndmask_b32_e32 v1, 0, v3, vcc
	v_cmp_nlt_f64_e64 s[20:21], |v[1:2]|, s[20:21]
                                        ; implicit-def: $vgpr3_vgpr4
                                        ; implicit-def: $vgpr5_vgpr6
	s_and_saveexec_b64 s[24:25], s[20:21]
	s_xor_b64 s[20:21], exec, s[24:25]
	s_cbranch_execz .LBB25_104
; %bb.103:
	v_trig_preop_f64 v[3:4], |v[1:2]|, 0
	s_mov_b32 s24, 0
	s_mov_b32 s25, 0x7b000000
	s_movk_i32 s5, 0xff80
	v_ldexp_f64 v[16:17], |v[1:2]|, s5
	v_cmp_ge_f64_e64 vcc, |v[1:2]|, s[24:25]
	v_trig_preop_f64 v[5:6], |v[1:2]|, 1
	v_and_b32_e32 v14, 0x7fffffff, v2
	v_trig_preop_f64 v[24:25], |v[1:2]|, 2
	v_mov_b32_e32 v34, 0
	s_mov_b32 s5, 0x3ff921fb
	v_cndmask_b32_e32 v17, v14, v17, vcc
	v_cndmask_b32_e32 v16, v1, v16, vcc
	v_mov_b32_e32 v14, 0x40100000
	v_mul_f64 v[18:19], v[3:4], v[16:17]
	v_mul_f64 v[20:21], v[5:6], v[16:17]
	;; [unrolled: 1-line block ×3, first 2 shown]
	v_fma_f64 v[3:4], v[3:4], v[16:17], -v[18:19]
	v_fma_f64 v[5:6], v[5:6], v[16:17], -v[20:21]
	;; [unrolled: 1-line block ×3, first 2 shown]
	v_add_f64 v[22:23], v[20:21], v[3:4]
	v_add_f64 v[26:27], v[22:23], -v[20:21]
	v_add_f64 v[32:33], v[18:19], v[22:23]
	v_add_f64 v[28:29], v[22:23], -v[26:27]
	v_add_f64 v[3:4], v[3:4], -v[26:27]
	v_add_f64 v[26:27], v[30:31], v[5:6]
	v_add_f64 v[18:19], v[32:33], -v[18:19]
	v_add_f64 v[20:21], v[20:21], -v[28:29]
	v_ldexp_f64 v[28:29], v[32:33], -2
	v_add_f64 v[36:37], v[26:27], -v[30:31]
	v_add_f64 v[18:19], v[22:23], -v[18:19]
	v_add_f64 v[3:4], v[3:4], v[20:21]
	v_fract_f64_e32 v[20:21], v[28:29]
	v_cmp_neq_f64_e64 vcc, |v[28:29]|, s[22:23]
	v_add_f64 v[5:6], v[5:6], -v[36:37]
	s_mov_b32 s22, 0x33145c07
	s_mov_b32 s23, 0x3c91a626
	v_add_f64 v[22:23], v[26:27], v[3:4]
	v_ldexp_f64 v[20:21], v[20:21], 2
	v_add_f64 v[28:29], v[18:19], v[22:23]
	v_cndmask_b32_e32 v21, 0, v21, vcc
	v_cndmask_b32_e32 v20, 0, v20, vcc
	v_add_f64 v[38:39], v[22:23], -v[26:27]
	v_add_f64 v[32:33], v[28:29], v[20:21]
	v_add_f64 v[18:19], v[28:29], -v[18:19]
	v_add_f64 v[40:41], v[22:23], -v[38:39]
	;; [unrolled: 1-line block ×3, first 2 shown]
	v_cmp_gt_f64_e32 vcc, 0, v[32:33]
	v_add_f64 v[32:33], v[26:27], -v[36:37]
	v_add_f64 v[18:19], v[22:23], -v[18:19]
	;; [unrolled: 1-line block ×3, first 2 shown]
	v_cndmask_b32_e32 v35, 0, v14, vcc
	v_add_f64 v[20:21], v[20:21], v[34:35]
	v_add_f64 v[32:33], v[30:31], -v[32:33]
	v_add_f64 v[3:4], v[3:4], v[26:27]
	v_add_f64 v[42:43], v[28:29], v[20:21]
	;; [unrolled: 1-line block ×3, first 2 shown]
	v_cvt_i32_f64_e32 v14, v[42:43]
	v_add_f64 v[3:4], v[5:6], v[3:4]
	v_cvt_f64_i32_e32 v[35:36], v14
	v_add_f64 v[20:21], v[20:21], -v[35:36]
	v_add_f64 v[3:4], v[16:17], v[3:4]
	v_add_f64 v[5:6], v[28:29], v[20:21]
	;; [unrolled: 1-line block ×3, first 2 shown]
	v_mov_b32_e32 v18, 0x3ff00000
	v_add_f64 v[16:17], v[5:6], -v[20:21]
	v_cmp_le_f64_e32 vcc, 0.5, v[5:6]
	v_add_f64 v[16:17], v[28:29], -v[16:17]
	v_cndmask_b32_e32 v35, 0, v18, vcc
	v_add_f64 v[5:6], v[5:6], -v[34:35]
	v_addc_co_u32_e32 v14, vcc, 0, v14, vcc
	v_add_f64 v[3:4], v[3:4], v[16:17]
	v_add_f64 v[16:17], v[5:6], v[3:4]
	v_mul_f64 v[18:19], v[16:17], s[4:5]
	v_add_f64 v[5:6], v[16:17], -v[5:6]
	v_fma_f64 v[20:21], v[16:17], s[4:5], -v[18:19]
	v_add_f64 v[3:4], v[3:4], -v[5:6]
	v_fma_f64 v[5:6], v[16:17], s[22:23], v[20:21]
	v_fma_f64 v[5:6], v[3:4], s[4:5], v[5:6]
	v_add_f64 v[3:4], v[18:19], v[5:6]
	v_add_f64 v[16:17], v[3:4], -v[18:19]
	v_add_f64 v[5:6], v[5:6], -v[16:17]
.LBB25_104:
	s_andn2_saveexec_b64 s[4:5], s[20:21]
	s_cbranch_execz .LBB25_106
; %bb.105:
	s_mov_b32 s20, 0x6dc9c883
	s_mov_b32 s21, 0x3fe45f30
	v_mul_f64 v[3:4], |v[1:2]|, s[20:21]
	s_mov_b32 s20, 0x54442d18
	s_mov_b32 s21, 0xbff921fb
	s_mov_b32 s23, 0xbc91a626
	s_mov_b32 s22, 0x33145c00
	v_rndne_f64_e32 v[16:17], v[3:4]
	v_fma_f64 v[3:4], v[16:17], s[20:21], |v[1:2]|
	v_mul_f64 v[5:6], v[16:17], s[22:23]
	s_mov_b32 s20, 0x252049c0
	s_mov_b32 s21, 0xb97b839a
	v_cvt_i32_f64_e32 v14, v[16:17]
	v_fma_f64 v[22:23], v[16:17], s[22:23], v[3:4]
	v_add_f64 v[18:19], v[3:4], v[5:6]
	s_mov_b32 s23, 0x3c91a626
	v_add_f64 v[20:21], v[3:4], -v[18:19]
	v_add_f64 v[18:19], v[18:19], -v[22:23]
	v_add_f64 v[3:4], v[20:21], v[5:6]
	v_fma_f64 v[5:6], v[16:17], s[22:23], v[5:6]
	v_add_f64 v[3:4], v[18:19], v[3:4]
	v_add_f64 v[3:4], v[3:4], -v[5:6]
	v_fma_f64 v[5:6], v[16:17], s[20:21], v[3:4]
	v_add_f64 v[3:4], v[22:23], v[5:6]
	v_add_f64 v[18:19], v[3:4], -v[22:23]
	v_add_f64 v[5:6], v[5:6], -v[18:19]
.LBB25_106:
	s_or_b64 exec, exec, s[4:5]
	v_mul_f64 v[16:17], v[3:4], v[3:4]
	v_add_f64 v[18:19], v[5:6], v[5:6]
	s_mov_b32 s4, 0xc751c08c
	s_mov_b32 s5, 0x3ef5e089
	v_and_b32_e32 v14, 1, v14
	v_cmp_eq_u32_e32 vcc, 0, v14
	s_mov_b32 s22, 0x54442d18
	s_mov_b32 s23, 0xc00921fb
	v_fma_f64 v[20:21], v[3:4], v[3:4], -v[16:17]
	s_mov_b64 s[20:21], exec
	v_sub_f32_e32 v15, 1.0, v15
	v_fma_f64 v[18:19], v[3:4], v[18:19], v[20:21]
	v_add_f64 v[16:17], v[16:17], v[18:19]
	v_mov_b32_e32 v18, 0xa9a29f71
	v_mov_b32_e32 v19, 0xbf078809
	v_fma_f64 v[18:19], v[16:17], s[4:5], v[18:19]
	s_mov_b32 s4, 0x90a8aae0
	s_mov_b32 s5, 0x3f17746f
	v_fma_f64 v[18:19], v[16:17], v[18:19], s[4:5]
	s_mov_b32 s4, 0xa6fbf144
	s_mov_b32 s5, 0xbefbb44d
	v_fma_f64 v[18:19], v[16:17], v[18:19], s[4:5]
	s_mov_b32 s4, 0xa7943acf
	s_mov_b32 s5, 0x3f21e634
	v_fma_f64 v[18:19], v[16:17], v[18:19], s[4:5]
	s_mov_b32 s4, 0xdeb68feb
	s_mov_b32 s5, 0x3f2d250f
	v_fma_f64 v[18:19], v[16:17], v[18:19], s[4:5]
	s_mov_b32 s4, 0xb58c4d95
	s_mov_b32 s5, 0x3f437fd9
	v_fma_f64 v[18:19], v[16:17], v[18:19], s[4:5]
	s_mov_b32 s4, 0x15120e2c
	s_mov_b32 s5, 0x3f57d5af
	v_fma_f64 v[18:19], v[16:17], v[18:19], s[4:5]
	s_mov_b32 s4, 0xe09491df
	s_mov_b32 s5, 0x3f6d6d93
	v_fma_f64 v[18:19], v[16:17], v[18:19], s[4:5]
	s_mov_b32 s4, 0x2033784d
	s_mov_b32 s5, 0x3f8226e1
	v_fma_f64 v[18:19], v[16:17], v[18:19], s[4:5]
	s_mov_b32 s4, 0x9ac36ae2
	s_mov_b32 s5, 0x3f9664f4
	v_fma_f64 v[18:19], v[16:17], v[18:19], s[4:5]
	s_mov_b32 s4, 0x1b451c21
	s_mov_b32 s5, 0x3faba1ba
	v_fma_f64 v[18:19], v[16:17], v[18:19], s[4:5]
	s_mov_b32 s4, 0x111185b7
	s_mov_b32 s5, 0x3fc11111
	v_fma_f64 v[18:19], v[16:17], v[18:19], s[4:5]
	s_mov_b32 s4, 0x555554ee
	s_mov_b32 s5, 0x3fd55555
	v_fma_f64 v[18:19], v[16:17], v[18:19], s[4:5]
	s_movk_i32 s4, 0x1f8
	v_cmp_class_f64_e64 s[4:5], v[1:2], s4
	v_mul_f64 v[16:17], v[16:17], v[18:19]
	v_mul_f64 v[18:19], v[3:4], v[16:17]
	v_add_f64 v[20:21], v[3:4], v[18:19]
	v_fma_f64 v[16:17], v[3:4], v[16:17], -v[18:19]
	v_add_f64 v[3:4], v[20:21], -v[3:4]
	v_add_f64 v[5:6], v[5:6], v[16:17]
	v_add_f64 v[3:4], v[18:19], -v[3:4]
	v_add_f64 v[3:4], v[5:6], v[3:4]
	v_add_f64 v[5:6], v[20:21], v[3:4]
	v_rcp_f64_e32 v[16:17], v[5:6]
	v_fma_f64 v[18:19], -v[5:6], v[16:17], 1.0
	v_fma_f64 v[16:17], v[18:19], v[16:17], v[16:17]
	v_fma_f64 v[18:19], -v[5:6], v[16:17], 1.0
	v_fma_f64 v[16:17], v[18:19], v[16:17], v[16:17]
	v_add_f64 v[18:19], v[5:6], -v[20:21]
	v_mul_f64 v[20:21], v[5:6], v[16:17]
	v_add_f64 v[3:4], v[3:4], -v[18:19]
	v_fma_f64 v[18:19], v[16:17], v[5:6], -v[20:21]
	v_fma_f64 v[3:4], v[16:17], v[3:4], v[18:19]
	v_add_f64 v[18:19], v[20:21], v[3:4]
	v_add_f64 v[22:23], -v[18:19], 1.0
	v_add_f64 v[20:21], v[18:19], -v[20:21]
	v_add_f64 v[24:25], -v[22:23], 1.0
	v_add_f64 v[3:4], v[20:21], -v[3:4]
	v_add_f64 v[18:19], v[24:25], -v[18:19]
	v_add_f64 v[3:4], v[3:4], v[18:19]
	v_add_f64 v[3:4], v[22:23], v[3:4]
	v_mul_f64 v[3:4], v[16:17], v[3:4]
	v_add_f64 v[3:4], v[16:17], v[3:4]
	v_and_b32_e32 v16, 0x80000000, v2
	v_mov_b32_e32 v2, 0x7ff80000
	v_xor_b32_e32 v1, 0x80000000, v4
	v_cndmask_b32_e32 v3, v3, v5, vcc
	v_cndmask_b32_e32 v4, v1, v6, vcc
	v_cndmask_b32_e64 v1, 0, v3, s[4:5]
	v_xor_b32_e32 v3, v4, v16
	v_cndmask_b32_e64 v2, v2, v3, s[4:5]
	v_div_scale_f64 v[3:4], s[4:5], v[1:2], v[1:2], s[22:23]
	v_div_scale_f64 v[18:19], vcc, s[22:23], v[1:2], s[22:23]
	v_rcp_f64_e32 v[5:6], v[3:4]
	v_fma_f64 v[16:17], -v[3:4], v[5:6], 1.0
	v_fma_f64 v[5:6], v[5:6], v[16:17], v[5:6]
	v_fma_f64 v[16:17], -v[3:4], v[5:6], 1.0
	v_fma_f64 v[5:6], v[5:6], v[16:17], v[5:6]
	v_mul_f64 v[16:17], v[18:19], v[5:6]
	v_fma_f64 v[3:4], -v[3:4], v[16:17], v[18:19]
	v_div_fmas_f64 v[3:4], v[3:4], v[5:6], v[16:17]
	v_div_fixup_f64 v[1:2], v[3:4], v[1:2], s[22:23]
	v_cvt_f32_f64_e32 v1, v[1:2]
.LBB25_107:
	s_or_b64 exec, exec, s[18:19]
	s_orn2_b64 s[4:5], s[20:21], exec
.LBB25_108:
	s_or_b64 exec, exec, s[16:17]
	v_mov_b32_e32 v14, 0x7e00
	s_and_saveexec_b64 s[16:17], s[4:5]
	s_cbranch_execz .LBB25_120
; %bb.109:
	s_mov_b32 s20, 0x41200000
	v_cmp_gt_f32_e32 vcc, s20, v15
	s_and_saveexec_b64 s[4:5], vcc
	s_cbranch_execz .LBB25_113
; %bb.110:
	s_mov_b64 s[18:19], 0
.LBB25_111:                             ; =>This Inner Loop Header: Depth=1
	v_div_scale_f32 v2, s[22:23], v15, v15, 1.0
	v_div_scale_f32 v3, vcc, 1.0, v15, 1.0
	v_rcp_f32_e32 v4, v2
	v_fma_f32 v5, -v2, v4, 1.0
	v_fmac_f32_e32 v4, v5, v4
	v_mul_f32_e32 v5, v3, v4
	v_fma_f32 v6, -v2, v5, v3
	v_fmac_f32_e32 v5, v6, v4
	v_fma_f32 v2, -v2, v5, v3
	v_div_fmas_f32 v2, v2, v4, v5
	v_div_fixup_f32 v2, v2, v15, 1.0
	v_add_f32_e32 v15, 1.0, v15
	v_cmp_ngt_f32_e32 vcc, s20, v15
	s_or_b64 s[18:19], vcc, s[18:19]
	v_sub_f32_e32 v1, v1, v2
	s_andn2_b64 exec, exec, s[18:19]
	s_cbranch_execnz .LBB25_111
; %bb.112:
	s_or_b64 exec, exec, s[18:19]
.LBB25_113:
	s_or_b64 exec, exec, s[4:5]
	s_mov_b32 s4, 0x41200000
	v_cmp_neq_f32_e32 vcc, s4, v15
                                        ; implicit-def: $vgpr14
	s_and_saveexec_b64 s[4:5], vcc
	s_xor_b64 s[18:19], exec, s[4:5]
	s_cbranch_execz .LBB25_117
; %bb.114:
	v_cvt_f64_f32_e32 v[2:3], v15
	s_mov_b32 s4, 0x85d8a000
	s_mov_b32 s5, 0x43763457
	v_cmp_gt_f64_e32 vcc, s[4:5], v[2:3]
	v_mov_b32_e32 v2, 0
	s_and_saveexec_b64 s[4:5], vcc
	s_cbranch_execz .LBB25_116
; %bb.115:
	v_mul_f32_e32 v2, v15, v15
	v_div_scale_f32 v3, s[20:21], v2, v2, 1.0
	v_div_scale_f32 v4, vcc, 1.0, v2, 1.0
	v_mov_b32_e32 v16, 0x3b820821
	v_rcp_f32_e32 v5, v3
	v_fma_f32 v6, -v3, v5, 1.0
	v_fmac_f32_e32 v5, v6, v5
	v_mul_f32_e32 v6, v4, v5
	v_fma_f32 v14, -v3, v6, v4
	v_fmac_f32_e32 v6, v14, v5
	v_fma_f32 v3, -v3, v6, v4
	v_div_fmas_f32 v3, v3, v5, v6
	v_mov_b32_e32 v4, 0x3daaaaab
	v_mov_b32_e32 v5, 0xbcaccacd
	;; [unrolled: 1-line block ×4, first 2 shown]
	v_div_fixup_f32 v2, v3, v2, 1.0
	v_fma_f32 v3, 0, v2, v4
	v_fmac_f32_e32 v5, v2, v3
	v_fmac_f32_e32 v6, v2, v5
	;; [unrolled: 1-line block ×4, first 2 shown]
	v_mov_b32_e32 v3, 0xbc088889
	v_fmac_f32_e32 v3, v2, v16
	v_fmac_f32_e32 v4, v2, v3
	v_mul_f32_e32 v2, v2, v4
.LBB25_116:
	s_or_b64 exec, exec, s[4:5]
	v_div_scale_f32 v3, s[4:5], v15, v15, -0.5
	v_div_scale_f32 v4, vcc, -0.5, v15, -0.5
	s_mov_b32 s4, 0x800000
	v_cmp_gt_f32_e64 s[4:5], s4, v15
	v_cndmask_b32_e64 v6, 0, 32, s[4:5]
	s_mov_b32 s20, 0x3f317217
	v_rcp_f32_e32 v5, v3
	v_fma_f32 v14, -v3, v5, 1.0
	v_fmac_f32_e32 v5, v14, v5
	v_mul_f32_e32 v14, v4, v5
	v_fma_f32 v16, -v3, v14, v4
	v_fmac_f32_e32 v14, v16, v5
	v_fma_f32 v3, -v3, v14, v4
	v_div_fmas_f32 v3, v3, v5, v14
	v_ldexp_f32 v4, v15, v6
	v_log_f32_e32 v4, v4
	v_mul_f32_e32 v5, 0x3f317217, v4
	v_fma_f32 v5, v4, s20, -v5
	v_fmac_f32_e32 v5, 0x3377d1cf, v4
	s_mov_b32 s20, 0x7f800000
	v_fmac_f32_e32 v5, 0x3f317217, v4
	v_cmp_lt_f32_e64 vcc, |v4|, s20
	v_cndmask_b32_e32 v4, v4, v5, vcc
	v_mov_b32_e32 v5, 0x41b17218
	v_cndmask_b32_e64 v5, 0, v5, s[4:5]
	v_sub_f32_e32 v4, v4, v5
	v_div_fixup_f32 v3, v3, v15, -0.5
	v_add_f32_e32 v3, v4, v3
	v_sub_f32_e32 v2, v3, v2
	v_add_f32_e32 v1, v1, v2
	v_cvt_f16_f32_e32 v14, v1
                                        ; implicit-def: $vgpr1
.LBB25_117:
	s_andn2_saveexec_b64 s[4:5], s[18:19]
; %bb.118:
	v_add_f32_e32 v1, 0x40101cb7, v1
	v_cvt_f16_f32_e32 v14, v1
; %bb.119:
	s_or_b64 exec, exec, s[4:5]
.LBB25_120:
	s_or_b64 exec, exec, s[16:17]
                                        ; implicit-def: $vgpr15
.LBB25_121:
	s_andn2_saveexec_b64 s[4:5], s[14:15]
; %bb.122:
	v_xor_b32_e32 v1, 0x80000000, v15
	s_movk_i32 s14, 0x8000
	v_and_b32_sdwa v1, v1, s14 dst_sel:DWORD dst_unused:UNUSED_PAD src0_sel:WORD_1 src1_sel:DWORD
	v_or_b32_e32 v14, 0x7c00, v1
; %bb.123:
	s_or_b64 exec, exec, s[4:5]
	v_cvt_f32_f16_sdwa v16, v12 dst_sel:DWORD dst_unused:UNUSED_PAD src0_sel:WORD_1
	v_mov_b32_e32 v1, 0
	v_cmp_neq_f16_sdwa s[4:5], v12, v1 src0_sel:WORD_1 src1_sel:DWORD
                                        ; implicit-def: $vgpr15
	s_and_saveexec_b64 s[14:15], s[4:5]
	s_xor_b64 s[14:15], exec, s[14:15]
	s_cbranch_execz .LBB25_145
; %bb.124:
	v_cmp_lt_f16_sdwa s[18:19], v12, v1 src0_sel:WORD_1 src1_sel:DWORD
	s_mov_b64 s[4:5], -1
	s_and_saveexec_b64 s[16:17], s[18:19]
	s_cbranch_execz .LBB25_132
; %bb.125:
	v_trunc_f32_e32 v1, v16
	v_cmp_neq_f32_e32 vcc, v1, v16
	s_mov_b64 s[20:21], 0
	v_mov_b32_e32 v1, 0
	s_and_saveexec_b64 s[18:19], vcc
	s_cbranch_execz .LBB25_131
; %bb.126:
	v_cvt_f32_f16_sdwa v1, v12 dst_sel:DWORD dst_unused:UNUSED_PAD src0_sel:WORD_1
	s_mov_b32 s22, 0
	s_mov_b32 s5, 0xc00921fb
	;; [unrolled: 1-line block ×3, first 2 shown]
	v_cvt_f64_f32_e32 v[1:2], v1
	s_mov_b32 s23, 0x7ff00000
	v_bfrev_b32_e32 v5, 1
	s_mov_b32 s20, 0
	v_trunc_f64_e32 v[3:4], v[1:2]
	v_cmp_neq_f64_e64 vcc, |v[1:2]|, s[22:23]
	s_mov_b32 s21, 0x41d00000
                                        ; implicit-def: $vgpr12
	v_add_f64 v[3:4], v[1:2], -v[3:4]
	v_mul_f64 v[3:4], |v[3:4]|, s[4:5]
	v_cndmask_b32_e32 v2, v5, v4, vcc
	v_cndmask_b32_e32 v1, 0, v3, vcc
	v_cmp_nlt_f64_e64 s[20:21], |v[1:2]|, s[20:21]
                                        ; implicit-def: $vgpr3_vgpr4
                                        ; implicit-def: $vgpr5_vgpr6
	s_and_saveexec_b64 s[24:25], s[20:21]
	s_xor_b64 s[20:21], exec, s[24:25]
	s_cbranch_execz .LBB25_128
; %bb.127:
	v_trig_preop_f64 v[3:4], |v[1:2]|, 0
	s_mov_b32 s24, 0
	s_mov_b32 s25, 0x7b000000
	s_movk_i32 s5, 0xff80
	v_ldexp_f64 v[17:18], |v[1:2]|, s5
	v_cmp_ge_f64_e64 vcc, |v[1:2]|, s[24:25]
	v_trig_preop_f64 v[5:6], |v[1:2]|, 1
	v_and_b32_e32 v12, 0x7fffffff, v2
	v_trig_preop_f64 v[25:26], |v[1:2]|, 2
	v_mov_b32_e32 v35, 0
	v_mov_b32_e32 v15, 0x3ff00000
	s_mov_b32 s5, 0x3ff921fb
	v_cndmask_b32_e32 v18, v12, v18, vcc
	v_cndmask_b32_e32 v17, v1, v17, vcc
	v_mov_b32_e32 v12, 0x40100000
	v_mul_f64 v[19:20], v[3:4], v[17:18]
	v_mul_f64 v[21:22], v[5:6], v[17:18]
	;; [unrolled: 1-line block ×3, first 2 shown]
	v_fma_f64 v[3:4], v[3:4], v[17:18], -v[19:20]
	v_fma_f64 v[5:6], v[5:6], v[17:18], -v[21:22]
	v_fma_f64 v[17:18], v[25:26], v[17:18], -v[31:32]
	v_add_f64 v[23:24], v[21:22], v[3:4]
	v_add_f64 v[27:28], v[23:24], -v[21:22]
	v_add_f64 v[33:34], v[19:20], v[23:24]
	v_add_f64 v[29:30], v[23:24], -v[27:28]
	v_add_f64 v[3:4], v[3:4], -v[27:28]
	v_add_f64 v[27:28], v[31:32], v[5:6]
	v_add_f64 v[19:20], v[33:34], -v[19:20]
	v_add_f64 v[21:22], v[21:22], -v[29:30]
	v_ldexp_f64 v[29:30], v[33:34], -2
	v_add_f64 v[37:38], v[27:28], -v[31:32]
	v_add_f64 v[19:20], v[23:24], -v[19:20]
	v_add_f64 v[3:4], v[3:4], v[21:22]
	v_fract_f64_e32 v[21:22], v[29:30]
	v_cmp_neq_f64_e64 vcc, |v[29:30]|, s[22:23]
	v_add_f64 v[5:6], v[5:6], -v[37:38]
	s_mov_b32 s22, 0x33145c07
	s_mov_b32 s23, 0x3c91a626
	v_add_f64 v[23:24], v[27:28], v[3:4]
	v_ldexp_f64 v[21:22], v[21:22], 2
	v_add_f64 v[29:30], v[19:20], v[23:24]
	v_cndmask_b32_e32 v22, 0, v22, vcc
	v_cndmask_b32_e32 v21, 0, v21, vcc
	v_add_f64 v[39:40], v[23:24], -v[27:28]
	v_add_f64 v[33:34], v[29:30], v[21:22]
	v_add_f64 v[19:20], v[29:30], -v[19:20]
	v_add_f64 v[41:42], v[23:24], -v[39:40]
	;; [unrolled: 1-line block ×3, first 2 shown]
	v_cmp_gt_f64_e32 vcc, 0, v[33:34]
	v_add_f64 v[33:34], v[27:28], -v[37:38]
	v_add_f64 v[19:20], v[23:24], -v[19:20]
	;; [unrolled: 1-line block ×3, first 2 shown]
	v_cndmask_b32_e32 v36, 0, v12, vcc
	v_add_f64 v[21:22], v[21:22], v[35:36]
	v_add_f64 v[33:34], v[31:32], -v[33:34]
	v_add_f64 v[3:4], v[3:4], v[27:28]
	v_add_f64 v[43:44], v[29:30], v[21:22]
	v_add_f64 v[5:6], v[5:6], v[33:34]
	v_cvt_i32_f64_e32 v12, v[43:44]
	v_add_f64 v[3:4], v[5:6], v[3:4]
	v_cvt_f64_i32_e32 v[36:37], v12
	v_add_f64 v[21:22], v[21:22], -v[36:37]
	v_add_f64 v[3:4], v[17:18], v[3:4]
	v_add_f64 v[5:6], v[29:30], v[21:22]
	;; [unrolled: 1-line block ×3, first 2 shown]
	v_add_f64 v[17:18], v[5:6], -v[21:22]
	v_cmp_le_f64_e32 vcc, 0.5, v[5:6]
	v_add_f64 v[17:18], v[29:30], -v[17:18]
	v_cndmask_b32_e32 v36, 0, v15, vcc
	v_add_f64 v[5:6], v[5:6], -v[35:36]
	v_addc_co_u32_e32 v12, vcc, 0, v12, vcc
	v_add_f64 v[3:4], v[3:4], v[17:18]
	v_add_f64 v[17:18], v[5:6], v[3:4]
	v_mul_f64 v[19:20], v[17:18], s[4:5]
	v_add_f64 v[5:6], v[17:18], -v[5:6]
	v_fma_f64 v[21:22], v[17:18], s[4:5], -v[19:20]
	v_add_f64 v[3:4], v[3:4], -v[5:6]
	v_fma_f64 v[5:6], v[17:18], s[22:23], v[21:22]
	v_fma_f64 v[5:6], v[3:4], s[4:5], v[5:6]
	v_add_f64 v[3:4], v[19:20], v[5:6]
	v_add_f64 v[17:18], v[3:4], -v[19:20]
	v_add_f64 v[5:6], v[5:6], -v[17:18]
.LBB25_128:
	s_andn2_saveexec_b64 s[4:5], s[20:21]
	s_cbranch_execz .LBB25_130
; %bb.129:
	s_mov_b32 s20, 0x6dc9c883
	s_mov_b32 s21, 0x3fe45f30
	v_mul_f64 v[3:4], |v[1:2]|, s[20:21]
	s_mov_b32 s20, 0x54442d18
	s_mov_b32 s21, 0xbff921fb
	;; [unrolled: 1-line block ×4, first 2 shown]
	v_rndne_f64_e32 v[17:18], v[3:4]
	v_fma_f64 v[3:4], v[17:18], s[20:21], |v[1:2]|
	v_mul_f64 v[5:6], v[17:18], s[22:23]
	s_mov_b32 s20, 0x252049c0
	s_mov_b32 s21, 0xb97b839a
	v_cvt_i32_f64_e32 v12, v[17:18]
	v_fma_f64 v[23:24], v[17:18], s[22:23], v[3:4]
	v_add_f64 v[19:20], v[3:4], v[5:6]
	s_mov_b32 s23, 0x3c91a626
	v_add_f64 v[21:22], v[3:4], -v[19:20]
	v_add_f64 v[19:20], v[19:20], -v[23:24]
	v_add_f64 v[3:4], v[21:22], v[5:6]
	v_fma_f64 v[5:6], v[17:18], s[22:23], v[5:6]
	v_add_f64 v[3:4], v[19:20], v[3:4]
	v_add_f64 v[3:4], v[3:4], -v[5:6]
	v_fma_f64 v[5:6], v[17:18], s[20:21], v[3:4]
	v_add_f64 v[3:4], v[23:24], v[5:6]
	v_add_f64 v[19:20], v[3:4], -v[23:24]
	v_add_f64 v[5:6], v[5:6], -v[19:20]
.LBB25_130:
	s_or_b64 exec, exec, s[4:5]
	v_mul_f64 v[17:18], v[3:4], v[3:4]
	v_add_f64 v[19:20], v[5:6], v[5:6]
	s_mov_b32 s4, 0xc751c08c
	s_mov_b32 s5, 0x3ef5e089
	v_and_b32_e32 v12, 1, v12
	v_cmp_eq_u32_e32 vcc, 0, v12
	v_and_b32_e32 v15, 0x80000000, v2
	s_mov_b32 s22, 0x54442d18
	v_fma_f64 v[21:22], v[3:4], v[3:4], -v[17:18]
	s_mov_b32 s23, 0xc00921fb
	s_mov_b64 s[20:21], exec
	v_sub_f32_e32 v16, 1.0, v16
	v_fma_f64 v[19:20], v[3:4], v[19:20], v[21:22]
	v_add_f64 v[17:18], v[17:18], v[19:20]
	v_mov_b32_e32 v19, 0xa9a29f71
	v_mov_b32_e32 v20, 0xbf078809
	v_fma_f64 v[19:20], v[17:18], s[4:5], v[19:20]
	s_mov_b32 s4, 0x90a8aae0
	s_mov_b32 s5, 0x3f17746f
	v_fma_f64 v[19:20], v[17:18], v[19:20], s[4:5]
	s_mov_b32 s4, 0xa6fbf144
	s_mov_b32 s5, 0xbefbb44d
	;; [unrolled: 3-line block ×12, first 2 shown]
	v_fma_f64 v[19:20], v[17:18], v[19:20], s[4:5]
	s_movk_i32 s4, 0x1f8
	v_cmp_class_f64_e64 s[4:5], v[1:2], s4
	v_mov_b32_e32 v2, 0x7ff80000
	v_mul_f64 v[17:18], v[17:18], v[19:20]
	v_mul_f64 v[19:20], v[3:4], v[17:18]
	v_add_f64 v[21:22], v[3:4], v[19:20]
	v_fma_f64 v[17:18], v[3:4], v[17:18], -v[19:20]
	v_add_f64 v[3:4], v[21:22], -v[3:4]
	v_add_f64 v[5:6], v[5:6], v[17:18]
	v_add_f64 v[3:4], v[19:20], -v[3:4]
	v_add_f64 v[3:4], v[5:6], v[3:4]
	v_add_f64 v[5:6], v[21:22], v[3:4]
	v_rcp_f64_e32 v[17:18], v[5:6]
	v_fma_f64 v[19:20], -v[5:6], v[17:18], 1.0
	v_fma_f64 v[17:18], v[19:20], v[17:18], v[17:18]
	v_fma_f64 v[19:20], -v[5:6], v[17:18], 1.0
	v_fma_f64 v[17:18], v[19:20], v[17:18], v[17:18]
	v_add_f64 v[19:20], v[5:6], -v[21:22]
	v_mul_f64 v[21:22], v[5:6], v[17:18]
	v_add_f64 v[3:4], v[3:4], -v[19:20]
	v_fma_f64 v[19:20], v[17:18], v[5:6], -v[21:22]
	v_fma_f64 v[3:4], v[17:18], v[3:4], v[19:20]
	v_add_f64 v[19:20], v[21:22], v[3:4]
	v_add_f64 v[23:24], -v[19:20], 1.0
	v_add_f64 v[21:22], v[19:20], -v[21:22]
	v_add_f64 v[25:26], -v[23:24], 1.0
	v_add_f64 v[3:4], v[21:22], -v[3:4]
	v_add_f64 v[19:20], v[25:26], -v[19:20]
	v_add_f64 v[3:4], v[3:4], v[19:20]
	v_add_f64 v[3:4], v[23:24], v[3:4]
	v_mul_f64 v[3:4], v[17:18], v[3:4]
	v_add_f64 v[3:4], v[17:18], v[3:4]
	v_xor_b32_e32 v1, 0x80000000, v4
	v_cndmask_b32_e32 v3, v3, v5, vcc
	v_cndmask_b32_e32 v4, v1, v6, vcc
	v_cndmask_b32_e64 v1, 0, v3, s[4:5]
	v_xor_b32_e32 v3, v4, v15
	v_cndmask_b32_e64 v2, v2, v3, s[4:5]
	v_div_scale_f64 v[3:4], s[4:5], v[1:2], v[1:2], s[22:23]
	v_div_scale_f64 v[19:20], vcc, s[22:23], v[1:2], s[22:23]
	v_rcp_f64_e32 v[5:6], v[3:4]
	v_fma_f64 v[17:18], -v[3:4], v[5:6], 1.0
	v_fma_f64 v[5:6], v[5:6], v[17:18], v[5:6]
	v_fma_f64 v[17:18], -v[3:4], v[5:6], 1.0
	v_fma_f64 v[5:6], v[5:6], v[17:18], v[5:6]
	v_mul_f64 v[17:18], v[19:20], v[5:6]
	v_fma_f64 v[3:4], -v[3:4], v[17:18], v[19:20]
	v_div_fmas_f64 v[3:4], v[3:4], v[5:6], v[17:18]
	v_div_fixup_f64 v[1:2], v[3:4], v[1:2], s[22:23]
	v_cvt_f32_f64_e32 v1, v[1:2]
.LBB25_131:
	s_or_b64 exec, exec, s[18:19]
	s_orn2_b64 s[4:5], s[20:21], exec
.LBB25_132:
	s_or_b64 exec, exec, s[16:17]
	v_mov_b32_e32 v15, 0x7e00
	s_and_saveexec_b64 s[16:17], s[4:5]
	s_cbranch_execz .LBB25_144
; %bb.133:
	s_mov_b32 s20, 0x41200000
	v_cmp_gt_f32_e32 vcc, s20, v16
	s_and_saveexec_b64 s[4:5], vcc
	s_cbranch_execz .LBB25_137
; %bb.134:
	s_mov_b64 s[18:19], 0
.LBB25_135:                             ; =>This Inner Loop Header: Depth=1
	v_div_scale_f32 v2, s[22:23], v16, v16, 1.0
	v_div_scale_f32 v3, vcc, 1.0, v16, 1.0
	v_rcp_f32_e32 v4, v2
	v_fma_f32 v5, -v2, v4, 1.0
	v_fmac_f32_e32 v4, v5, v4
	v_mul_f32_e32 v5, v3, v4
	v_fma_f32 v6, -v2, v5, v3
	v_fmac_f32_e32 v5, v6, v4
	v_fma_f32 v2, -v2, v5, v3
	v_div_fmas_f32 v2, v2, v4, v5
	v_div_fixup_f32 v2, v2, v16, 1.0
	v_add_f32_e32 v16, 1.0, v16
	v_cmp_ngt_f32_e32 vcc, s20, v16
	s_or_b64 s[18:19], vcc, s[18:19]
	v_sub_f32_e32 v1, v1, v2
	s_andn2_b64 exec, exec, s[18:19]
	s_cbranch_execnz .LBB25_135
; %bb.136:
	s_or_b64 exec, exec, s[18:19]
.LBB25_137:
	s_or_b64 exec, exec, s[4:5]
	s_mov_b32 s4, 0x41200000
	v_cmp_neq_f32_e32 vcc, s4, v16
                                        ; implicit-def: $vgpr15
	s_and_saveexec_b64 s[4:5], vcc
	s_xor_b64 s[18:19], exec, s[4:5]
	s_cbranch_execz .LBB25_141
; %bb.138:
	v_cvt_f64_f32_e32 v[2:3], v16
	s_mov_b32 s4, 0x85d8a000
	s_mov_b32 s5, 0x43763457
	v_cmp_gt_f64_e32 vcc, s[4:5], v[2:3]
	v_mov_b32_e32 v2, 0
	s_and_saveexec_b64 s[4:5], vcc
	s_cbranch_execz .LBB25_140
; %bb.139:
	v_mul_f32_e32 v2, v16, v16
	v_div_scale_f32 v3, s[20:21], v2, v2, 1.0
	v_div_scale_f32 v4, vcc, 1.0, v2, 1.0
	v_mov_b32_e32 v15, 0x3b820821
	v_rcp_f32_e32 v5, v3
	v_fma_f32 v6, -v3, v5, 1.0
	v_fmac_f32_e32 v5, v6, v5
	v_mul_f32_e32 v6, v4, v5
	v_fma_f32 v12, -v3, v6, v4
	v_fmac_f32_e32 v6, v12, v5
	v_fma_f32 v3, -v3, v6, v4
	v_div_fmas_f32 v3, v3, v5, v6
	v_mov_b32_e32 v4, 0x3daaaaab
	v_mov_b32_e32 v5, 0xbcaccacd
	;; [unrolled: 1-line block ×4, first 2 shown]
	v_div_fixup_f32 v2, v3, v2, 1.0
	v_fma_f32 v3, 0, v2, v4
	v_fmac_f32_e32 v5, v2, v3
	v_fmac_f32_e32 v6, v2, v5
	;; [unrolled: 1-line block ×4, first 2 shown]
	v_mov_b32_e32 v3, 0xbc088889
	v_fmac_f32_e32 v3, v2, v15
	v_fmac_f32_e32 v4, v2, v3
	v_mul_f32_e32 v2, v2, v4
.LBB25_140:
	s_or_b64 exec, exec, s[4:5]
	v_div_scale_f32 v3, s[4:5], v16, v16, -0.5
	v_div_scale_f32 v4, vcc, -0.5, v16, -0.5
	s_mov_b32 s4, 0x800000
	v_cmp_gt_f32_e64 s[4:5], s4, v16
	v_cndmask_b32_e64 v6, 0, 32, s[4:5]
	s_mov_b32 s20, 0x3f317217
	v_rcp_f32_e32 v5, v3
	v_fma_f32 v12, -v3, v5, 1.0
	v_fmac_f32_e32 v5, v12, v5
	v_mul_f32_e32 v12, v4, v5
	v_fma_f32 v15, -v3, v12, v4
	v_fmac_f32_e32 v12, v15, v5
	v_fma_f32 v3, -v3, v12, v4
	v_div_fmas_f32 v3, v3, v5, v12
	v_ldexp_f32 v4, v16, v6
	v_log_f32_e32 v4, v4
	v_mul_f32_e32 v5, 0x3f317217, v4
	v_fma_f32 v5, v4, s20, -v5
	v_fmac_f32_e32 v5, 0x3377d1cf, v4
	s_mov_b32 s20, 0x7f800000
	v_fmac_f32_e32 v5, 0x3f317217, v4
	v_cmp_lt_f32_e64 vcc, |v4|, s20
	v_cndmask_b32_e32 v4, v4, v5, vcc
	v_mov_b32_e32 v5, 0x41b17218
	v_cndmask_b32_e64 v5, 0, v5, s[4:5]
	v_sub_f32_e32 v4, v4, v5
	v_div_fixup_f32 v3, v3, v16, -0.5
	v_add_f32_e32 v3, v4, v3
	v_sub_f32_e32 v2, v3, v2
	v_add_f32_e32 v1, v1, v2
	v_cvt_f16_f32_e32 v15, v1
                                        ; implicit-def: $vgpr1
.LBB25_141:
	s_andn2_saveexec_b64 s[4:5], s[18:19]
; %bb.142:
	v_add_f32_e32 v1, 0x40101cb7, v1
	v_cvt_f16_f32_e32 v15, v1
; %bb.143:
	s_or_b64 exec, exec, s[4:5]
.LBB25_144:
	s_or_b64 exec, exec, s[16:17]
                                        ; implicit-def: $vgpr16
.LBB25_145:
	s_andn2_saveexec_b64 s[4:5], s[14:15]
; %bb.146:
	v_xor_b32_e32 v1, 0x80000000, v16
	s_movk_i32 s14, 0x8000
	v_and_b32_sdwa v1, v1, s14 dst_sel:DWORD dst_unused:UNUSED_PAD src0_sel:WORD_1 src1_sel:DWORD
	v_or_b32_e32 v15, 0x7c00, v1
; %bb.147:
	s_or_b64 exec, exec, s[4:5]
	s_waitcnt vmcnt(0)
	v_cvt_f32_f16_e32 v16, v9
	v_cmp_neq_f16_e32 vcc, 0, v9
                                        ; implicit-def: $vgpr12
	s_and_saveexec_b64 s[4:5], vcc
	s_xor_b64 s[14:15], exec, s[4:5]
	s_cbranch_execz .LBB25_169
; %bb.148:
	v_cmp_gt_f16_e32 vcc, 0, v9
	s_mov_b64 s[4:5], -1
	v_mov_b32_e32 v1, 0
	s_and_saveexec_b64 s[16:17], vcc
	s_cbranch_execz .LBB25_156
; %bb.149:
	v_trunc_f32_e32 v1, v16
	v_cmp_neq_f32_e32 vcc, v1, v16
	s_mov_b64 s[20:21], 0
	v_mov_b32_e32 v1, 0
	s_and_saveexec_b64 s[18:19], vcc
	s_cbranch_execz .LBB25_155
; %bb.150:
	v_cvt_f32_f16_e32 v1, v9
	s_mov_b32 s22, 0
	s_mov_b32 s5, 0xc00921fb
	;; [unrolled: 1-line block ×3, first 2 shown]
	v_cvt_f64_f32_e32 v[1:2], v1
	s_mov_b32 s23, 0x7ff00000
	v_bfrev_b32_e32 v5, 1
	s_mov_b32 s20, 0
	v_trunc_f64_e32 v[3:4], v[1:2]
	v_cmp_neq_f64_e64 vcc, |v[1:2]|, s[22:23]
	s_mov_b32 s21, 0x41d00000
                                        ; implicit-def: $vgpr12
	v_add_f64 v[3:4], v[1:2], -v[3:4]
	v_mul_f64 v[3:4], |v[3:4]|, s[4:5]
	v_cndmask_b32_e32 v2, v5, v4, vcc
	v_cndmask_b32_e32 v1, 0, v3, vcc
	v_cmp_nlt_f64_e64 s[20:21], |v[1:2]|, s[20:21]
                                        ; implicit-def: $vgpr3_vgpr4
                                        ; implicit-def: $vgpr5_vgpr6
	s_and_saveexec_b64 s[24:25], s[20:21]
	s_xor_b64 s[20:21], exec, s[24:25]
	s_cbranch_execz .LBB25_152
; %bb.151:
	v_trig_preop_f64 v[3:4], |v[1:2]|, 0
	s_mov_b32 s24, 0
	s_mov_b32 s25, 0x7b000000
	s_movk_i32 s5, 0xff80
	v_ldexp_f64 v[17:18], |v[1:2]|, s5
	v_cmp_ge_f64_e64 vcc, |v[1:2]|, s[24:25]
	v_trig_preop_f64 v[5:6], |v[1:2]|, 1
	v_and_b32_e32 v12, 0x7fffffff, v2
	v_trig_preop_f64 v[25:26], |v[1:2]|, 2
	v_mov_b32_e32 v35, 0
	s_mov_b32 s5, 0x3ff921fb
	v_cndmask_b32_e32 v18, v12, v18, vcc
	v_cndmask_b32_e32 v17, v1, v17, vcc
	v_mov_b32_e32 v12, 0x40100000
	v_mul_f64 v[19:20], v[3:4], v[17:18]
	v_mul_f64 v[21:22], v[5:6], v[17:18]
	v_mul_f64 v[31:32], v[25:26], v[17:18]
	v_fma_f64 v[3:4], v[3:4], v[17:18], -v[19:20]
	v_fma_f64 v[5:6], v[5:6], v[17:18], -v[21:22]
	;; [unrolled: 1-line block ×3, first 2 shown]
	v_add_f64 v[23:24], v[21:22], v[3:4]
	v_add_f64 v[27:28], v[23:24], -v[21:22]
	v_add_f64 v[33:34], v[19:20], v[23:24]
	v_add_f64 v[29:30], v[23:24], -v[27:28]
	v_add_f64 v[3:4], v[3:4], -v[27:28]
	v_add_f64 v[27:28], v[31:32], v[5:6]
	v_add_f64 v[19:20], v[33:34], -v[19:20]
	v_add_f64 v[21:22], v[21:22], -v[29:30]
	v_ldexp_f64 v[29:30], v[33:34], -2
	v_add_f64 v[37:38], v[27:28], -v[31:32]
	v_add_f64 v[19:20], v[23:24], -v[19:20]
	v_add_f64 v[3:4], v[3:4], v[21:22]
	v_fract_f64_e32 v[21:22], v[29:30]
	v_cmp_neq_f64_e64 vcc, |v[29:30]|, s[22:23]
	v_add_f64 v[5:6], v[5:6], -v[37:38]
	s_mov_b32 s22, 0x33145c07
	s_mov_b32 s23, 0x3c91a626
	v_add_f64 v[23:24], v[27:28], v[3:4]
	v_ldexp_f64 v[21:22], v[21:22], 2
	v_add_f64 v[29:30], v[19:20], v[23:24]
	v_cndmask_b32_e32 v22, 0, v22, vcc
	v_cndmask_b32_e32 v21, 0, v21, vcc
	v_add_f64 v[39:40], v[23:24], -v[27:28]
	v_add_f64 v[33:34], v[29:30], v[21:22]
	v_add_f64 v[19:20], v[29:30], -v[19:20]
	v_add_f64 v[41:42], v[23:24], -v[39:40]
	;; [unrolled: 1-line block ×3, first 2 shown]
	v_cmp_gt_f64_e32 vcc, 0, v[33:34]
	v_add_f64 v[33:34], v[27:28], -v[37:38]
	v_add_f64 v[19:20], v[23:24], -v[19:20]
	;; [unrolled: 1-line block ×3, first 2 shown]
	v_cndmask_b32_e32 v36, 0, v12, vcc
	v_add_f64 v[21:22], v[21:22], v[35:36]
	v_add_f64 v[33:34], v[31:32], -v[33:34]
	v_add_f64 v[3:4], v[3:4], v[27:28]
	v_add_f64 v[43:44], v[29:30], v[21:22]
	;; [unrolled: 1-line block ×3, first 2 shown]
	v_cvt_i32_f64_e32 v12, v[43:44]
	v_add_f64 v[3:4], v[5:6], v[3:4]
	v_cvt_f64_i32_e32 v[36:37], v12
	v_add_f64 v[21:22], v[21:22], -v[36:37]
	v_add_f64 v[3:4], v[17:18], v[3:4]
	v_add_f64 v[5:6], v[29:30], v[21:22]
	;; [unrolled: 1-line block ×3, first 2 shown]
	v_mov_b32_e32 v19, 0x3ff00000
	v_add_f64 v[17:18], v[5:6], -v[21:22]
	v_cmp_le_f64_e32 vcc, 0.5, v[5:6]
	v_add_f64 v[17:18], v[29:30], -v[17:18]
	v_cndmask_b32_e32 v36, 0, v19, vcc
	v_add_f64 v[5:6], v[5:6], -v[35:36]
	v_addc_co_u32_e32 v12, vcc, 0, v12, vcc
	v_add_f64 v[3:4], v[3:4], v[17:18]
	v_add_f64 v[17:18], v[5:6], v[3:4]
	v_mul_f64 v[19:20], v[17:18], s[4:5]
	v_add_f64 v[5:6], v[17:18], -v[5:6]
	v_fma_f64 v[21:22], v[17:18], s[4:5], -v[19:20]
	v_add_f64 v[3:4], v[3:4], -v[5:6]
	v_fma_f64 v[5:6], v[17:18], s[22:23], v[21:22]
	v_fma_f64 v[5:6], v[3:4], s[4:5], v[5:6]
	v_add_f64 v[3:4], v[19:20], v[5:6]
	v_add_f64 v[17:18], v[3:4], -v[19:20]
	v_add_f64 v[5:6], v[5:6], -v[17:18]
.LBB25_152:
	s_andn2_saveexec_b64 s[4:5], s[20:21]
	s_cbranch_execz .LBB25_154
; %bb.153:
	s_mov_b32 s20, 0x6dc9c883
	s_mov_b32 s21, 0x3fe45f30
	v_mul_f64 v[3:4], |v[1:2]|, s[20:21]
	s_mov_b32 s20, 0x54442d18
	s_mov_b32 s21, 0xbff921fb
	;; [unrolled: 1-line block ×4, first 2 shown]
	v_rndne_f64_e32 v[17:18], v[3:4]
	v_fma_f64 v[3:4], v[17:18], s[20:21], |v[1:2]|
	v_mul_f64 v[5:6], v[17:18], s[22:23]
	s_mov_b32 s20, 0x252049c0
	s_mov_b32 s21, 0xb97b839a
	v_cvt_i32_f64_e32 v12, v[17:18]
	v_fma_f64 v[23:24], v[17:18], s[22:23], v[3:4]
	v_add_f64 v[19:20], v[3:4], v[5:6]
	s_mov_b32 s23, 0x3c91a626
	v_add_f64 v[21:22], v[3:4], -v[19:20]
	v_add_f64 v[19:20], v[19:20], -v[23:24]
	v_add_f64 v[3:4], v[21:22], v[5:6]
	v_fma_f64 v[5:6], v[17:18], s[22:23], v[5:6]
	v_add_f64 v[3:4], v[19:20], v[3:4]
	v_add_f64 v[3:4], v[3:4], -v[5:6]
	v_fma_f64 v[5:6], v[17:18], s[20:21], v[3:4]
	v_add_f64 v[3:4], v[23:24], v[5:6]
	v_add_f64 v[19:20], v[3:4], -v[23:24]
	v_add_f64 v[5:6], v[5:6], -v[19:20]
.LBB25_154:
	s_or_b64 exec, exec, s[4:5]
	v_mul_f64 v[17:18], v[3:4], v[3:4]
	v_add_f64 v[19:20], v[5:6], v[5:6]
	s_mov_b32 s4, 0xc751c08c
	s_mov_b32 s5, 0x3ef5e089
	v_and_b32_e32 v12, 1, v12
	v_cmp_eq_u32_e32 vcc, 0, v12
	s_mov_b32 s22, 0x54442d18
	s_mov_b32 s23, 0xc00921fb
	v_fma_f64 v[21:22], v[3:4], v[3:4], -v[17:18]
	s_mov_b64 s[20:21], exec
	v_sub_f32_e32 v16, 1.0, v16
	v_fma_f64 v[19:20], v[3:4], v[19:20], v[21:22]
	v_add_f64 v[17:18], v[17:18], v[19:20]
	v_mov_b32_e32 v19, 0xa9a29f71
	v_mov_b32_e32 v20, 0xbf078809
	v_fma_f64 v[19:20], v[17:18], s[4:5], v[19:20]
	s_mov_b32 s4, 0x90a8aae0
	s_mov_b32 s5, 0x3f17746f
	v_fma_f64 v[19:20], v[17:18], v[19:20], s[4:5]
	s_mov_b32 s4, 0xa6fbf144
	s_mov_b32 s5, 0xbefbb44d
	;; [unrolled: 3-line block ×12, first 2 shown]
	v_fma_f64 v[19:20], v[17:18], v[19:20], s[4:5]
	s_movk_i32 s4, 0x1f8
	v_cmp_class_f64_e64 s[4:5], v[1:2], s4
	v_mul_f64 v[17:18], v[17:18], v[19:20]
	v_mul_f64 v[19:20], v[3:4], v[17:18]
	v_add_f64 v[21:22], v[3:4], v[19:20]
	v_fma_f64 v[17:18], v[3:4], v[17:18], -v[19:20]
	v_add_f64 v[3:4], v[21:22], -v[3:4]
	v_add_f64 v[5:6], v[5:6], v[17:18]
	v_add_f64 v[3:4], v[19:20], -v[3:4]
	v_add_f64 v[3:4], v[5:6], v[3:4]
	v_add_f64 v[5:6], v[21:22], v[3:4]
	v_rcp_f64_e32 v[17:18], v[5:6]
	v_fma_f64 v[19:20], -v[5:6], v[17:18], 1.0
	v_fma_f64 v[17:18], v[19:20], v[17:18], v[17:18]
	v_fma_f64 v[19:20], -v[5:6], v[17:18], 1.0
	v_fma_f64 v[17:18], v[19:20], v[17:18], v[17:18]
	v_add_f64 v[19:20], v[5:6], -v[21:22]
	v_mul_f64 v[21:22], v[5:6], v[17:18]
	v_add_f64 v[3:4], v[3:4], -v[19:20]
	v_fma_f64 v[19:20], v[17:18], v[5:6], -v[21:22]
	v_fma_f64 v[3:4], v[17:18], v[3:4], v[19:20]
	v_add_f64 v[19:20], v[21:22], v[3:4]
	v_add_f64 v[23:24], -v[19:20], 1.0
	v_add_f64 v[21:22], v[19:20], -v[21:22]
	v_add_f64 v[25:26], -v[23:24], 1.0
	v_add_f64 v[3:4], v[21:22], -v[3:4]
	v_add_f64 v[19:20], v[25:26], -v[19:20]
	v_add_f64 v[3:4], v[3:4], v[19:20]
	v_add_f64 v[3:4], v[23:24], v[3:4]
	v_mul_f64 v[3:4], v[17:18], v[3:4]
	v_add_f64 v[3:4], v[17:18], v[3:4]
	v_and_b32_e32 v17, 0x80000000, v2
	v_mov_b32_e32 v2, 0x7ff80000
	v_xor_b32_e32 v1, 0x80000000, v4
	v_cndmask_b32_e32 v3, v3, v5, vcc
	v_cndmask_b32_e32 v4, v1, v6, vcc
	v_cndmask_b32_e64 v1, 0, v3, s[4:5]
	v_xor_b32_e32 v3, v4, v17
	v_cndmask_b32_e64 v2, v2, v3, s[4:5]
	v_div_scale_f64 v[3:4], s[4:5], v[1:2], v[1:2], s[22:23]
	v_div_scale_f64 v[19:20], vcc, s[22:23], v[1:2], s[22:23]
	v_rcp_f64_e32 v[5:6], v[3:4]
	v_fma_f64 v[17:18], -v[3:4], v[5:6], 1.0
	v_fma_f64 v[5:6], v[5:6], v[17:18], v[5:6]
	v_fma_f64 v[17:18], -v[3:4], v[5:6], 1.0
	v_fma_f64 v[5:6], v[5:6], v[17:18], v[5:6]
	v_mul_f64 v[17:18], v[19:20], v[5:6]
	v_fma_f64 v[3:4], -v[3:4], v[17:18], v[19:20]
	v_div_fmas_f64 v[3:4], v[3:4], v[5:6], v[17:18]
	v_div_fixup_f64 v[1:2], v[3:4], v[1:2], s[22:23]
	v_cvt_f32_f64_e32 v1, v[1:2]
.LBB25_155:
	s_or_b64 exec, exec, s[18:19]
	s_orn2_b64 s[4:5], s[20:21], exec
.LBB25_156:
	s_or_b64 exec, exec, s[16:17]
	v_mov_b32_e32 v12, 0x7e00
	s_and_saveexec_b64 s[16:17], s[4:5]
	s_cbranch_execz .LBB25_168
; %bb.157:
	s_mov_b32 s20, 0x41200000
	v_cmp_gt_f32_e32 vcc, s20, v16
	s_and_saveexec_b64 s[4:5], vcc
	s_cbranch_execz .LBB25_161
; %bb.158:
	s_mov_b64 s[18:19], 0
.LBB25_159:                             ; =>This Inner Loop Header: Depth=1
	v_div_scale_f32 v2, s[22:23], v16, v16, 1.0
	v_div_scale_f32 v3, vcc, 1.0, v16, 1.0
	v_rcp_f32_e32 v4, v2
	v_fma_f32 v5, -v2, v4, 1.0
	v_fmac_f32_e32 v4, v5, v4
	v_mul_f32_e32 v5, v3, v4
	v_fma_f32 v6, -v2, v5, v3
	v_fmac_f32_e32 v5, v6, v4
	v_fma_f32 v2, -v2, v5, v3
	v_div_fmas_f32 v2, v2, v4, v5
	v_div_fixup_f32 v2, v2, v16, 1.0
	v_add_f32_e32 v16, 1.0, v16
	v_cmp_ngt_f32_e32 vcc, s20, v16
	s_or_b64 s[18:19], vcc, s[18:19]
	v_sub_f32_e32 v1, v1, v2
	s_andn2_b64 exec, exec, s[18:19]
	s_cbranch_execnz .LBB25_159
; %bb.160:
	s_or_b64 exec, exec, s[18:19]
.LBB25_161:
	s_or_b64 exec, exec, s[4:5]
	s_mov_b32 s4, 0x41200000
	v_cmp_neq_f32_e32 vcc, s4, v16
                                        ; implicit-def: $vgpr12
	s_and_saveexec_b64 s[4:5], vcc
	s_xor_b64 s[18:19], exec, s[4:5]
	s_cbranch_execz .LBB25_165
; %bb.162:
	v_cvt_f64_f32_e32 v[2:3], v16
	s_mov_b32 s4, 0x85d8a000
	s_mov_b32 s5, 0x43763457
	v_cmp_gt_f64_e32 vcc, s[4:5], v[2:3]
	v_mov_b32_e32 v2, 0
	s_and_saveexec_b64 s[4:5], vcc
	s_cbranch_execz .LBB25_164
; %bb.163:
	v_mul_f32_e32 v2, v16, v16
	v_div_scale_f32 v3, s[20:21], v2, v2, 1.0
	v_div_scale_f32 v4, vcc, 1.0, v2, 1.0
	v_mov_b32_e32 v17, 0x3b820821
	v_rcp_f32_e32 v5, v3
	v_fma_f32 v6, -v3, v5, 1.0
	v_fmac_f32_e32 v5, v6, v5
	v_mul_f32_e32 v6, v4, v5
	v_fma_f32 v12, -v3, v6, v4
	v_fmac_f32_e32 v6, v12, v5
	v_fma_f32 v3, -v3, v6, v4
	v_div_fmas_f32 v3, v3, v5, v6
	v_mov_b32_e32 v4, 0x3daaaaab
	v_mov_b32_e32 v5, 0xbcaccacd
	;; [unrolled: 1-line block ×4, first 2 shown]
	v_div_fixup_f32 v2, v3, v2, 1.0
	v_fma_f32 v3, 0, v2, v4
	v_fmac_f32_e32 v5, v2, v3
	v_fmac_f32_e32 v6, v2, v5
	;; [unrolled: 1-line block ×4, first 2 shown]
	v_mov_b32_e32 v3, 0xbc088889
	v_fmac_f32_e32 v3, v2, v17
	v_fmac_f32_e32 v4, v2, v3
	v_mul_f32_e32 v2, v2, v4
.LBB25_164:
	s_or_b64 exec, exec, s[4:5]
	v_div_scale_f32 v3, s[4:5], v16, v16, -0.5
	v_div_scale_f32 v4, vcc, -0.5, v16, -0.5
	s_mov_b32 s4, 0x800000
	v_cmp_gt_f32_e64 s[4:5], s4, v16
	v_cndmask_b32_e64 v6, 0, 32, s[4:5]
	s_mov_b32 s20, 0x3f317217
	v_rcp_f32_e32 v5, v3
	v_fma_f32 v12, -v3, v5, 1.0
	v_fmac_f32_e32 v5, v12, v5
	v_mul_f32_e32 v12, v4, v5
	v_fma_f32 v17, -v3, v12, v4
	v_fmac_f32_e32 v12, v17, v5
	v_fma_f32 v3, -v3, v12, v4
	v_div_fmas_f32 v3, v3, v5, v12
	v_ldexp_f32 v4, v16, v6
	v_log_f32_e32 v4, v4
	v_mul_f32_e32 v5, 0x3f317217, v4
	v_fma_f32 v5, v4, s20, -v5
	v_fmac_f32_e32 v5, 0x3377d1cf, v4
	s_mov_b32 s20, 0x7f800000
	v_fmac_f32_e32 v5, 0x3f317217, v4
	v_cmp_lt_f32_e64 vcc, |v4|, s20
	v_cndmask_b32_e32 v4, v4, v5, vcc
	v_mov_b32_e32 v5, 0x41b17218
	v_cndmask_b32_e64 v5, 0, v5, s[4:5]
	v_sub_f32_e32 v4, v4, v5
	v_div_fixup_f32 v3, v3, v16, -0.5
	v_add_f32_e32 v3, v4, v3
	v_sub_f32_e32 v2, v3, v2
	v_add_f32_e32 v1, v1, v2
	v_cvt_f16_f32_e32 v12, v1
                                        ; implicit-def: $vgpr1
.LBB25_165:
	s_andn2_saveexec_b64 s[4:5], s[18:19]
; %bb.166:
	v_add_f32_e32 v1, 0x40101cb7, v1
	v_cvt_f16_f32_e32 v12, v1
; %bb.167:
	s_or_b64 exec, exec, s[4:5]
.LBB25_168:
	s_or_b64 exec, exec, s[16:17]
                                        ; implicit-def: $vgpr16
.LBB25_169:
	s_andn2_saveexec_b64 s[4:5], s[14:15]
; %bb.170:
	v_xor_b32_e32 v1, 0x80000000, v16
	s_movk_i32 s14, 0x8000
	v_and_b32_sdwa v1, v1, s14 dst_sel:DWORD dst_unused:UNUSED_PAD src0_sel:WORD_1 src1_sel:DWORD
	v_or_b32_e32 v12, 0x7c00, v1
; %bb.171:
	s_or_b64 exec, exec, s[4:5]
	v_cvt_f32_f16_sdwa v16, v9 dst_sel:DWORD dst_unused:UNUSED_PAD src0_sel:WORD_1
	v_mov_b32_e32 v1, 0
	v_cmp_neq_f16_sdwa s[4:5], v9, v1 src0_sel:WORD_1 src1_sel:DWORD
                                        ; implicit-def: $vgpr2
	s_and_saveexec_b64 s[14:15], s[4:5]
	s_xor_b64 s[14:15], exec, s[14:15]
	s_cbranch_execz .LBB25_193
; %bb.172:
	v_cmp_lt_f16_sdwa s[18:19], v9, v1 src0_sel:WORD_1 src1_sel:DWORD
	s_mov_b64 s[4:5], -1
	s_and_saveexec_b64 s[16:17], s[18:19]
	s_cbranch_execz .LBB25_180
; %bb.173:
	v_trunc_f32_e32 v1, v16
	v_cmp_neq_f32_e32 vcc, v1, v16
	s_mov_b64 s[20:21], 0
	v_mov_b32_e32 v1, 0
	s_and_saveexec_b64 s[18:19], vcc
	s_cbranch_execz .LBB25_179
; %bb.174:
	v_cvt_f32_f16_sdwa v1, v9 dst_sel:DWORD dst_unused:UNUSED_PAD src0_sel:WORD_1
	s_mov_b32 s22, 0
	s_mov_b32 s5, 0xc00921fb
	;; [unrolled: 1-line block ×3, first 2 shown]
	v_cvt_f64_f32_e32 v[1:2], v1
	s_mov_b32 s23, 0x7ff00000
	v_bfrev_b32_e32 v5, 1
	s_mov_b32 s20, 0
	v_trunc_f64_e32 v[3:4], v[1:2]
	v_cmp_neq_f64_e64 vcc, |v[1:2]|, s[22:23]
	s_mov_b32 s21, 0x41d00000
                                        ; implicit-def: $vgpr9
	v_add_f64 v[3:4], v[1:2], -v[3:4]
	v_mul_f64 v[3:4], |v[3:4]|, s[4:5]
	v_cndmask_b32_e32 v2, v5, v4, vcc
	v_cndmask_b32_e32 v1, 0, v3, vcc
	v_cmp_nlt_f64_e64 s[20:21], |v[1:2]|, s[20:21]
                                        ; implicit-def: $vgpr3_vgpr4
                                        ; implicit-def: $vgpr5_vgpr6
	s_and_saveexec_b64 s[24:25], s[20:21]
	s_xor_b64 s[20:21], exec, s[24:25]
	s_cbranch_execz .LBB25_176
; %bb.175:
	v_trig_preop_f64 v[3:4], |v[1:2]|, 0
	s_mov_b32 s24, 0
	s_mov_b32 s25, 0x7b000000
	s_movk_i32 s5, 0xff80
	v_ldexp_f64 v[17:18], |v[1:2]|, s5
	v_cmp_ge_f64_e64 vcc, |v[1:2]|, s[24:25]
	v_trig_preop_f64 v[5:6], |v[1:2]|, 1
	v_and_b32_e32 v9, 0x7fffffff, v2
	v_trig_preop_f64 v[25:26], |v[1:2]|, 2
	v_mov_b32_e32 v35, 0
	s_mov_b32 s5, 0x3ff921fb
	v_cndmask_b32_e32 v18, v9, v18, vcc
	v_cndmask_b32_e32 v17, v1, v17, vcc
	v_mov_b32_e32 v9, 0x40100000
	v_mul_f64 v[19:20], v[3:4], v[17:18]
	v_mul_f64 v[21:22], v[5:6], v[17:18]
	;; [unrolled: 1-line block ×3, first 2 shown]
	v_fma_f64 v[3:4], v[3:4], v[17:18], -v[19:20]
	v_fma_f64 v[5:6], v[5:6], v[17:18], -v[21:22]
	;; [unrolled: 1-line block ×3, first 2 shown]
	v_add_f64 v[23:24], v[21:22], v[3:4]
	v_add_f64 v[27:28], v[23:24], -v[21:22]
	v_add_f64 v[33:34], v[19:20], v[23:24]
	v_add_f64 v[29:30], v[23:24], -v[27:28]
	v_add_f64 v[3:4], v[3:4], -v[27:28]
	v_add_f64 v[27:28], v[31:32], v[5:6]
	v_add_f64 v[19:20], v[33:34], -v[19:20]
	v_add_f64 v[21:22], v[21:22], -v[29:30]
	v_ldexp_f64 v[29:30], v[33:34], -2
	v_add_f64 v[37:38], v[27:28], -v[31:32]
	v_add_f64 v[19:20], v[23:24], -v[19:20]
	v_add_f64 v[3:4], v[3:4], v[21:22]
	v_fract_f64_e32 v[21:22], v[29:30]
	v_cmp_neq_f64_e64 vcc, |v[29:30]|, s[22:23]
	v_add_f64 v[5:6], v[5:6], -v[37:38]
	s_mov_b32 s22, 0x33145c07
	s_mov_b32 s23, 0x3c91a626
	v_add_f64 v[23:24], v[27:28], v[3:4]
	v_ldexp_f64 v[21:22], v[21:22], 2
	v_add_f64 v[29:30], v[19:20], v[23:24]
	v_cndmask_b32_e32 v22, 0, v22, vcc
	v_cndmask_b32_e32 v21, 0, v21, vcc
	v_add_f64 v[39:40], v[23:24], -v[27:28]
	v_add_f64 v[33:34], v[29:30], v[21:22]
	v_add_f64 v[19:20], v[29:30], -v[19:20]
	v_add_f64 v[41:42], v[23:24], -v[39:40]
	;; [unrolled: 1-line block ×3, first 2 shown]
	v_cmp_gt_f64_e32 vcc, 0, v[33:34]
	v_add_f64 v[33:34], v[27:28], -v[37:38]
	v_add_f64 v[19:20], v[23:24], -v[19:20]
	;; [unrolled: 1-line block ×3, first 2 shown]
	v_cndmask_b32_e32 v36, 0, v9, vcc
	v_add_f64 v[21:22], v[21:22], v[35:36]
	v_add_f64 v[33:34], v[31:32], -v[33:34]
	v_add_f64 v[3:4], v[3:4], v[27:28]
	v_add_f64 v[43:44], v[29:30], v[21:22]
	;; [unrolled: 1-line block ×3, first 2 shown]
	v_cvt_i32_f64_e32 v9, v[43:44]
	v_add_f64 v[3:4], v[5:6], v[3:4]
	v_cvt_f64_i32_e32 v[36:37], v9
	v_add_f64 v[21:22], v[21:22], -v[36:37]
	v_add_f64 v[3:4], v[17:18], v[3:4]
	v_add_f64 v[5:6], v[29:30], v[21:22]
	;; [unrolled: 1-line block ×3, first 2 shown]
	v_mov_b32_e32 v19, 0x3ff00000
	v_add_f64 v[17:18], v[5:6], -v[21:22]
	v_cmp_le_f64_e32 vcc, 0.5, v[5:6]
	v_add_f64 v[17:18], v[29:30], -v[17:18]
	v_cndmask_b32_e32 v36, 0, v19, vcc
	v_add_f64 v[5:6], v[5:6], -v[35:36]
	v_addc_co_u32_e32 v9, vcc, 0, v9, vcc
	v_add_f64 v[3:4], v[3:4], v[17:18]
	v_add_f64 v[17:18], v[5:6], v[3:4]
	v_mul_f64 v[19:20], v[17:18], s[4:5]
	v_add_f64 v[5:6], v[17:18], -v[5:6]
	v_fma_f64 v[21:22], v[17:18], s[4:5], -v[19:20]
	v_add_f64 v[3:4], v[3:4], -v[5:6]
	v_fma_f64 v[5:6], v[17:18], s[22:23], v[21:22]
	v_fma_f64 v[5:6], v[3:4], s[4:5], v[5:6]
	v_add_f64 v[3:4], v[19:20], v[5:6]
	v_add_f64 v[17:18], v[3:4], -v[19:20]
	v_add_f64 v[5:6], v[5:6], -v[17:18]
.LBB25_176:
	s_andn2_saveexec_b64 s[4:5], s[20:21]
	s_cbranch_execz .LBB25_178
; %bb.177:
	s_mov_b32 s20, 0x6dc9c883
	s_mov_b32 s21, 0x3fe45f30
	v_mul_f64 v[3:4], |v[1:2]|, s[20:21]
	s_mov_b32 s20, 0x54442d18
	s_mov_b32 s21, 0xbff921fb
	;; [unrolled: 1-line block ×4, first 2 shown]
	v_rndne_f64_e32 v[17:18], v[3:4]
	v_fma_f64 v[3:4], v[17:18], s[20:21], |v[1:2]|
	v_mul_f64 v[5:6], v[17:18], s[22:23]
	s_mov_b32 s20, 0x252049c0
	s_mov_b32 s21, 0xb97b839a
	v_cvt_i32_f64_e32 v9, v[17:18]
	v_fma_f64 v[23:24], v[17:18], s[22:23], v[3:4]
	v_add_f64 v[19:20], v[3:4], v[5:6]
	s_mov_b32 s23, 0x3c91a626
	v_add_f64 v[21:22], v[3:4], -v[19:20]
	v_add_f64 v[19:20], v[19:20], -v[23:24]
	v_add_f64 v[3:4], v[21:22], v[5:6]
	v_fma_f64 v[5:6], v[17:18], s[22:23], v[5:6]
	v_add_f64 v[3:4], v[19:20], v[3:4]
	v_add_f64 v[3:4], v[3:4], -v[5:6]
	v_fma_f64 v[5:6], v[17:18], s[20:21], v[3:4]
	v_add_f64 v[3:4], v[23:24], v[5:6]
	v_add_f64 v[19:20], v[3:4], -v[23:24]
	v_add_f64 v[5:6], v[5:6], -v[19:20]
.LBB25_178:
	s_or_b64 exec, exec, s[4:5]
	v_mul_f64 v[17:18], v[3:4], v[3:4]
	v_add_f64 v[19:20], v[5:6], v[5:6]
	s_mov_b32 s4, 0xc751c08c
	s_mov_b32 s5, 0x3ef5e089
	v_and_b32_e32 v9, 1, v9
	v_cmp_eq_u32_e32 vcc, 0, v9
	s_mov_b32 s22, 0x54442d18
	s_mov_b32 s23, 0xc00921fb
	v_fma_f64 v[21:22], v[3:4], v[3:4], -v[17:18]
	s_mov_b64 s[20:21], exec
	v_sub_f32_e32 v16, 1.0, v16
	v_fma_f64 v[19:20], v[3:4], v[19:20], v[21:22]
	v_add_f64 v[17:18], v[17:18], v[19:20]
	v_mov_b32_e32 v19, 0xa9a29f71
	v_mov_b32_e32 v20, 0xbf078809
	v_fma_f64 v[19:20], v[17:18], s[4:5], v[19:20]
	s_mov_b32 s4, 0x90a8aae0
	s_mov_b32 s5, 0x3f17746f
	v_fma_f64 v[19:20], v[17:18], v[19:20], s[4:5]
	s_mov_b32 s4, 0xa6fbf144
	s_mov_b32 s5, 0xbefbb44d
	;; [unrolled: 3-line block ×12, first 2 shown]
	v_fma_f64 v[19:20], v[17:18], v[19:20], s[4:5]
	s_movk_i32 s4, 0x1f8
	v_cmp_class_f64_e64 s[4:5], v[1:2], s4
	v_mul_f64 v[17:18], v[17:18], v[19:20]
	v_mul_f64 v[19:20], v[3:4], v[17:18]
	v_add_f64 v[21:22], v[3:4], v[19:20]
	v_fma_f64 v[17:18], v[3:4], v[17:18], -v[19:20]
	v_add_f64 v[3:4], v[21:22], -v[3:4]
	v_add_f64 v[5:6], v[5:6], v[17:18]
	v_add_f64 v[3:4], v[19:20], -v[3:4]
	v_add_f64 v[3:4], v[5:6], v[3:4]
	v_add_f64 v[5:6], v[21:22], v[3:4]
	v_rcp_f64_e32 v[17:18], v[5:6]
	v_fma_f64 v[19:20], -v[5:6], v[17:18], 1.0
	v_fma_f64 v[17:18], v[19:20], v[17:18], v[17:18]
	v_fma_f64 v[19:20], -v[5:6], v[17:18], 1.0
	v_fma_f64 v[17:18], v[19:20], v[17:18], v[17:18]
	v_add_f64 v[19:20], v[5:6], -v[21:22]
	v_mul_f64 v[21:22], v[5:6], v[17:18]
	v_add_f64 v[3:4], v[3:4], -v[19:20]
	v_fma_f64 v[19:20], v[17:18], v[5:6], -v[21:22]
	v_fma_f64 v[3:4], v[17:18], v[3:4], v[19:20]
	v_add_f64 v[19:20], v[21:22], v[3:4]
	v_add_f64 v[23:24], -v[19:20], 1.0
	v_add_f64 v[21:22], v[19:20], -v[21:22]
	v_add_f64 v[25:26], -v[23:24], 1.0
	v_add_f64 v[3:4], v[21:22], -v[3:4]
	v_add_f64 v[19:20], v[25:26], -v[19:20]
	v_add_f64 v[3:4], v[3:4], v[19:20]
	v_add_f64 v[3:4], v[23:24], v[3:4]
	v_mul_f64 v[3:4], v[17:18], v[3:4]
	v_add_f64 v[3:4], v[17:18], v[3:4]
	v_and_b32_e32 v17, 0x80000000, v2
	v_mov_b32_e32 v2, 0x7ff80000
	v_xor_b32_e32 v1, 0x80000000, v4
	v_cndmask_b32_e32 v3, v3, v5, vcc
	v_cndmask_b32_e32 v4, v1, v6, vcc
	v_cndmask_b32_e64 v1, 0, v3, s[4:5]
	v_xor_b32_e32 v3, v4, v17
	v_cndmask_b32_e64 v2, v2, v3, s[4:5]
	v_div_scale_f64 v[3:4], s[4:5], v[1:2], v[1:2], s[22:23]
	v_div_scale_f64 v[19:20], vcc, s[22:23], v[1:2], s[22:23]
	v_rcp_f64_e32 v[5:6], v[3:4]
	v_fma_f64 v[17:18], -v[3:4], v[5:6], 1.0
	v_fma_f64 v[5:6], v[5:6], v[17:18], v[5:6]
	v_fma_f64 v[17:18], -v[3:4], v[5:6], 1.0
	v_fma_f64 v[5:6], v[5:6], v[17:18], v[5:6]
	v_mul_f64 v[17:18], v[19:20], v[5:6]
	v_fma_f64 v[3:4], -v[3:4], v[17:18], v[19:20]
	v_div_fmas_f64 v[3:4], v[3:4], v[5:6], v[17:18]
	v_div_fixup_f64 v[1:2], v[3:4], v[1:2], s[22:23]
	v_cvt_f32_f64_e32 v1, v[1:2]
.LBB25_179:
	s_or_b64 exec, exec, s[18:19]
	s_orn2_b64 s[4:5], s[20:21], exec
.LBB25_180:
	s_or_b64 exec, exec, s[16:17]
	v_mov_b32_e32 v2, 0x7e00
	s_and_saveexec_b64 s[16:17], s[4:5]
	s_cbranch_execz .LBB25_192
; %bb.181:
	s_mov_b32 s20, 0x41200000
	v_cmp_gt_f32_e32 vcc, s20, v16
	s_and_saveexec_b64 s[4:5], vcc
	s_cbranch_execz .LBB25_185
; %bb.182:
	s_mov_b64 s[18:19], 0
.LBB25_183:                             ; =>This Inner Loop Header: Depth=1
	v_div_scale_f32 v2, s[22:23], v16, v16, 1.0
	v_div_scale_f32 v3, vcc, 1.0, v16, 1.0
	v_rcp_f32_e32 v4, v2
	v_fma_f32 v5, -v2, v4, 1.0
	v_fmac_f32_e32 v4, v5, v4
	v_mul_f32_e32 v5, v3, v4
	v_fma_f32 v6, -v2, v5, v3
	v_fmac_f32_e32 v5, v6, v4
	v_fma_f32 v2, -v2, v5, v3
	v_div_fmas_f32 v2, v2, v4, v5
	v_div_fixup_f32 v2, v2, v16, 1.0
	v_add_f32_e32 v16, 1.0, v16
	v_cmp_ngt_f32_e32 vcc, s20, v16
	s_or_b64 s[18:19], vcc, s[18:19]
	v_sub_f32_e32 v1, v1, v2
	s_andn2_b64 exec, exec, s[18:19]
	s_cbranch_execnz .LBB25_183
; %bb.184:
	s_or_b64 exec, exec, s[18:19]
.LBB25_185:
	s_or_b64 exec, exec, s[4:5]
	s_mov_b32 s4, 0x41200000
	v_cmp_neq_f32_e32 vcc, s4, v16
                                        ; implicit-def: $vgpr2
	s_and_saveexec_b64 s[4:5], vcc
	s_xor_b64 s[18:19], exec, s[4:5]
	s_cbranch_execz .LBB25_189
; %bb.186:
	v_cvt_f64_f32_e32 v[2:3], v16
	s_mov_b32 s4, 0x85d8a000
	s_mov_b32 s5, 0x43763457
	v_cmp_gt_f64_e32 vcc, s[4:5], v[2:3]
	v_mov_b32_e32 v2, 0
	s_and_saveexec_b64 s[4:5], vcc
	s_cbranch_execz .LBB25_188
; %bb.187:
	v_mul_f32_e32 v2, v16, v16
	v_div_scale_f32 v3, s[20:21], v2, v2, 1.0
	v_div_scale_f32 v4, vcc, 1.0, v2, 1.0
	v_mov_b32_e32 v17, 0x3b820821
	v_rcp_f32_e32 v5, v3
	v_fma_f32 v6, -v3, v5, 1.0
	v_fmac_f32_e32 v5, v6, v5
	v_mul_f32_e32 v6, v4, v5
	v_fma_f32 v9, -v3, v6, v4
	v_fmac_f32_e32 v6, v9, v5
	v_fma_f32 v3, -v3, v6, v4
	v_div_fmas_f32 v3, v3, v5, v6
	v_mov_b32_e32 v4, 0x3daaaaab
	v_mov_b32_e32 v5, 0xbcaccacd
	;; [unrolled: 1-line block ×4, first 2 shown]
	v_div_fixup_f32 v2, v3, v2, 1.0
	v_fma_f32 v3, 0, v2, v4
	v_fmac_f32_e32 v5, v2, v3
	v_fmac_f32_e32 v6, v2, v5
	;; [unrolled: 1-line block ×4, first 2 shown]
	v_mov_b32_e32 v3, 0xbc088889
	v_fmac_f32_e32 v3, v2, v17
	v_fmac_f32_e32 v4, v2, v3
	v_mul_f32_e32 v2, v2, v4
.LBB25_188:
	s_or_b64 exec, exec, s[4:5]
	v_div_scale_f32 v3, s[4:5], v16, v16, -0.5
	v_div_scale_f32 v4, vcc, -0.5, v16, -0.5
	s_mov_b32 s4, 0x800000
	v_cmp_gt_f32_e64 s[4:5], s4, v16
	v_cndmask_b32_e64 v6, 0, 32, s[4:5]
	s_mov_b32 s20, 0x3f317217
	v_rcp_f32_e32 v5, v3
	v_fma_f32 v9, -v3, v5, 1.0
	v_fmac_f32_e32 v5, v9, v5
	v_mul_f32_e32 v9, v4, v5
	v_fma_f32 v17, -v3, v9, v4
	v_fmac_f32_e32 v9, v17, v5
	v_fma_f32 v3, -v3, v9, v4
	v_div_fmas_f32 v3, v3, v5, v9
	v_ldexp_f32 v4, v16, v6
	v_log_f32_e32 v4, v4
	v_mul_f32_e32 v5, 0x3f317217, v4
	v_fma_f32 v5, v4, s20, -v5
	v_fmac_f32_e32 v5, 0x3377d1cf, v4
	s_mov_b32 s20, 0x7f800000
	v_fmac_f32_e32 v5, 0x3f317217, v4
	v_cmp_lt_f32_e64 vcc, |v4|, s20
	v_cndmask_b32_e32 v4, v4, v5, vcc
	v_mov_b32_e32 v5, 0x41b17218
	v_cndmask_b32_e64 v5, 0, v5, s[4:5]
	v_sub_f32_e32 v4, v4, v5
	v_div_fixup_f32 v3, v3, v16, -0.5
	v_add_f32_e32 v3, v4, v3
	v_sub_f32_e32 v2, v3, v2
	v_add_f32_e32 v1, v1, v2
	v_cvt_f16_f32_e32 v2, v1
                                        ; implicit-def: $vgpr1
.LBB25_189:
	s_andn2_saveexec_b64 s[4:5], s[18:19]
; %bb.190:
	v_add_f32_e32 v1, 0x40101cb7, v1
	v_cvt_f16_f32_e32 v2, v1
; %bb.191:
	s_or_b64 exec, exec, s[4:5]
.LBB25_192:
	s_or_b64 exec, exec, s[16:17]
                                        ; implicit-def: $vgpr16
.LBB25_193:
	s_andn2_saveexec_b64 s[4:5], s[14:15]
; %bb.194:
	v_xor_b32_e32 v1, 0x80000000, v16
	s_movk_i32 s14, 0x8000
	v_and_b32_sdwa v1, v1, s14 dst_sel:DWORD dst_unused:UNUSED_PAD src0_sel:WORD_1 src1_sel:DWORD
	v_or_b32_e32 v2, 0x7c00, v1
; %bb.195:
	s_or_b64 exec, exec, s[4:5]
	v_lshlrev_b32_e32 v4, 16, v10
	s_add_u32 s4, s8, s12
	v_lshlrev_b32_e32 v1, 16, v15
	v_lshlrev_b32_e32 v3, 16, v13
	v_or_b32_sdwa v4, v4, v8 dst_sel:DWORD dst_unused:UNUSED_PAD src0_sel:DWORD src1_sel:WORD_0
	v_lshlrev_b32_e32 v2, 16, v2
	s_addc_u32 s5, s9, s13
	v_or_b32_sdwa v1, v1, v14 dst_sel:DWORD dst_unused:UNUSED_PAD src0_sel:DWORD src1_sel:WORD_0
	v_or_b32_sdwa v3, v3, v11 dst_sel:DWORD dst_unused:UNUSED_PAD src0_sel:DWORD src1_sel:WORD_0
	;; [unrolled: 1-line block ×3, first 2 shown]
	global_store_dword v7, v4, s[4:5]
	global_store_dword v7, v3, s[4:5] offset:1024
	global_store_dword v7, v1, s[4:5] offset:2048
	;; [unrolled: 1-line block ×3, first 2 shown]
	s_branch .LBB25_2
.LBB25_196:
	s_getpc_b64 s[4:5]
	s_add_u32 s4, s4, _ZN2at6native25elementwise_kernel_helperILb0EZZZNS0_19digamma_kernel_cudaERNS_18TensorIteratorBaseEENKUlvE_clEvENKUlvE1_clEvEUlN3c104HalfEE_NS0_6memory8policies11unroll_baseILi256ESt5arrayIPcLm2EE23TrivialOffsetCalculatorILi1EjESG_NS9_15LoadWithoutCastENS9_16StoreWithoutCastELi8ELi1EEEEEvT0_T1_@rel32@lo+4
	s_addc_u32 s5, s5, _ZN2at6native25elementwise_kernel_helperILb0EZZZNS0_19digamma_kernel_cudaERNS_18TensorIteratorBaseEENKUlvE_clEvENKUlvE1_clEvEUlN3c104HalfEE_NS0_6memory8policies11unroll_baseILi256ESt5arrayIPcLm2EE23TrivialOffsetCalculatorILi1EjESG_NS9_15LoadWithoutCastENS9_16StoreWithoutCastELi8ELi1EEEEEvT0_T1_@rel32@hi+12
	s_mov_b32 s12, s6
	v_mov_b32_e32 v31, v0
	v_mov_b32_e32 v0, s8
	;; [unrolled: 1-line block ×6, first 2 shown]
	s_swappc_b64 s[30:31], s[4:5]
	s_endpgm
	.section	.rodata,"a",@progbits
	.p2align	6, 0x0
	.amdhsa_kernel _ZN2at6native29vectorized_elementwise_kernelILi2EZZZNS0_19digamma_kernel_cudaERNS_18TensorIteratorBaseEENKUlvE_clEvENKUlvE1_clEvEUlN3c104HalfEE_St5arrayIPcLm2EEEEviT0_T1_
		.amdhsa_group_segment_fixed_size 0
		.amdhsa_private_segment_fixed_size 0
		.amdhsa_kernarg_size 24
		.amdhsa_user_sgpr_count 6
		.amdhsa_user_sgpr_private_segment_buffer 1
		.amdhsa_user_sgpr_dispatch_ptr 0
		.amdhsa_user_sgpr_queue_ptr 0
		.amdhsa_user_sgpr_kernarg_segment_ptr 1
		.amdhsa_user_sgpr_dispatch_id 0
		.amdhsa_user_sgpr_flat_scratch_init 0
		.amdhsa_user_sgpr_private_segment_size 0
		.amdhsa_uses_dynamic_stack 0
		.amdhsa_system_sgpr_private_segment_wavefront_offset 0
		.amdhsa_system_sgpr_workgroup_id_x 1
		.amdhsa_system_sgpr_workgroup_id_y 0
		.amdhsa_system_sgpr_workgroup_id_z 0
		.amdhsa_system_sgpr_workgroup_info 0
		.amdhsa_system_vgpr_workitem_id 0
		.amdhsa_next_free_vgpr 66
		.amdhsa_next_free_sgpr 33
		.amdhsa_reserve_vcc 1
		.amdhsa_reserve_flat_scratch 0
		.amdhsa_float_round_mode_32 0
		.amdhsa_float_round_mode_16_64 0
		.amdhsa_float_denorm_mode_32 3
		.amdhsa_float_denorm_mode_16_64 3
		.amdhsa_dx10_clamp 1
		.amdhsa_ieee_mode 1
		.amdhsa_fp16_overflow 0
		.amdhsa_exception_fp_ieee_invalid_op 0
		.amdhsa_exception_fp_denorm_src 0
		.amdhsa_exception_fp_ieee_div_zero 0
		.amdhsa_exception_fp_ieee_overflow 0
		.amdhsa_exception_fp_ieee_underflow 0
		.amdhsa_exception_fp_ieee_inexact 0
		.amdhsa_exception_int_div_zero 0
	.end_amdhsa_kernel
	.section	.text._ZN2at6native29vectorized_elementwise_kernelILi2EZZZNS0_19digamma_kernel_cudaERNS_18TensorIteratorBaseEENKUlvE_clEvENKUlvE1_clEvEUlN3c104HalfEE_St5arrayIPcLm2EEEEviT0_T1_,"axG",@progbits,_ZN2at6native29vectorized_elementwise_kernelILi2EZZZNS0_19digamma_kernel_cudaERNS_18TensorIteratorBaseEENKUlvE_clEvENKUlvE1_clEvEUlN3c104HalfEE_St5arrayIPcLm2EEEEviT0_T1_,comdat
.Lfunc_end25:
	.size	_ZN2at6native29vectorized_elementwise_kernelILi2EZZZNS0_19digamma_kernel_cudaERNS_18TensorIteratorBaseEENKUlvE_clEvENKUlvE1_clEvEUlN3c104HalfEE_St5arrayIPcLm2EEEEviT0_T1_, .Lfunc_end25-_ZN2at6native29vectorized_elementwise_kernelILi2EZZZNS0_19digamma_kernel_cudaERNS_18TensorIteratorBaseEENKUlvE_clEvENKUlvE1_clEvEUlN3c104HalfEE_St5arrayIPcLm2EEEEviT0_T1_
                                        ; -- End function
	.set _ZN2at6native29vectorized_elementwise_kernelILi2EZZZNS0_19digamma_kernel_cudaERNS_18TensorIteratorBaseEENKUlvE_clEvENKUlvE1_clEvEUlN3c104HalfEE_St5arrayIPcLm2EEEEviT0_T1_.num_vgpr, max(45, .L_ZN2at6native25elementwise_kernel_helperILb0EZZZNS0_19digamma_kernel_cudaERNS_18TensorIteratorBaseEENKUlvE_clEvENKUlvE1_clEvEUlN3c104HalfEE_NS0_6memory8policies11unroll_baseILi256ESt5arrayIPcLm2EE23TrivialOffsetCalculatorILi1EjESG_NS9_15LoadWithoutCastENS9_16StoreWithoutCastELi8ELi1EEEEEvT0_T1_.num_vgpr)
	.set _ZN2at6native29vectorized_elementwise_kernelILi2EZZZNS0_19digamma_kernel_cudaERNS_18TensorIteratorBaseEENKUlvE_clEvENKUlvE1_clEvEUlN3c104HalfEE_St5arrayIPcLm2EEEEviT0_T1_.num_agpr, max(0, .L_ZN2at6native25elementwise_kernel_helperILb0EZZZNS0_19digamma_kernel_cudaERNS_18TensorIteratorBaseEENKUlvE_clEvENKUlvE1_clEvEUlN3c104HalfEE_NS0_6memory8policies11unroll_baseILi256ESt5arrayIPcLm2EE23TrivialOffsetCalculatorILi1EjESG_NS9_15LoadWithoutCastENS9_16StoreWithoutCastELi8ELi1EEEEEvT0_T1_.num_agpr)
	.set _ZN2at6native29vectorized_elementwise_kernelILi2EZZZNS0_19digamma_kernel_cudaERNS_18TensorIteratorBaseEENKUlvE_clEvENKUlvE1_clEvEUlN3c104HalfEE_St5arrayIPcLm2EEEEviT0_T1_.numbered_sgpr, max(33, .L_ZN2at6native25elementwise_kernel_helperILb0EZZZNS0_19digamma_kernel_cudaERNS_18TensorIteratorBaseEENKUlvE_clEvENKUlvE1_clEvEUlN3c104HalfEE_NS0_6memory8policies11unroll_baseILi256ESt5arrayIPcLm2EE23TrivialOffsetCalculatorILi1EjESG_NS9_15LoadWithoutCastENS9_16StoreWithoutCastELi8ELi1EEEEEvT0_T1_.numbered_sgpr)
	.set _ZN2at6native29vectorized_elementwise_kernelILi2EZZZNS0_19digamma_kernel_cudaERNS_18TensorIteratorBaseEENKUlvE_clEvENKUlvE1_clEvEUlN3c104HalfEE_St5arrayIPcLm2EEEEviT0_T1_.num_named_barrier, max(0, .L_ZN2at6native25elementwise_kernel_helperILb0EZZZNS0_19digamma_kernel_cudaERNS_18TensorIteratorBaseEENKUlvE_clEvENKUlvE1_clEvEUlN3c104HalfEE_NS0_6memory8policies11unroll_baseILi256ESt5arrayIPcLm2EE23TrivialOffsetCalculatorILi1EjESG_NS9_15LoadWithoutCastENS9_16StoreWithoutCastELi8ELi1EEEEEvT0_T1_.num_named_barrier)
	.set _ZN2at6native29vectorized_elementwise_kernelILi2EZZZNS0_19digamma_kernel_cudaERNS_18TensorIteratorBaseEENKUlvE_clEvENKUlvE1_clEvEUlN3c104HalfEE_St5arrayIPcLm2EEEEviT0_T1_.private_seg_size, 0+max(.L_ZN2at6native25elementwise_kernel_helperILb0EZZZNS0_19digamma_kernel_cudaERNS_18TensorIteratorBaseEENKUlvE_clEvENKUlvE1_clEvEUlN3c104HalfEE_NS0_6memory8policies11unroll_baseILi256ESt5arrayIPcLm2EE23TrivialOffsetCalculatorILi1EjESG_NS9_15LoadWithoutCastENS9_16StoreWithoutCastELi8ELi1EEEEEvT0_T1_.private_seg_size)
	.set _ZN2at6native29vectorized_elementwise_kernelILi2EZZZNS0_19digamma_kernel_cudaERNS_18TensorIteratorBaseEENKUlvE_clEvENKUlvE1_clEvEUlN3c104HalfEE_St5arrayIPcLm2EEEEviT0_T1_.uses_vcc, or(1, .L_ZN2at6native25elementwise_kernel_helperILb0EZZZNS0_19digamma_kernel_cudaERNS_18TensorIteratorBaseEENKUlvE_clEvENKUlvE1_clEvEUlN3c104HalfEE_NS0_6memory8policies11unroll_baseILi256ESt5arrayIPcLm2EE23TrivialOffsetCalculatorILi1EjESG_NS9_15LoadWithoutCastENS9_16StoreWithoutCastELi8ELi1EEEEEvT0_T1_.uses_vcc)
	.set _ZN2at6native29vectorized_elementwise_kernelILi2EZZZNS0_19digamma_kernel_cudaERNS_18TensorIteratorBaseEENKUlvE_clEvENKUlvE1_clEvEUlN3c104HalfEE_St5arrayIPcLm2EEEEviT0_T1_.uses_flat_scratch, or(0, .L_ZN2at6native25elementwise_kernel_helperILb0EZZZNS0_19digamma_kernel_cudaERNS_18TensorIteratorBaseEENKUlvE_clEvENKUlvE1_clEvEUlN3c104HalfEE_NS0_6memory8policies11unroll_baseILi256ESt5arrayIPcLm2EE23TrivialOffsetCalculatorILi1EjESG_NS9_15LoadWithoutCastENS9_16StoreWithoutCastELi8ELi1EEEEEvT0_T1_.uses_flat_scratch)
	.set _ZN2at6native29vectorized_elementwise_kernelILi2EZZZNS0_19digamma_kernel_cudaERNS_18TensorIteratorBaseEENKUlvE_clEvENKUlvE1_clEvEUlN3c104HalfEE_St5arrayIPcLm2EEEEviT0_T1_.has_dyn_sized_stack, or(0, .L_ZN2at6native25elementwise_kernel_helperILb0EZZZNS0_19digamma_kernel_cudaERNS_18TensorIteratorBaseEENKUlvE_clEvENKUlvE1_clEvEUlN3c104HalfEE_NS0_6memory8policies11unroll_baseILi256ESt5arrayIPcLm2EE23TrivialOffsetCalculatorILi1EjESG_NS9_15LoadWithoutCastENS9_16StoreWithoutCastELi8ELi1EEEEEvT0_T1_.has_dyn_sized_stack)
	.set _ZN2at6native29vectorized_elementwise_kernelILi2EZZZNS0_19digamma_kernel_cudaERNS_18TensorIteratorBaseEENKUlvE_clEvENKUlvE1_clEvEUlN3c104HalfEE_St5arrayIPcLm2EEEEviT0_T1_.has_recursion, or(0, .L_ZN2at6native25elementwise_kernel_helperILb0EZZZNS0_19digamma_kernel_cudaERNS_18TensorIteratorBaseEENKUlvE_clEvENKUlvE1_clEvEUlN3c104HalfEE_NS0_6memory8policies11unroll_baseILi256ESt5arrayIPcLm2EE23TrivialOffsetCalculatorILi1EjESG_NS9_15LoadWithoutCastENS9_16StoreWithoutCastELi8ELi1EEEEEvT0_T1_.has_recursion)
	.set _ZN2at6native29vectorized_elementwise_kernelILi2EZZZNS0_19digamma_kernel_cudaERNS_18TensorIteratorBaseEENKUlvE_clEvENKUlvE1_clEvEUlN3c104HalfEE_St5arrayIPcLm2EEEEviT0_T1_.has_indirect_call, or(0, .L_ZN2at6native25elementwise_kernel_helperILb0EZZZNS0_19digamma_kernel_cudaERNS_18TensorIteratorBaseEENKUlvE_clEvENKUlvE1_clEvEUlN3c104HalfEE_NS0_6memory8policies11unroll_baseILi256ESt5arrayIPcLm2EE23TrivialOffsetCalculatorILi1EjESG_NS9_15LoadWithoutCastENS9_16StoreWithoutCastELi8ELi1EEEEEvT0_T1_.has_indirect_call)
	.section	.AMDGPU.csdata,"",@progbits
; Kernel info:
; codeLenInByte = 19584
; TotalNumSgprs: 37
; NumVgprs: 66
; ScratchSize: 0
; MemoryBound: 0
; FloatMode: 240
; IeeeMode: 1
; LDSByteSize: 0 bytes/workgroup (compile time only)
; SGPRBlocks: 4
; VGPRBlocks: 16
; NumSGPRsForWavesPerEU: 37
; NumVGPRsForWavesPerEU: 66
; Occupancy: 3
; WaveLimiterHint : 1
; COMPUTE_PGM_RSRC2:SCRATCH_EN: 0
; COMPUTE_PGM_RSRC2:USER_SGPR: 6
; COMPUTE_PGM_RSRC2:TRAP_HANDLER: 0
; COMPUTE_PGM_RSRC2:TGID_X_EN: 1
; COMPUTE_PGM_RSRC2:TGID_Y_EN: 0
; COMPUTE_PGM_RSRC2:TGID_Z_EN: 0
; COMPUTE_PGM_RSRC2:TIDIG_COMP_CNT: 0
	.section	.text._ZN2at6native27unrolled_elementwise_kernelIZZZNS0_19digamma_kernel_cudaERNS_18TensorIteratorBaseEENKUlvE_clEvENKUlvE1_clEvEUlN3c104HalfEE_St5arrayIPcLm2EELi4E23TrivialOffsetCalculatorILi1EjESD_NS0_6memory15LoadWithoutCastENSE_16StoreWithoutCastEEEviT_T0_T2_T3_T4_T5_,"axG",@progbits,_ZN2at6native27unrolled_elementwise_kernelIZZZNS0_19digamma_kernel_cudaERNS_18TensorIteratorBaseEENKUlvE_clEvENKUlvE1_clEvEUlN3c104HalfEE_St5arrayIPcLm2EELi4E23TrivialOffsetCalculatorILi1EjESD_NS0_6memory15LoadWithoutCastENSE_16StoreWithoutCastEEEviT_T0_T2_T3_T4_T5_,comdat
	.globl	_ZN2at6native27unrolled_elementwise_kernelIZZZNS0_19digamma_kernel_cudaERNS_18TensorIteratorBaseEENKUlvE_clEvENKUlvE1_clEvEUlN3c104HalfEE_St5arrayIPcLm2EELi4E23TrivialOffsetCalculatorILi1EjESD_NS0_6memory15LoadWithoutCastENSE_16StoreWithoutCastEEEviT_T0_T2_T3_T4_T5_ ; -- Begin function _ZN2at6native27unrolled_elementwise_kernelIZZZNS0_19digamma_kernel_cudaERNS_18TensorIteratorBaseEENKUlvE_clEvENKUlvE1_clEvEUlN3c104HalfEE_St5arrayIPcLm2EELi4E23TrivialOffsetCalculatorILi1EjESD_NS0_6memory15LoadWithoutCastENSE_16StoreWithoutCastEEEviT_T0_T2_T3_T4_T5_
	.p2align	8
	.type	_ZN2at6native27unrolled_elementwise_kernelIZZZNS0_19digamma_kernel_cudaERNS_18TensorIteratorBaseEENKUlvE_clEvENKUlvE1_clEvEUlN3c104HalfEE_St5arrayIPcLm2EELi4E23TrivialOffsetCalculatorILi1EjESD_NS0_6memory15LoadWithoutCastENSE_16StoreWithoutCastEEEviT_T0_T2_T3_T4_T5_,@function
_ZN2at6native27unrolled_elementwise_kernelIZZZNS0_19digamma_kernel_cudaERNS_18TensorIteratorBaseEENKUlvE_clEvENKUlvE1_clEvEUlN3c104HalfEE_St5arrayIPcLm2EELi4E23TrivialOffsetCalculatorILi1EjESD_NS0_6memory15LoadWithoutCastENSE_16StoreWithoutCastEEEviT_T0_T2_T3_T4_T5_: ; @_ZN2at6native27unrolled_elementwise_kernelIZZZNS0_19digamma_kernel_cudaERNS_18TensorIteratorBaseEENKUlvE_clEvENKUlvE1_clEvEUlN3c104HalfEE_St5arrayIPcLm2EELi4E23TrivialOffsetCalculatorILi1EjESD_NS0_6memory15LoadWithoutCastENSE_16StoreWithoutCastEEEviT_T0_T2_T3_T4_T5_
; %bb.0:
	s_load_dword s0, s[4:5], 0x0
	s_load_dwordx4 s[8:11], s[4:5], 0x8
	s_lshl_b32 s18, s6, 10
	v_mov_b32_e32 v13, 0
	v_or_b32_e32 v1, s18, v0
	s_waitcnt lgkmcnt(0)
	s_sub_i32 s19, s0, s18
	v_cmp_gt_i32_e64 s[0:1], s19, v0
	v_mov_b32_e32 v3, 0
	v_mov_b32_e32 v2, v0
	s_and_saveexec_b64 s[2:3], s[0:1]
	s_cbranch_execz .LBB26_2
; %bb.1:
	v_mov_b32_e32 v2, 0
	v_lshlrev_b64 v[2:3], 1, v[1:2]
	v_mov_b32_e32 v4, s11
	v_add_co_u32_e32 v2, vcc, s10, v2
	v_addc_co_u32_e32 v3, vcc, v4, v3, vcc
	global_load_ushort v3, v[2:3], off
	v_or_b32_e32 v2, 0x100, v0
.LBB26_2:
	s_or_b64 exec, exec, s[2:3]
	v_cmp_gt_i32_e32 vcc, s19, v2
	s_and_saveexec_b64 s[2:3], vcc
	s_cbranch_execz .LBB26_4
; %bb.3:
	v_add_u32_e32 v4, s18, v2
	v_mov_b32_e32 v5, 0
	v_lshlrev_b64 v[4:5], 1, v[4:5]
	v_mov_b32_e32 v6, s11
	v_add_co_u32_e32 v4, vcc, s10, v4
	v_addc_co_u32_e32 v5, vcc, v6, v5, vcc
	global_load_ushort v13, v[4:5], off
	v_add_u32_e32 v2, 0x100, v2
.LBB26_4:
	s_or_b64 exec, exec, s[2:3]
	v_cmp_gt_i32_e32 vcc, s19, v2
	v_mov_b32_e32 v10, 0
	v_mov_b32_e32 v12, 0
	s_and_saveexec_b64 s[2:3], vcc
	s_cbranch_execnz .LBB26_7
; %bb.5:
	s_or_b64 exec, exec, s[2:3]
	v_cmp_gt_i32_e32 vcc, s19, v2
	s_and_saveexec_b64 s[2:3], vcc
	s_cbranch_execnz .LBB26_8
.LBB26_6:
	s_or_b64 exec, exec, s[2:3]
                                        ; implicit-def: $vgpr8
	s_and_saveexec_b64 s[4:5], s[0:1]
	s_cbranch_execnz .LBB26_9
	s_branch .LBB26_34
.LBB26_7:
	v_add_u32_e32 v4, s18, v2
	v_mov_b32_e32 v5, 0
	v_lshlrev_b64 v[4:5], 1, v[4:5]
	v_mov_b32_e32 v6, s11
	v_add_co_u32_e32 v4, vcc, s10, v4
	v_addc_co_u32_e32 v5, vcc, v6, v5, vcc
	global_load_ushort v12, v[4:5], off
	v_add_u32_e32 v2, 0x100, v2
	s_or_b64 exec, exec, s[2:3]
	v_cmp_gt_i32_e32 vcc, s19, v2
	s_and_saveexec_b64 s[2:3], vcc
	s_cbranch_execz .LBB26_6
.LBB26_8:
	v_add_u32_e32 v4, s18, v2
	v_mov_b32_e32 v5, 0
	v_lshlrev_b64 v[4:5], 1, v[4:5]
	v_mov_b32_e32 v2, s11
	v_add_co_u32_e32 v4, vcc, s10, v4
	v_addc_co_u32_e32 v5, vcc, v2, v5, vcc
	global_load_ushort v10, v[4:5], off
	s_or_b64 exec, exec, s[2:3]
                                        ; implicit-def: $vgpr8
	s_and_saveexec_b64 s[4:5], s[0:1]
	s_cbranch_execz .LBB26_34
.LBB26_9:
	s_waitcnt vmcnt(0)
	v_cvt_f32_f16_e32 v9, v3
	v_cmp_neq_f16_e32 vcc, 0, v3
                                        ; implicit-def: $vgpr8
	s_and_saveexec_b64 s[2:3], vcc
	s_xor_b64 s[6:7], exec, s[2:3]
	s_cbranch_execz .LBB26_31
; %bb.10:
	v_cmp_gt_f16_e32 vcc, 0, v3
	s_mov_b64 s[2:3], -1
	v_mov_b32_e32 v2, 0
	s_and_saveexec_b64 s[10:11], vcc
	s_cbranch_execz .LBB26_18
; %bb.11:
	v_trunc_f32_e32 v2, v9
	v_cmp_neq_f32_e32 vcc, v2, v9
	s_mov_b64 s[14:15], 0
	v_mov_b32_e32 v2, 0
	s_and_saveexec_b64 s[12:13], vcc
	s_cbranch_execz .LBB26_17
; %bb.12:
	v_cvt_f32_f16_e32 v2, v3
	s_mov_b32 s2, 0
	s_mov_b32 s15, 0xc00921fb
	;; [unrolled: 1-line block ×3, first 2 shown]
	v_cvt_f64_f32_e32 v[2:3], v2
	s_mov_b32 s3, 0x7ff00000
	v_bfrev_b32_e32 v6, 1
	s_mov_b32 s16, 0
	v_trunc_f64_e32 v[4:5], v[2:3]
	v_cmp_neq_f64_e64 vcc, |v[2:3]|, s[2:3]
	s_mov_b32 s17, 0x41d00000
                                        ; implicit-def: $vgpr8
	v_add_f64 v[4:5], v[2:3], -v[4:5]
	v_mul_f64 v[4:5], |v[4:5]|, s[14:15]
	v_cndmask_b32_e32 v3, v6, v5, vcc
	v_cndmask_b32_e32 v2, 0, v4, vcc
	v_cmp_nlt_f64_e64 s[16:17], |v[2:3]|, s[16:17]
                                        ; implicit-def: $vgpr4_vgpr5
                                        ; implicit-def: $vgpr6_vgpr7
	s_and_saveexec_b64 s[20:21], s[16:17]
	s_xor_b64 s[16:17], exec, s[20:21]
	s_cbranch_execz .LBB26_14
; %bb.13:
	v_trig_preop_f64 v[4:5], |v[2:3]|, 0
	s_mov_b32 s20, 0
	s_mov_b32 s21, 0x7b000000
	s_movk_i32 s15, 0xff80
	v_ldexp_f64 v[14:15], |v[2:3]|, s15
	v_cmp_ge_f64_e64 vcc, |v[2:3]|, s[20:21]
	v_trig_preop_f64 v[6:7], |v[2:3]|, 1
	v_and_b32_e32 v8, 0x7fffffff, v3
	v_trig_preop_f64 v[20:21], |v[2:3]|, 2
	v_mov_b32_e32 v11, 0x3ff00000
	s_mov_b32 s15, 0x3ff921fb
	v_cndmask_b32_e32 v15, v8, v15, vcc
	v_cndmask_b32_e32 v14, v2, v14, vcc
	v_mov_b32_e32 v8, 0x40100000
	v_mul_f64 v[16:17], v[4:5], v[14:15]
	v_mul_f64 v[18:19], v[6:7], v[14:15]
	v_mul_f64 v[26:27], v[20:21], v[14:15]
	v_fma_f64 v[4:5], v[4:5], v[14:15], -v[16:17]
	v_fma_f64 v[6:7], v[6:7], v[14:15], -v[18:19]
	;; [unrolled: 1-line block ×3, first 2 shown]
	v_add_f64 v[22:23], v[18:19], v[4:5]
	v_add_f64 v[24:25], v[22:23], -v[18:19]
	v_add_f64 v[20:21], v[16:17], v[22:23]
	v_add_f64 v[4:5], v[4:5], -v[24:25]
	v_add_f64 v[24:25], v[22:23], -v[24:25]
	v_add_f64 v[16:17], v[20:21], -v[16:17]
	v_ldexp_f64 v[20:21], v[20:21], -2
	v_add_f64 v[18:19], v[18:19], -v[24:25]
	v_add_f64 v[24:25], v[26:27], v[6:7]
	v_add_f64 v[16:17], v[22:23], -v[16:17]
	v_fract_f64_e32 v[22:23], v[20:21]
	v_cmp_neq_f64_e64 vcc, |v[20:21]|, s[2:3]
	v_add_f64 v[4:5], v[4:5], v[18:19]
	v_add_f64 v[18:19], v[24:25], -v[26:27]
	v_ldexp_f64 v[22:23], v[22:23], 2
	v_add_f64 v[6:7], v[6:7], -v[18:19]
	v_add_f64 v[18:19], v[24:25], -v[18:19]
	;; [unrolled: 1-line block ×3, first 2 shown]
	v_add_f64 v[26:27], v[24:25], v[4:5]
	v_add_f64 v[6:7], v[6:7], v[18:19]
	v_add_f64 v[20:21], v[26:27], -v[24:25]
	v_cndmask_b32_e32 v19, 0, v23, vcc
	v_cndmask_b32_e32 v18, 0, v22, vcc
	v_add_f64 v[22:23], v[16:17], v[26:27]
	v_add_f64 v[4:5], v[4:5], -v[20:21]
	v_add_f64 v[20:21], v[26:27], -v[20:21]
	;; [unrolled: 1-line block ×4, first 2 shown]
	v_add_f64 v[24:25], v[22:23], v[18:19]
	v_add_f64 v[16:17], v[26:27], -v[16:17]
	v_add_f64 v[4:5], v[4:5], v[20:21]
	v_cmp_gt_f64_e32 vcc, 0, v[24:25]
	v_mov_b32_e32 v24, 0
	v_add_f64 v[4:5], v[6:7], v[4:5]
	v_cndmask_b32_e32 v25, 0, v8, vcc
	v_add_f64 v[18:19], v[18:19], v[24:25]
	v_add_f64 v[4:5], v[14:15], v[4:5]
	;; [unrolled: 1-line block ×4, first 2 shown]
	v_cvt_i32_f64_e32 v8, v[20:21]
	v_cvt_f64_i32_e32 v[20:21], v8
	v_add_f64 v[18:19], v[18:19], -v[20:21]
	v_add_f64 v[6:7], v[22:23], v[18:19]
	v_add_f64 v[14:15], v[6:7], -v[18:19]
	v_cmp_le_f64_e32 vcc, 0.5, v[6:7]
	v_add_f64 v[14:15], v[22:23], -v[14:15]
	v_cndmask_b32_e32 v25, 0, v11, vcc
	v_add_f64 v[6:7], v[6:7], -v[24:25]
	v_addc_co_u32_e64 v8, s[2:3], 0, v8, vcc
	s_mov_b32 s2, 0x33145c07
	s_mov_b32 s3, 0x3c91a626
	v_add_f64 v[4:5], v[4:5], v[14:15]
	v_add_f64 v[14:15], v[6:7], v[4:5]
	v_mul_f64 v[16:17], v[14:15], s[14:15]
	v_add_f64 v[6:7], v[14:15], -v[6:7]
	v_fma_f64 v[18:19], v[14:15], s[14:15], -v[16:17]
	v_add_f64 v[4:5], v[4:5], -v[6:7]
	v_fma_f64 v[6:7], v[14:15], s[2:3], v[18:19]
	v_fma_f64 v[6:7], v[4:5], s[14:15], v[6:7]
	v_add_f64 v[4:5], v[16:17], v[6:7]
	v_add_f64 v[14:15], v[4:5], -v[16:17]
	v_add_f64 v[6:7], v[6:7], -v[14:15]
.LBB26_14:
	s_andn2_saveexec_b64 s[2:3], s[16:17]
	s_cbranch_execz .LBB26_16
; %bb.15:
	s_mov_b32 s14, 0x6dc9c883
	s_mov_b32 s15, 0x3fe45f30
	v_mul_f64 v[4:5], |v[2:3]|, s[14:15]
	s_mov_b32 s14, 0x54442d18
	s_mov_b32 s15, 0xbff921fb
	;; [unrolled: 1-line block ×4, first 2 shown]
	v_rndne_f64_e32 v[14:15], v[4:5]
	v_fma_f64 v[4:5], v[14:15], s[14:15], |v[2:3]|
	v_mul_f64 v[6:7], v[14:15], s[16:17]
	s_mov_b32 s14, 0x252049c0
	s_mov_b32 s15, 0xb97b839a
	v_cvt_i32_f64_e32 v8, v[14:15]
	v_fma_f64 v[20:21], v[14:15], s[16:17], v[4:5]
	v_add_f64 v[16:17], v[4:5], v[6:7]
	s_mov_b32 s17, 0x3c91a626
	v_add_f64 v[18:19], v[4:5], -v[16:17]
	v_add_f64 v[16:17], v[16:17], -v[20:21]
	v_add_f64 v[4:5], v[18:19], v[6:7]
	v_fma_f64 v[6:7], v[14:15], s[16:17], v[6:7]
	v_add_f64 v[4:5], v[16:17], v[4:5]
	v_add_f64 v[4:5], v[4:5], -v[6:7]
	v_fma_f64 v[6:7], v[14:15], s[14:15], v[4:5]
	v_add_f64 v[4:5], v[20:21], v[6:7]
	v_add_f64 v[16:17], v[4:5], -v[20:21]
	v_add_f64 v[6:7], v[6:7], -v[16:17]
.LBB26_16:
	s_or_b64 exec, exec, s[2:3]
	v_mul_f64 v[14:15], v[4:5], v[4:5]
	v_add_f64 v[16:17], v[6:7], v[6:7]
	s_mov_b32 s2, 0xc751c08c
	s_mov_b32 s3, 0x3ef5e089
	v_and_b32_e32 v8, 1, v8
	v_cmp_eq_u32_e32 vcc, 0, v8
	v_and_b32_e32 v11, 0x80000000, v3
	s_mov_b32 s16, 0x54442d18
	v_fma_f64 v[18:19], v[4:5], v[4:5], -v[14:15]
	s_mov_b32 s17, 0xc00921fb
	s_mov_b64 s[14:15], exec
	v_sub_f32_e32 v9, 1.0, v9
	v_fma_f64 v[16:17], v[4:5], v[16:17], v[18:19]
	v_add_f64 v[14:15], v[14:15], v[16:17]
	v_mov_b32_e32 v16, 0xa9a29f71
	v_mov_b32_e32 v17, 0xbf078809
	v_fma_f64 v[16:17], v[14:15], s[2:3], v[16:17]
	s_mov_b32 s2, 0x90a8aae0
	s_mov_b32 s3, 0x3f17746f
	v_fma_f64 v[16:17], v[14:15], v[16:17], s[2:3]
	s_mov_b32 s2, 0xa6fbf144
	s_mov_b32 s3, 0xbefbb44d
	v_fma_f64 v[16:17], v[14:15], v[16:17], s[2:3]
	s_mov_b32 s2, 0xa7943acf
	s_mov_b32 s3, 0x3f21e634
	v_fma_f64 v[16:17], v[14:15], v[16:17], s[2:3]
	s_mov_b32 s2, 0xdeb68feb
	s_mov_b32 s3, 0x3f2d250f
	v_fma_f64 v[16:17], v[14:15], v[16:17], s[2:3]
	s_mov_b32 s2, 0xb58c4d95
	s_mov_b32 s3, 0x3f437fd9
	v_fma_f64 v[16:17], v[14:15], v[16:17], s[2:3]
	s_mov_b32 s2, 0x15120e2c
	s_mov_b32 s3, 0x3f57d5af
	v_fma_f64 v[16:17], v[14:15], v[16:17], s[2:3]
	s_mov_b32 s2, 0xe09491df
	s_mov_b32 s3, 0x3f6d6d93
	v_fma_f64 v[16:17], v[14:15], v[16:17], s[2:3]
	s_mov_b32 s2, 0x2033784d
	s_mov_b32 s3, 0x3f8226e1
	v_fma_f64 v[16:17], v[14:15], v[16:17], s[2:3]
	s_mov_b32 s2, 0x9ac36ae2
	s_mov_b32 s3, 0x3f9664f4
	v_fma_f64 v[16:17], v[14:15], v[16:17], s[2:3]
	s_mov_b32 s2, 0x1b451c21
	s_mov_b32 s3, 0x3faba1ba
	v_fma_f64 v[16:17], v[14:15], v[16:17], s[2:3]
	s_mov_b32 s2, 0x111185b7
	s_mov_b32 s3, 0x3fc11111
	v_fma_f64 v[16:17], v[14:15], v[16:17], s[2:3]
	s_mov_b32 s2, 0x555554ee
	s_mov_b32 s3, 0x3fd55555
	v_fma_f64 v[16:17], v[14:15], v[16:17], s[2:3]
	s_movk_i32 s2, 0x1f8
	v_cmp_class_f64_e64 s[2:3], v[2:3], s2
	v_mov_b32_e32 v3, 0x7ff80000
	v_mul_f64 v[14:15], v[14:15], v[16:17]
	v_mul_f64 v[16:17], v[4:5], v[14:15]
	v_add_f64 v[18:19], v[4:5], v[16:17]
	v_fma_f64 v[14:15], v[4:5], v[14:15], -v[16:17]
	v_add_f64 v[4:5], v[18:19], -v[4:5]
	v_add_f64 v[6:7], v[6:7], v[14:15]
	v_add_f64 v[4:5], v[16:17], -v[4:5]
	v_add_f64 v[4:5], v[6:7], v[4:5]
	v_add_f64 v[6:7], v[18:19], v[4:5]
	v_rcp_f64_e32 v[14:15], v[6:7]
	v_fma_f64 v[16:17], -v[6:7], v[14:15], 1.0
	v_fma_f64 v[14:15], v[16:17], v[14:15], v[14:15]
	v_fma_f64 v[16:17], -v[6:7], v[14:15], 1.0
	v_fma_f64 v[14:15], v[16:17], v[14:15], v[14:15]
	v_add_f64 v[16:17], v[6:7], -v[18:19]
	v_mul_f64 v[18:19], v[6:7], v[14:15]
	v_add_f64 v[4:5], v[4:5], -v[16:17]
	v_fma_f64 v[16:17], v[14:15], v[6:7], -v[18:19]
	v_fma_f64 v[4:5], v[14:15], v[4:5], v[16:17]
	v_add_f64 v[16:17], v[18:19], v[4:5]
	v_add_f64 v[20:21], -v[16:17], 1.0
	v_add_f64 v[18:19], v[16:17], -v[18:19]
	v_add_f64 v[22:23], -v[20:21], 1.0
	v_add_f64 v[4:5], v[18:19], -v[4:5]
	v_add_f64 v[16:17], v[22:23], -v[16:17]
	v_add_f64 v[4:5], v[4:5], v[16:17]
	v_add_f64 v[4:5], v[20:21], v[4:5]
	v_mul_f64 v[4:5], v[14:15], v[4:5]
	v_add_f64 v[4:5], v[14:15], v[4:5]
	v_xor_b32_e32 v2, 0x80000000, v5
	v_cndmask_b32_e32 v4, v4, v6, vcc
	v_cndmask_b32_e32 v5, v2, v7, vcc
	v_cndmask_b32_e64 v2, 0, v4, s[2:3]
	v_xor_b32_e32 v4, v5, v11
	v_cndmask_b32_e64 v3, v3, v4, s[2:3]
	v_div_scale_f64 v[4:5], s[2:3], v[2:3], v[2:3], s[16:17]
	v_div_scale_f64 v[16:17], vcc, s[16:17], v[2:3], s[16:17]
	v_rcp_f64_e32 v[6:7], v[4:5]
	v_fma_f64 v[14:15], -v[4:5], v[6:7], 1.0
	v_fma_f64 v[6:7], v[6:7], v[14:15], v[6:7]
	v_fma_f64 v[14:15], -v[4:5], v[6:7], 1.0
	v_fma_f64 v[6:7], v[6:7], v[14:15], v[6:7]
	v_mul_f64 v[14:15], v[16:17], v[6:7]
	v_fma_f64 v[4:5], -v[4:5], v[14:15], v[16:17]
	v_div_fmas_f64 v[4:5], v[4:5], v[6:7], v[14:15]
	v_div_fixup_f64 v[2:3], v[4:5], v[2:3], s[16:17]
	v_cvt_f32_f64_e32 v2, v[2:3]
.LBB26_17:
	s_or_b64 exec, exec, s[12:13]
	s_orn2_b64 s[2:3], s[14:15], exec
.LBB26_18:
	s_or_b64 exec, exec, s[10:11]
	v_mov_b32_e32 v8, 0x7e00
	s_and_saveexec_b64 s[10:11], s[2:3]
	s_cbranch_execz .LBB26_30
; %bb.19:
	s_mov_b32 s14, 0x41200000
	v_cmp_gt_f32_e32 vcc, s14, v9
	s_and_saveexec_b64 s[2:3], vcc
	s_cbranch_execz .LBB26_23
; %bb.20:
	s_mov_b64 s[12:13], 0
.LBB26_21:                              ; =>This Inner Loop Header: Depth=1
	v_div_scale_f32 v3, s[16:17], v9, v9, 1.0
	v_div_scale_f32 v4, vcc, 1.0, v9, 1.0
	v_rcp_f32_e32 v5, v3
	v_fma_f32 v6, -v3, v5, 1.0
	v_fmac_f32_e32 v5, v6, v5
	v_mul_f32_e32 v6, v4, v5
	v_fma_f32 v7, -v3, v6, v4
	v_fmac_f32_e32 v6, v7, v5
	v_fma_f32 v3, -v3, v6, v4
	v_div_fmas_f32 v3, v3, v5, v6
	v_div_fixup_f32 v3, v3, v9, 1.0
	v_add_f32_e32 v9, 1.0, v9
	v_cmp_ngt_f32_e32 vcc, s14, v9
	s_or_b64 s[12:13], vcc, s[12:13]
	v_sub_f32_e32 v2, v2, v3
	s_andn2_b64 exec, exec, s[12:13]
	s_cbranch_execnz .LBB26_21
; %bb.22:
	s_or_b64 exec, exec, s[12:13]
.LBB26_23:
	s_or_b64 exec, exec, s[2:3]
	s_mov_b32 s2, 0x41200000
	v_cmp_neq_f32_e32 vcc, s2, v9
                                        ; implicit-def: $vgpr8
	s_and_saveexec_b64 s[2:3], vcc
	s_xor_b64 s[12:13], exec, s[2:3]
	s_cbranch_execz .LBB26_27
; %bb.24:
	v_cvt_f64_f32_e32 v[3:4], v9
	s_mov_b32 s2, 0x85d8a000
	s_mov_b32 s3, 0x43763457
	v_cmp_gt_f64_e32 vcc, s[2:3], v[3:4]
	v_mov_b32_e32 v3, 0
	s_and_saveexec_b64 s[2:3], vcc
	s_cbranch_execz .LBB26_26
; %bb.25:
	v_mul_f32_e32 v3, v9, v9
	v_div_scale_f32 v4, s[14:15], v3, v3, 1.0
	v_div_scale_f32 v5, vcc, 1.0, v3, 1.0
	v_mov_b32_e32 v11, 0x3b820821
	v_rcp_f32_e32 v6, v4
	v_fma_f32 v7, -v4, v6, 1.0
	v_fmac_f32_e32 v6, v7, v6
	v_mul_f32_e32 v7, v5, v6
	v_fma_f32 v8, -v4, v7, v5
	v_fmac_f32_e32 v7, v8, v6
	v_fma_f32 v4, -v4, v7, v5
	v_div_fmas_f32 v4, v4, v6, v7
	v_mov_b32_e32 v5, 0x3daaaaab
	v_mov_b32_e32 v6, 0xbcaccacd
	;; [unrolled: 1-line block ×4, first 2 shown]
	v_div_fixup_f32 v3, v4, v3, 1.0
	v_fma_f32 v4, 0, v3, v5
	v_fmac_f32_e32 v6, v3, v4
	v_fmac_f32_e32 v7, v3, v6
	v_fmac_f32_e32 v8, v3, v7
	v_fmac_f32_e32 v11, v3, v8
	v_mov_b32_e32 v4, 0xbc088889
	v_fmac_f32_e32 v4, v3, v11
	v_fmac_f32_e32 v5, v3, v4
	v_mul_f32_e32 v3, v3, v5
.LBB26_26:
	s_or_b64 exec, exec, s[2:3]
	v_div_scale_f32 v4, s[2:3], v9, v9, -0.5
	v_div_scale_f32 v5, vcc, -0.5, v9, -0.5
	s_mov_b32 s2, 0x800000
	v_cmp_gt_f32_e64 s[2:3], s2, v9
	v_cndmask_b32_e64 v7, 0, 32, s[2:3]
	s_mov_b32 s14, 0x3f317217
	v_rcp_f32_e32 v6, v4
	v_fma_f32 v8, -v4, v6, 1.0
	v_fmac_f32_e32 v6, v8, v6
	v_mul_f32_e32 v8, v5, v6
	v_fma_f32 v11, -v4, v8, v5
	v_fmac_f32_e32 v8, v11, v6
	v_fma_f32 v4, -v4, v8, v5
	v_div_fmas_f32 v4, v4, v6, v8
	v_ldexp_f32 v5, v9, v7
	v_log_f32_e32 v5, v5
	v_mul_f32_e32 v6, 0x3f317217, v5
	v_fma_f32 v6, v5, s14, -v6
	v_fmac_f32_e32 v6, 0x3377d1cf, v5
	s_mov_b32 s14, 0x7f800000
	v_fmac_f32_e32 v6, 0x3f317217, v5
	v_cmp_lt_f32_e64 vcc, |v5|, s14
	v_cndmask_b32_e32 v5, v5, v6, vcc
	v_mov_b32_e32 v6, 0x41b17218
	v_cndmask_b32_e64 v6, 0, v6, s[2:3]
	v_sub_f32_e32 v5, v5, v6
	v_div_fixup_f32 v4, v4, v9, -0.5
	v_add_f32_e32 v4, v5, v4
	v_sub_f32_e32 v3, v4, v3
	v_add_f32_e32 v2, v2, v3
	v_cvt_f16_f32_e32 v8, v2
                                        ; implicit-def: $vgpr2
.LBB26_27:
	s_andn2_saveexec_b64 s[2:3], s[12:13]
; %bb.28:
	v_add_f32_e32 v2, 0x40101cb7, v2
	v_cvt_f16_f32_e32 v8, v2
; %bb.29:
	s_or_b64 exec, exec, s[2:3]
.LBB26_30:
	s_or_b64 exec, exec, s[10:11]
                                        ; implicit-def: $vgpr9
.LBB26_31:
	s_andn2_saveexec_b64 s[2:3], s[6:7]
; %bb.32:
	v_xor_b32_e32 v2, 0x80000000, v9
	v_lshrrev_b32_e32 v2, 16, v2
	s_movk_i32 s6, 0x7fff
	v_mov_b32_e32 v3, 0x7c00
	v_bfi_b32 v8, s6, v3, v2
; %bb.33:
	s_or_b64 exec, exec, s[2:3]
.LBB26_34:
	s_or_b64 exec, exec, s[4:5]
	v_or_b32_e32 v9, 0x100, v0
	v_cmp_gt_i32_e32 vcc, s19, v9
                                        ; implicit-def: $vgpr11
	s_and_saveexec_b64 s[4:5], vcc
	s_cbranch_execz .LBB26_60
; %bb.35:
	s_waitcnt vmcnt(0)
	v_cvt_f32_f16_e32 v14, v13
	v_cmp_neq_f16_e32 vcc, 0, v13
                                        ; implicit-def: $vgpr11
	s_and_saveexec_b64 s[2:3], vcc
	s_xor_b64 s[6:7], exec, s[2:3]
	s_cbranch_execz .LBB26_57
; %bb.36:
	v_cmp_gt_f16_e32 vcc, 0, v13
	s_mov_b64 s[2:3], -1
	v_mov_b32_e32 v2, 0
	s_and_saveexec_b64 s[10:11], vcc
	s_cbranch_execz .LBB26_44
; %bb.37:
	v_trunc_f32_e32 v2, v14
	v_cmp_neq_f32_e32 vcc, v2, v14
	s_mov_b64 s[14:15], 0
	v_mov_b32_e32 v2, 0
	s_and_saveexec_b64 s[12:13], vcc
	s_cbranch_execz .LBB26_43
; %bb.38:
	v_cvt_f32_f16_e32 v2, v13
	s_mov_b32 s16, 0
	s_mov_b32 s3, 0xc00921fb
	;; [unrolled: 1-line block ×3, first 2 shown]
	v_cvt_f64_f32_e32 v[2:3], v2
	s_mov_b32 s17, 0x7ff00000
	v_bfrev_b32_e32 v6, 1
	s_mov_b32 s14, 0
	v_trunc_f64_e32 v[4:5], v[2:3]
	v_cmp_neq_f64_e64 vcc, |v[2:3]|, s[16:17]
	s_mov_b32 s15, 0x41d00000
                                        ; implicit-def: $vgpr11
	v_add_f64 v[4:5], v[2:3], -v[4:5]
	v_mul_f64 v[4:5], |v[4:5]|, s[2:3]
	v_cndmask_b32_e32 v3, v6, v5, vcc
	v_cndmask_b32_e32 v2, 0, v4, vcc
	v_cmp_nlt_f64_e64 s[14:15], |v[2:3]|, s[14:15]
                                        ; implicit-def: $vgpr4_vgpr5
                                        ; implicit-def: $vgpr6_vgpr7
	s_and_saveexec_b64 s[20:21], s[14:15]
	s_xor_b64 s[14:15], exec, s[20:21]
	s_cbranch_execz .LBB26_40
; %bb.39:
	v_trig_preop_f64 v[4:5], |v[2:3]|, 0
	s_mov_b32 s20, 0
	s_mov_b32 s21, 0x7b000000
	s_movk_i32 s3, 0xff80
	v_ldexp_f64 v[6:7], |v[2:3]|, s3
	v_cmp_ge_f64_e64 vcc, |v[2:3]|, s[20:21]
	v_trig_preop_f64 v[15:16], |v[2:3]|, 1
	v_and_b32_e32 v11, 0x7fffffff, v3
	v_trig_preop_f64 v[21:22], |v[2:3]|, 2
	v_mov_b32_e32 v13, 0x3ff00000
	s_mov_b32 s3, 0x3ff921fb
	v_cndmask_b32_e32 v7, v11, v7, vcc
	v_cndmask_b32_e32 v6, v2, v6, vcc
	v_mov_b32_e32 v11, 0x40100000
	v_mul_f64 v[17:18], v[4:5], v[6:7]
	v_mul_f64 v[19:20], v[15:16], v[6:7]
	v_mul_f64 v[27:28], v[21:22], v[6:7]
	v_fma_f64 v[4:5], v[4:5], v[6:7], -v[17:18]
	v_fma_f64 v[15:16], v[15:16], v[6:7], -v[19:20]
	;; [unrolled: 1-line block ×3, first 2 shown]
	v_add_f64 v[23:24], v[19:20], v[4:5]
	v_add_f64 v[25:26], v[23:24], -v[19:20]
	v_add_f64 v[21:22], v[17:18], v[23:24]
	v_add_f64 v[4:5], v[4:5], -v[25:26]
	v_add_f64 v[25:26], v[23:24], -v[25:26]
	;; [unrolled: 1-line block ×3, first 2 shown]
	v_ldexp_f64 v[21:22], v[21:22], -2
	v_add_f64 v[19:20], v[19:20], -v[25:26]
	v_add_f64 v[25:26], v[27:28], v[15:16]
	v_add_f64 v[17:18], v[23:24], -v[17:18]
	v_fract_f64_e32 v[23:24], v[21:22]
	v_cmp_neq_f64_e64 vcc, |v[21:22]|, s[16:17]
	s_mov_b32 s16, 0x33145c07
	s_mov_b32 s17, 0x3c91a626
	v_add_f64 v[4:5], v[4:5], v[19:20]
	v_add_f64 v[19:20], v[25:26], -v[27:28]
	v_ldexp_f64 v[21:22], v[23:24], 2
	v_add_f64 v[15:16], v[15:16], -v[19:20]
	v_add_f64 v[19:20], v[25:26], -v[19:20]
	;; [unrolled: 1-line block ×3, first 2 shown]
	v_add_f64 v[27:28], v[25:26], v[4:5]
	v_add_f64 v[15:16], v[15:16], v[19:20]
	;; [unrolled: 1-line block ×3, first 2 shown]
	v_cndmask_b32_e32 v20, 0, v22, vcc
	v_cndmask_b32_e32 v19, 0, v21, vcc
	v_add_f64 v[21:22], v[23:24], v[19:20]
	v_add_f64 v[17:18], v[23:24], -v[17:18]
	v_cmp_gt_f64_e32 vcc, 0, v[21:22]
	v_add_f64 v[21:22], v[27:28], -v[25:26]
	v_add_f64 v[17:18], v[27:28], -v[17:18]
	;; [unrolled: 1-line block ×5, first 2 shown]
	v_mov_b32_e32 v25, 0
	v_cndmask_b32_e32 v26, 0, v11, vcc
	v_add_f64 v[19:20], v[19:20], v[25:26]
	v_add_f64 v[4:5], v[4:5], v[21:22]
	v_add_f64 v[29:30], v[23:24], v[19:20]
	v_add_f64 v[4:5], v[15:16], v[4:5]
	v_cvt_i32_f64_e32 v11, v[29:30]
	v_cvt_f64_i32_e32 v[21:22], v11
	v_add_f64 v[4:5], v[6:7], v[4:5]
	v_add_f64 v[19:20], v[19:20], -v[21:22]
	v_add_f64 v[4:5], v[17:18], v[4:5]
	v_add_f64 v[15:16], v[23:24], v[19:20]
	v_add_f64 v[6:7], v[15:16], -v[19:20]
	v_cmp_le_f64_e32 vcc, 0.5, v[15:16]
	v_add_f64 v[6:7], v[23:24], -v[6:7]
	v_cndmask_b32_e32 v26, 0, v13, vcc
	v_addc_co_u32_e32 v11, vcc, 0, v11, vcc
	v_add_f64 v[4:5], v[4:5], v[6:7]
	v_add_f64 v[6:7], v[15:16], -v[25:26]
	v_add_f64 v[15:16], v[6:7], v[4:5]
	v_mul_f64 v[17:18], v[15:16], s[2:3]
	v_add_f64 v[6:7], v[15:16], -v[6:7]
	v_fma_f64 v[19:20], v[15:16], s[2:3], -v[17:18]
	v_add_f64 v[4:5], v[4:5], -v[6:7]
	v_fma_f64 v[6:7], v[15:16], s[16:17], v[19:20]
	v_fma_f64 v[6:7], v[4:5], s[2:3], v[6:7]
	v_add_f64 v[4:5], v[17:18], v[6:7]
	v_add_f64 v[15:16], v[4:5], -v[17:18]
	v_add_f64 v[6:7], v[6:7], -v[15:16]
.LBB26_40:
	s_andn2_saveexec_b64 s[2:3], s[14:15]
	s_cbranch_execz .LBB26_42
; %bb.41:
	s_mov_b32 s14, 0x6dc9c883
	s_mov_b32 s15, 0x3fe45f30
	v_mul_f64 v[4:5], |v[2:3]|, s[14:15]
	s_mov_b32 s14, 0x54442d18
	s_mov_b32 s15, 0xbff921fb
	;; [unrolled: 1-line block ×4, first 2 shown]
	v_rndne_f64_e32 v[15:16], v[4:5]
	v_fma_f64 v[4:5], v[15:16], s[14:15], |v[2:3]|
	v_mul_f64 v[6:7], v[15:16], s[16:17]
	s_mov_b32 s14, 0x252049c0
	s_mov_b32 s15, 0xb97b839a
	v_cvt_i32_f64_e32 v11, v[15:16]
	v_fma_f64 v[21:22], v[15:16], s[16:17], v[4:5]
	v_add_f64 v[17:18], v[4:5], v[6:7]
	s_mov_b32 s17, 0x3c91a626
	v_add_f64 v[19:20], v[4:5], -v[17:18]
	v_add_f64 v[17:18], v[17:18], -v[21:22]
	v_add_f64 v[4:5], v[19:20], v[6:7]
	v_fma_f64 v[6:7], v[15:16], s[16:17], v[6:7]
	v_add_f64 v[4:5], v[17:18], v[4:5]
	v_add_f64 v[4:5], v[4:5], -v[6:7]
	v_fma_f64 v[6:7], v[15:16], s[14:15], v[4:5]
	v_add_f64 v[4:5], v[21:22], v[6:7]
	v_add_f64 v[17:18], v[4:5], -v[21:22]
	v_add_f64 v[6:7], v[6:7], -v[17:18]
.LBB26_42:
	s_or_b64 exec, exec, s[2:3]
	v_mul_f64 v[15:16], v[4:5], v[4:5]
	v_add_f64 v[17:18], v[6:7], v[6:7]
	s_mov_b32 s2, 0xc751c08c
	s_mov_b32 s3, 0x3ef5e089
	v_and_b32_e32 v11, 1, v11
	v_cmp_eq_u32_e32 vcc, 0, v11
	v_and_b32_e32 v13, 0x80000000, v3
	s_mov_b32 s16, 0x54442d18
	v_fma_f64 v[19:20], v[4:5], v[4:5], -v[15:16]
	s_mov_b32 s17, 0xc00921fb
	s_mov_b64 s[14:15], exec
	v_sub_f32_e32 v14, 1.0, v14
	v_fma_f64 v[17:18], v[4:5], v[17:18], v[19:20]
	v_add_f64 v[15:16], v[15:16], v[17:18]
	v_mov_b32_e32 v17, 0xa9a29f71
	v_mov_b32_e32 v18, 0xbf078809
	v_fma_f64 v[17:18], v[15:16], s[2:3], v[17:18]
	s_mov_b32 s2, 0x90a8aae0
	s_mov_b32 s3, 0x3f17746f
	v_fma_f64 v[17:18], v[15:16], v[17:18], s[2:3]
	s_mov_b32 s2, 0xa6fbf144
	s_mov_b32 s3, 0xbefbb44d
	;; [unrolled: 3-line block ×12, first 2 shown]
	v_fma_f64 v[17:18], v[15:16], v[17:18], s[2:3]
	s_movk_i32 s2, 0x1f8
	v_cmp_class_f64_e64 s[2:3], v[2:3], s2
	v_mov_b32_e32 v3, 0x7ff80000
	v_mul_f64 v[15:16], v[15:16], v[17:18]
	v_mul_f64 v[17:18], v[4:5], v[15:16]
	v_add_f64 v[19:20], v[4:5], v[17:18]
	v_fma_f64 v[15:16], v[4:5], v[15:16], -v[17:18]
	v_add_f64 v[4:5], v[19:20], -v[4:5]
	v_add_f64 v[6:7], v[6:7], v[15:16]
	v_add_f64 v[4:5], v[17:18], -v[4:5]
	v_add_f64 v[4:5], v[6:7], v[4:5]
	v_add_f64 v[6:7], v[19:20], v[4:5]
	v_rcp_f64_e32 v[15:16], v[6:7]
	v_fma_f64 v[17:18], -v[6:7], v[15:16], 1.0
	v_fma_f64 v[15:16], v[17:18], v[15:16], v[15:16]
	v_fma_f64 v[17:18], -v[6:7], v[15:16], 1.0
	v_fma_f64 v[15:16], v[17:18], v[15:16], v[15:16]
	v_add_f64 v[17:18], v[6:7], -v[19:20]
	v_mul_f64 v[19:20], v[6:7], v[15:16]
	v_add_f64 v[4:5], v[4:5], -v[17:18]
	v_fma_f64 v[17:18], v[15:16], v[6:7], -v[19:20]
	v_fma_f64 v[4:5], v[15:16], v[4:5], v[17:18]
	v_add_f64 v[17:18], v[19:20], v[4:5]
	v_add_f64 v[21:22], -v[17:18], 1.0
	v_add_f64 v[19:20], v[17:18], -v[19:20]
	v_add_f64 v[23:24], -v[21:22], 1.0
	v_add_f64 v[4:5], v[19:20], -v[4:5]
	v_add_f64 v[17:18], v[23:24], -v[17:18]
	v_add_f64 v[4:5], v[4:5], v[17:18]
	v_add_f64 v[4:5], v[21:22], v[4:5]
	v_mul_f64 v[4:5], v[15:16], v[4:5]
	v_add_f64 v[4:5], v[15:16], v[4:5]
	v_xor_b32_e32 v2, 0x80000000, v5
	v_cndmask_b32_e32 v4, v4, v6, vcc
	v_cndmask_b32_e32 v5, v2, v7, vcc
	v_cndmask_b32_e64 v2, 0, v4, s[2:3]
	v_xor_b32_e32 v4, v5, v13
	v_cndmask_b32_e64 v3, v3, v4, s[2:3]
	v_div_scale_f64 v[4:5], s[2:3], v[2:3], v[2:3], s[16:17]
	v_div_scale_f64 v[17:18], vcc, s[16:17], v[2:3], s[16:17]
	v_rcp_f64_e32 v[6:7], v[4:5]
	v_fma_f64 v[15:16], -v[4:5], v[6:7], 1.0
	v_fma_f64 v[6:7], v[6:7], v[15:16], v[6:7]
	v_fma_f64 v[15:16], -v[4:5], v[6:7], 1.0
	v_fma_f64 v[6:7], v[6:7], v[15:16], v[6:7]
	v_mul_f64 v[15:16], v[17:18], v[6:7]
	v_fma_f64 v[4:5], -v[4:5], v[15:16], v[17:18]
	v_div_fmas_f64 v[4:5], v[4:5], v[6:7], v[15:16]
	v_div_fixup_f64 v[2:3], v[4:5], v[2:3], s[16:17]
	v_cvt_f32_f64_e32 v2, v[2:3]
.LBB26_43:
	s_or_b64 exec, exec, s[12:13]
	s_orn2_b64 s[2:3], s[14:15], exec
.LBB26_44:
	s_or_b64 exec, exec, s[10:11]
	v_mov_b32_e32 v11, 0x7e00
	s_and_saveexec_b64 s[10:11], s[2:3]
	s_cbranch_execz .LBB26_56
; %bb.45:
	s_mov_b32 s14, 0x41200000
	v_cmp_gt_f32_e32 vcc, s14, v14
	s_and_saveexec_b64 s[2:3], vcc
	s_cbranch_execz .LBB26_49
; %bb.46:
	s_mov_b64 s[12:13], 0
.LBB26_47:                              ; =>This Inner Loop Header: Depth=1
	v_div_scale_f32 v3, s[16:17], v14, v14, 1.0
	v_div_scale_f32 v4, vcc, 1.0, v14, 1.0
	v_rcp_f32_e32 v5, v3
	v_fma_f32 v6, -v3, v5, 1.0
	v_fmac_f32_e32 v5, v6, v5
	v_mul_f32_e32 v6, v4, v5
	v_fma_f32 v7, -v3, v6, v4
	v_fmac_f32_e32 v6, v7, v5
	v_fma_f32 v3, -v3, v6, v4
	v_div_fmas_f32 v3, v3, v5, v6
	v_div_fixup_f32 v3, v3, v14, 1.0
	v_add_f32_e32 v14, 1.0, v14
	v_cmp_ngt_f32_e32 vcc, s14, v14
	s_or_b64 s[12:13], vcc, s[12:13]
	v_sub_f32_e32 v2, v2, v3
	s_andn2_b64 exec, exec, s[12:13]
	s_cbranch_execnz .LBB26_47
; %bb.48:
	s_or_b64 exec, exec, s[12:13]
.LBB26_49:
	s_or_b64 exec, exec, s[2:3]
	s_mov_b32 s2, 0x41200000
	v_cmp_neq_f32_e32 vcc, s2, v14
                                        ; implicit-def: $vgpr11
	s_and_saveexec_b64 s[2:3], vcc
	s_xor_b64 s[12:13], exec, s[2:3]
	s_cbranch_execz .LBB26_53
; %bb.50:
	v_cvt_f64_f32_e32 v[3:4], v14
	s_mov_b32 s2, 0x85d8a000
	s_mov_b32 s3, 0x43763457
	v_cmp_gt_f64_e32 vcc, s[2:3], v[3:4]
	v_mov_b32_e32 v3, 0
	s_and_saveexec_b64 s[2:3], vcc
	s_cbranch_execz .LBB26_52
; %bb.51:
	v_mul_f32_e32 v3, v14, v14
	v_div_scale_f32 v4, s[14:15], v3, v3, 1.0
	v_div_scale_f32 v5, vcc, 1.0, v3, 1.0
	v_mov_b32_e32 v13, 0x3b820821
	v_rcp_f32_e32 v6, v4
	v_fma_f32 v7, -v4, v6, 1.0
	v_fmac_f32_e32 v6, v7, v6
	v_mul_f32_e32 v7, v5, v6
	v_fma_f32 v11, -v4, v7, v5
	v_fmac_f32_e32 v7, v11, v6
	v_fma_f32 v4, -v4, v7, v5
	v_div_fmas_f32 v4, v4, v6, v7
	v_mov_b32_e32 v5, 0x3daaaaab
	v_mov_b32_e32 v6, 0xbcaccacd
	;; [unrolled: 1-line block ×4, first 2 shown]
	v_div_fixup_f32 v3, v4, v3, 1.0
	v_fma_f32 v4, 0, v3, v5
	v_fmac_f32_e32 v6, v3, v4
	v_fmac_f32_e32 v7, v3, v6
	;; [unrolled: 1-line block ×4, first 2 shown]
	v_mov_b32_e32 v4, 0xbc088889
	v_fmac_f32_e32 v4, v3, v13
	v_fmac_f32_e32 v5, v3, v4
	v_mul_f32_e32 v3, v3, v5
.LBB26_52:
	s_or_b64 exec, exec, s[2:3]
	v_div_scale_f32 v4, s[2:3], v14, v14, -0.5
	v_div_scale_f32 v5, vcc, -0.5, v14, -0.5
	s_mov_b32 s2, 0x800000
	v_cmp_gt_f32_e64 s[2:3], s2, v14
	v_cndmask_b32_e64 v7, 0, 32, s[2:3]
	s_mov_b32 s14, 0x3f317217
	v_rcp_f32_e32 v6, v4
	v_fma_f32 v11, -v4, v6, 1.0
	v_fmac_f32_e32 v6, v11, v6
	v_mul_f32_e32 v11, v5, v6
	v_fma_f32 v13, -v4, v11, v5
	v_fmac_f32_e32 v11, v13, v6
	v_fma_f32 v4, -v4, v11, v5
	v_div_fmas_f32 v4, v4, v6, v11
	v_ldexp_f32 v5, v14, v7
	v_log_f32_e32 v5, v5
	v_mul_f32_e32 v6, 0x3f317217, v5
	v_fma_f32 v6, v5, s14, -v6
	v_fmac_f32_e32 v6, 0x3377d1cf, v5
	s_mov_b32 s14, 0x7f800000
	v_fmac_f32_e32 v6, 0x3f317217, v5
	v_cmp_lt_f32_e64 vcc, |v5|, s14
	v_cndmask_b32_e32 v5, v5, v6, vcc
	v_mov_b32_e32 v6, 0x41b17218
	v_cndmask_b32_e64 v6, 0, v6, s[2:3]
	v_sub_f32_e32 v5, v5, v6
	v_div_fixup_f32 v4, v4, v14, -0.5
	v_add_f32_e32 v4, v5, v4
	v_sub_f32_e32 v3, v4, v3
	v_add_f32_e32 v2, v2, v3
	v_cvt_f16_f32_e32 v11, v2
                                        ; implicit-def: $vgpr2
.LBB26_53:
	s_andn2_saveexec_b64 s[2:3], s[12:13]
; %bb.54:
	v_add_f32_e32 v2, 0x40101cb7, v2
	v_cvt_f16_f32_e32 v11, v2
; %bb.55:
	s_or_b64 exec, exec, s[2:3]
.LBB26_56:
	s_or_b64 exec, exec, s[10:11]
                                        ; implicit-def: $vgpr14
.LBB26_57:
	s_andn2_saveexec_b64 s[2:3], s[6:7]
; %bb.58:
	v_xor_b32_e32 v2, 0x80000000, v14
	v_lshrrev_b32_e32 v2, 16, v2
	s_movk_i32 s6, 0x7fff
	v_mov_b32_e32 v3, 0x7c00
	v_bfi_b32 v11, s6, v3, v2
; %bb.59:
	s_or_b64 exec, exec, s[2:3]
.LBB26_60:
	s_or_b64 exec, exec, s[4:5]
	v_or_b32_e32 v2, 0x200, v0
	v_cmp_gt_i32_e32 vcc, s19, v2
                                        ; implicit-def: $vgpr13
	s_and_saveexec_b64 s[4:5], vcc
	s_cbranch_execz .LBB26_86
; %bb.61:
	s_waitcnt vmcnt(0)
	v_cvt_f32_f16_e32 v14, v12
	v_cmp_neq_f16_e32 vcc, 0, v12
                                        ; implicit-def: $vgpr13
	s_and_saveexec_b64 s[2:3], vcc
	s_xor_b64 s[6:7], exec, s[2:3]
	s_cbranch_execz .LBB26_83
; %bb.62:
	v_cmp_gt_f16_e32 vcc, 0, v12
	s_mov_b64 s[2:3], -1
	v_mov_b32_e32 v2, 0
	s_and_saveexec_b64 s[10:11], vcc
	s_cbranch_execz .LBB26_70
; %bb.63:
	v_trunc_f32_e32 v2, v14
	v_cmp_neq_f32_e32 vcc, v2, v14
	s_mov_b64 s[14:15], 0
	v_mov_b32_e32 v2, 0
	s_and_saveexec_b64 s[12:13], vcc
	s_cbranch_execz .LBB26_69
; %bb.64:
	v_cvt_f32_f16_e32 v2, v12
	s_mov_b32 s16, 0
	s_mov_b32 s3, 0xc00921fb
	;; [unrolled: 1-line block ×3, first 2 shown]
	v_cvt_f64_f32_e32 v[2:3], v2
	s_mov_b32 s17, 0x7ff00000
	v_bfrev_b32_e32 v6, 1
	s_mov_b32 s14, 0
	v_trunc_f64_e32 v[4:5], v[2:3]
	v_cmp_neq_f64_e64 vcc, |v[2:3]|, s[16:17]
	s_mov_b32 s15, 0x41d00000
                                        ; implicit-def: $vgpr12
	v_add_f64 v[4:5], v[2:3], -v[4:5]
	v_mul_f64 v[4:5], |v[4:5]|, s[2:3]
	v_cndmask_b32_e32 v3, v6, v5, vcc
	v_cndmask_b32_e32 v2, 0, v4, vcc
	v_cmp_nlt_f64_e64 s[14:15], |v[2:3]|, s[14:15]
                                        ; implicit-def: $vgpr4_vgpr5
                                        ; implicit-def: $vgpr6_vgpr7
	s_and_saveexec_b64 s[20:21], s[14:15]
	s_xor_b64 s[14:15], exec, s[20:21]
	s_cbranch_execz .LBB26_66
; %bb.65:
	v_trig_preop_f64 v[4:5], |v[2:3]|, 0
	s_mov_b32 s20, 0
	s_mov_b32 s21, 0x7b000000
	s_movk_i32 s3, 0xff80
	v_cmp_ge_f64_e64 vcc, |v[2:3]|, s[20:21]
	v_ldexp_f64 v[6:7], |v[2:3]|, s3
	v_trig_preop_f64 v[12:13], |v[2:3]|, 1
	v_and_b32_e32 v15, 0x7fffffff, v3
	v_trig_preop_f64 v[19:20], |v[2:3]|, 2
	v_mov_b32_e32 v27, 0x40100000
	s_mov_b32 s3, 0x3ff921fb
	v_cndmask_b32_e32 v7, v15, v7, vcc
	v_cndmask_b32_e32 v6, v2, v6, vcc
	v_mul_f64 v[15:16], v[4:5], v[6:7]
	v_mul_f64 v[17:18], v[12:13], v[6:7]
	v_mul_f64 v[25:26], v[19:20], v[6:7]
	v_fma_f64 v[4:5], v[4:5], v[6:7], -v[15:16]
	v_fma_f64 v[12:13], v[12:13], v[6:7], -v[17:18]
	v_fma_f64 v[6:7], v[19:20], v[6:7], -v[25:26]
	v_add_f64 v[21:22], v[17:18], v[4:5]
	v_add_f64 v[23:24], v[21:22], -v[17:18]
	v_add_f64 v[19:20], v[15:16], v[21:22]
	v_add_f64 v[4:5], v[4:5], -v[23:24]
	v_add_f64 v[23:24], v[21:22], -v[23:24]
	;; [unrolled: 1-line block ×3, first 2 shown]
	v_ldexp_f64 v[19:20], v[19:20], -2
	v_add_f64 v[17:18], v[17:18], -v[23:24]
	v_add_f64 v[23:24], v[25:26], v[12:13]
	v_add_f64 v[15:16], v[21:22], -v[15:16]
	v_fract_f64_e32 v[21:22], v[19:20]
	v_cmp_neq_f64_e64 vcc, |v[19:20]|, s[16:17]
	s_mov_b32 s16, 0x33145c07
	s_mov_b32 s17, 0x3c91a626
	v_add_f64 v[4:5], v[4:5], v[17:18]
	v_add_f64 v[17:18], v[23:24], -v[25:26]
	v_ldexp_f64 v[19:20], v[21:22], 2
	v_add_f64 v[12:13], v[12:13], -v[17:18]
	v_add_f64 v[17:18], v[23:24], -v[17:18]
	;; [unrolled: 1-line block ×3, first 2 shown]
	v_add_f64 v[25:26], v[23:24], v[4:5]
	v_add_f64 v[12:13], v[12:13], v[17:18]
	;; [unrolled: 1-line block ×3, first 2 shown]
	v_cndmask_b32_e32 v18, 0, v20, vcc
	v_cndmask_b32_e32 v17, 0, v19, vcc
	v_add_f64 v[19:20], v[21:22], v[17:18]
	v_add_f64 v[15:16], v[21:22], -v[15:16]
	v_cmp_gt_f64_e32 vcc, 0, v[19:20]
	v_add_f64 v[19:20], v[25:26], -v[23:24]
	v_add_f64 v[15:16], v[25:26], -v[15:16]
	;; [unrolled: 1-line block ×5, first 2 shown]
	v_mov_b32_e32 v23, 0
	v_cndmask_b32_e32 v24, 0, v27, vcc
	v_add_f64 v[17:18], v[17:18], v[23:24]
	v_add_f64 v[4:5], v[4:5], v[19:20]
	;; [unrolled: 1-line block ×4, first 2 shown]
	v_cvt_i32_f64_e32 v27, v[27:28]
	v_cvt_f64_i32_e32 v[19:20], v27
	v_add_f64 v[4:5], v[6:7], v[4:5]
	v_add_f64 v[17:18], v[17:18], -v[19:20]
	v_add_f64 v[4:5], v[15:16], v[4:5]
	v_mov_b32_e32 v15, 0x3ff00000
	v_add_f64 v[12:13], v[21:22], v[17:18]
	v_add_f64 v[6:7], v[12:13], -v[17:18]
	v_cmp_le_f64_e32 vcc, 0.5, v[12:13]
	v_add_f64 v[6:7], v[21:22], -v[6:7]
	v_cndmask_b32_e32 v24, 0, v15, vcc
	v_add_f64 v[4:5], v[4:5], v[6:7]
	v_add_f64 v[6:7], v[12:13], -v[23:24]
	v_add_f64 v[12:13], v[6:7], v[4:5]
	v_mul_f64 v[15:16], v[12:13], s[2:3]
	v_add_f64 v[6:7], v[12:13], -v[6:7]
	v_fma_f64 v[17:18], v[12:13], s[2:3], -v[15:16]
	v_add_f64 v[4:5], v[4:5], -v[6:7]
	v_fma_f64 v[6:7], v[12:13], s[16:17], v[17:18]
	v_fma_f64 v[6:7], v[4:5], s[2:3], v[6:7]
	v_add_f64 v[4:5], v[15:16], v[6:7]
	v_add_f64 v[12:13], v[4:5], -v[15:16]
	v_add_f64 v[6:7], v[6:7], -v[12:13]
	v_addc_co_u32_e32 v12, vcc, 0, v27, vcc
.LBB26_66:
	s_andn2_saveexec_b64 s[2:3], s[14:15]
	s_cbranch_execz .LBB26_68
; %bb.67:
	s_mov_b32 s14, 0x6dc9c883
	s_mov_b32 s15, 0x3fe45f30
	v_mul_f64 v[4:5], |v[2:3]|, s[14:15]
	s_mov_b32 s14, 0x54442d18
	s_mov_b32 s15, 0xbff921fb
	;; [unrolled: 1-line block ×4, first 2 shown]
	v_rndne_f64_e32 v[12:13], v[4:5]
	v_fma_f64 v[4:5], v[12:13], s[14:15], |v[2:3]|
	v_mul_f64 v[6:7], v[12:13], s[16:17]
	s_mov_b32 s14, 0x252049c0
	s_mov_b32 s15, 0xb97b839a
	v_fma_f64 v[19:20], v[12:13], s[16:17], v[4:5]
	v_add_f64 v[15:16], v[4:5], v[6:7]
	s_mov_b32 s17, 0x3c91a626
	v_add_f64 v[17:18], v[4:5], -v[15:16]
	v_add_f64 v[15:16], v[15:16], -v[19:20]
	v_add_f64 v[4:5], v[17:18], v[6:7]
	v_fma_f64 v[6:7], v[12:13], s[16:17], v[6:7]
	v_add_f64 v[4:5], v[15:16], v[4:5]
	v_add_f64 v[4:5], v[4:5], -v[6:7]
	v_fma_f64 v[6:7], v[12:13], s[14:15], v[4:5]
	v_cvt_i32_f64_e32 v12, v[12:13]
	v_add_f64 v[4:5], v[19:20], v[6:7]
	v_add_f64 v[15:16], v[4:5], -v[19:20]
	v_add_f64 v[6:7], v[6:7], -v[15:16]
.LBB26_68:
	s_or_b64 exec, exec, s[2:3]
	v_mul_f64 v[15:16], v[4:5], v[4:5]
	v_add_f64 v[17:18], v[6:7], v[6:7]
	s_mov_b32 s2, 0xc751c08c
	s_mov_b32 s3, 0x3ef5e089
	v_and_b32_e32 v12, 1, v12
	v_cmp_eq_u32_e32 vcc, 0, v12
	v_and_b32_e32 v13, 0x80000000, v3
	s_mov_b32 s16, 0x54442d18
	v_fma_f64 v[19:20], v[4:5], v[4:5], -v[15:16]
	s_mov_b32 s17, 0xc00921fb
	s_mov_b64 s[14:15], exec
	v_sub_f32_e32 v14, 1.0, v14
	v_fma_f64 v[17:18], v[4:5], v[17:18], v[19:20]
	v_add_f64 v[15:16], v[15:16], v[17:18]
	v_mov_b32_e32 v17, 0xa9a29f71
	v_mov_b32_e32 v18, 0xbf078809
	v_fma_f64 v[17:18], v[15:16], s[2:3], v[17:18]
	s_mov_b32 s2, 0x90a8aae0
	s_mov_b32 s3, 0x3f17746f
	v_fma_f64 v[17:18], v[15:16], v[17:18], s[2:3]
	s_mov_b32 s2, 0xa6fbf144
	s_mov_b32 s3, 0xbefbb44d
	;; [unrolled: 3-line block ×12, first 2 shown]
	v_fma_f64 v[17:18], v[15:16], v[17:18], s[2:3]
	s_movk_i32 s2, 0x1f8
	v_cmp_class_f64_e64 s[2:3], v[2:3], s2
	v_mov_b32_e32 v3, 0x7ff80000
	v_mul_f64 v[15:16], v[15:16], v[17:18]
	v_mul_f64 v[17:18], v[4:5], v[15:16]
	v_add_f64 v[19:20], v[4:5], v[17:18]
	v_fma_f64 v[15:16], v[4:5], v[15:16], -v[17:18]
	v_add_f64 v[4:5], v[19:20], -v[4:5]
	v_add_f64 v[6:7], v[6:7], v[15:16]
	v_add_f64 v[4:5], v[17:18], -v[4:5]
	v_add_f64 v[4:5], v[6:7], v[4:5]
	v_add_f64 v[6:7], v[19:20], v[4:5]
	v_rcp_f64_e32 v[15:16], v[6:7]
	v_fma_f64 v[17:18], -v[6:7], v[15:16], 1.0
	v_fma_f64 v[15:16], v[17:18], v[15:16], v[15:16]
	v_fma_f64 v[17:18], -v[6:7], v[15:16], 1.0
	v_fma_f64 v[15:16], v[17:18], v[15:16], v[15:16]
	v_add_f64 v[17:18], v[6:7], -v[19:20]
	v_mul_f64 v[19:20], v[6:7], v[15:16]
	v_add_f64 v[4:5], v[4:5], -v[17:18]
	v_fma_f64 v[17:18], v[15:16], v[6:7], -v[19:20]
	v_fma_f64 v[4:5], v[15:16], v[4:5], v[17:18]
	v_add_f64 v[17:18], v[19:20], v[4:5]
	v_add_f64 v[21:22], -v[17:18], 1.0
	v_add_f64 v[19:20], v[17:18], -v[19:20]
	v_add_f64 v[23:24], -v[21:22], 1.0
	v_add_f64 v[4:5], v[19:20], -v[4:5]
	v_add_f64 v[17:18], v[23:24], -v[17:18]
	v_add_f64 v[4:5], v[4:5], v[17:18]
	v_add_f64 v[4:5], v[21:22], v[4:5]
	v_mul_f64 v[4:5], v[15:16], v[4:5]
	v_add_f64 v[4:5], v[15:16], v[4:5]
	v_xor_b32_e32 v2, 0x80000000, v5
	v_cndmask_b32_e32 v4, v4, v6, vcc
	v_cndmask_b32_e32 v5, v2, v7, vcc
	v_cndmask_b32_e64 v2, 0, v4, s[2:3]
	v_xor_b32_e32 v4, v5, v13
	v_cndmask_b32_e64 v3, v3, v4, s[2:3]
	v_div_scale_f64 v[4:5], s[2:3], v[2:3], v[2:3], s[16:17]
	v_div_scale_f64 v[15:16], vcc, s[16:17], v[2:3], s[16:17]
	v_rcp_f64_e32 v[6:7], v[4:5]
	v_fma_f64 v[12:13], -v[4:5], v[6:7], 1.0
	v_fma_f64 v[6:7], v[6:7], v[12:13], v[6:7]
	v_fma_f64 v[12:13], -v[4:5], v[6:7], 1.0
	v_fma_f64 v[6:7], v[6:7], v[12:13], v[6:7]
	v_mul_f64 v[12:13], v[15:16], v[6:7]
	v_fma_f64 v[4:5], -v[4:5], v[12:13], v[15:16]
	v_div_fmas_f64 v[4:5], v[4:5], v[6:7], v[12:13]
	v_div_fixup_f64 v[2:3], v[4:5], v[2:3], s[16:17]
	v_cvt_f32_f64_e32 v2, v[2:3]
.LBB26_69:
	s_or_b64 exec, exec, s[12:13]
	s_orn2_b64 s[2:3], s[14:15], exec
.LBB26_70:
	s_or_b64 exec, exec, s[10:11]
	v_mov_b32_e32 v13, 0x7e00
	s_and_saveexec_b64 s[10:11], s[2:3]
	s_cbranch_execz .LBB26_82
; %bb.71:
	s_mov_b32 s14, 0x41200000
	v_cmp_gt_f32_e32 vcc, s14, v14
	s_and_saveexec_b64 s[2:3], vcc
	s_cbranch_execz .LBB26_75
; %bb.72:
	s_mov_b64 s[12:13], 0
.LBB26_73:                              ; =>This Inner Loop Header: Depth=1
	v_div_scale_f32 v3, s[16:17], v14, v14, 1.0
	v_div_scale_f32 v4, vcc, 1.0, v14, 1.0
	v_rcp_f32_e32 v5, v3
	v_fma_f32 v6, -v3, v5, 1.0
	v_fmac_f32_e32 v5, v6, v5
	v_mul_f32_e32 v6, v4, v5
	v_fma_f32 v7, -v3, v6, v4
	v_fmac_f32_e32 v6, v7, v5
	v_fma_f32 v3, -v3, v6, v4
	v_div_fmas_f32 v3, v3, v5, v6
	v_div_fixup_f32 v3, v3, v14, 1.0
	v_add_f32_e32 v14, 1.0, v14
	v_cmp_ngt_f32_e32 vcc, s14, v14
	s_or_b64 s[12:13], vcc, s[12:13]
	v_sub_f32_e32 v2, v2, v3
	s_andn2_b64 exec, exec, s[12:13]
	s_cbranch_execnz .LBB26_73
; %bb.74:
	s_or_b64 exec, exec, s[12:13]
.LBB26_75:
	s_or_b64 exec, exec, s[2:3]
	s_mov_b32 s2, 0x41200000
	v_cmp_neq_f32_e32 vcc, s2, v14
                                        ; implicit-def: $vgpr13
	s_and_saveexec_b64 s[2:3], vcc
	s_xor_b64 s[12:13], exec, s[2:3]
	s_cbranch_execz .LBB26_79
; %bb.76:
	v_cvt_f64_f32_e32 v[3:4], v14
	s_mov_b32 s2, 0x85d8a000
	s_mov_b32 s3, 0x43763457
	v_cmp_gt_f64_e32 vcc, s[2:3], v[3:4]
	v_mov_b32_e32 v3, 0
	s_and_saveexec_b64 s[2:3], vcc
	s_cbranch_execz .LBB26_78
; %bb.77:
	v_mul_f32_e32 v3, v14, v14
	v_div_scale_f32 v4, s[14:15], v3, v3, 1.0
	v_div_scale_f32 v5, vcc, 1.0, v3, 1.0
	v_mov_b32_e32 v13, 0x3b820821
	v_rcp_f32_e32 v6, v4
	v_fma_f32 v7, -v4, v6, 1.0
	v_fmac_f32_e32 v6, v7, v6
	v_mul_f32_e32 v7, v5, v6
	v_fma_f32 v12, -v4, v7, v5
	v_fmac_f32_e32 v7, v12, v6
	v_fma_f32 v4, -v4, v7, v5
	v_div_fmas_f32 v4, v4, v6, v7
	v_mov_b32_e32 v5, 0x3daaaaab
	v_mov_b32_e32 v6, 0xbcaccacd
	;; [unrolled: 1-line block ×4, first 2 shown]
	v_div_fixup_f32 v3, v4, v3, 1.0
	v_fma_f32 v4, 0, v3, v5
	v_fmac_f32_e32 v6, v3, v4
	v_fmac_f32_e32 v7, v3, v6
	;; [unrolled: 1-line block ×4, first 2 shown]
	v_mov_b32_e32 v4, 0xbc088889
	v_fmac_f32_e32 v4, v3, v13
	v_fmac_f32_e32 v5, v3, v4
	v_mul_f32_e32 v3, v3, v5
.LBB26_78:
	s_or_b64 exec, exec, s[2:3]
	v_div_scale_f32 v4, s[2:3], v14, v14, -0.5
	v_div_scale_f32 v5, vcc, -0.5, v14, -0.5
	s_mov_b32 s2, 0x800000
	v_cmp_gt_f32_e64 s[2:3], s2, v14
	v_cndmask_b32_e64 v7, 0, 32, s[2:3]
	s_mov_b32 s14, 0x3f317217
	v_rcp_f32_e32 v6, v4
	v_fma_f32 v12, -v4, v6, 1.0
	v_fmac_f32_e32 v6, v12, v6
	v_mul_f32_e32 v12, v5, v6
	v_fma_f32 v13, -v4, v12, v5
	v_fmac_f32_e32 v12, v13, v6
	v_fma_f32 v4, -v4, v12, v5
	v_div_fmas_f32 v4, v4, v6, v12
	v_ldexp_f32 v5, v14, v7
	v_log_f32_e32 v5, v5
	v_mul_f32_e32 v6, 0x3f317217, v5
	v_fma_f32 v6, v5, s14, -v6
	v_fmac_f32_e32 v6, 0x3377d1cf, v5
	s_mov_b32 s14, 0x7f800000
	v_fmac_f32_e32 v6, 0x3f317217, v5
	v_cmp_lt_f32_e64 vcc, |v5|, s14
	v_cndmask_b32_e32 v5, v5, v6, vcc
	v_mov_b32_e32 v6, 0x41b17218
	v_cndmask_b32_e64 v6, 0, v6, s[2:3]
	v_sub_f32_e32 v5, v5, v6
	v_div_fixup_f32 v4, v4, v14, -0.5
	v_add_f32_e32 v4, v5, v4
	v_sub_f32_e32 v3, v4, v3
	v_add_f32_e32 v2, v2, v3
	v_cvt_f16_f32_e32 v13, v2
                                        ; implicit-def: $vgpr2
.LBB26_79:
	s_andn2_saveexec_b64 s[2:3], s[12:13]
; %bb.80:
	v_add_f32_e32 v2, 0x40101cb7, v2
	v_cvt_f16_f32_e32 v13, v2
; %bb.81:
	s_or_b64 exec, exec, s[2:3]
.LBB26_82:
	s_or_b64 exec, exec, s[10:11]
                                        ; implicit-def: $vgpr14
.LBB26_83:
	s_andn2_saveexec_b64 s[2:3], s[6:7]
; %bb.84:
	v_xor_b32_e32 v2, 0x80000000, v14
	v_lshrrev_b32_e32 v2, 16, v2
	s_movk_i32 s6, 0x7fff
	v_mov_b32_e32 v3, 0x7c00
	v_bfi_b32 v13, s6, v3, v2
; %bb.85:
	s_or_b64 exec, exec, s[2:3]
.LBB26_86:
	s_or_b64 exec, exec, s[4:5]
	v_or_b32_e32 v2, 0x300, v0
	v_cmp_gt_i32_e32 vcc, s19, v2
                                        ; implicit-def: $vgpr3
	s_and_saveexec_b64 s[4:5], vcc
	s_cbranch_execnz .LBB26_92
; %bb.87:
	s_or_b64 exec, exec, s[4:5]
	s_and_saveexec_b64 s[2:3], s[0:1]
	s_xor_b64 s[0:1], exec, s[2:3]
	s_cbranch_execnz .LBB26_117
.LBB26_88:
	s_or_b64 exec, exec, s[0:1]
	v_cmp_gt_i32_e32 vcc, s19, v0
	s_and_saveexec_b64 s[0:1], vcc
	s_cbranch_execnz .LBB26_118
.LBB26_89:
	s_or_b64 exec, exec, s[0:1]
	v_cmp_gt_i32_e32 vcc, s19, v0
	s_and_saveexec_b64 s[0:1], vcc
	s_cbranch_execnz .LBB26_119
.LBB26_90:
	s_or_b64 exec, exec, s[0:1]
	v_cmp_gt_i32_e32 vcc, s19, v0
	s_and_saveexec_b64 s[0:1], vcc
	s_cbranch_execnz .LBB26_120
.LBB26_91:
	s_endpgm
.LBB26_92:
	s_waitcnt vmcnt(0)
	v_cvt_f32_f16_e32 v12, v10
	v_cmp_neq_f16_e32 vcc, 0, v10
                                        ; implicit-def: $vgpr3
	s_and_saveexec_b64 s[2:3], vcc
	s_xor_b64 s[6:7], exec, s[2:3]
	s_cbranch_execz .LBB26_114
; %bb.93:
	v_cmp_gt_f16_e32 vcc, 0, v10
	s_mov_b64 s[2:3], -1
	v_mov_b32_e32 v2, 0
	s_and_saveexec_b64 s[10:11], vcc
	s_cbranch_execz .LBB26_101
; %bb.94:
	v_trunc_f32_e32 v2, v12
	v_cmp_neq_f32_e32 vcc, v2, v12
	s_mov_b64 s[14:15], 0
	v_mov_b32_e32 v2, 0
	s_and_saveexec_b64 s[12:13], vcc
	s_cbranch_execz .LBB26_100
; %bb.95:
	v_cvt_f32_f16_e32 v2, v10
	s_mov_b32 s16, 0
	s_mov_b32 s3, 0xc00921fb
	;; [unrolled: 1-line block ×3, first 2 shown]
	v_cvt_f64_f32_e32 v[2:3], v2
	s_mov_b32 s17, 0x7ff00000
	v_bfrev_b32_e32 v6, 1
	s_mov_b32 s14, 0
	v_trunc_f64_e32 v[4:5], v[2:3]
	v_cmp_neq_f64_e64 vcc, |v[2:3]|, s[16:17]
	s_mov_b32 s15, 0x41d00000
                                        ; implicit-def: $vgpr10
	v_add_f64 v[4:5], v[2:3], -v[4:5]
	v_mul_f64 v[4:5], |v[4:5]|, s[2:3]
	v_cndmask_b32_e32 v3, v6, v5, vcc
	v_cndmask_b32_e32 v2, 0, v4, vcc
	v_cmp_nlt_f64_e64 s[14:15], |v[2:3]|, s[14:15]
                                        ; implicit-def: $vgpr4_vgpr5
                                        ; implicit-def: $vgpr6_vgpr7
	s_and_saveexec_b64 s[20:21], s[14:15]
	s_xor_b64 s[14:15], exec, s[20:21]
	s_cbranch_execz .LBB26_97
; %bb.96:
	v_trig_preop_f64 v[4:5], |v[2:3]|, 0
	s_mov_b32 s20, 0
	s_mov_b32 s21, 0x7b000000
	s_movk_i32 s3, 0xff80
	v_cmp_ge_f64_e64 vcc, |v[2:3]|, s[20:21]
	v_ldexp_f64 v[6:7], |v[2:3]|, s3
	v_trig_preop_f64 v[14:15], |v[2:3]|, 1
	v_and_b32_e32 v10, 0x7fffffff, v3
	v_trig_preop_f64 v[20:21], |v[2:3]|, 2
	s_mov_b32 s3, 0x3ff921fb
	v_cndmask_b32_e32 v7, v10, v7, vcc
	v_cndmask_b32_e32 v6, v2, v6, vcc
	v_mov_b32_e32 v10, 0x40100000
	v_mul_f64 v[16:17], v[4:5], v[6:7]
	v_mul_f64 v[18:19], v[14:15], v[6:7]
	;; [unrolled: 1-line block ×3, first 2 shown]
	v_fma_f64 v[4:5], v[4:5], v[6:7], -v[16:17]
	v_fma_f64 v[14:15], v[14:15], v[6:7], -v[18:19]
	;; [unrolled: 1-line block ×3, first 2 shown]
	v_add_f64 v[22:23], v[18:19], v[4:5]
	v_add_f64 v[24:25], v[22:23], -v[18:19]
	v_add_f64 v[20:21], v[16:17], v[22:23]
	v_add_f64 v[4:5], v[4:5], -v[24:25]
	v_add_f64 v[24:25], v[22:23], -v[24:25]
	;; [unrolled: 1-line block ×3, first 2 shown]
	v_ldexp_f64 v[20:21], v[20:21], -2
	v_add_f64 v[18:19], v[18:19], -v[24:25]
	v_add_f64 v[24:25], v[26:27], v[14:15]
	v_add_f64 v[16:17], v[22:23], -v[16:17]
	v_fract_f64_e32 v[22:23], v[20:21]
	v_cmp_neq_f64_e64 vcc, |v[20:21]|, s[16:17]
	s_mov_b32 s16, 0x33145c07
	s_mov_b32 s17, 0x3c91a626
	v_add_f64 v[4:5], v[4:5], v[18:19]
	v_add_f64 v[18:19], v[24:25], -v[26:27]
	v_ldexp_f64 v[20:21], v[22:23], 2
	v_add_f64 v[14:15], v[14:15], -v[18:19]
	v_add_f64 v[18:19], v[24:25], -v[18:19]
	;; [unrolled: 1-line block ×3, first 2 shown]
	v_add_f64 v[26:27], v[24:25], v[4:5]
	v_add_f64 v[14:15], v[14:15], v[18:19]
	;; [unrolled: 1-line block ×3, first 2 shown]
	v_cndmask_b32_e32 v19, 0, v21, vcc
	v_cndmask_b32_e32 v18, 0, v20, vcc
	v_add_f64 v[20:21], v[22:23], v[18:19]
	v_add_f64 v[16:17], v[22:23], -v[16:17]
	v_cmp_gt_f64_e32 vcc, 0, v[20:21]
	v_add_f64 v[20:21], v[26:27], -v[24:25]
	v_add_f64 v[16:17], v[26:27], -v[16:17]
	;; [unrolled: 1-line block ×5, first 2 shown]
	v_mov_b32_e32 v24, 0
	v_cndmask_b32_e32 v25, 0, v10, vcc
	v_add_f64 v[18:19], v[18:19], v[24:25]
	v_add_f64 v[4:5], v[4:5], v[20:21]
	;; [unrolled: 1-line block ×4, first 2 shown]
	v_cvt_i32_f64_e32 v10, v[28:29]
	v_cvt_f64_i32_e32 v[20:21], v10
	v_add_f64 v[4:5], v[6:7], v[4:5]
	v_add_f64 v[18:19], v[18:19], -v[20:21]
	v_add_f64 v[4:5], v[16:17], v[4:5]
	v_mov_b32_e32 v16, 0x3ff00000
	v_add_f64 v[14:15], v[22:23], v[18:19]
	v_add_f64 v[6:7], v[14:15], -v[18:19]
	v_cmp_le_f64_e32 vcc, 0.5, v[14:15]
	v_add_f64 v[6:7], v[22:23], -v[6:7]
	v_cndmask_b32_e32 v25, 0, v16, vcc
	v_addc_co_u32_e32 v10, vcc, 0, v10, vcc
	v_add_f64 v[4:5], v[4:5], v[6:7]
	v_add_f64 v[6:7], v[14:15], -v[24:25]
	v_add_f64 v[14:15], v[6:7], v[4:5]
	v_mul_f64 v[16:17], v[14:15], s[2:3]
	v_add_f64 v[6:7], v[14:15], -v[6:7]
	v_fma_f64 v[18:19], v[14:15], s[2:3], -v[16:17]
	v_add_f64 v[4:5], v[4:5], -v[6:7]
	v_fma_f64 v[6:7], v[14:15], s[16:17], v[18:19]
	v_fma_f64 v[6:7], v[4:5], s[2:3], v[6:7]
	v_add_f64 v[4:5], v[16:17], v[6:7]
	v_add_f64 v[14:15], v[4:5], -v[16:17]
	v_add_f64 v[6:7], v[6:7], -v[14:15]
.LBB26_97:
	s_andn2_saveexec_b64 s[2:3], s[14:15]
	s_cbranch_execz .LBB26_99
; %bb.98:
	s_mov_b32 s14, 0x6dc9c883
	s_mov_b32 s15, 0x3fe45f30
	v_mul_f64 v[4:5], |v[2:3]|, s[14:15]
	s_mov_b32 s14, 0x54442d18
	s_mov_b32 s15, 0xbff921fb
	;; [unrolled: 1-line block ×4, first 2 shown]
	v_rndne_f64_e32 v[14:15], v[4:5]
	v_fma_f64 v[4:5], v[14:15], s[14:15], |v[2:3]|
	v_mul_f64 v[6:7], v[14:15], s[16:17]
	s_mov_b32 s14, 0x252049c0
	s_mov_b32 s15, 0xb97b839a
	v_cvt_i32_f64_e32 v10, v[14:15]
	v_fma_f64 v[20:21], v[14:15], s[16:17], v[4:5]
	v_add_f64 v[16:17], v[4:5], v[6:7]
	s_mov_b32 s17, 0x3c91a626
	v_add_f64 v[18:19], v[4:5], -v[16:17]
	v_add_f64 v[16:17], v[16:17], -v[20:21]
	v_add_f64 v[4:5], v[18:19], v[6:7]
	v_fma_f64 v[6:7], v[14:15], s[16:17], v[6:7]
	v_add_f64 v[4:5], v[16:17], v[4:5]
	v_add_f64 v[4:5], v[4:5], -v[6:7]
	v_fma_f64 v[6:7], v[14:15], s[14:15], v[4:5]
	v_add_f64 v[4:5], v[20:21], v[6:7]
	v_add_f64 v[16:17], v[4:5], -v[20:21]
	v_add_f64 v[6:7], v[6:7], -v[16:17]
.LBB26_99:
	s_or_b64 exec, exec, s[2:3]
	v_mul_f64 v[14:15], v[4:5], v[4:5]
	v_add_f64 v[16:17], v[6:7], v[6:7]
	s_mov_b32 s2, 0xc751c08c
	s_mov_b32 s3, 0x3ef5e089
	v_and_b32_e32 v10, 1, v10
	v_cmp_eq_u32_e32 vcc, 0, v10
	s_mov_b32 s16, 0x54442d18
	s_mov_b32 s17, 0xc00921fb
	v_fma_f64 v[18:19], v[4:5], v[4:5], -v[14:15]
	s_mov_b64 s[14:15], exec
	v_sub_f32_e32 v12, 1.0, v12
	v_fma_f64 v[16:17], v[4:5], v[16:17], v[18:19]
	v_add_f64 v[14:15], v[14:15], v[16:17]
	v_mov_b32_e32 v16, 0xa9a29f71
	v_mov_b32_e32 v17, 0xbf078809
	v_fma_f64 v[16:17], v[14:15], s[2:3], v[16:17]
	s_mov_b32 s2, 0x90a8aae0
	s_mov_b32 s3, 0x3f17746f
	v_fma_f64 v[16:17], v[14:15], v[16:17], s[2:3]
	s_mov_b32 s2, 0xa6fbf144
	s_mov_b32 s3, 0xbefbb44d
	;; [unrolled: 3-line block ×12, first 2 shown]
	v_fma_f64 v[16:17], v[14:15], v[16:17], s[2:3]
	s_movk_i32 s2, 0x1f8
	v_cmp_class_f64_e64 s[2:3], v[2:3], s2
	v_mul_f64 v[14:15], v[14:15], v[16:17]
	v_mul_f64 v[16:17], v[4:5], v[14:15]
	v_add_f64 v[18:19], v[4:5], v[16:17]
	v_fma_f64 v[14:15], v[4:5], v[14:15], -v[16:17]
	v_add_f64 v[4:5], v[18:19], -v[4:5]
	v_add_f64 v[6:7], v[6:7], v[14:15]
	v_add_f64 v[4:5], v[16:17], -v[4:5]
	v_add_f64 v[4:5], v[6:7], v[4:5]
	v_add_f64 v[6:7], v[18:19], v[4:5]
	v_rcp_f64_e32 v[14:15], v[6:7]
	v_fma_f64 v[16:17], -v[6:7], v[14:15], 1.0
	v_fma_f64 v[14:15], v[16:17], v[14:15], v[14:15]
	v_fma_f64 v[16:17], -v[6:7], v[14:15], 1.0
	v_fma_f64 v[14:15], v[16:17], v[14:15], v[14:15]
	v_add_f64 v[16:17], v[6:7], -v[18:19]
	v_mul_f64 v[18:19], v[6:7], v[14:15]
	v_add_f64 v[4:5], v[4:5], -v[16:17]
	v_fma_f64 v[16:17], v[14:15], v[6:7], -v[18:19]
	v_fma_f64 v[4:5], v[14:15], v[4:5], v[16:17]
	v_add_f64 v[16:17], v[18:19], v[4:5]
	v_add_f64 v[20:21], -v[16:17], 1.0
	v_add_f64 v[18:19], v[16:17], -v[18:19]
	v_add_f64 v[22:23], -v[20:21], 1.0
	v_add_f64 v[4:5], v[18:19], -v[4:5]
	v_add_f64 v[16:17], v[22:23], -v[16:17]
	v_add_f64 v[4:5], v[4:5], v[16:17]
	v_add_f64 v[4:5], v[20:21], v[4:5]
	v_mul_f64 v[4:5], v[14:15], v[4:5]
	v_add_f64 v[4:5], v[14:15], v[4:5]
	v_and_b32_e32 v14, 0x80000000, v3
	v_mov_b32_e32 v3, 0x7ff80000
	v_xor_b32_e32 v2, 0x80000000, v5
	v_cndmask_b32_e32 v4, v4, v6, vcc
	v_cndmask_b32_e32 v5, v2, v7, vcc
	v_cndmask_b32_e64 v2, 0, v4, s[2:3]
	v_xor_b32_e32 v4, v5, v14
	v_cndmask_b32_e64 v3, v3, v4, s[2:3]
	v_div_scale_f64 v[4:5], s[2:3], v[2:3], v[2:3], s[16:17]
	v_div_scale_f64 v[16:17], vcc, s[16:17], v[2:3], s[16:17]
	v_rcp_f64_e32 v[6:7], v[4:5]
	v_fma_f64 v[14:15], -v[4:5], v[6:7], 1.0
	v_fma_f64 v[6:7], v[6:7], v[14:15], v[6:7]
	v_fma_f64 v[14:15], -v[4:5], v[6:7], 1.0
	v_fma_f64 v[6:7], v[6:7], v[14:15], v[6:7]
	v_mul_f64 v[14:15], v[16:17], v[6:7]
	v_fma_f64 v[4:5], -v[4:5], v[14:15], v[16:17]
	v_div_fmas_f64 v[4:5], v[4:5], v[6:7], v[14:15]
	v_div_fixup_f64 v[2:3], v[4:5], v[2:3], s[16:17]
	v_cvt_f32_f64_e32 v2, v[2:3]
.LBB26_100:
	s_or_b64 exec, exec, s[12:13]
	s_orn2_b64 s[2:3], s[14:15], exec
.LBB26_101:
	s_or_b64 exec, exec, s[10:11]
	v_mov_b32_e32 v3, 0x7e00
	s_and_saveexec_b64 s[10:11], s[2:3]
	s_cbranch_execz .LBB26_113
; %bb.102:
	s_mov_b32 s14, 0x41200000
	v_cmp_gt_f32_e32 vcc, s14, v12
	s_and_saveexec_b64 s[2:3], vcc
	s_cbranch_execz .LBB26_106
; %bb.103:
	s_mov_b64 s[12:13], 0
.LBB26_104:                             ; =>This Inner Loop Header: Depth=1
	v_div_scale_f32 v3, s[16:17], v12, v12, 1.0
	v_div_scale_f32 v4, vcc, 1.0, v12, 1.0
	v_rcp_f32_e32 v5, v3
	v_fma_f32 v6, -v3, v5, 1.0
	v_fmac_f32_e32 v5, v6, v5
	v_mul_f32_e32 v6, v4, v5
	v_fma_f32 v7, -v3, v6, v4
	v_fmac_f32_e32 v6, v7, v5
	v_fma_f32 v3, -v3, v6, v4
	v_div_fmas_f32 v3, v3, v5, v6
	v_div_fixup_f32 v3, v3, v12, 1.0
	v_add_f32_e32 v12, 1.0, v12
	v_cmp_ngt_f32_e32 vcc, s14, v12
	s_or_b64 s[12:13], vcc, s[12:13]
	v_sub_f32_e32 v2, v2, v3
	s_andn2_b64 exec, exec, s[12:13]
	s_cbranch_execnz .LBB26_104
; %bb.105:
	s_or_b64 exec, exec, s[12:13]
.LBB26_106:
	s_or_b64 exec, exec, s[2:3]
	s_mov_b32 s2, 0x41200000
	v_cmp_neq_f32_e32 vcc, s2, v12
                                        ; implicit-def: $vgpr3
	s_and_saveexec_b64 s[2:3], vcc
	s_xor_b64 s[12:13], exec, s[2:3]
	s_cbranch_execz .LBB26_110
; %bb.107:
	v_cvt_f64_f32_e32 v[3:4], v12
	s_mov_b32 s2, 0x85d8a000
	s_mov_b32 s3, 0x43763457
	v_cmp_gt_f64_e32 vcc, s[2:3], v[3:4]
	v_mov_b32_e32 v3, 0
	s_and_saveexec_b64 s[2:3], vcc
	s_cbranch_execz .LBB26_109
; %bb.108:
	v_mul_f32_e32 v3, v12, v12
	v_div_scale_f32 v4, s[14:15], v3, v3, 1.0
	v_div_scale_f32 v5, vcc, 1.0, v3, 1.0
	v_mov_b32_e32 v14, 0x3b820821
	v_rcp_f32_e32 v6, v4
	v_fma_f32 v7, -v4, v6, 1.0
	v_fmac_f32_e32 v6, v7, v6
	v_mul_f32_e32 v7, v5, v6
	v_fma_f32 v10, -v4, v7, v5
	v_fmac_f32_e32 v7, v10, v6
	v_fma_f32 v4, -v4, v7, v5
	v_div_fmas_f32 v4, v4, v6, v7
	v_mov_b32_e32 v5, 0x3daaaaab
	v_mov_b32_e32 v6, 0xbcaccacd
	;; [unrolled: 1-line block ×4, first 2 shown]
	v_div_fixup_f32 v3, v4, v3, 1.0
	v_fma_f32 v4, 0, v3, v5
	v_fmac_f32_e32 v6, v3, v4
	v_fmac_f32_e32 v7, v3, v6
	;; [unrolled: 1-line block ×4, first 2 shown]
	v_mov_b32_e32 v4, 0xbc088889
	v_fmac_f32_e32 v4, v3, v14
	v_fmac_f32_e32 v5, v3, v4
	v_mul_f32_e32 v3, v3, v5
.LBB26_109:
	s_or_b64 exec, exec, s[2:3]
	v_div_scale_f32 v4, s[2:3], v12, v12, -0.5
	v_div_scale_f32 v5, vcc, -0.5, v12, -0.5
	s_mov_b32 s2, 0x800000
	v_cmp_gt_f32_e64 s[2:3], s2, v12
	v_cndmask_b32_e64 v7, 0, 32, s[2:3]
	s_mov_b32 s14, 0x3f317217
	v_rcp_f32_e32 v6, v4
	v_fma_f32 v10, -v4, v6, 1.0
	v_fmac_f32_e32 v6, v10, v6
	v_mul_f32_e32 v10, v5, v6
	v_fma_f32 v14, -v4, v10, v5
	v_fmac_f32_e32 v10, v14, v6
	v_fma_f32 v4, -v4, v10, v5
	v_div_fmas_f32 v4, v4, v6, v10
	v_ldexp_f32 v5, v12, v7
	v_log_f32_e32 v5, v5
	v_mul_f32_e32 v6, 0x3f317217, v5
	v_fma_f32 v6, v5, s14, -v6
	v_fmac_f32_e32 v6, 0x3377d1cf, v5
	s_mov_b32 s14, 0x7f800000
	v_fmac_f32_e32 v6, 0x3f317217, v5
	v_cmp_lt_f32_e64 vcc, |v5|, s14
	v_cndmask_b32_e32 v5, v5, v6, vcc
	v_mov_b32_e32 v6, 0x41b17218
	v_cndmask_b32_e64 v6, 0, v6, s[2:3]
	v_sub_f32_e32 v5, v5, v6
	v_div_fixup_f32 v4, v4, v12, -0.5
	v_add_f32_e32 v4, v5, v4
	v_sub_f32_e32 v3, v4, v3
	v_add_f32_e32 v2, v2, v3
	v_cvt_f16_f32_e32 v3, v2
                                        ; implicit-def: $vgpr2
.LBB26_110:
	s_andn2_saveexec_b64 s[2:3], s[12:13]
; %bb.111:
	v_add_f32_e32 v2, 0x40101cb7, v2
	v_cvt_f16_f32_e32 v3, v2
; %bb.112:
	s_or_b64 exec, exec, s[2:3]
.LBB26_113:
	s_or_b64 exec, exec, s[10:11]
                                        ; implicit-def: $vgpr12
.LBB26_114:
	s_andn2_saveexec_b64 s[2:3], s[6:7]
; %bb.115:
	v_xor_b32_e32 v2, 0x80000000, v12
	v_lshrrev_b32_e32 v2, 16, v2
	s_movk_i32 s6, 0x7fff
	v_mov_b32_e32 v3, 0x7c00
	v_bfi_b32 v3, s6, v3, v2
; %bb.116:
	s_or_b64 exec, exec, s[2:3]
	s_or_b64 exec, exec, s[4:5]
	s_and_saveexec_b64 s[2:3], s[0:1]
	s_xor_b64 s[0:1], exec, s[2:3]
	s_cbranch_execz .LBB26_88
.LBB26_117:
	v_mov_b32_e32 v2, 0
	v_lshlrev_b64 v[0:1], 1, v[1:2]
	v_mov_b32_e32 v2, s9
	v_add_co_u32_e32 v0, vcc, s8, v0
	v_addc_co_u32_e32 v1, vcc, v2, v1, vcc
	global_store_short v[0:1], v8, off
	v_mov_b32_e32 v0, v9
	s_or_b64 exec, exec, s[0:1]
	v_cmp_gt_i32_e32 vcc, s19, v0
	s_and_saveexec_b64 s[0:1], vcc
	s_cbranch_execz .LBB26_89
.LBB26_118:
	v_add_u32_e32 v2, 0x100, v0
	v_add_u32_e32 v0, s18, v0
	v_mov_b32_e32 v1, 0
	v_lshlrev_b64 v[0:1], 1, v[0:1]
	v_mov_b32_e32 v4, s9
	v_add_co_u32_e32 v0, vcc, s8, v0
	v_addc_co_u32_e32 v1, vcc, v4, v1, vcc
	global_store_short v[0:1], v11, off
	v_mov_b32_e32 v0, v2
	s_or_b64 exec, exec, s[0:1]
	v_cmp_gt_i32_e32 vcc, s19, v0
	s_and_saveexec_b64 s[0:1], vcc
	s_cbranch_execz .LBB26_90
.LBB26_119:
	v_add_u32_e32 v2, 0x100, v0
	v_add_u32_e32 v0, s18, v0
	v_mov_b32_e32 v1, 0
	v_lshlrev_b64 v[0:1], 1, v[0:1]
	v_mov_b32_e32 v4, s9
	v_add_co_u32_e32 v0, vcc, s8, v0
	v_addc_co_u32_e32 v1, vcc, v4, v1, vcc
	s_waitcnt vmcnt(0)
	global_store_short v[0:1], v13, off
	v_mov_b32_e32 v0, v2
	s_or_b64 exec, exec, s[0:1]
	v_cmp_gt_i32_e32 vcc, s19, v0
	s_and_saveexec_b64 s[0:1], vcc
	s_cbranch_execz .LBB26_91
.LBB26_120:
	v_add_u32_e32 v0, s18, v0
	v_mov_b32_e32 v1, 0
	v_lshlrev_b64 v[0:1], 1, v[0:1]
	v_mov_b32_e32 v2, s9
	v_add_co_u32_e32 v0, vcc, s8, v0
	v_addc_co_u32_e32 v1, vcc, v2, v1, vcc
	s_waitcnt vmcnt(0)
	global_store_short v[0:1], v3, off
	s_endpgm
	.section	.rodata,"a",@progbits
	.p2align	6, 0x0
	.amdhsa_kernel _ZN2at6native27unrolled_elementwise_kernelIZZZNS0_19digamma_kernel_cudaERNS_18TensorIteratorBaseEENKUlvE_clEvENKUlvE1_clEvEUlN3c104HalfEE_St5arrayIPcLm2EELi4E23TrivialOffsetCalculatorILi1EjESD_NS0_6memory15LoadWithoutCastENSE_16StoreWithoutCastEEEviT_T0_T2_T3_T4_T5_
		.amdhsa_group_segment_fixed_size 0
		.amdhsa_private_segment_fixed_size 0
		.amdhsa_kernarg_size 28
		.amdhsa_user_sgpr_count 6
		.amdhsa_user_sgpr_private_segment_buffer 1
		.amdhsa_user_sgpr_dispatch_ptr 0
		.amdhsa_user_sgpr_queue_ptr 0
		.amdhsa_user_sgpr_kernarg_segment_ptr 1
		.amdhsa_user_sgpr_dispatch_id 0
		.amdhsa_user_sgpr_flat_scratch_init 0
		.amdhsa_user_sgpr_private_segment_size 0
		.amdhsa_uses_dynamic_stack 0
		.amdhsa_system_sgpr_private_segment_wavefront_offset 0
		.amdhsa_system_sgpr_workgroup_id_x 1
		.amdhsa_system_sgpr_workgroup_id_y 0
		.amdhsa_system_sgpr_workgroup_id_z 0
		.amdhsa_system_sgpr_workgroup_info 0
		.amdhsa_system_vgpr_workitem_id 0
		.amdhsa_next_free_vgpr 31
		.amdhsa_next_free_sgpr 22
		.amdhsa_reserve_vcc 1
		.amdhsa_reserve_flat_scratch 0
		.amdhsa_float_round_mode_32 0
		.amdhsa_float_round_mode_16_64 0
		.amdhsa_float_denorm_mode_32 3
		.amdhsa_float_denorm_mode_16_64 3
		.amdhsa_dx10_clamp 1
		.amdhsa_ieee_mode 1
		.amdhsa_fp16_overflow 0
		.amdhsa_exception_fp_ieee_invalid_op 0
		.amdhsa_exception_fp_denorm_src 0
		.amdhsa_exception_fp_ieee_div_zero 0
		.amdhsa_exception_fp_ieee_overflow 0
		.amdhsa_exception_fp_ieee_underflow 0
		.amdhsa_exception_fp_ieee_inexact 0
		.amdhsa_exception_int_div_zero 0
	.end_amdhsa_kernel
	.section	.text._ZN2at6native27unrolled_elementwise_kernelIZZZNS0_19digamma_kernel_cudaERNS_18TensorIteratorBaseEENKUlvE_clEvENKUlvE1_clEvEUlN3c104HalfEE_St5arrayIPcLm2EELi4E23TrivialOffsetCalculatorILi1EjESD_NS0_6memory15LoadWithoutCastENSE_16StoreWithoutCastEEEviT_T0_T2_T3_T4_T5_,"axG",@progbits,_ZN2at6native27unrolled_elementwise_kernelIZZZNS0_19digamma_kernel_cudaERNS_18TensorIteratorBaseEENKUlvE_clEvENKUlvE1_clEvEUlN3c104HalfEE_St5arrayIPcLm2EELi4E23TrivialOffsetCalculatorILi1EjESD_NS0_6memory15LoadWithoutCastENSE_16StoreWithoutCastEEEviT_T0_T2_T3_T4_T5_,comdat
.Lfunc_end26:
	.size	_ZN2at6native27unrolled_elementwise_kernelIZZZNS0_19digamma_kernel_cudaERNS_18TensorIteratorBaseEENKUlvE_clEvENKUlvE1_clEvEUlN3c104HalfEE_St5arrayIPcLm2EELi4E23TrivialOffsetCalculatorILi1EjESD_NS0_6memory15LoadWithoutCastENSE_16StoreWithoutCastEEEviT_T0_T2_T3_T4_T5_, .Lfunc_end26-_ZN2at6native27unrolled_elementwise_kernelIZZZNS0_19digamma_kernel_cudaERNS_18TensorIteratorBaseEENKUlvE_clEvENKUlvE1_clEvEUlN3c104HalfEE_St5arrayIPcLm2EELi4E23TrivialOffsetCalculatorILi1EjESD_NS0_6memory15LoadWithoutCastENSE_16StoreWithoutCastEEEviT_T0_T2_T3_T4_T5_
                                        ; -- End function
	.set _ZN2at6native27unrolled_elementwise_kernelIZZZNS0_19digamma_kernel_cudaERNS_18TensorIteratorBaseEENKUlvE_clEvENKUlvE1_clEvEUlN3c104HalfEE_St5arrayIPcLm2EELi4E23TrivialOffsetCalculatorILi1EjESD_NS0_6memory15LoadWithoutCastENSE_16StoreWithoutCastEEEviT_T0_T2_T3_T4_T5_.num_vgpr, 31
	.set _ZN2at6native27unrolled_elementwise_kernelIZZZNS0_19digamma_kernel_cudaERNS_18TensorIteratorBaseEENKUlvE_clEvENKUlvE1_clEvEUlN3c104HalfEE_St5arrayIPcLm2EELi4E23TrivialOffsetCalculatorILi1EjESD_NS0_6memory15LoadWithoutCastENSE_16StoreWithoutCastEEEviT_T0_T2_T3_T4_T5_.num_agpr, 0
	.set _ZN2at6native27unrolled_elementwise_kernelIZZZNS0_19digamma_kernel_cudaERNS_18TensorIteratorBaseEENKUlvE_clEvENKUlvE1_clEvEUlN3c104HalfEE_St5arrayIPcLm2EELi4E23TrivialOffsetCalculatorILi1EjESD_NS0_6memory15LoadWithoutCastENSE_16StoreWithoutCastEEEviT_T0_T2_T3_T4_T5_.numbered_sgpr, 22
	.set _ZN2at6native27unrolled_elementwise_kernelIZZZNS0_19digamma_kernel_cudaERNS_18TensorIteratorBaseEENKUlvE_clEvENKUlvE1_clEvEUlN3c104HalfEE_St5arrayIPcLm2EELi4E23TrivialOffsetCalculatorILi1EjESD_NS0_6memory15LoadWithoutCastENSE_16StoreWithoutCastEEEviT_T0_T2_T3_T4_T5_.num_named_barrier, 0
	.set _ZN2at6native27unrolled_elementwise_kernelIZZZNS0_19digamma_kernel_cudaERNS_18TensorIteratorBaseEENKUlvE_clEvENKUlvE1_clEvEUlN3c104HalfEE_St5arrayIPcLm2EELi4E23TrivialOffsetCalculatorILi1EjESD_NS0_6memory15LoadWithoutCastENSE_16StoreWithoutCastEEEviT_T0_T2_T3_T4_T5_.private_seg_size, 0
	.set _ZN2at6native27unrolled_elementwise_kernelIZZZNS0_19digamma_kernel_cudaERNS_18TensorIteratorBaseEENKUlvE_clEvENKUlvE1_clEvEUlN3c104HalfEE_St5arrayIPcLm2EELi4E23TrivialOffsetCalculatorILi1EjESD_NS0_6memory15LoadWithoutCastENSE_16StoreWithoutCastEEEviT_T0_T2_T3_T4_T5_.uses_vcc, 1
	.set _ZN2at6native27unrolled_elementwise_kernelIZZZNS0_19digamma_kernel_cudaERNS_18TensorIteratorBaseEENKUlvE_clEvENKUlvE1_clEvEUlN3c104HalfEE_St5arrayIPcLm2EELi4E23TrivialOffsetCalculatorILi1EjESD_NS0_6memory15LoadWithoutCastENSE_16StoreWithoutCastEEEviT_T0_T2_T3_T4_T5_.uses_flat_scratch, 0
	.set _ZN2at6native27unrolled_elementwise_kernelIZZZNS0_19digamma_kernel_cudaERNS_18TensorIteratorBaseEENKUlvE_clEvENKUlvE1_clEvEUlN3c104HalfEE_St5arrayIPcLm2EELi4E23TrivialOffsetCalculatorILi1EjESD_NS0_6memory15LoadWithoutCastENSE_16StoreWithoutCastEEEviT_T0_T2_T3_T4_T5_.has_dyn_sized_stack, 0
	.set _ZN2at6native27unrolled_elementwise_kernelIZZZNS0_19digamma_kernel_cudaERNS_18TensorIteratorBaseEENKUlvE_clEvENKUlvE1_clEvEUlN3c104HalfEE_St5arrayIPcLm2EELi4E23TrivialOffsetCalculatorILi1EjESD_NS0_6memory15LoadWithoutCastENSE_16StoreWithoutCastEEEviT_T0_T2_T3_T4_T5_.has_recursion, 0
	.set _ZN2at6native27unrolled_elementwise_kernelIZZZNS0_19digamma_kernel_cudaERNS_18TensorIteratorBaseEENKUlvE_clEvENKUlvE1_clEvEUlN3c104HalfEE_St5arrayIPcLm2EELi4E23TrivialOffsetCalculatorILi1EjESD_NS0_6memory15LoadWithoutCastENSE_16StoreWithoutCastEEEviT_T0_T2_T3_T4_T5_.has_indirect_call, 0
	.section	.AMDGPU.csdata,"",@progbits
; Kernel info:
; codeLenInByte = 10360
; TotalNumSgprs: 26
; NumVgprs: 31
; ScratchSize: 0
; MemoryBound: 0
; FloatMode: 240
; IeeeMode: 1
; LDSByteSize: 0 bytes/workgroup (compile time only)
; SGPRBlocks: 3
; VGPRBlocks: 7
; NumSGPRsForWavesPerEU: 26
; NumVGPRsForWavesPerEU: 31
; Occupancy: 8
; WaveLimiterHint : 0
; COMPUTE_PGM_RSRC2:SCRATCH_EN: 0
; COMPUTE_PGM_RSRC2:USER_SGPR: 6
; COMPUTE_PGM_RSRC2:TRAP_HANDLER: 0
; COMPUTE_PGM_RSRC2:TGID_X_EN: 1
; COMPUTE_PGM_RSRC2:TGID_Y_EN: 0
; COMPUTE_PGM_RSRC2:TGID_Z_EN: 0
; COMPUTE_PGM_RSRC2:TIDIG_COMP_CNT: 0
	.section	.text._ZN2at6native32elementwise_kernel_manual_unrollILi128ELi8EZNS0_22gpu_kernel_impl_nocastIZZZNS0_19digamma_kernel_cudaERNS_18TensorIteratorBaseEENKUlvE_clEvENKUlvE1_clEvEUlN3c104HalfEE_EEvS4_RKT_EUlibE_EEviT1_,"axG",@progbits,_ZN2at6native32elementwise_kernel_manual_unrollILi128ELi8EZNS0_22gpu_kernel_impl_nocastIZZZNS0_19digamma_kernel_cudaERNS_18TensorIteratorBaseEENKUlvE_clEvENKUlvE1_clEvEUlN3c104HalfEE_EEvS4_RKT_EUlibE_EEviT1_,comdat
	.globl	_ZN2at6native32elementwise_kernel_manual_unrollILi128ELi8EZNS0_22gpu_kernel_impl_nocastIZZZNS0_19digamma_kernel_cudaERNS_18TensorIteratorBaseEENKUlvE_clEvENKUlvE1_clEvEUlN3c104HalfEE_EEvS4_RKT_EUlibE_EEviT1_ ; -- Begin function _ZN2at6native32elementwise_kernel_manual_unrollILi128ELi8EZNS0_22gpu_kernel_impl_nocastIZZZNS0_19digamma_kernel_cudaERNS_18TensorIteratorBaseEENKUlvE_clEvENKUlvE1_clEvEUlN3c104HalfEE_EEvS4_RKT_EUlibE_EEviT1_
	.p2align	8
	.type	_ZN2at6native32elementwise_kernel_manual_unrollILi128ELi8EZNS0_22gpu_kernel_impl_nocastIZZZNS0_19digamma_kernel_cudaERNS_18TensorIteratorBaseEENKUlvE_clEvENKUlvE1_clEvEUlN3c104HalfEE_EEvS4_RKT_EUlibE_EEviT1_,@function
_ZN2at6native32elementwise_kernel_manual_unrollILi128ELi8EZNS0_22gpu_kernel_impl_nocastIZZZNS0_19digamma_kernel_cudaERNS_18TensorIteratorBaseEENKUlvE_clEvENKUlvE1_clEvEUlN3c104HalfEE_EEvS4_RKT_EUlibE_EEviT1_: ; @_ZN2at6native32elementwise_kernel_manual_unrollILi128ELi8EZNS0_22gpu_kernel_impl_nocastIZZZNS0_19digamma_kernel_cudaERNS_18TensorIteratorBaseEENKUlvE_clEvENKUlvE1_clEvEUlN3c104HalfEE_EEvS4_RKT_EUlibE_EEviT1_
; %bb.0:
	s_load_dword s55, s[4:5], 0x0
	s_load_dword s33, s[4:5], 0x8
	s_add_u32 s34, s4, 8
	s_addc_u32 s35, s5, 0
	v_lshl_or_b32 v7, s6, 10, v0
	v_or_b32_e32 v25, 0x380, v7
	s_waitcnt lgkmcnt(0)
	s_add_i32 s54, s33, -1
	s_cmp_gt_u32 s54, 1
	v_cmp_le_i32_e32 vcc, s55, v25
	s_cselect_b64 s[36:37], -1, 0
	s_and_saveexec_b64 s[0:1], vcc
	s_xor_b64 s[38:39], exec, s[0:1]
	s_cbranch_execz .LBB27_7
; %bb.1:
	s_load_dwordx4 s[24:27], s[34:35], 0x4
	s_load_dwordx2 s[40:41], s[34:35], 0x14
	s_load_dwordx4 s[20:23], s[34:35], 0xc4
	s_load_dwordx4 s[16:19], s[34:35], 0x148
	s_cmp_lg_u32 s33, 0
	s_cselect_b64 s[46:47], -1, 0
	s_add_u32 s44, s34, 0xc4
	s_addc_u32 s45, s35, 0
	s_min_u32 s56, s54, 15
	s_cmp_gt_u32 s33, 1
	s_cselect_b64 s[42:43], -1, 0
	v_cmp_gt_i32_e32 vcc, s55, v7
	s_and_saveexec_b64 s[48:49], vcc
	s_cbranch_execz .LBB27_14
; %bb.2:
	s_andn2_b64 vcc, exec, s[36:37]
	s_cbranch_vccnz .LBB27_21
; %bb.3:
	s_andn2_b64 vcc, exec, s[46:47]
	s_cbranch_vccnz .LBB27_321
; %bb.4:
	s_add_i32 s58, s56, 1
	s_cmp_eq_u32 s54, 2
	s_cbranch_scc1 .LBB27_323
; %bb.5:
	s_and_b32 s57, s58, 28
	v_mov_b32_e32 v2, 0
	s_mov_b32 s59, 0
	s_mov_b64 s[50:51], s[34:35]
	s_mov_b64 s[52:53], s[44:45]
	v_mov_b32_e32 v0, 0
	v_mov_b32_e32 v1, v7
.LBB27_6:                               ; =>This Inner Loop Header: Depth=1
	s_load_dwordx8 s[8:15], s[50:51], 0x4
	s_load_dwordx4 s[28:31], s[50:51], 0x24
	s_load_dwordx8 s[0:7], s[52:53], 0x0
	s_add_u32 s50, s50, 48
	s_addc_u32 s51, s51, 0
	s_waitcnt lgkmcnt(0)
	v_mul_hi_u32 v3, s9, v1
	s_add_i32 s59, s59, 4
	s_add_u32 s52, s52, 32
	s_addc_u32 s53, s53, 0
	v_add_u32_e32 v3, v1, v3
	v_lshrrev_b32_e32 v3, s10, v3
	v_mul_lo_u32 v4, v3, s8
	v_mul_hi_u32 v5, s12, v3
	s_cmp_lg_u32 s57, s59
	v_sub_u32_e32 v1, v1, v4
	v_add_u32_e32 v4, v3, v5
	v_mul_lo_u32 v5, v1, s0
	v_mul_lo_u32 v6, v1, s1
	v_lshrrev_b32_e32 v1, s13, v4
	v_mul_lo_u32 v4, v1, s11
	v_mul_hi_u32 v8, s15, v1
	v_sub_u32_e32 v3, v3, v4
	v_add_u32_e32 v4, v1, v8
	v_lshrrev_b32_e32 v4, s28, v4
	v_mul_hi_u32 v9, s30, v4
	v_mul_lo_u32 v10, v4, s14
	v_mul_lo_u32 v8, v3, s2
	v_mul_lo_u32 v3, v3, s3
	v_sub_u32_e32 v10, v1, v10
	v_add_u32_e32 v1, v4, v9
	v_lshrrev_b32_e32 v1, s31, v1
	v_mul_lo_u32 v9, v1, s29
	v_mul_lo_u32 v11, v10, s4
	;; [unrolled: 1-line block ×3, first 2 shown]
	v_add3_u32 v0, v5, v0, v8
	v_sub_u32_e32 v4, v4, v9
	v_mul_lo_u32 v9, v4, s6
	v_mul_lo_u32 v4, v4, s7
	v_add3_u32 v2, v6, v2, v3
	v_add3_u32 v0, v11, v0, v9
	;; [unrolled: 1-line block ×3, first 2 shown]
	s_cbranch_scc1 .LBB27_6
	s_branch .LBB27_324
.LBB27_7:
	s_andn2_saveexec_b64 s[0:1], s[38:39]
	s_cbranch_execz .LBB27_557
.LBB27_8:
	v_cndmask_b32_e64 v0, 0, 1, s[36:37]
	v_cmp_ne_u32_e64 s[0:1], 1, v0
	s_andn2_b64 vcc, exec, s[36:37]
	s_cbranch_vccnz .LBB27_20
; %bb.9:
	s_cmp_lg_u32 s33, 0
	s_waitcnt lgkmcnt(0)
	s_mov_b32 s26, 0
	s_cbranch_scc0 .LBB27_23
; %bb.10:
	s_min_u32 s27, s54, 15
	s_add_i32 s27, s27, 1
	s_cmp_eq_u32 s54, 2
	s_cbranch_scc1 .LBB27_24
; %bb.11:
	s_and_b32 s26, s27, 28
	s_add_u32 s2, s34, 0xc4
	s_addc_u32 s3, s35, 0
	v_mov_b32_e32 v23, 0
	s_mov_b32 s28, 0
	s_mov_b64 s[24:25], s[34:35]
	v_mov_b32_e32 v0, 0
	v_mov_b32_e32 v1, v7
.LBB27_12:                              ; =>This Inner Loop Header: Depth=1
	s_load_dwordx8 s[12:19], s[24:25], 0x4
	s_load_dwordx4 s[20:23], s[24:25], 0x24
	s_load_dwordx8 s[4:11], s[2:3], 0x0
	s_add_u32 s24, s24, 48
	s_addc_u32 s25, s25, 0
	s_waitcnt lgkmcnt(0)
	v_mul_hi_u32 v2, s13, v1
	s_add_i32 s28, s28, 4
	s_add_u32 s2, s2, 32
	s_addc_u32 s3, s3, 0
	v_add_u32_e32 v2, v1, v2
	v_lshrrev_b32_e32 v2, s14, v2
	v_mul_lo_u32 v3, v2, s12
	v_mul_hi_u32 v4, s16, v2
	s_cmp_lg_u32 s26, s28
	v_sub_u32_e32 v1, v1, v3
	v_add_u32_e32 v3, v2, v4
	v_mul_lo_u32 v4, v1, s4
	v_mul_lo_u32 v5, v1, s5
	v_lshrrev_b32_e32 v1, s17, v3
	v_mul_lo_u32 v3, v1, s15
	v_mul_hi_u32 v6, s19, v1
	v_sub_u32_e32 v2, v2, v3
	v_add_u32_e32 v3, v1, v6
	v_lshrrev_b32_e32 v3, s20, v3
	v_mul_hi_u32 v8, s22, v3
	v_mul_lo_u32 v9, v3, s18
	v_mul_lo_u32 v6, v2, s6
	;; [unrolled: 1-line block ×3, first 2 shown]
	v_sub_u32_e32 v9, v1, v9
	v_add_u32_e32 v1, v3, v8
	v_lshrrev_b32_e32 v1, s23, v1
	v_mul_lo_u32 v8, v1, s21
	v_mul_lo_u32 v10, v9, s8
	;; [unrolled: 1-line block ×3, first 2 shown]
	v_add3_u32 v0, v4, v0, v6
	v_sub_u32_e32 v3, v3, v8
	v_mul_lo_u32 v8, v3, s10
	v_mul_lo_u32 v3, v3, s11
	v_add3_u32 v2, v5, v23, v2
	v_add3_u32 v0, v10, v0, v8
	;; [unrolled: 1-line block ×3, first 2 shown]
	s_cbranch_scc1 .LBB27_12
; %bb.13:
	s_and_b32 s6, s27, 3
	s_cmp_eq_u32 s6, 0
	s_cbranch_scc0 .LBB27_25
	s_branch .LBB27_27
.LBB27_14:
	s_or_b64 exec, exec, s[48:49]
	v_cmp_gt_i32_e32 vcc, s55, v7
	s_and_saveexec_b64 s[48:49], vcc
	s_cbranch_execz .LBB27_355
.LBB27_15:
	s_andn2_b64 vcc, exec, s[36:37]
	s_cbranch_vccnz .LBB27_22
; %bb.16:
	s_andn2_b64 vcc, exec, s[46:47]
	s_cbranch_vccnz .LBB27_322
; %bb.17:
	s_add_i32 s58, s56, 1
	s_cmp_eq_u32 s54, 2
	s_cbranch_scc1 .LBB27_363
; %bb.18:
	s_and_b32 s57, s58, 28
	v_mov_b32_e32 v2, 0
	s_mov_b32 s59, 0
	s_mov_b64 s[50:51], s[34:35]
	s_mov_b64 s[52:53], s[44:45]
	v_mov_b32_e32 v0, 0
	v_mov_b32_e32 v1, v7
.LBB27_19:                              ; =>This Inner Loop Header: Depth=1
	s_load_dwordx8 s[8:15], s[50:51], 0x4
	s_load_dwordx4 s[28:31], s[50:51], 0x24
	s_load_dwordx8 s[0:7], s[52:53], 0x0
	s_add_u32 s50, s50, 48
	s_addc_u32 s51, s51, 0
	s_waitcnt lgkmcnt(0)
	v_mul_hi_u32 v3, s9, v1
	s_add_i32 s59, s59, 4
	s_add_u32 s52, s52, 32
	s_addc_u32 s53, s53, 0
	v_add_u32_e32 v3, v1, v3
	v_lshrrev_b32_e32 v3, s10, v3
	v_mul_lo_u32 v4, v3, s8
	v_mul_hi_u32 v5, s12, v3
	s_cmp_eq_u32 s57, s59
	v_sub_u32_e32 v1, v1, v4
	v_add_u32_e32 v4, v3, v5
	v_mul_lo_u32 v5, v1, s0
	v_mul_lo_u32 v6, v1, s1
	v_lshrrev_b32_e32 v1, s13, v4
	v_mul_lo_u32 v4, v1, s11
	v_mul_hi_u32 v8, s15, v1
	v_sub_u32_e32 v3, v3, v4
	v_add_u32_e32 v4, v1, v8
	v_lshrrev_b32_e32 v4, s28, v4
	v_mul_hi_u32 v9, s30, v4
	v_mul_lo_u32 v10, v4, s14
	v_mul_lo_u32 v8, v3, s2
	;; [unrolled: 1-line block ×3, first 2 shown]
	v_sub_u32_e32 v10, v1, v10
	v_add_u32_e32 v1, v4, v9
	v_lshrrev_b32_e32 v1, s31, v1
	v_mul_lo_u32 v9, v1, s29
	v_mul_lo_u32 v11, v10, s4
	;; [unrolled: 1-line block ×3, first 2 shown]
	v_add3_u32 v0, v5, v0, v8
	v_sub_u32_e32 v4, v4, v9
	v_mul_lo_u32 v9, v4, s6
	v_mul_lo_u32 v4, v4, s7
	v_add3_u32 v2, v6, v2, v3
	v_add3_u32 v0, v11, v0, v9
	;; [unrolled: 1-line block ×3, first 2 shown]
	s_cbranch_scc0 .LBB27_19
	s_branch .LBB27_364
.LBB27_20:
                                        ; implicit-def: $vgpr0
                                        ; implicit-def: $vgpr23
	s_branch .LBB27_28
.LBB27_21:
                                        ; implicit-def: $vgpr0
                                        ; implicit-def: $vgpr2
	s_branch .LBB27_328
.LBB27_22:
                                        ; implicit-def: $vgpr0
                                        ; implicit-def: $vgpr2
	s_branch .LBB27_368
.LBB27_23:
	v_mov_b32_e32 v0, 0
	v_mov_b32_e32 v23, 0
	s_branch .LBB27_27
.LBB27_24:
	v_mov_b32_e32 v0, 0
	v_mov_b32_e32 v23, 0
	;; [unrolled: 1-line block ×3, first 2 shown]
	s_and_b32 s6, s27, 3
	s_cmp_eq_u32 s6, 0
	s_cbranch_scc1 .LBB27_27
.LBB27_25:
	s_lshl_b32 s2, s26, 3
	s_add_u32 s2, s34, s2
	s_addc_u32 s3, s35, 0
	s_add_u32 s2, s2, 0xc4
	s_addc_u32 s3, s3, 0
	s_mul_i32 s4, s26, 12
	s_add_u32 s4, s34, s4
	s_addc_u32 s5, s35, 0
.LBB27_26:                              ; =>This Inner Loop Header: Depth=1
	s_load_dwordx2 s[8:9], s[4:5], 0x4
	s_load_dword s7, s[4:5], 0xc
	s_load_dwordx2 s[10:11], s[2:3], 0x0
	s_add_u32 s4, s4, 12
	s_addc_u32 s5, s5, 0
	s_waitcnt lgkmcnt(0)
	v_mul_hi_u32 v2, s9, v1
	s_add_u32 s2, s2, 8
	s_addc_u32 s3, s3, 0
	s_add_i32 s6, s6, -1
	v_add_u32_e32 v2, v1, v2
	v_lshrrev_b32_e32 v2, s7, v2
	v_mul_lo_u32 v3, v2, s8
	s_cmp_lg_u32 s6, 0
	v_sub_u32_e32 v3, v1, v3
	v_mad_u64_u32 v[0:1], s[8:9], v3, s10, v[0:1]
	v_mad_u64_u32 v[23:24], s[8:9], v3, s11, v[23:24]
	v_mov_b32_e32 v1, v2
	s_cbranch_scc1 .LBB27_26
.LBB27_27:
	s_cbranch_execnz .LBB27_30
.LBB27_28:
	s_load_dwordx4 s[4:7], s[34:35], 0x4
	s_load_dwordx2 s[2:3], s[34:35], 0xc4
	s_cmp_lt_u32 s33, 2
	s_waitcnt lgkmcnt(0)
	v_mul_hi_u32 v0, s5, v7
	v_add_u32_e32 v0, v7, v0
	v_lshrrev_b32_e32 v1, s6, v0
	v_mul_lo_u32 v0, v1, s4
	v_sub_u32_e32 v2, v7, v0
	v_mul_lo_u32 v0, v2, s2
	v_mul_lo_u32 v23, v2, s3
	s_cbranch_scc1 .LBB27_30
; %bb.29:
	s_load_dwordx4 s[4:7], s[34:35], 0x10
	s_load_dwordx2 s[2:3], s[34:35], 0xcc
	s_waitcnt lgkmcnt(0)
	v_mul_hi_u32 v2, s5, v1
	v_add_u32_e32 v2, v1, v2
	v_lshrrev_b32_e32 v2, s6, v2
	v_mul_lo_u32 v2, v2, s4
	v_sub_u32_e32 v2, v1, v2
	v_mad_u64_u32 v[0:1], s[4:5], v2, s2, v[0:1]
	v_mad_u64_u32 v[23:24], s[2:3], v2, s3, v[23:24]
.LBB27_30:
	s_and_b64 vcc, exec, s[0:1]
	v_add_u32_e32 v3, 0x80, v7
	s_cbranch_vccnz .LBB27_36
; %bb.31:
	s_cmp_lg_u32 s33, 0
	s_waitcnt lgkmcnt(0)
	s_mov_b32 s26, 0
	s_cbranch_scc0 .LBB27_37
; %bb.32:
	s_min_u32 s27, s54, 15
	s_add_i32 s27, s27, 1
	s_cmp_eq_u32 s54, 2
	s_cbranch_scc1 .LBB27_38
; %bb.33:
	s_and_b32 s26, s27, 28
	s_add_u32 s2, s34, 0xc4
	s_addc_u32 s3, s35, 0
	v_mov_b32_e32 v21, 0
	s_mov_b32 s28, 0
	s_mov_b64 s[24:25], s[34:35]
	v_mov_b32_e32 v1, 0
	v_mov_b32_e32 v2, v3
.LBB27_34:                              ; =>This Inner Loop Header: Depth=1
	s_load_dwordx8 s[12:19], s[24:25], 0x4
	s_load_dwordx4 s[20:23], s[24:25], 0x24
	s_load_dwordx8 s[4:11], s[2:3], 0x0
	s_add_u32 s24, s24, 48
	s_addc_u32 s25, s25, 0
	s_waitcnt lgkmcnt(0)
	v_mul_hi_u32 v4, s13, v2
	s_add_i32 s28, s28, 4
	s_add_u32 s2, s2, 32
	s_addc_u32 s3, s3, 0
	v_add_u32_e32 v4, v2, v4
	v_lshrrev_b32_e32 v4, s14, v4
	v_mul_lo_u32 v5, v4, s12
	v_mul_hi_u32 v6, s16, v4
	s_cmp_lg_u32 s26, s28
	v_sub_u32_e32 v2, v2, v5
	v_add_u32_e32 v5, v4, v6
	v_mul_lo_u32 v6, v2, s4
	v_mul_lo_u32 v8, v2, s5
	v_lshrrev_b32_e32 v2, s17, v5
	v_mul_lo_u32 v5, v2, s15
	v_mul_hi_u32 v9, s19, v2
	v_sub_u32_e32 v4, v4, v5
	v_add_u32_e32 v5, v2, v9
	v_lshrrev_b32_e32 v5, s20, v5
	v_mul_hi_u32 v10, s22, v5
	v_mul_lo_u32 v11, v5, s18
	v_mul_lo_u32 v9, v4, s6
	;; [unrolled: 1-line block ×3, first 2 shown]
	v_sub_u32_e32 v11, v2, v11
	v_add_u32_e32 v2, v5, v10
	v_lshrrev_b32_e32 v2, s23, v2
	v_mul_lo_u32 v10, v2, s21
	v_mul_lo_u32 v12, v11, s8
	;; [unrolled: 1-line block ×3, first 2 shown]
	v_add3_u32 v1, v6, v1, v9
	v_sub_u32_e32 v5, v5, v10
	v_mul_lo_u32 v10, v5, s10
	v_mul_lo_u32 v5, v5, s11
	v_add3_u32 v4, v8, v21, v4
	v_add3_u32 v1, v12, v1, v10
	;; [unrolled: 1-line block ×3, first 2 shown]
	s_cbranch_scc1 .LBB27_34
; %bb.35:
	s_and_b32 s6, s27, 3
	s_cmp_eq_u32 s6, 0
	s_cbranch_scc0 .LBB27_39
	s_branch .LBB27_41
.LBB27_36:
                                        ; implicit-def: $vgpr1
                                        ; implicit-def: $vgpr21
	s_branch .LBB27_42
.LBB27_37:
	v_mov_b32_e32 v1, 0
	v_mov_b32_e32 v21, 0
	s_branch .LBB27_41
.LBB27_38:
	v_mov_b32_e32 v1, 0
	v_mov_b32_e32 v21, 0
	;; [unrolled: 1-line block ×3, first 2 shown]
	s_and_b32 s6, s27, 3
	s_cmp_eq_u32 s6, 0
	s_cbranch_scc1 .LBB27_41
.LBB27_39:
	s_lshl_b32 s2, s26, 3
	s_add_u32 s2, s34, s2
	s_addc_u32 s3, s35, 0
	s_add_u32 s2, s2, 0xc4
	s_addc_u32 s3, s3, 0
	s_mul_i32 s4, s26, 12
	s_add_u32 s4, s34, s4
	s_addc_u32 s5, s35, 0
.LBB27_40:                              ; =>This Inner Loop Header: Depth=1
	s_load_dwordx2 s[8:9], s[4:5], 0x4
	s_load_dword s7, s[4:5], 0xc
	s_load_dwordx2 s[10:11], s[2:3], 0x0
	s_add_u32 s4, s4, 12
	s_addc_u32 s5, s5, 0
	s_waitcnt lgkmcnt(0)
	v_mul_hi_u32 v4, s9, v2
	s_add_u32 s2, s2, 8
	s_addc_u32 s3, s3, 0
	s_add_i32 s6, s6, -1
	v_add_u32_e32 v4, v2, v4
	v_lshrrev_b32_e32 v4, s7, v4
	v_mul_lo_u32 v5, v4, s8
	s_cmp_lg_u32 s6, 0
	v_sub_u32_e32 v5, v2, v5
	v_mad_u64_u32 v[1:2], s[8:9], v5, s10, v[1:2]
	v_mad_u64_u32 v[21:22], s[8:9], v5, s11, v[21:22]
	v_mov_b32_e32 v2, v4
	s_cbranch_scc1 .LBB27_40
.LBB27_41:
	s_cbranch_execnz .LBB27_44
.LBB27_42:
	s_load_dwordx4 s[4:7], s[34:35], 0x4
	s_load_dwordx2 s[2:3], s[34:35], 0xc4
	s_cmp_lt_u32 s33, 2
	s_waitcnt lgkmcnt(0)
	v_mul_hi_u32 v1, s5, v3
	v_add_u32_e32 v1, v3, v1
	v_lshrrev_b32_e32 v2, s6, v1
	v_mul_lo_u32 v1, v2, s4
	v_sub_u32_e32 v3, v3, v1
	v_mul_lo_u32 v1, v3, s2
	v_mul_lo_u32 v21, v3, s3
	s_cbranch_scc1 .LBB27_44
; %bb.43:
	s_load_dwordx4 s[4:7], s[34:35], 0x10
	s_load_dwordx2 s[2:3], s[34:35], 0xcc
	s_waitcnt lgkmcnt(0)
	v_mul_hi_u32 v3, s5, v2
	v_add_u32_e32 v3, v2, v3
	v_lshrrev_b32_e32 v3, s6, v3
	v_mul_lo_u32 v3, v3, s4
	v_sub_u32_e32 v3, v2, v3
	v_mad_u64_u32 v[1:2], s[4:5], v3, s2, v[1:2]
	v_mad_u64_u32 v[21:22], s[2:3], v3, s3, v[21:22]
.LBB27_44:
	s_and_b64 vcc, exec, s[0:1]
	v_add_u32_e32 v4, 0x100, v7
	s_cbranch_vccnz .LBB27_50
; %bb.45:
	s_cmp_lg_u32 s33, 0
	s_waitcnt lgkmcnt(0)
	s_mov_b32 s26, 0
	s_cbranch_scc0 .LBB27_51
; %bb.46:
	s_min_u32 s27, s54, 15
	s_add_i32 s27, s27, 1
	s_cmp_eq_u32 s54, 2
	s_cbranch_scc1 .LBB27_52
; %bb.47:
	s_and_b32 s26, s27, 28
	s_add_u32 s2, s34, 0xc4
	s_addc_u32 s3, s35, 0
	v_mov_b32_e32 v19, 0
	s_mov_b32 s28, 0
	s_mov_b64 s[24:25], s[34:35]
	v_mov_b32_e32 v2, 0
	v_mov_b32_e32 v3, v4
.LBB27_48:                              ; =>This Inner Loop Header: Depth=1
	s_load_dwordx8 s[12:19], s[24:25], 0x4
	s_load_dwordx4 s[20:23], s[24:25], 0x24
	s_load_dwordx8 s[4:11], s[2:3], 0x0
	s_add_u32 s24, s24, 48
	s_addc_u32 s25, s25, 0
	s_waitcnt lgkmcnt(0)
	v_mul_hi_u32 v5, s13, v3
	s_add_i32 s28, s28, 4
	s_add_u32 s2, s2, 32
	s_addc_u32 s3, s3, 0
	v_add_u32_e32 v5, v3, v5
	v_lshrrev_b32_e32 v5, s14, v5
	v_mul_lo_u32 v6, v5, s12
	v_mul_hi_u32 v8, s16, v5
	s_cmp_lg_u32 s26, s28
	v_sub_u32_e32 v3, v3, v6
	v_add_u32_e32 v6, v5, v8
	v_mul_lo_u32 v8, v3, s4
	v_mul_lo_u32 v9, v3, s5
	v_lshrrev_b32_e32 v3, s17, v6
	v_mul_lo_u32 v6, v3, s15
	v_mul_hi_u32 v10, s19, v3
	v_sub_u32_e32 v5, v5, v6
	v_add_u32_e32 v6, v3, v10
	v_lshrrev_b32_e32 v6, s20, v6
	v_mul_hi_u32 v11, s22, v6
	v_mul_lo_u32 v12, v6, s18
	v_mul_lo_u32 v10, v5, s6
	;; [unrolled: 1-line block ×3, first 2 shown]
	v_sub_u32_e32 v12, v3, v12
	v_add_u32_e32 v3, v6, v11
	v_lshrrev_b32_e32 v3, s23, v3
	v_mul_lo_u32 v11, v3, s21
	v_mul_lo_u32 v13, v12, s8
	;; [unrolled: 1-line block ×3, first 2 shown]
	v_add3_u32 v2, v8, v2, v10
	v_sub_u32_e32 v6, v6, v11
	v_mul_lo_u32 v11, v6, s10
	v_mul_lo_u32 v6, v6, s11
	v_add3_u32 v5, v9, v19, v5
	v_add3_u32 v2, v13, v2, v11
	;; [unrolled: 1-line block ×3, first 2 shown]
	s_cbranch_scc1 .LBB27_48
; %bb.49:
	s_and_b32 s6, s27, 3
	s_cmp_eq_u32 s6, 0
	s_cbranch_scc0 .LBB27_53
	s_branch .LBB27_55
.LBB27_50:
                                        ; implicit-def: $vgpr2
                                        ; implicit-def: $vgpr19
	s_branch .LBB27_56
.LBB27_51:
	v_mov_b32_e32 v2, 0
	v_mov_b32_e32 v19, 0
	s_branch .LBB27_55
.LBB27_52:
	v_mov_b32_e32 v2, 0
	v_mov_b32_e32 v19, 0
	;; [unrolled: 1-line block ×3, first 2 shown]
	s_and_b32 s6, s27, 3
	s_cmp_eq_u32 s6, 0
	s_cbranch_scc1 .LBB27_55
.LBB27_53:
	s_lshl_b32 s2, s26, 3
	s_add_u32 s2, s34, s2
	s_addc_u32 s3, s35, 0
	s_add_u32 s2, s2, 0xc4
	s_addc_u32 s3, s3, 0
	s_mul_i32 s4, s26, 12
	s_add_u32 s4, s34, s4
	s_addc_u32 s5, s35, 0
.LBB27_54:                              ; =>This Inner Loop Header: Depth=1
	s_load_dwordx2 s[8:9], s[4:5], 0x4
	s_load_dword s7, s[4:5], 0xc
	s_load_dwordx2 s[10:11], s[2:3], 0x0
	s_add_u32 s4, s4, 12
	s_addc_u32 s5, s5, 0
	s_waitcnt lgkmcnt(0)
	v_mul_hi_u32 v5, s9, v3
	s_add_u32 s2, s2, 8
	s_addc_u32 s3, s3, 0
	s_add_i32 s6, s6, -1
	v_add_u32_e32 v5, v3, v5
	v_lshrrev_b32_e32 v5, s7, v5
	v_mul_lo_u32 v6, v5, s8
	s_cmp_lg_u32 s6, 0
	v_sub_u32_e32 v6, v3, v6
	v_mad_u64_u32 v[2:3], s[8:9], v6, s10, v[2:3]
	v_mad_u64_u32 v[19:20], s[8:9], v6, s11, v[19:20]
	v_mov_b32_e32 v3, v5
	s_cbranch_scc1 .LBB27_54
.LBB27_55:
	s_cbranch_execnz .LBB27_58
.LBB27_56:
	s_load_dwordx4 s[4:7], s[34:35], 0x4
	s_load_dwordx2 s[2:3], s[34:35], 0xc4
	s_cmp_lt_u32 s33, 2
	s_waitcnt lgkmcnt(0)
	v_mul_hi_u32 v2, s5, v4
	v_add_u32_e32 v2, v4, v2
	v_lshrrev_b32_e32 v3, s6, v2
	v_mul_lo_u32 v2, v3, s4
	v_sub_u32_e32 v4, v4, v2
	v_mul_lo_u32 v2, v4, s2
	v_mul_lo_u32 v19, v4, s3
	s_cbranch_scc1 .LBB27_58
; %bb.57:
	s_load_dwordx4 s[4:7], s[34:35], 0x10
	s_load_dwordx2 s[2:3], s[34:35], 0xcc
	s_waitcnt lgkmcnt(0)
	v_mul_hi_u32 v4, s5, v3
	v_add_u32_e32 v4, v3, v4
	v_lshrrev_b32_e32 v4, s6, v4
	v_mul_lo_u32 v4, v4, s4
	v_sub_u32_e32 v4, v3, v4
	v_mad_u64_u32 v[2:3], s[4:5], v4, s2, v[2:3]
	v_mad_u64_u32 v[19:20], s[2:3], v4, s3, v[19:20]
.LBB27_58:
	s_and_b64 vcc, exec, s[0:1]
	v_add_u32_e32 v5, 0x180, v7
	s_cbranch_vccnz .LBB27_64
; %bb.59:
	s_cmp_lg_u32 s33, 0
	s_waitcnt lgkmcnt(0)
	s_mov_b32 s26, 0
	s_cbranch_scc0 .LBB27_65
; %bb.60:
	s_min_u32 s27, s54, 15
	s_add_i32 s27, s27, 1
	s_cmp_eq_u32 s54, 2
	s_cbranch_scc1 .LBB27_66
; %bb.61:
	s_and_b32 s26, s27, 28
	s_add_u32 s2, s34, 0xc4
	s_addc_u32 s3, s35, 0
	v_mov_b32_e32 v17, 0
	s_mov_b32 s28, 0
	s_mov_b64 s[24:25], s[34:35]
	v_mov_b32_e32 v3, 0
	v_mov_b32_e32 v4, v5
.LBB27_62:                              ; =>This Inner Loop Header: Depth=1
	s_load_dwordx8 s[12:19], s[24:25], 0x4
	s_load_dwordx4 s[20:23], s[24:25], 0x24
	s_load_dwordx8 s[4:11], s[2:3], 0x0
	s_add_u32 s24, s24, 48
	s_addc_u32 s25, s25, 0
	s_waitcnt lgkmcnt(0)
	v_mul_hi_u32 v6, s13, v4
	s_add_i32 s28, s28, 4
	s_add_u32 s2, s2, 32
	s_addc_u32 s3, s3, 0
	v_add_u32_e32 v6, v4, v6
	v_lshrrev_b32_e32 v6, s14, v6
	v_mul_lo_u32 v8, v6, s12
	v_mul_hi_u32 v9, s16, v6
	s_cmp_lg_u32 s26, s28
	v_sub_u32_e32 v4, v4, v8
	v_add_u32_e32 v8, v6, v9
	v_mul_lo_u32 v9, v4, s4
	v_mul_lo_u32 v10, v4, s5
	v_lshrrev_b32_e32 v4, s17, v8
	v_mul_lo_u32 v8, v4, s15
	v_mul_hi_u32 v11, s19, v4
	v_sub_u32_e32 v6, v6, v8
	v_add_u32_e32 v8, v4, v11
	v_lshrrev_b32_e32 v8, s20, v8
	v_mul_hi_u32 v12, s22, v8
	v_mul_lo_u32 v13, v8, s18
	v_mul_lo_u32 v11, v6, s6
	;; [unrolled: 1-line block ×3, first 2 shown]
	v_sub_u32_e32 v13, v4, v13
	v_add_u32_e32 v4, v8, v12
	v_lshrrev_b32_e32 v4, s23, v4
	v_mul_lo_u32 v12, v4, s21
	v_mul_lo_u32 v14, v13, s8
	;; [unrolled: 1-line block ×3, first 2 shown]
	v_add3_u32 v3, v9, v3, v11
	v_sub_u32_e32 v8, v8, v12
	v_mul_lo_u32 v12, v8, s10
	v_mul_lo_u32 v8, v8, s11
	v_add3_u32 v6, v10, v17, v6
	v_add3_u32 v3, v14, v3, v12
	;; [unrolled: 1-line block ×3, first 2 shown]
	s_cbranch_scc1 .LBB27_62
; %bb.63:
	s_and_b32 s6, s27, 3
	s_cmp_eq_u32 s6, 0
	s_cbranch_scc0 .LBB27_67
	s_branch .LBB27_69
.LBB27_64:
                                        ; implicit-def: $vgpr3
                                        ; implicit-def: $vgpr17
	s_branch .LBB27_70
.LBB27_65:
	v_mov_b32_e32 v3, 0
	v_mov_b32_e32 v17, 0
	s_branch .LBB27_69
.LBB27_66:
	v_mov_b32_e32 v3, 0
	v_mov_b32_e32 v17, 0
	v_mov_b32_e32 v4, v5
	s_and_b32 s6, s27, 3
	s_cmp_eq_u32 s6, 0
	s_cbranch_scc1 .LBB27_69
.LBB27_67:
	s_lshl_b32 s2, s26, 3
	s_add_u32 s2, s34, s2
	s_addc_u32 s3, s35, 0
	s_add_u32 s2, s2, 0xc4
	s_addc_u32 s3, s3, 0
	s_mul_i32 s4, s26, 12
	s_add_u32 s4, s34, s4
	s_addc_u32 s5, s35, 0
.LBB27_68:                              ; =>This Inner Loop Header: Depth=1
	s_load_dwordx2 s[8:9], s[4:5], 0x4
	s_load_dword s7, s[4:5], 0xc
	s_load_dwordx2 s[10:11], s[2:3], 0x0
	s_add_u32 s4, s4, 12
	s_addc_u32 s5, s5, 0
	s_waitcnt lgkmcnt(0)
	v_mul_hi_u32 v6, s9, v4
	s_add_u32 s2, s2, 8
	s_addc_u32 s3, s3, 0
	s_add_i32 s6, s6, -1
	v_add_u32_e32 v6, v4, v6
	v_lshrrev_b32_e32 v6, s7, v6
	v_mul_lo_u32 v8, v6, s8
	s_cmp_lg_u32 s6, 0
	v_sub_u32_e32 v8, v4, v8
	v_mad_u64_u32 v[3:4], s[8:9], v8, s10, v[3:4]
	v_mad_u64_u32 v[17:18], s[8:9], v8, s11, v[17:18]
	v_mov_b32_e32 v4, v6
	s_cbranch_scc1 .LBB27_68
.LBB27_69:
	s_cbranch_execnz .LBB27_72
.LBB27_70:
	s_load_dwordx4 s[4:7], s[34:35], 0x4
	s_load_dwordx2 s[2:3], s[34:35], 0xc4
	s_cmp_lt_u32 s33, 2
	s_waitcnt lgkmcnt(0)
	v_mul_hi_u32 v3, s5, v5
	v_add_u32_e32 v3, v5, v3
	v_lshrrev_b32_e32 v4, s6, v3
	v_mul_lo_u32 v3, v4, s4
	v_sub_u32_e32 v5, v5, v3
	v_mul_lo_u32 v3, v5, s2
	v_mul_lo_u32 v17, v5, s3
	s_cbranch_scc1 .LBB27_72
; %bb.71:
	s_load_dwordx4 s[4:7], s[34:35], 0x10
	s_load_dwordx2 s[2:3], s[34:35], 0xcc
	s_waitcnt lgkmcnt(0)
	v_mul_hi_u32 v5, s5, v4
	v_add_u32_e32 v5, v4, v5
	v_lshrrev_b32_e32 v5, s6, v5
	v_mul_lo_u32 v5, v5, s4
	v_sub_u32_e32 v5, v4, v5
	v_mad_u64_u32 v[3:4], s[4:5], v5, s2, v[3:4]
	v_mad_u64_u32 v[17:18], s[2:3], v5, s3, v[17:18]
.LBB27_72:
	s_and_b64 vcc, exec, s[0:1]
	v_add_u32_e32 v6, 0x200, v7
	s_cbranch_vccnz .LBB27_78
; %bb.73:
	s_cmp_lg_u32 s33, 0
	s_waitcnt lgkmcnt(0)
	s_mov_b32 s26, 0
	s_cbranch_scc0 .LBB27_79
; %bb.74:
	s_min_u32 s27, s54, 15
	s_add_i32 s27, s27, 1
	s_cmp_eq_u32 s54, 2
	s_cbranch_scc1 .LBB27_80
; %bb.75:
	s_and_b32 s26, s27, 28
	s_add_u32 s2, s34, 0xc4
	s_addc_u32 s3, s35, 0
	v_mov_b32_e32 v15, 0
	s_mov_b32 s28, 0
	s_mov_b64 s[24:25], s[34:35]
	v_mov_b32_e32 v4, 0
	v_mov_b32_e32 v5, v6
.LBB27_76:                              ; =>This Inner Loop Header: Depth=1
	s_load_dwordx8 s[12:19], s[24:25], 0x4
	s_load_dwordx4 s[20:23], s[24:25], 0x24
	s_load_dwordx8 s[4:11], s[2:3], 0x0
	s_add_u32 s24, s24, 48
	s_addc_u32 s25, s25, 0
	s_waitcnt lgkmcnt(0)
	v_mul_hi_u32 v8, s13, v5
	s_add_i32 s28, s28, 4
	s_add_u32 s2, s2, 32
	s_addc_u32 s3, s3, 0
	v_add_u32_e32 v8, v5, v8
	v_lshrrev_b32_e32 v8, s14, v8
	v_mul_lo_u32 v9, v8, s12
	v_mul_hi_u32 v10, s16, v8
	s_cmp_lg_u32 s26, s28
	v_sub_u32_e32 v5, v5, v9
	v_add_u32_e32 v9, v8, v10
	v_mul_lo_u32 v10, v5, s4
	v_mul_lo_u32 v11, v5, s5
	v_lshrrev_b32_e32 v5, s17, v9
	v_mul_lo_u32 v9, v5, s15
	v_mul_hi_u32 v12, s19, v5
	v_sub_u32_e32 v8, v8, v9
	v_add_u32_e32 v9, v5, v12
	v_lshrrev_b32_e32 v9, s20, v9
	v_mul_hi_u32 v13, s22, v9
	v_mul_lo_u32 v14, v9, s18
	v_mul_lo_u32 v12, v8, s6
	;; [unrolled: 1-line block ×3, first 2 shown]
	v_sub_u32_e32 v14, v5, v14
	v_add_u32_e32 v5, v9, v13
	v_lshrrev_b32_e32 v5, s23, v5
	v_mul_lo_u32 v13, v5, s21
	v_mul_lo_u32 v16, v14, s8
	;; [unrolled: 1-line block ×3, first 2 shown]
	v_add3_u32 v4, v10, v4, v12
	v_sub_u32_e32 v9, v9, v13
	v_mul_lo_u32 v13, v9, s10
	v_mul_lo_u32 v9, v9, s11
	v_add3_u32 v8, v11, v15, v8
	v_add3_u32 v4, v16, v4, v13
	;; [unrolled: 1-line block ×3, first 2 shown]
	s_cbranch_scc1 .LBB27_76
; %bb.77:
	s_and_b32 s6, s27, 3
	s_cmp_eq_u32 s6, 0
	s_cbranch_scc0 .LBB27_81
	s_branch .LBB27_83
.LBB27_78:
                                        ; implicit-def: $vgpr4
                                        ; implicit-def: $vgpr15
	s_branch .LBB27_84
.LBB27_79:
	v_mov_b32_e32 v4, 0
	v_mov_b32_e32 v15, 0
	s_branch .LBB27_83
.LBB27_80:
	v_mov_b32_e32 v4, 0
	v_mov_b32_e32 v15, 0
	v_mov_b32_e32 v5, v6
	s_and_b32 s6, s27, 3
	s_cmp_eq_u32 s6, 0
	s_cbranch_scc1 .LBB27_83
.LBB27_81:
	s_lshl_b32 s2, s26, 3
	s_add_u32 s2, s34, s2
	s_addc_u32 s3, s35, 0
	s_add_u32 s2, s2, 0xc4
	s_addc_u32 s3, s3, 0
	s_mul_i32 s4, s26, 12
	s_add_u32 s4, s34, s4
	s_addc_u32 s5, s35, 0
.LBB27_82:                              ; =>This Inner Loop Header: Depth=1
	s_load_dwordx2 s[8:9], s[4:5], 0x4
	s_load_dword s7, s[4:5], 0xc
	s_load_dwordx2 s[10:11], s[2:3], 0x0
	s_add_u32 s4, s4, 12
	s_addc_u32 s5, s5, 0
	s_waitcnt lgkmcnt(0)
	v_mul_hi_u32 v8, s9, v5
	s_add_u32 s2, s2, 8
	s_addc_u32 s3, s3, 0
	s_add_i32 s6, s6, -1
	v_add_u32_e32 v8, v5, v8
	v_lshrrev_b32_e32 v8, s7, v8
	v_mul_lo_u32 v9, v8, s8
	s_cmp_lg_u32 s6, 0
	v_sub_u32_e32 v9, v5, v9
	v_mad_u64_u32 v[4:5], s[8:9], v9, s10, v[4:5]
	v_mad_u64_u32 v[15:16], s[8:9], v9, s11, v[15:16]
	v_mov_b32_e32 v5, v8
	s_cbranch_scc1 .LBB27_82
.LBB27_83:
	s_cbranch_execnz .LBB27_86
.LBB27_84:
	s_load_dwordx4 s[4:7], s[34:35], 0x4
	s_load_dwordx2 s[2:3], s[34:35], 0xc4
	s_cmp_lt_u32 s33, 2
	s_waitcnt lgkmcnt(0)
	v_mul_hi_u32 v4, s5, v6
	v_add_u32_e32 v4, v6, v4
	v_lshrrev_b32_e32 v5, s6, v4
	v_mul_lo_u32 v4, v5, s4
	v_sub_u32_e32 v6, v6, v4
	v_mul_lo_u32 v4, v6, s2
	v_mul_lo_u32 v15, v6, s3
	s_cbranch_scc1 .LBB27_86
; %bb.85:
	s_load_dwordx4 s[4:7], s[34:35], 0x10
	s_load_dwordx2 s[2:3], s[34:35], 0xcc
	s_waitcnt lgkmcnt(0)
	v_mul_hi_u32 v6, s5, v5
	v_add_u32_e32 v6, v5, v6
	v_lshrrev_b32_e32 v6, s6, v6
	v_mul_lo_u32 v6, v6, s4
	v_sub_u32_e32 v6, v5, v6
	v_mad_u64_u32 v[4:5], s[4:5], v6, s2, v[4:5]
	v_mad_u64_u32 v[15:16], s[2:3], v6, s3, v[15:16]
.LBB27_86:
	s_and_b64 vcc, exec, s[0:1]
	v_add_u32_e32 v8, 0x280, v7
	s_cbranch_vccnz .LBB27_92
; %bb.87:
	s_cmp_lg_u32 s33, 0
	s_waitcnt lgkmcnt(0)
	s_mov_b32 s26, 0
	s_cbranch_scc0 .LBB27_93
; %bb.88:
	s_min_u32 s27, s54, 15
	s_add_i32 s27, s27, 1
	s_cmp_eq_u32 s54, 2
	s_cbranch_scc1 .LBB27_94
; %bb.89:
	s_and_b32 s26, s27, 28
	s_add_u32 s2, s34, 0xc4
	s_addc_u32 s3, s35, 0
	v_mov_b32_e32 v13, 0
	s_mov_b32 s28, 0
	s_mov_b64 s[24:25], s[34:35]
	v_mov_b32_e32 v5, 0
	v_mov_b32_e32 v6, v8
.LBB27_90:                              ; =>This Inner Loop Header: Depth=1
	s_load_dwordx8 s[12:19], s[24:25], 0x4
	s_load_dwordx4 s[20:23], s[24:25], 0x24
	s_load_dwordx8 s[4:11], s[2:3], 0x0
	s_add_u32 s24, s24, 48
	s_addc_u32 s25, s25, 0
	s_waitcnt lgkmcnt(0)
	v_mul_hi_u32 v9, s13, v6
	s_add_i32 s28, s28, 4
	s_add_u32 s2, s2, 32
	s_addc_u32 s3, s3, 0
	v_add_u32_e32 v9, v6, v9
	v_lshrrev_b32_e32 v9, s14, v9
	v_mul_lo_u32 v10, v9, s12
	v_mul_hi_u32 v11, s16, v9
	s_cmp_lg_u32 s26, s28
	v_sub_u32_e32 v6, v6, v10
	v_add_u32_e32 v10, v9, v11
	v_mul_lo_u32 v11, v6, s4
	v_mul_lo_u32 v12, v6, s5
	v_lshrrev_b32_e32 v6, s17, v10
	v_mul_lo_u32 v10, v6, s15
	v_mul_hi_u32 v14, s19, v6
	v_sub_u32_e32 v9, v9, v10
	v_add_u32_e32 v10, v6, v14
	v_lshrrev_b32_e32 v10, s20, v10
	v_mul_hi_u32 v16, s22, v10
	v_mul_lo_u32 v18, v10, s18
	v_mul_lo_u32 v14, v9, s6
	;; [unrolled: 1-line block ×3, first 2 shown]
	v_sub_u32_e32 v18, v6, v18
	v_add_u32_e32 v6, v10, v16
	v_lshrrev_b32_e32 v6, s23, v6
	v_mul_lo_u32 v16, v6, s21
	v_mul_lo_u32 v20, v18, s8
	;; [unrolled: 1-line block ×3, first 2 shown]
	v_add3_u32 v5, v11, v5, v14
	v_sub_u32_e32 v10, v10, v16
	v_mul_lo_u32 v16, v10, s10
	v_mul_lo_u32 v10, v10, s11
	v_add3_u32 v9, v12, v13, v9
	v_add3_u32 v5, v20, v5, v16
	;; [unrolled: 1-line block ×3, first 2 shown]
	s_cbranch_scc1 .LBB27_90
; %bb.91:
	s_and_b32 s6, s27, 3
	s_cmp_eq_u32 s6, 0
	s_cbranch_scc0 .LBB27_95
	s_branch .LBB27_97
.LBB27_92:
                                        ; implicit-def: $vgpr5
                                        ; implicit-def: $vgpr13
	s_branch .LBB27_98
.LBB27_93:
	v_mov_b32_e32 v5, 0
	v_mov_b32_e32 v13, 0
	s_branch .LBB27_97
.LBB27_94:
	v_mov_b32_e32 v5, 0
	v_mov_b32_e32 v13, 0
	;; [unrolled: 1-line block ×3, first 2 shown]
	s_and_b32 s6, s27, 3
	s_cmp_eq_u32 s6, 0
	s_cbranch_scc1 .LBB27_97
.LBB27_95:
	s_lshl_b32 s2, s26, 3
	s_add_u32 s2, s34, s2
	s_addc_u32 s3, s35, 0
	s_add_u32 s2, s2, 0xc4
	s_addc_u32 s3, s3, 0
	s_mul_i32 s4, s26, 12
	s_add_u32 s4, s34, s4
	s_addc_u32 s5, s35, 0
.LBB27_96:                              ; =>This Inner Loop Header: Depth=1
	s_load_dwordx2 s[8:9], s[4:5], 0x4
	s_load_dword s7, s[4:5], 0xc
	s_load_dwordx2 s[10:11], s[2:3], 0x0
	s_add_u32 s4, s4, 12
	s_addc_u32 s5, s5, 0
	s_waitcnt lgkmcnt(0)
	v_mul_hi_u32 v9, s9, v6
	s_add_u32 s2, s2, 8
	s_addc_u32 s3, s3, 0
	s_add_i32 s6, s6, -1
	v_add_u32_e32 v9, v6, v9
	v_lshrrev_b32_e32 v9, s7, v9
	v_mul_lo_u32 v10, v9, s8
	s_cmp_lg_u32 s6, 0
	v_sub_u32_e32 v10, v6, v10
	v_mad_u64_u32 v[5:6], s[8:9], v10, s10, v[5:6]
	v_mad_u64_u32 v[13:14], s[8:9], v10, s11, v[13:14]
	v_mov_b32_e32 v6, v9
	s_cbranch_scc1 .LBB27_96
.LBB27_97:
	s_cbranch_execnz .LBB27_100
.LBB27_98:
	s_load_dwordx4 s[4:7], s[34:35], 0x4
	s_load_dwordx2 s[2:3], s[34:35], 0xc4
	s_cmp_lt_u32 s33, 2
	s_waitcnt lgkmcnt(0)
	v_mul_hi_u32 v5, s5, v8
	v_add_u32_e32 v5, v8, v5
	v_lshrrev_b32_e32 v6, s6, v5
	v_mul_lo_u32 v5, v6, s4
	v_sub_u32_e32 v8, v8, v5
	v_mul_lo_u32 v5, v8, s2
	v_mul_lo_u32 v13, v8, s3
	s_cbranch_scc1 .LBB27_100
; %bb.99:
	s_load_dwordx4 s[4:7], s[34:35], 0x10
	s_load_dwordx2 s[2:3], s[34:35], 0xcc
	s_waitcnt lgkmcnt(0)
	v_mul_hi_u32 v8, s5, v6
	v_add_u32_e32 v8, v6, v8
	v_lshrrev_b32_e32 v8, s6, v8
	v_mul_lo_u32 v8, v8, s4
	v_sub_u32_e32 v8, v6, v8
	v_mad_u64_u32 v[5:6], s[4:5], v8, s2, v[5:6]
	v_mad_u64_u32 v[13:14], s[2:3], v8, s3, v[13:14]
.LBB27_100:
	s_and_b64 vcc, exec, s[0:1]
	v_add_u32_e32 v8, 0x300, v7
	s_cbranch_vccnz .LBB27_106
; %bb.101:
	s_cmp_lg_u32 s33, 0
	s_waitcnt lgkmcnt(0)
	s_mov_b32 s26, 0
	s_cbranch_scc0 .LBB27_107
; %bb.102:
	s_min_u32 s27, s54, 15
	s_add_i32 s27, s27, 1
	s_cmp_eq_u32 s54, 2
	s_cbranch_scc1 .LBB27_108
; %bb.103:
	s_and_b32 s26, s27, 28
	s_add_u32 s2, s34, 0xc4
	s_addc_u32 s3, s35, 0
	v_mov_b32_e32 v11, 0
	s_mov_b32 s28, 0
	s_mov_b64 s[24:25], s[34:35]
	v_mov_b32_e32 v6, 0
	v_mov_b32_e32 v7, v8
.LBB27_104:                             ; =>This Inner Loop Header: Depth=1
	s_load_dwordx8 s[12:19], s[24:25], 0x4
	s_load_dwordx4 s[20:23], s[24:25], 0x24
	s_load_dwordx8 s[4:11], s[2:3], 0x0
	s_add_u32 s24, s24, 48
	s_addc_u32 s25, s25, 0
	s_waitcnt lgkmcnt(0)
	v_mul_hi_u32 v9, s13, v7
	s_add_i32 s28, s28, 4
	s_add_u32 s2, s2, 32
	s_addc_u32 s3, s3, 0
	v_add_u32_e32 v9, v7, v9
	v_lshrrev_b32_e32 v9, s14, v9
	v_mul_lo_u32 v10, v9, s12
	v_mul_hi_u32 v12, s16, v9
	s_cmp_lg_u32 s26, s28
	v_sub_u32_e32 v7, v7, v10
	v_add_u32_e32 v10, v9, v12
	v_mul_lo_u32 v12, v7, s4
	v_mul_lo_u32 v14, v7, s5
	v_lshrrev_b32_e32 v7, s17, v10
	v_mul_lo_u32 v10, v7, s15
	v_mul_hi_u32 v16, s19, v7
	v_sub_u32_e32 v9, v9, v10
	v_add_u32_e32 v10, v7, v16
	v_lshrrev_b32_e32 v10, s20, v10
	v_mul_hi_u32 v18, s22, v10
	v_mul_lo_u32 v20, v10, s18
	v_mul_lo_u32 v16, v9, s6
	;; [unrolled: 1-line block ×3, first 2 shown]
	v_sub_u32_e32 v20, v7, v20
	v_add_u32_e32 v7, v10, v18
	v_lshrrev_b32_e32 v7, s23, v7
	v_mul_lo_u32 v18, v7, s21
	v_mul_lo_u32 v22, v20, s8
	;; [unrolled: 1-line block ×3, first 2 shown]
	v_add3_u32 v6, v12, v6, v16
	v_sub_u32_e32 v10, v10, v18
	v_mul_lo_u32 v18, v10, s10
	v_mul_lo_u32 v10, v10, s11
	v_add3_u32 v9, v14, v11, v9
	v_add3_u32 v6, v22, v6, v18
	;; [unrolled: 1-line block ×3, first 2 shown]
	s_cbranch_scc1 .LBB27_104
; %bb.105:
	s_and_b32 s6, s27, 3
	s_cmp_eq_u32 s6, 0
	s_cbranch_scc0 .LBB27_109
	s_branch .LBB27_111
.LBB27_106:
                                        ; implicit-def: $vgpr6
                                        ; implicit-def: $vgpr11
	s_branch .LBB27_112
.LBB27_107:
	v_mov_b32_e32 v6, 0
	v_mov_b32_e32 v11, 0
	s_branch .LBB27_111
.LBB27_108:
	v_mov_b32_e32 v6, 0
	v_mov_b32_e32 v11, 0
	;; [unrolled: 1-line block ×3, first 2 shown]
	s_and_b32 s6, s27, 3
	s_cmp_eq_u32 s6, 0
	s_cbranch_scc1 .LBB27_111
.LBB27_109:
	s_lshl_b32 s2, s26, 3
	s_add_u32 s2, s34, s2
	s_addc_u32 s3, s35, 0
	s_add_u32 s2, s2, 0xc4
	s_addc_u32 s3, s3, 0
	s_mul_i32 s4, s26, 12
	s_add_u32 s4, s34, s4
	s_addc_u32 s5, s35, 0
.LBB27_110:                             ; =>This Inner Loop Header: Depth=1
	s_load_dwordx2 s[8:9], s[4:5], 0x4
	s_load_dword s7, s[4:5], 0xc
	s_load_dwordx2 s[10:11], s[2:3], 0x0
	s_add_u32 s4, s4, 12
	s_addc_u32 s5, s5, 0
	s_waitcnt lgkmcnt(0)
	v_mul_hi_u32 v9, s9, v7
	s_add_u32 s2, s2, 8
	s_addc_u32 s3, s3, 0
	s_add_i32 s6, s6, -1
	v_add_u32_e32 v9, v7, v9
	v_lshrrev_b32_e32 v9, s7, v9
	v_mul_lo_u32 v10, v9, s8
	s_cmp_lg_u32 s6, 0
	v_sub_u32_e32 v10, v7, v10
	v_mad_u64_u32 v[6:7], s[8:9], v10, s10, v[6:7]
	v_mad_u64_u32 v[11:12], s[8:9], v10, s11, v[11:12]
	v_mov_b32_e32 v7, v9
	s_cbranch_scc1 .LBB27_110
.LBB27_111:
	s_cbranch_execnz .LBB27_114
.LBB27_112:
	s_load_dwordx4 s[4:7], s[34:35], 0x4
	s_load_dwordx2 s[2:3], s[34:35], 0xc4
	s_cmp_lt_u32 s33, 2
	s_waitcnt lgkmcnt(0)
	v_mul_hi_u32 v6, s5, v8
	v_add_u32_e32 v6, v8, v6
	v_lshrrev_b32_e32 v7, s6, v6
	v_mul_lo_u32 v6, v7, s4
	v_sub_u32_e32 v8, v8, v6
	v_mul_lo_u32 v6, v8, s2
	v_mul_lo_u32 v11, v8, s3
	s_cbranch_scc1 .LBB27_114
; %bb.113:
	s_load_dwordx4 s[4:7], s[34:35], 0x10
	s_load_dwordx2 s[2:3], s[34:35], 0xcc
	s_waitcnt lgkmcnt(0)
	v_mul_hi_u32 v8, s5, v7
	v_add_u32_e32 v8, v7, v8
	v_lshrrev_b32_e32 v8, s6, v8
	v_mul_lo_u32 v8, v8, s4
	v_sub_u32_e32 v8, v7, v8
	v_mad_u64_u32 v[6:7], s[4:5], v8, s2, v[6:7]
	v_mad_u64_u32 v[11:12], s[2:3], v8, s3, v[11:12]
.LBB27_114:
	s_and_b64 vcc, exec, s[0:1]
	s_cbranch_vccnz .LBB27_120
; %bb.115:
	s_cmp_lg_u32 s33, 0
	s_waitcnt lgkmcnt(0)
	s_mov_b32 s24, 0
	s_cbranch_scc0 .LBB27_121
; %bb.116:
	s_min_u32 s25, s54, 15
	s_add_i32 s25, s25, 1
	s_cmp_eq_u32 s54, 2
	s_cbranch_scc1 .LBB27_122
; %bb.117:
	s_and_b32 s24, s25, 28
	s_add_u32 s20, s34, 0xc4
	s_addc_u32 s21, s35, 0
	v_mov_b32_e32 v9, 0
	s_mov_b32 s26, 0
	s_mov_b64 s[22:23], s[34:35]
	v_mov_b32_e32 v7, 0
	v_mov_b32_e32 v8, v25
.LBB27_118:                             ; =>This Inner Loop Header: Depth=1
	s_load_dwordx8 s[8:15], s[22:23], 0x4
	s_load_dwordx4 s[16:19], s[22:23], 0x24
	s_load_dwordx8 s[0:7], s[20:21], 0x0
	s_add_u32 s22, s22, 48
	s_addc_u32 s23, s23, 0
	s_waitcnt lgkmcnt(0)
	v_mul_hi_u32 v10, s9, v8
	s_add_i32 s26, s26, 4
	s_add_u32 s20, s20, 32
	s_addc_u32 s21, s21, 0
	v_add_u32_e32 v10, v8, v10
	v_lshrrev_b32_e32 v10, s10, v10
	v_mul_lo_u32 v12, v10, s8
	v_mul_hi_u32 v14, s12, v10
	s_cmp_lg_u32 s24, s26
	v_sub_u32_e32 v8, v8, v12
	v_add_u32_e32 v12, v10, v14
	v_mul_lo_u32 v14, v8, s0
	v_mul_lo_u32 v16, v8, s1
	v_lshrrev_b32_e32 v8, s13, v12
	v_mul_lo_u32 v12, v8, s11
	v_mul_hi_u32 v18, s15, v8
	v_sub_u32_e32 v10, v10, v12
	v_add_u32_e32 v12, v8, v18
	v_lshrrev_b32_e32 v12, s16, v12
	v_mul_hi_u32 v20, s18, v12
	v_mul_lo_u32 v22, v12, s14
	v_mul_lo_u32 v18, v10, s2
	;; [unrolled: 1-line block ×3, first 2 shown]
	v_sub_u32_e32 v22, v8, v22
	v_add_u32_e32 v8, v12, v20
	v_lshrrev_b32_e32 v8, s19, v8
	v_mul_lo_u32 v20, v8, s17
	v_mul_lo_u32 v24, v22, s4
	;; [unrolled: 1-line block ×3, first 2 shown]
	v_add3_u32 v7, v14, v7, v18
	v_sub_u32_e32 v12, v12, v20
	v_mul_lo_u32 v20, v12, s6
	v_mul_lo_u32 v12, v12, s7
	v_add3_u32 v9, v16, v9, v10
	v_add3_u32 v7, v24, v7, v20
	;; [unrolled: 1-line block ×3, first 2 shown]
	s_cbranch_scc1 .LBB27_118
; %bb.119:
	s_and_b32 s4, s25, 3
	s_cmp_eq_u32 s4, 0
	s_cbranch_scc0 .LBB27_123
	s_branch .LBB27_125
.LBB27_120:
                                        ; implicit-def: $vgpr7
                                        ; implicit-def: $vgpr9
	s_branch .LBB27_126
.LBB27_121:
	v_mov_b32_e32 v7, 0
	v_mov_b32_e32 v9, 0
	s_branch .LBB27_125
.LBB27_122:
	v_mov_b32_e32 v7, 0
	v_mov_b32_e32 v9, 0
	;; [unrolled: 1-line block ×3, first 2 shown]
	s_and_b32 s4, s25, 3
	s_cmp_eq_u32 s4, 0
	s_cbranch_scc1 .LBB27_125
.LBB27_123:
	s_lshl_b32 s0, s24, 3
	s_add_u32 s0, s34, s0
	s_addc_u32 s1, s35, 0
	s_add_u32 s0, s0, 0xc4
	s_addc_u32 s1, s1, 0
	s_mul_i32 s2, s24, 12
	s_add_u32 s2, s34, s2
	s_addc_u32 s3, s35, 0
.LBB27_124:                             ; =>This Inner Loop Header: Depth=1
	s_load_dwordx2 s[6:7], s[2:3], 0x4
	s_load_dword s5, s[2:3], 0xc
	s_load_dwordx2 s[8:9], s[0:1], 0x0
	s_add_u32 s2, s2, 12
	s_addc_u32 s3, s3, 0
	s_waitcnt lgkmcnt(0)
	v_mul_hi_u32 v10, s7, v8
	s_add_u32 s0, s0, 8
	s_addc_u32 s1, s1, 0
	s_add_i32 s4, s4, -1
	v_add_u32_e32 v10, v8, v10
	v_lshrrev_b32_e32 v12, s5, v10
	v_mul_lo_u32 v10, v12, s6
	s_cmp_lg_u32 s4, 0
	v_sub_u32_e32 v10, v8, v10
	v_mad_u64_u32 v[7:8], s[6:7], v10, s8, v[7:8]
	v_mad_u64_u32 v[9:10], s[6:7], v10, s9, v[9:10]
	v_mov_b32_e32 v8, v12
	s_cbranch_scc1 .LBB27_124
.LBB27_125:
	s_cbranch_execnz .LBB27_128
.LBB27_126:
	s_load_dwordx4 s[0:3], s[34:35], 0x4
	s_load_dwordx2 s[4:5], s[34:35], 0xc4
	s_cmp_lt_u32 s33, 2
	s_waitcnt lgkmcnt(0)
	v_mul_hi_u32 v7, s1, v25
	v_add_u32_e32 v7, v25, v7
	v_lshrrev_b32_e32 v8, s2, v7
	v_mul_lo_u32 v7, v8, s0
	v_sub_u32_e32 v9, v25, v7
	v_mul_lo_u32 v7, v9, s4
	v_mul_lo_u32 v9, v9, s5
	s_cbranch_scc1 .LBB27_128
; %bb.127:
	s_load_dwordx4 s[0:3], s[34:35], 0x10
	s_load_dwordx2 s[4:5], s[34:35], 0xcc
	s_waitcnt lgkmcnt(0)
	v_mul_hi_u32 v10, s1, v8
	v_add_u32_e32 v10, v8, v10
	v_lshrrev_b32_e32 v10, s2, v10
	v_mul_lo_u32 v10, v10, s0
	v_sub_u32_e32 v10, v8, v10
	v_mad_u64_u32 v[7:8], s[0:1], v10, s4, v[7:8]
	v_mad_u64_u32 v[9:10], s[0:1], v10, s5, v[9:10]
.LBB27_128:
	s_load_dwordx4 s[4:7], s[34:35], 0x148
                                        ; implicit-def: $vgpr26
	s_waitcnt lgkmcnt(0)
	global_load_ushort v12, v23, s[6:7]
	s_waitcnt vmcnt(0)
	v_cvt_f32_f16_e32 v8, v12
	v_cmp_neq_f16_e32 vcc, 0, v12
	s_and_saveexec_b64 s[0:1], vcc
	s_xor_b64 s[2:3], exec, s[0:1]
	s_cbranch_execz .LBB27_150
; %bb.129:
	v_cmp_gt_f16_e32 vcc, 0, v12
	s_mov_b64 s[0:1], -1
	v_mov_b32_e32 v10, 0
	s_and_saveexec_b64 s[8:9], vcc
	s_cbranch_execz .LBB27_137
; %bb.130:
	v_trunc_f32_e32 v10, v8
	v_cmp_neq_f32_e32 vcc, v10, v8
	s_mov_b64 s[12:13], 0
	v_mov_b32_e32 v10, 0
	s_and_saveexec_b64 s[10:11], vcc
	s_cbranch_execz .LBB27_136
; %bb.131:
	v_cvt_f32_f16_e32 v10, v12
	s_mov_b32 s0, 0
	s_mov_b32 s13, 0xc00921fb
	;; [unrolled: 1-line block ×3, first 2 shown]
	v_cvt_f64_f32_e32 v[22:23], v10
	s_mov_b32 s1, 0x7ff00000
	v_bfrev_b32_e32 v10, 1
	s_mov_b32 s14, 0
	v_trunc_f64_e32 v[24:25], v[22:23]
	v_cmp_neq_f64_e64 vcc, |v[22:23]|, s[0:1]
	s_mov_b32 s15, 0x41d00000
                                        ; implicit-def: $vgpr26_vgpr27
	v_add_f64 v[24:25], v[22:23], -v[24:25]
	v_mul_f64 v[24:25], |v[24:25]|, s[12:13]
	v_cndmask_b32_e32 v23, v10, v25, vcc
	v_cndmask_b32_e32 v22, 0, v24, vcc
	v_cmp_nlt_f64_e64 s[14:15], |v[22:23]|, s[14:15]
                                        ; implicit-def: $vgpr10
                                        ; implicit-def: $vgpr24_vgpr25
	s_and_saveexec_b64 s[16:17], s[14:15]
	s_xor_b64 s[14:15], exec, s[16:17]
	s_cbranch_execz .LBB27_133
; %bb.132:
	v_trig_preop_f64 v[24:25], |v[22:23]|, 0
	s_mov_b32 s16, 0
	s_mov_b32 s17, 0x7b000000
	s_movk_i32 s13, 0xff80
	v_ldexp_f64 v[28:29], |v[22:23]|, s13
	v_cmp_ge_f64_e64 vcc, |v[22:23]|, s[16:17]
	v_trig_preop_f64 v[26:27], |v[22:23]|, 1
	v_and_b32_e32 v10, 0x7fffffff, v23
	v_trig_preop_f64 v[36:37], |v[22:23]|, 2
	v_mov_b32_e32 v46, 0
	v_mov_b32_e32 v12, 0x3ff00000
	s_mov_b32 s13, 0x3ff921fb
	v_cndmask_b32_e32 v29, v10, v29, vcc
	v_cndmask_b32_e32 v28, v22, v28, vcc
	v_mov_b32_e32 v10, 0x40100000
	v_mul_f64 v[30:31], v[24:25], v[28:29]
	v_mul_f64 v[32:33], v[26:27], v[28:29]
	;; [unrolled: 1-line block ×3, first 2 shown]
	v_fma_f64 v[24:25], v[24:25], v[28:29], -v[30:31]
	v_fma_f64 v[26:27], v[26:27], v[28:29], -v[32:33]
	;; [unrolled: 1-line block ×3, first 2 shown]
	v_add_f64 v[34:35], v[32:33], v[24:25]
	v_add_f64 v[38:39], v[34:35], -v[32:33]
	v_add_f64 v[44:45], v[30:31], v[34:35]
	v_add_f64 v[40:41], v[34:35], -v[38:39]
	v_add_f64 v[24:25], v[24:25], -v[38:39]
	v_add_f64 v[38:39], v[42:43], v[26:27]
	v_add_f64 v[30:31], v[44:45], -v[30:31]
	v_add_f64 v[32:33], v[32:33], -v[40:41]
	v_ldexp_f64 v[40:41], v[44:45], -2
	v_add_f64 v[48:49], v[38:39], -v[42:43]
	v_add_f64 v[30:31], v[34:35], -v[30:31]
	v_add_f64 v[24:25], v[24:25], v[32:33]
	v_fract_f64_e32 v[32:33], v[40:41]
	v_cmp_neq_f64_e64 vcc, |v[40:41]|, s[0:1]
	v_add_f64 v[26:27], v[26:27], -v[48:49]
	v_add_f64 v[34:35], v[38:39], v[24:25]
	v_ldexp_f64 v[32:33], v[32:33], 2
	v_add_f64 v[40:41], v[30:31], v[34:35]
	v_cndmask_b32_e32 v33, 0, v33, vcc
	v_cndmask_b32_e32 v32, 0, v32, vcc
	v_add_f64 v[50:51], v[34:35], -v[38:39]
	v_add_f64 v[44:45], v[40:41], v[32:33]
	v_add_f64 v[30:31], v[40:41], -v[30:31]
	v_add_f64 v[52:53], v[34:35], -v[50:51]
	;; [unrolled: 1-line block ×3, first 2 shown]
	v_cmp_gt_f64_e32 vcc, 0, v[44:45]
	v_add_f64 v[44:45], v[38:39], -v[48:49]
	v_add_f64 v[30:31], v[34:35], -v[30:31]
	;; [unrolled: 1-line block ×3, first 2 shown]
	v_cndmask_b32_e32 v47, 0, v10, vcc
	v_add_f64 v[32:33], v[32:33], v[46:47]
	v_add_f64 v[44:45], v[42:43], -v[44:45]
	v_add_f64 v[24:25], v[24:25], v[38:39]
	v_add_f64 v[54:55], v[40:41], v[32:33]
	v_add_f64 v[26:27], v[26:27], v[44:45]
	v_cvt_i32_f64_e32 v10, v[54:55]
	v_add_f64 v[24:25], v[26:27], v[24:25]
	v_cvt_f64_i32_e32 v[47:48], v10
	v_add_f64 v[32:33], v[32:33], -v[47:48]
	v_add_f64 v[24:25], v[28:29], v[24:25]
	v_add_f64 v[26:27], v[40:41], v[32:33]
	v_add_f64 v[24:25], v[30:31], v[24:25]
	v_add_f64 v[28:29], v[26:27], -v[32:33]
	v_cmp_le_f64_e32 vcc, 0.5, v[26:27]
	v_add_f64 v[28:29], v[40:41], -v[28:29]
	v_cndmask_b32_e32 v47, 0, v12, vcc
	v_add_f64 v[26:27], v[26:27], -v[46:47]
	v_addc_co_u32_e64 v10, s[0:1], 0, v10, vcc
	s_mov_b32 s0, 0x33145c07
	s_mov_b32 s1, 0x3c91a626
	v_add_f64 v[24:25], v[24:25], v[28:29]
	v_add_f64 v[28:29], v[26:27], v[24:25]
	v_mul_f64 v[30:31], v[28:29], s[12:13]
	v_add_f64 v[26:27], v[28:29], -v[26:27]
	v_fma_f64 v[32:33], v[28:29], s[12:13], -v[30:31]
	v_add_f64 v[24:25], v[24:25], -v[26:27]
	v_fma_f64 v[26:27], v[28:29], s[0:1], v[32:33]
	v_fma_f64 v[26:27], v[24:25], s[12:13], v[26:27]
	v_add_f64 v[24:25], v[30:31], v[26:27]
	v_add_f64 v[28:29], v[24:25], -v[30:31]
	v_add_f64 v[26:27], v[26:27], -v[28:29]
.LBB27_133:
	s_andn2_saveexec_b64 s[0:1], s[14:15]
	s_cbranch_execz .LBB27_135
; %bb.134:
	s_mov_b32 s12, 0x6dc9c883
	s_mov_b32 s13, 0x3fe45f30
	v_mul_f64 v[24:25], |v[22:23]|, s[12:13]
	s_mov_b32 s12, 0x54442d18
	s_mov_b32 s13, 0xbff921fb
	;; [unrolled: 1-line block ×4, first 2 shown]
	v_rndne_f64_e32 v[28:29], v[24:25]
	v_fma_f64 v[24:25], v[28:29], s[12:13], |v[22:23]|
	v_mul_f64 v[26:27], v[28:29], s[14:15]
	s_mov_b32 s12, 0x252049c0
	s_mov_b32 s13, 0xb97b839a
	v_cvt_i32_f64_e32 v10, v[28:29]
	v_fma_f64 v[34:35], v[28:29], s[14:15], v[24:25]
	v_add_f64 v[30:31], v[24:25], v[26:27]
	s_mov_b32 s15, 0x3c91a626
	v_add_f64 v[32:33], v[24:25], -v[30:31]
	v_add_f64 v[30:31], v[30:31], -v[34:35]
	v_add_f64 v[24:25], v[32:33], v[26:27]
	v_fma_f64 v[26:27], v[28:29], s[14:15], v[26:27]
	v_add_f64 v[24:25], v[30:31], v[24:25]
	v_add_f64 v[24:25], v[24:25], -v[26:27]
	v_fma_f64 v[26:27], v[28:29], s[12:13], v[24:25]
	v_add_f64 v[24:25], v[34:35], v[26:27]
	v_add_f64 v[30:31], v[24:25], -v[34:35]
	v_add_f64 v[26:27], v[26:27], -v[30:31]
.LBB27_135:
	s_or_b64 exec, exec, s[0:1]
	v_mul_f64 v[28:29], v[24:25], v[24:25]
	v_add_f64 v[30:31], v[26:27], v[26:27]
	s_mov_b32 s0, 0xc751c08c
	s_mov_b32 s1, 0x3ef5e089
	v_and_b32_e32 v10, 1, v10
	v_cmp_eq_u32_e32 vcc, 0, v10
	v_and_b32_e32 v12, 0x80000000, v23
	v_mov_b32_e32 v14, 0x7ff80000
	v_fma_f64 v[32:33], v[24:25], v[24:25], -v[28:29]
	s_mov_b32 s14, 0x54442d18
	s_mov_b32 s15, 0xc00921fb
	s_mov_b64 s[12:13], exec
	v_sub_f32_e32 v8, 1.0, v8
	v_fma_f64 v[30:31], v[24:25], v[30:31], v[32:33]
	v_add_f64 v[28:29], v[28:29], v[30:31]
	v_mov_b32_e32 v30, 0xa9a29f71
	v_mov_b32_e32 v31, 0xbf078809
	v_fma_f64 v[30:31], v[28:29], s[0:1], v[30:31]
	s_mov_b32 s0, 0x90a8aae0
	s_mov_b32 s1, 0x3f17746f
	v_fma_f64 v[30:31], v[28:29], v[30:31], s[0:1]
	s_mov_b32 s0, 0xa6fbf144
	s_mov_b32 s1, 0xbefbb44d
	;; [unrolled: 3-line block ×12, first 2 shown]
	v_fma_f64 v[30:31], v[28:29], v[30:31], s[0:1]
	s_movk_i32 s0, 0x1f8
	v_cmp_class_f64_e64 s[0:1], v[22:23], s0
	v_mul_f64 v[28:29], v[28:29], v[30:31]
	v_mul_f64 v[30:31], v[24:25], v[28:29]
	v_add_f64 v[32:33], v[24:25], v[30:31]
	v_fma_f64 v[28:29], v[24:25], v[28:29], -v[30:31]
	v_add_f64 v[24:25], v[32:33], -v[24:25]
	v_add_f64 v[26:27], v[26:27], v[28:29]
	v_add_f64 v[24:25], v[30:31], -v[24:25]
	v_add_f64 v[24:25], v[26:27], v[24:25]
	v_add_f64 v[26:27], v[32:33], v[24:25]
	v_rcp_f64_e32 v[28:29], v[26:27]
	v_fma_f64 v[30:31], -v[26:27], v[28:29], 1.0
	v_fma_f64 v[28:29], v[30:31], v[28:29], v[28:29]
	v_fma_f64 v[30:31], -v[26:27], v[28:29], 1.0
	v_fma_f64 v[28:29], v[30:31], v[28:29], v[28:29]
	v_add_f64 v[30:31], v[26:27], -v[32:33]
	v_mul_f64 v[32:33], v[26:27], v[28:29]
	v_add_f64 v[24:25], v[24:25], -v[30:31]
	v_fma_f64 v[30:31], v[28:29], v[26:27], -v[32:33]
	v_fma_f64 v[24:25], v[28:29], v[24:25], v[30:31]
	v_add_f64 v[30:31], v[32:33], v[24:25]
	v_add_f64 v[34:35], -v[30:31], 1.0
	v_add_f64 v[32:33], v[30:31], -v[32:33]
	v_add_f64 v[36:37], -v[34:35], 1.0
	v_add_f64 v[24:25], v[32:33], -v[24:25]
	v_add_f64 v[30:31], v[36:37], -v[30:31]
	v_add_f64 v[24:25], v[24:25], v[30:31]
	v_add_f64 v[24:25], v[34:35], v[24:25]
	v_mul_f64 v[24:25], v[28:29], v[24:25]
	v_add_f64 v[24:25], v[28:29], v[24:25]
	v_xor_b32_e32 v16, 0x80000000, v25
	v_cndmask_b32_e32 v10, v24, v26, vcc
	v_cndmask_b32_e32 v16, v16, v27, vcc
	v_cndmask_b32_e64 v22, 0, v10, s[0:1]
	v_xor_b32_e32 v10, v16, v12
	v_cndmask_b32_e64 v23, v14, v10, s[0:1]
	v_div_scale_f64 v[24:25], s[0:1], v[22:23], v[22:23], s[14:15]
	v_div_scale_f64 v[30:31], vcc, s[14:15], v[22:23], s[14:15]
	v_rcp_f64_e32 v[26:27], v[24:25]
	v_fma_f64 v[28:29], -v[24:25], v[26:27], 1.0
	v_fma_f64 v[26:27], v[26:27], v[28:29], v[26:27]
	v_fma_f64 v[28:29], -v[24:25], v[26:27], 1.0
	v_fma_f64 v[26:27], v[26:27], v[28:29], v[26:27]
	v_mul_f64 v[28:29], v[30:31], v[26:27]
	v_fma_f64 v[24:25], -v[24:25], v[28:29], v[30:31]
	v_div_fmas_f64 v[24:25], v[24:25], v[26:27], v[28:29]
	v_div_fixup_f64 v[22:23], v[24:25], v[22:23], s[14:15]
	v_cvt_f32_f64_e32 v10, v[22:23]
.LBB27_136:
	s_or_b64 exec, exec, s[10:11]
	s_orn2_b64 s[0:1], s[12:13], exec
.LBB27_137:
	s_or_b64 exec, exec, s[8:9]
	v_mov_b32_e32 v26, 0x7e00
	s_and_saveexec_b64 s[8:9], s[0:1]
	s_cbranch_execz .LBB27_149
; %bb.138:
	s_mov_b32 s12, 0x41200000
	v_cmp_gt_f32_e32 vcc, s12, v8
	s_and_saveexec_b64 s[0:1], vcc
	s_cbranch_execz .LBB27_142
; %bb.139:
	s_mov_b64 s[10:11], 0
.LBB27_140:                             ; =>This Inner Loop Header: Depth=1
	v_div_scale_f32 v12, s[14:15], v8, v8, 1.0
	v_div_scale_f32 v14, vcc, 1.0, v8, 1.0
	v_rcp_f32_e32 v16, v12
	v_fma_f32 v18, -v12, v16, 1.0
	v_fmac_f32_e32 v16, v18, v16
	v_mul_f32_e32 v18, v14, v16
	v_fma_f32 v20, -v12, v18, v14
	v_fmac_f32_e32 v18, v20, v16
	v_fma_f32 v12, -v12, v18, v14
	v_div_fmas_f32 v12, v12, v16, v18
	v_div_fixup_f32 v12, v12, v8, 1.0
	v_add_f32_e32 v8, 1.0, v8
	v_cmp_ngt_f32_e32 vcc, s12, v8
	s_or_b64 s[10:11], vcc, s[10:11]
	v_sub_f32_e32 v10, v10, v12
	s_andn2_b64 exec, exec, s[10:11]
	s_cbranch_execnz .LBB27_140
; %bb.141:
	s_or_b64 exec, exec, s[10:11]
.LBB27_142:
	s_or_b64 exec, exec, s[0:1]
	s_mov_b32 s0, 0x41200000
	v_cmp_neq_f32_e32 vcc, s0, v8
                                        ; implicit-def: $vgpr26
	s_and_saveexec_b64 s[0:1], vcc
	s_xor_b64 s[10:11], exec, s[0:1]
	s_cbranch_execz .LBB27_146
; %bb.143:
	v_cvt_f64_f32_e32 v[22:23], v8
	s_mov_b32 s0, 0x85d8a000
	s_mov_b32 s1, 0x43763457
	v_mov_b32_e32 v12, 0
	v_cmp_gt_f64_e32 vcc, s[0:1], v[22:23]
	s_and_saveexec_b64 s[0:1], vcc
	s_cbranch_execz .LBB27_145
; %bb.144:
	v_mul_f32_e32 v12, v8, v8
	v_div_scale_f32 v14, s[12:13], v12, v12, 1.0
	v_div_scale_f32 v16, vcc, 1.0, v12, 1.0
	v_mov_b32_e32 v23, 0x3b820821
	v_rcp_f32_e32 v18, v14
	v_fma_f32 v20, -v14, v18, 1.0
	v_fmac_f32_e32 v18, v20, v18
	v_mul_f32_e32 v20, v16, v18
	v_fma_f32 v22, -v14, v20, v16
	v_fmac_f32_e32 v20, v22, v18
	v_fma_f32 v14, -v14, v20, v16
	v_div_fmas_f32 v14, v14, v18, v20
	v_mov_b32_e32 v16, 0x3daaaaab
	v_mov_b32_e32 v18, 0xbcaccacd
	;; [unrolled: 1-line block ×4, first 2 shown]
	v_div_fixup_f32 v12, v14, v12, 1.0
	v_fma_f32 v14, 0, v12, v16
	v_fmac_f32_e32 v18, v12, v14
	v_fmac_f32_e32 v20, v12, v18
	;; [unrolled: 1-line block ×4, first 2 shown]
	v_mov_b32_e32 v14, 0xbc088889
	v_fmac_f32_e32 v14, v12, v23
	v_fmac_f32_e32 v16, v12, v14
	v_mul_f32_e32 v12, v12, v16
.LBB27_145:
	s_or_b64 exec, exec, s[0:1]
	v_div_scale_f32 v14, s[0:1], v8, v8, -0.5
	v_div_scale_f32 v16, vcc, -0.5, v8, -0.5
	s_mov_b32 s0, 0x800000
	v_cmp_gt_f32_e64 s[0:1], s0, v8
	v_cndmask_b32_e64 v20, 0, 32, s[0:1]
	s_mov_b32 s12, 0x3f317217
	v_rcp_f32_e32 v18, v14
	v_fma_f32 v22, -v14, v18, 1.0
	v_fmac_f32_e32 v18, v22, v18
	v_mul_f32_e32 v22, v16, v18
	v_fma_f32 v23, -v14, v22, v16
	v_fmac_f32_e32 v22, v23, v18
	v_fma_f32 v14, -v14, v22, v16
	v_div_fmas_f32 v14, v14, v18, v22
	v_ldexp_f32 v16, v8, v20
	v_log_f32_e32 v16, v16
	v_mul_f32_e32 v18, 0x3f317217, v16
	v_fma_f32 v18, v16, s12, -v18
	v_fmac_f32_e32 v18, 0x3377d1cf, v16
	s_mov_b32 s12, 0x7f800000
	v_fmac_f32_e32 v18, 0x3f317217, v16
	v_cmp_lt_f32_e64 vcc, |v16|, s12
	v_cndmask_b32_e32 v16, v16, v18, vcc
	v_mov_b32_e32 v18, 0x41b17218
	v_cndmask_b32_e64 v18, 0, v18, s[0:1]
	v_sub_f32_e32 v16, v16, v18
	v_div_fixup_f32 v8, v14, v8, -0.5
	v_add_f32_e32 v8, v16, v8
	v_sub_f32_e32 v8, v8, v12
	v_add_f32_e32 v8, v10, v8
	v_cvt_f16_f32_e32 v26, v8
                                        ; implicit-def: $vgpr10
.LBB27_146:
	s_andn2_saveexec_b64 s[0:1], s[10:11]
; %bb.147:
	v_add_f32_e32 v8, 0x40101cb7, v10
	v_cvt_f16_f32_e32 v26, v8
; %bb.148:
	s_or_b64 exec, exec, s[0:1]
.LBB27_149:
	s_or_b64 exec, exec, s[8:9]
                                        ; implicit-def: $vgpr8
.LBB27_150:
	s_andn2_saveexec_b64 s[0:1], s[2:3]
; %bb.151:
	v_xor_b32_e32 v8, 0x80000000, v8
	v_lshrrev_b32_e32 v8, 16, v8
	s_movk_i32 s2, 0x7fff
	v_mov_b32_e32 v10, 0x7c00
	v_bfi_b32 v26, s2, v10, v8
; %bb.152:
	s_or_b64 exec, exec, s[0:1]
	global_load_ushort v12, v21, s[6:7]
                                        ; implicit-def: $vgpr24
	s_waitcnt vmcnt(0)
	v_cvt_f32_f16_e32 v8, v12
	v_cmp_neq_f16_e32 vcc, 0, v12
	s_and_saveexec_b64 s[0:1], vcc
	s_xor_b64 s[2:3], exec, s[0:1]
	s_cbranch_execz .LBB27_174
; %bb.153:
	v_cmp_gt_f16_e32 vcc, 0, v12
	s_mov_b64 s[0:1], -1
	v_mov_b32_e32 v10, 0
	s_and_saveexec_b64 s[8:9], vcc
	s_cbranch_execz .LBB27_161
; %bb.154:
	v_trunc_f32_e32 v10, v8
	v_cmp_neq_f32_e32 vcc, v10, v8
	s_mov_b64 s[12:13], 0
	v_mov_b32_e32 v10, 0
	s_and_saveexec_b64 s[10:11], vcc
	s_cbranch_execz .LBB27_160
; %bb.155:
	v_cvt_f32_f16_e32 v10, v12
	s_mov_b32 s14, 0
	s_mov_b32 s1, 0xc00921fb
	s_mov_b32 s0, 0x54442d18
	v_cvt_f64_f32_e32 v[20:21], v10
	s_mov_b32 s15, 0x7ff00000
	v_bfrev_b32_e32 v10, 1
	s_mov_b32 s12, 0
	v_trunc_f64_e32 v[22:23], v[20:21]
	v_cmp_neq_f64_e64 vcc, |v[20:21]|, s[14:15]
	s_mov_b32 s13, 0x41d00000
                                        ; implicit-def: $vgpr24_vgpr25
	v_add_f64 v[22:23], v[20:21], -v[22:23]
	v_mul_f64 v[22:23], |v[22:23]|, s[0:1]
	v_cndmask_b32_e32 v21, v10, v23, vcc
	v_cndmask_b32_e32 v20, 0, v22, vcc
	v_cmp_nlt_f64_e64 s[12:13], |v[20:21]|, s[12:13]
                                        ; implicit-def: $vgpr10
                                        ; implicit-def: $vgpr22_vgpr23
	s_and_saveexec_b64 s[16:17], s[12:13]
	s_xor_b64 s[12:13], exec, s[16:17]
	s_cbranch_execz .LBB27_157
; %bb.156:
	v_trig_preop_f64 v[22:23], |v[20:21]|, 0
	s_mov_b32 s16, 0
	s_mov_b32 s17, 0x7b000000
	s_movk_i32 s1, 0xff80
	v_ldexp_f64 v[24:25], |v[20:21]|, s1
	v_cmp_ge_f64_e64 vcc, |v[20:21]|, s[16:17]
	v_trig_preop_f64 v[27:28], |v[20:21]|, 1
	v_and_b32_e32 v10, 0x7fffffff, v21
	v_trig_preop_f64 v[35:36], |v[20:21]|, 2
	v_mov_b32_e32 v45, 0
	v_mov_b32_e32 v12, 0x3ff00000
	s_mov_b32 s1, 0x3ff921fb
	v_cndmask_b32_e32 v25, v10, v25, vcc
	v_cndmask_b32_e32 v24, v20, v24, vcc
	v_mov_b32_e32 v10, 0x40100000
	v_mul_f64 v[29:30], v[22:23], v[24:25]
	v_mul_f64 v[31:32], v[27:28], v[24:25]
	;; [unrolled: 1-line block ×3, first 2 shown]
	v_fma_f64 v[22:23], v[22:23], v[24:25], -v[29:30]
	v_fma_f64 v[27:28], v[27:28], v[24:25], -v[31:32]
	;; [unrolled: 1-line block ×3, first 2 shown]
	v_add_f64 v[33:34], v[31:32], v[22:23]
	v_add_f64 v[37:38], v[33:34], -v[31:32]
	v_add_f64 v[43:44], v[29:30], v[33:34]
	v_add_f64 v[39:40], v[33:34], -v[37:38]
	v_add_f64 v[22:23], v[22:23], -v[37:38]
	v_add_f64 v[37:38], v[41:42], v[27:28]
	v_add_f64 v[29:30], v[43:44], -v[29:30]
	v_add_f64 v[31:32], v[31:32], -v[39:40]
	v_ldexp_f64 v[39:40], v[43:44], -2
	v_add_f64 v[29:30], v[33:34], -v[29:30]
	v_add_f64 v[22:23], v[22:23], v[31:32]
	v_fract_f64_e32 v[31:32], v[39:40]
	v_cmp_neq_f64_e64 vcc, |v[39:40]|, s[14:15]
	s_mov_b32 s14, 0x33145c07
	s_mov_b32 s15, 0x3c91a626
	v_add_f64 v[33:34], v[37:38], v[22:23]
	v_ldexp_f64 v[31:32], v[31:32], 2
	v_add_f64 v[39:40], v[29:30], v[33:34]
	v_cndmask_b32_e32 v32, 0, v32, vcc
	v_cndmask_b32_e32 v31, 0, v31, vcc
	v_add_f64 v[47:48], v[33:34], -v[37:38]
	v_add_f64 v[43:44], v[39:40], v[31:32]
	v_add_f64 v[29:30], v[39:40], -v[29:30]
	v_add_f64 v[51:52], v[33:34], -v[47:48]
	;; [unrolled: 1-line block ×3, first 2 shown]
	v_cmp_gt_f64_e32 vcc, 0, v[43:44]
	v_add_f64 v[43:44], v[37:38], -v[41:42]
	v_add_f64 v[29:30], v[33:34], -v[29:30]
	v_cndmask_b32_e32 v46, 0, v10, vcc
	v_add_f64 v[31:32], v[31:32], v[45:46]
	v_add_f64 v[49:50], v[37:38], -v[43:44]
	v_add_f64 v[27:28], v[27:28], -v[43:44]
	;; [unrolled: 1-line block ×3, first 2 shown]
	v_add_f64 v[53:54], v[39:40], v[31:32]
	v_add_f64 v[43:44], v[41:42], -v[49:50]
	v_add_f64 v[22:23], v[22:23], v[37:38]
	v_cvt_i32_f64_e32 v10, v[53:54]
	v_add_f64 v[27:28], v[27:28], v[43:44]
	v_cvt_f64_i32_e32 v[46:47], v10
	v_add_f64 v[31:32], v[31:32], -v[46:47]
	v_add_f64 v[22:23], v[27:28], v[22:23]
	v_add_f64 v[27:28], v[39:40], v[31:32]
	;; [unrolled: 1-line block ×3, first 2 shown]
	v_add_f64 v[24:25], v[27:28], -v[31:32]
	v_cmp_le_f64_e32 vcc, 0.5, v[27:28]
	v_add_f64 v[22:23], v[29:30], v[22:23]
	v_add_f64 v[24:25], v[39:40], -v[24:25]
	v_cndmask_b32_e32 v46, 0, v12, vcc
	v_addc_co_u32_e32 v10, vcc, 0, v10, vcc
	v_add_f64 v[22:23], v[22:23], v[24:25]
	v_add_f64 v[24:25], v[27:28], -v[45:46]
	v_add_f64 v[27:28], v[24:25], v[22:23]
	v_mul_f64 v[29:30], v[27:28], s[0:1]
	v_add_f64 v[24:25], v[27:28], -v[24:25]
	v_fma_f64 v[31:32], v[27:28], s[0:1], -v[29:30]
	v_add_f64 v[22:23], v[22:23], -v[24:25]
	v_fma_f64 v[24:25], v[27:28], s[14:15], v[31:32]
	v_fma_f64 v[24:25], v[22:23], s[0:1], v[24:25]
	v_add_f64 v[22:23], v[29:30], v[24:25]
	v_add_f64 v[27:28], v[22:23], -v[29:30]
	v_add_f64 v[24:25], v[24:25], -v[27:28]
.LBB27_157:
	s_andn2_saveexec_b64 s[0:1], s[12:13]
	s_cbranch_execz .LBB27_159
; %bb.158:
	s_mov_b32 s12, 0x6dc9c883
	s_mov_b32 s13, 0x3fe45f30
	v_mul_f64 v[22:23], |v[20:21]|, s[12:13]
	s_mov_b32 s12, 0x54442d18
	s_mov_b32 s13, 0xbff921fb
	;; [unrolled: 1-line block ×4, first 2 shown]
	v_rndne_f64_e32 v[27:28], v[22:23]
	v_fma_f64 v[22:23], v[27:28], s[12:13], |v[20:21]|
	v_mul_f64 v[24:25], v[27:28], s[14:15]
	s_mov_b32 s12, 0x252049c0
	s_mov_b32 s13, 0xb97b839a
	v_cvt_i32_f64_e32 v10, v[27:28]
	v_fma_f64 v[33:34], v[27:28], s[14:15], v[22:23]
	v_add_f64 v[29:30], v[22:23], v[24:25]
	s_mov_b32 s15, 0x3c91a626
	v_add_f64 v[31:32], v[22:23], -v[29:30]
	v_add_f64 v[29:30], v[29:30], -v[33:34]
	v_add_f64 v[22:23], v[31:32], v[24:25]
	v_fma_f64 v[24:25], v[27:28], s[14:15], v[24:25]
	v_add_f64 v[22:23], v[29:30], v[22:23]
	v_add_f64 v[22:23], v[22:23], -v[24:25]
	v_fma_f64 v[24:25], v[27:28], s[12:13], v[22:23]
	v_add_f64 v[22:23], v[33:34], v[24:25]
	v_add_f64 v[29:30], v[22:23], -v[33:34]
	v_add_f64 v[24:25], v[24:25], -v[29:30]
.LBB27_159:
	s_or_b64 exec, exec, s[0:1]
	v_mul_f64 v[27:28], v[22:23], v[22:23]
	v_add_f64 v[29:30], v[24:25], v[24:25]
	s_mov_b32 s0, 0xc751c08c
	s_mov_b32 s1, 0x3ef5e089
	v_and_b32_e32 v10, 1, v10
	v_cmp_eq_u32_e32 vcc, 0, v10
	v_and_b32_e32 v12, 0x80000000, v21
	v_mov_b32_e32 v14, 0x7ff80000
	v_fma_f64 v[31:32], v[22:23], v[22:23], -v[27:28]
	s_mov_b32 s14, 0x54442d18
	s_mov_b32 s15, 0xc00921fb
	s_mov_b64 s[12:13], exec
	v_sub_f32_e32 v8, 1.0, v8
	v_fma_f64 v[29:30], v[22:23], v[29:30], v[31:32]
	v_add_f64 v[27:28], v[27:28], v[29:30]
	v_mov_b32_e32 v29, 0xa9a29f71
	v_mov_b32_e32 v30, 0xbf078809
	v_fma_f64 v[29:30], v[27:28], s[0:1], v[29:30]
	s_mov_b32 s0, 0x90a8aae0
	s_mov_b32 s1, 0x3f17746f
	v_fma_f64 v[29:30], v[27:28], v[29:30], s[0:1]
	s_mov_b32 s0, 0xa6fbf144
	s_mov_b32 s1, 0xbefbb44d
	;; [unrolled: 3-line block ×12, first 2 shown]
	v_fma_f64 v[29:30], v[27:28], v[29:30], s[0:1]
	s_movk_i32 s0, 0x1f8
	v_cmp_class_f64_e64 s[0:1], v[20:21], s0
	v_mul_f64 v[27:28], v[27:28], v[29:30]
	v_mul_f64 v[29:30], v[22:23], v[27:28]
	v_add_f64 v[31:32], v[22:23], v[29:30]
	v_fma_f64 v[27:28], v[22:23], v[27:28], -v[29:30]
	v_add_f64 v[22:23], v[31:32], -v[22:23]
	v_add_f64 v[24:25], v[24:25], v[27:28]
	v_add_f64 v[22:23], v[29:30], -v[22:23]
	v_add_f64 v[22:23], v[24:25], v[22:23]
	v_add_f64 v[24:25], v[31:32], v[22:23]
	v_rcp_f64_e32 v[27:28], v[24:25]
	v_fma_f64 v[29:30], -v[24:25], v[27:28], 1.0
	v_fma_f64 v[27:28], v[29:30], v[27:28], v[27:28]
	v_fma_f64 v[29:30], -v[24:25], v[27:28], 1.0
	v_fma_f64 v[27:28], v[29:30], v[27:28], v[27:28]
	v_add_f64 v[29:30], v[24:25], -v[31:32]
	v_mul_f64 v[31:32], v[24:25], v[27:28]
	v_add_f64 v[22:23], v[22:23], -v[29:30]
	v_fma_f64 v[29:30], v[27:28], v[24:25], -v[31:32]
	v_fma_f64 v[22:23], v[27:28], v[22:23], v[29:30]
	v_add_f64 v[29:30], v[31:32], v[22:23]
	v_add_f64 v[33:34], -v[29:30], 1.0
	v_add_f64 v[31:32], v[29:30], -v[31:32]
	v_add_f64 v[35:36], -v[33:34], 1.0
	v_add_f64 v[22:23], v[31:32], -v[22:23]
	v_add_f64 v[29:30], v[35:36], -v[29:30]
	v_add_f64 v[22:23], v[22:23], v[29:30]
	v_add_f64 v[22:23], v[33:34], v[22:23]
	v_mul_f64 v[22:23], v[27:28], v[22:23]
	v_add_f64 v[22:23], v[27:28], v[22:23]
	v_xor_b32_e32 v16, 0x80000000, v23
	v_cndmask_b32_e32 v10, v22, v24, vcc
	v_cndmask_b32_e32 v16, v16, v25, vcc
	v_cndmask_b32_e64 v20, 0, v10, s[0:1]
	v_xor_b32_e32 v10, v16, v12
	v_cndmask_b32_e64 v21, v14, v10, s[0:1]
	v_div_scale_f64 v[22:23], s[0:1], v[20:21], v[20:21], s[14:15]
	v_div_scale_f64 v[29:30], vcc, s[14:15], v[20:21], s[14:15]
	v_rcp_f64_e32 v[24:25], v[22:23]
	v_fma_f64 v[27:28], -v[22:23], v[24:25], 1.0
	v_fma_f64 v[24:25], v[24:25], v[27:28], v[24:25]
	v_fma_f64 v[27:28], -v[22:23], v[24:25], 1.0
	v_fma_f64 v[24:25], v[24:25], v[27:28], v[24:25]
	v_mul_f64 v[27:28], v[29:30], v[24:25]
	v_fma_f64 v[22:23], -v[22:23], v[27:28], v[29:30]
	v_div_fmas_f64 v[22:23], v[22:23], v[24:25], v[27:28]
	v_div_fixup_f64 v[20:21], v[22:23], v[20:21], s[14:15]
	v_cvt_f32_f64_e32 v10, v[20:21]
.LBB27_160:
	s_or_b64 exec, exec, s[10:11]
	s_orn2_b64 s[0:1], s[12:13], exec
.LBB27_161:
	s_or_b64 exec, exec, s[8:9]
	v_mov_b32_e32 v24, 0x7e00
	s_and_saveexec_b64 s[8:9], s[0:1]
	s_cbranch_execz .LBB27_173
; %bb.162:
	s_mov_b32 s12, 0x41200000
	v_cmp_gt_f32_e32 vcc, s12, v8
	s_and_saveexec_b64 s[0:1], vcc
	s_cbranch_execz .LBB27_166
; %bb.163:
	s_mov_b64 s[10:11], 0
.LBB27_164:                             ; =>This Inner Loop Header: Depth=1
	v_div_scale_f32 v12, s[14:15], v8, v8, 1.0
	v_div_scale_f32 v14, vcc, 1.0, v8, 1.0
	v_rcp_f32_e32 v16, v12
	v_fma_f32 v18, -v12, v16, 1.0
	v_fmac_f32_e32 v16, v18, v16
	v_mul_f32_e32 v18, v14, v16
	v_fma_f32 v20, -v12, v18, v14
	v_fmac_f32_e32 v18, v20, v16
	v_fma_f32 v12, -v12, v18, v14
	v_div_fmas_f32 v12, v12, v16, v18
	v_div_fixup_f32 v12, v12, v8, 1.0
	v_add_f32_e32 v8, 1.0, v8
	v_cmp_ngt_f32_e32 vcc, s12, v8
	s_or_b64 s[10:11], vcc, s[10:11]
	v_sub_f32_e32 v10, v10, v12
	s_andn2_b64 exec, exec, s[10:11]
	s_cbranch_execnz .LBB27_164
; %bb.165:
	s_or_b64 exec, exec, s[10:11]
.LBB27_166:
	s_or_b64 exec, exec, s[0:1]
	s_mov_b32 s0, 0x41200000
	v_cmp_neq_f32_e32 vcc, s0, v8
                                        ; implicit-def: $vgpr24
	s_and_saveexec_b64 s[0:1], vcc
	s_xor_b64 s[10:11], exec, s[0:1]
	s_cbranch_execz .LBB27_170
; %bb.167:
	v_cvt_f64_f32_e32 v[20:21], v8
	s_mov_b32 s0, 0x85d8a000
	s_mov_b32 s1, 0x43763457
	v_mov_b32_e32 v12, 0
	v_cmp_gt_f64_e32 vcc, s[0:1], v[20:21]
	s_and_saveexec_b64 s[0:1], vcc
	s_cbranch_execz .LBB27_169
; %bb.168:
	v_mul_f32_e32 v12, v8, v8
	v_div_scale_f32 v14, s[12:13], v12, v12, 1.0
	v_div_scale_f32 v16, vcc, 1.0, v12, 1.0
	v_mov_b32_e32 v22, 0x3b820821
	v_rcp_f32_e32 v18, v14
	v_fma_f32 v20, -v14, v18, 1.0
	v_fmac_f32_e32 v18, v20, v18
	v_mul_f32_e32 v20, v16, v18
	v_fma_f32 v21, -v14, v20, v16
	v_fmac_f32_e32 v20, v21, v18
	v_fma_f32 v14, -v14, v20, v16
	v_div_fmas_f32 v14, v14, v18, v20
	v_mov_b32_e32 v16, 0x3daaaaab
	v_mov_b32_e32 v18, 0xbcaccacd
	;; [unrolled: 1-line block ×4, first 2 shown]
	v_div_fixup_f32 v12, v14, v12, 1.0
	v_fma_f32 v14, 0, v12, v16
	v_fmac_f32_e32 v18, v12, v14
	v_fmac_f32_e32 v20, v12, v18
	;; [unrolled: 1-line block ×4, first 2 shown]
	v_mov_b32_e32 v14, 0xbc088889
	v_fmac_f32_e32 v14, v12, v22
	v_fmac_f32_e32 v16, v12, v14
	v_mul_f32_e32 v12, v12, v16
.LBB27_169:
	s_or_b64 exec, exec, s[0:1]
	v_div_scale_f32 v14, s[0:1], v8, v8, -0.5
	v_div_scale_f32 v16, vcc, -0.5, v8, -0.5
	s_mov_b32 s0, 0x800000
	v_cmp_gt_f32_e64 s[0:1], s0, v8
	v_cndmask_b32_e64 v20, 0, 32, s[0:1]
	s_mov_b32 s12, 0x3f317217
	v_rcp_f32_e32 v18, v14
	v_fma_f32 v21, -v14, v18, 1.0
	v_fmac_f32_e32 v18, v21, v18
	v_mul_f32_e32 v21, v16, v18
	v_fma_f32 v22, -v14, v21, v16
	v_fmac_f32_e32 v21, v22, v18
	v_fma_f32 v14, -v14, v21, v16
	v_div_fmas_f32 v14, v14, v18, v21
	v_ldexp_f32 v16, v8, v20
	v_log_f32_e32 v16, v16
	v_mul_f32_e32 v18, 0x3f317217, v16
	v_fma_f32 v18, v16, s12, -v18
	v_fmac_f32_e32 v18, 0x3377d1cf, v16
	s_mov_b32 s12, 0x7f800000
	v_fmac_f32_e32 v18, 0x3f317217, v16
	v_cmp_lt_f32_e64 vcc, |v16|, s12
	v_cndmask_b32_e32 v16, v16, v18, vcc
	v_mov_b32_e32 v18, 0x41b17218
	v_cndmask_b32_e64 v18, 0, v18, s[0:1]
	v_sub_f32_e32 v16, v16, v18
	v_div_fixup_f32 v8, v14, v8, -0.5
	v_add_f32_e32 v8, v16, v8
	v_sub_f32_e32 v8, v8, v12
	v_add_f32_e32 v8, v10, v8
	v_cvt_f16_f32_e32 v24, v8
                                        ; implicit-def: $vgpr10
.LBB27_170:
	s_andn2_saveexec_b64 s[0:1], s[10:11]
; %bb.171:
	v_add_f32_e32 v8, 0x40101cb7, v10
	v_cvt_f16_f32_e32 v24, v8
; %bb.172:
	s_or_b64 exec, exec, s[0:1]
.LBB27_173:
	s_or_b64 exec, exec, s[8:9]
                                        ; implicit-def: $vgpr8
.LBB27_174:
	s_andn2_saveexec_b64 s[0:1], s[2:3]
; %bb.175:
	v_xor_b32_e32 v8, 0x80000000, v8
	v_lshrrev_b32_e32 v8, 16, v8
	s_movk_i32 s2, 0x7fff
	v_mov_b32_e32 v10, 0x7c00
	v_bfi_b32 v24, s2, v10, v8
; %bb.176:
	s_or_b64 exec, exec, s[0:1]
	global_load_ushort v12, v19, s[6:7]
                                        ; implicit-def: $vgpr22
	s_waitcnt vmcnt(0)
	v_cvt_f32_f16_e32 v8, v12
	v_cmp_neq_f16_e32 vcc, 0, v12
	s_and_saveexec_b64 s[0:1], vcc
	s_xor_b64 s[2:3], exec, s[0:1]
	s_cbranch_execz .LBB27_198
; %bb.177:
	v_cmp_gt_f16_e32 vcc, 0, v12
	s_mov_b64 s[0:1], -1
	v_mov_b32_e32 v10, 0
	s_and_saveexec_b64 s[8:9], vcc
	s_cbranch_execz .LBB27_185
; %bb.178:
	v_trunc_f32_e32 v10, v8
	v_cmp_neq_f32_e32 vcc, v10, v8
	s_mov_b64 s[12:13], 0
	v_mov_b32_e32 v10, 0
	s_and_saveexec_b64 s[10:11], vcc
	s_cbranch_execz .LBB27_184
; %bb.179:
	v_cvt_f32_f16_e32 v10, v12
	s_mov_b32 s0, 0
	s_mov_b32 s13, 0xc00921fb
	;; [unrolled: 1-line block ×3, first 2 shown]
	v_cvt_f64_f32_e32 v[18:19], v10
	s_mov_b32 s1, 0x7ff00000
	v_bfrev_b32_e32 v10, 1
	s_mov_b32 s14, 0
	v_trunc_f64_e32 v[20:21], v[18:19]
	v_cmp_neq_f64_e64 vcc, |v[18:19]|, s[0:1]
	s_mov_b32 s15, 0x41d00000
                                        ; implicit-def: $vgpr22_vgpr23
	v_add_f64 v[20:21], v[18:19], -v[20:21]
	v_mul_f64 v[20:21], |v[20:21]|, s[12:13]
	v_cndmask_b32_e32 v19, v10, v21, vcc
	v_cndmask_b32_e32 v18, 0, v20, vcc
	v_cmp_nlt_f64_e64 s[14:15], |v[18:19]|, s[14:15]
                                        ; implicit-def: $vgpr10
                                        ; implicit-def: $vgpr20_vgpr21
	s_and_saveexec_b64 s[16:17], s[14:15]
	s_xor_b64 s[14:15], exec, s[16:17]
	s_cbranch_execz .LBB27_181
; %bb.180:
	v_trig_preop_f64 v[20:21], |v[18:19]|, 0
	s_mov_b32 s16, 0
	s_mov_b32 s17, 0x7b000000
	s_movk_i32 s13, 0xff80
	v_ldexp_f64 v[27:28], |v[18:19]|, s13
	v_cmp_ge_f64_e64 vcc, |v[18:19]|, s[16:17]
	v_trig_preop_f64 v[22:23], |v[18:19]|, 1
	v_and_b32_e32 v10, 0x7fffffff, v19
	v_trig_preop_f64 v[35:36], |v[18:19]|, 2
	v_mov_b32_e32 v45, 0
	v_mov_b32_e32 v12, 0x3ff00000
	s_mov_b32 s13, 0x3ff921fb
	v_cndmask_b32_e32 v28, v10, v28, vcc
	v_cndmask_b32_e32 v27, v18, v27, vcc
	v_mov_b32_e32 v10, 0x40100000
	v_mul_f64 v[29:30], v[20:21], v[27:28]
	v_mul_f64 v[31:32], v[22:23], v[27:28]
	;; [unrolled: 1-line block ×3, first 2 shown]
	v_fma_f64 v[20:21], v[20:21], v[27:28], -v[29:30]
	v_fma_f64 v[22:23], v[22:23], v[27:28], -v[31:32]
	;; [unrolled: 1-line block ×3, first 2 shown]
	v_add_f64 v[33:34], v[31:32], v[20:21]
	v_add_f64 v[37:38], v[33:34], -v[31:32]
	v_add_f64 v[43:44], v[29:30], v[33:34]
	v_add_f64 v[39:40], v[33:34], -v[37:38]
	v_add_f64 v[20:21], v[20:21], -v[37:38]
	v_add_f64 v[37:38], v[41:42], v[22:23]
	v_add_f64 v[29:30], v[43:44], -v[29:30]
	v_add_f64 v[31:32], v[31:32], -v[39:40]
	v_ldexp_f64 v[39:40], v[43:44], -2
	v_add_f64 v[47:48], v[37:38], -v[41:42]
	v_add_f64 v[29:30], v[33:34], -v[29:30]
	v_add_f64 v[20:21], v[20:21], v[31:32]
	v_fract_f64_e32 v[31:32], v[39:40]
	v_cmp_neq_f64_e64 vcc, |v[39:40]|, s[0:1]
	v_add_f64 v[22:23], v[22:23], -v[47:48]
	v_add_f64 v[33:34], v[37:38], v[20:21]
	v_ldexp_f64 v[31:32], v[31:32], 2
	v_add_f64 v[39:40], v[29:30], v[33:34]
	v_cndmask_b32_e32 v32, 0, v32, vcc
	v_cndmask_b32_e32 v31, 0, v31, vcc
	v_add_f64 v[49:50], v[33:34], -v[37:38]
	v_add_f64 v[43:44], v[39:40], v[31:32]
	v_add_f64 v[29:30], v[39:40], -v[29:30]
	v_add_f64 v[51:52], v[33:34], -v[49:50]
	;; [unrolled: 1-line block ×3, first 2 shown]
	v_cmp_gt_f64_e32 vcc, 0, v[43:44]
	v_add_f64 v[43:44], v[37:38], -v[47:48]
	v_add_f64 v[29:30], v[33:34], -v[29:30]
	;; [unrolled: 1-line block ×3, first 2 shown]
	v_cndmask_b32_e32 v46, 0, v10, vcc
	v_add_f64 v[31:32], v[31:32], v[45:46]
	v_add_f64 v[43:44], v[41:42], -v[43:44]
	v_add_f64 v[20:21], v[20:21], v[37:38]
	v_add_f64 v[53:54], v[39:40], v[31:32]
	;; [unrolled: 1-line block ×3, first 2 shown]
	v_cvt_i32_f64_e32 v10, v[53:54]
	v_add_f64 v[20:21], v[22:23], v[20:21]
	v_cvt_f64_i32_e32 v[46:47], v10
	v_add_f64 v[31:32], v[31:32], -v[46:47]
	v_add_f64 v[20:21], v[27:28], v[20:21]
	v_add_f64 v[22:23], v[39:40], v[31:32]
	;; [unrolled: 1-line block ×3, first 2 shown]
	v_add_f64 v[27:28], v[22:23], -v[31:32]
	v_cmp_le_f64_e32 vcc, 0.5, v[22:23]
	v_add_f64 v[27:28], v[39:40], -v[27:28]
	v_cndmask_b32_e32 v46, 0, v12, vcc
	v_add_f64 v[22:23], v[22:23], -v[45:46]
	v_addc_co_u32_e64 v10, s[0:1], 0, v10, vcc
	s_mov_b32 s0, 0x33145c07
	s_mov_b32 s1, 0x3c91a626
	v_add_f64 v[20:21], v[20:21], v[27:28]
	v_add_f64 v[27:28], v[22:23], v[20:21]
	v_mul_f64 v[29:30], v[27:28], s[12:13]
	v_add_f64 v[22:23], v[27:28], -v[22:23]
	v_fma_f64 v[31:32], v[27:28], s[12:13], -v[29:30]
	v_add_f64 v[20:21], v[20:21], -v[22:23]
	v_fma_f64 v[22:23], v[27:28], s[0:1], v[31:32]
	v_fma_f64 v[22:23], v[20:21], s[12:13], v[22:23]
	v_add_f64 v[20:21], v[29:30], v[22:23]
	v_add_f64 v[27:28], v[20:21], -v[29:30]
	v_add_f64 v[22:23], v[22:23], -v[27:28]
.LBB27_181:
	s_andn2_saveexec_b64 s[0:1], s[14:15]
	s_cbranch_execz .LBB27_183
; %bb.182:
	s_mov_b32 s12, 0x6dc9c883
	s_mov_b32 s13, 0x3fe45f30
	v_mul_f64 v[20:21], |v[18:19]|, s[12:13]
	s_mov_b32 s12, 0x54442d18
	s_mov_b32 s13, 0xbff921fb
	;; [unrolled: 1-line block ×4, first 2 shown]
	v_rndne_f64_e32 v[27:28], v[20:21]
	v_fma_f64 v[20:21], v[27:28], s[12:13], |v[18:19]|
	v_mul_f64 v[22:23], v[27:28], s[14:15]
	s_mov_b32 s12, 0x252049c0
	s_mov_b32 s13, 0xb97b839a
	v_cvt_i32_f64_e32 v10, v[27:28]
	v_fma_f64 v[33:34], v[27:28], s[14:15], v[20:21]
	v_add_f64 v[29:30], v[20:21], v[22:23]
	s_mov_b32 s15, 0x3c91a626
	v_add_f64 v[31:32], v[20:21], -v[29:30]
	v_add_f64 v[29:30], v[29:30], -v[33:34]
	v_add_f64 v[20:21], v[31:32], v[22:23]
	v_fma_f64 v[22:23], v[27:28], s[14:15], v[22:23]
	v_add_f64 v[20:21], v[29:30], v[20:21]
	v_add_f64 v[20:21], v[20:21], -v[22:23]
	v_fma_f64 v[22:23], v[27:28], s[12:13], v[20:21]
	v_add_f64 v[20:21], v[33:34], v[22:23]
	v_add_f64 v[29:30], v[20:21], -v[33:34]
	v_add_f64 v[22:23], v[22:23], -v[29:30]
.LBB27_183:
	s_or_b64 exec, exec, s[0:1]
	v_mul_f64 v[27:28], v[20:21], v[20:21]
	v_add_f64 v[29:30], v[22:23], v[22:23]
	s_mov_b32 s0, 0xc751c08c
	s_mov_b32 s1, 0x3ef5e089
	v_and_b32_e32 v10, 1, v10
	v_cmp_eq_u32_e32 vcc, 0, v10
	v_and_b32_e32 v12, 0x80000000, v19
	v_mov_b32_e32 v14, 0x7ff80000
	v_fma_f64 v[31:32], v[20:21], v[20:21], -v[27:28]
	s_mov_b32 s14, 0x54442d18
	s_mov_b32 s15, 0xc00921fb
	s_mov_b64 s[12:13], exec
	v_sub_f32_e32 v8, 1.0, v8
	v_fma_f64 v[29:30], v[20:21], v[29:30], v[31:32]
	v_add_f64 v[27:28], v[27:28], v[29:30]
	v_mov_b32_e32 v29, 0xa9a29f71
	v_mov_b32_e32 v30, 0xbf078809
	v_fma_f64 v[29:30], v[27:28], s[0:1], v[29:30]
	s_mov_b32 s0, 0x90a8aae0
	s_mov_b32 s1, 0x3f17746f
	v_fma_f64 v[29:30], v[27:28], v[29:30], s[0:1]
	s_mov_b32 s0, 0xa6fbf144
	s_mov_b32 s1, 0xbefbb44d
	;; [unrolled: 3-line block ×12, first 2 shown]
	v_fma_f64 v[29:30], v[27:28], v[29:30], s[0:1]
	s_movk_i32 s0, 0x1f8
	v_cmp_class_f64_e64 s[0:1], v[18:19], s0
	v_mul_f64 v[27:28], v[27:28], v[29:30]
	v_mul_f64 v[29:30], v[20:21], v[27:28]
	v_add_f64 v[31:32], v[20:21], v[29:30]
	v_fma_f64 v[27:28], v[20:21], v[27:28], -v[29:30]
	v_add_f64 v[20:21], v[31:32], -v[20:21]
	v_add_f64 v[22:23], v[22:23], v[27:28]
	v_add_f64 v[20:21], v[29:30], -v[20:21]
	v_add_f64 v[20:21], v[22:23], v[20:21]
	v_add_f64 v[22:23], v[31:32], v[20:21]
	v_rcp_f64_e32 v[27:28], v[22:23]
	v_fma_f64 v[29:30], -v[22:23], v[27:28], 1.0
	v_fma_f64 v[27:28], v[29:30], v[27:28], v[27:28]
	v_fma_f64 v[29:30], -v[22:23], v[27:28], 1.0
	v_fma_f64 v[27:28], v[29:30], v[27:28], v[27:28]
	v_add_f64 v[29:30], v[22:23], -v[31:32]
	v_mul_f64 v[31:32], v[22:23], v[27:28]
	v_add_f64 v[20:21], v[20:21], -v[29:30]
	v_fma_f64 v[29:30], v[27:28], v[22:23], -v[31:32]
	v_fma_f64 v[20:21], v[27:28], v[20:21], v[29:30]
	v_add_f64 v[29:30], v[31:32], v[20:21]
	v_add_f64 v[33:34], -v[29:30], 1.0
	v_add_f64 v[31:32], v[29:30], -v[31:32]
	v_add_f64 v[35:36], -v[33:34], 1.0
	v_add_f64 v[20:21], v[31:32], -v[20:21]
	v_add_f64 v[29:30], v[35:36], -v[29:30]
	v_add_f64 v[20:21], v[20:21], v[29:30]
	v_add_f64 v[20:21], v[33:34], v[20:21]
	v_mul_f64 v[20:21], v[27:28], v[20:21]
	v_add_f64 v[20:21], v[27:28], v[20:21]
	v_xor_b32_e32 v16, 0x80000000, v21
	v_cndmask_b32_e32 v10, v20, v22, vcc
	v_cndmask_b32_e32 v16, v16, v23, vcc
	v_cndmask_b32_e64 v18, 0, v10, s[0:1]
	v_xor_b32_e32 v10, v16, v12
	v_cndmask_b32_e64 v19, v14, v10, s[0:1]
	v_div_scale_f64 v[20:21], s[0:1], v[18:19], v[18:19], s[14:15]
	v_div_scale_f64 v[29:30], vcc, s[14:15], v[18:19], s[14:15]
	v_rcp_f64_e32 v[22:23], v[20:21]
	v_fma_f64 v[27:28], -v[20:21], v[22:23], 1.0
	v_fma_f64 v[22:23], v[22:23], v[27:28], v[22:23]
	v_fma_f64 v[27:28], -v[20:21], v[22:23], 1.0
	v_fma_f64 v[22:23], v[22:23], v[27:28], v[22:23]
	v_mul_f64 v[27:28], v[29:30], v[22:23]
	v_fma_f64 v[20:21], -v[20:21], v[27:28], v[29:30]
	v_div_fmas_f64 v[20:21], v[20:21], v[22:23], v[27:28]
	v_div_fixup_f64 v[18:19], v[20:21], v[18:19], s[14:15]
	v_cvt_f32_f64_e32 v10, v[18:19]
.LBB27_184:
	s_or_b64 exec, exec, s[10:11]
	s_orn2_b64 s[0:1], s[12:13], exec
.LBB27_185:
	s_or_b64 exec, exec, s[8:9]
	v_mov_b32_e32 v22, 0x7e00
	s_and_saveexec_b64 s[8:9], s[0:1]
	s_cbranch_execz .LBB27_197
; %bb.186:
	s_mov_b32 s12, 0x41200000
	v_cmp_gt_f32_e32 vcc, s12, v8
	s_and_saveexec_b64 s[0:1], vcc
	s_cbranch_execz .LBB27_190
; %bb.187:
	s_mov_b64 s[10:11], 0
.LBB27_188:                             ; =>This Inner Loop Header: Depth=1
	v_div_scale_f32 v12, s[14:15], v8, v8, 1.0
	v_div_scale_f32 v14, vcc, 1.0, v8, 1.0
	v_rcp_f32_e32 v16, v12
	v_fma_f32 v18, -v12, v16, 1.0
	v_fmac_f32_e32 v16, v18, v16
	v_mul_f32_e32 v18, v14, v16
	v_fma_f32 v19, -v12, v18, v14
	v_fmac_f32_e32 v18, v19, v16
	v_fma_f32 v12, -v12, v18, v14
	v_div_fmas_f32 v12, v12, v16, v18
	v_div_fixup_f32 v12, v12, v8, 1.0
	v_add_f32_e32 v8, 1.0, v8
	v_cmp_ngt_f32_e32 vcc, s12, v8
	s_or_b64 s[10:11], vcc, s[10:11]
	v_sub_f32_e32 v10, v10, v12
	s_andn2_b64 exec, exec, s[10:11]
	s_cbranch_execnz .LBB27_188
; %bb.189:
	s_or_b64 exec, exec, s[10:11]
.LBB27_190:
	s_or_b64 exec, exec, s[0:1]
	s_mov_b32 s0, 0x41200000
	v_cmp_neq_f32_e32 vcc, s0, v8
                                        ; implicit-def: $vgpr22
	s_and_saveexec_b64 s[0:1], vcc
	s_xor_b64 s[10:11], exec, s[0:1]
	s_cbranch_execz .LBB27_194
; %bb.191:
	v_cvt_f64_f32_e32 v[18:19], v8
	s_mov_b32 s0, 0x85d8a000
	s_mov_b32 s1, 0x43763457
	v_mov_b32_e32 v12, 0
	v_cmp_gt_f64_e32 vcc, s[0:1], v[18:19]
	s_and_saveexec_b64 s[0:1], vcc
	s_cbranch_execz .LBB27_193
; %bb.192:
	v_mul_f32_e32 v12, v8, v8
	v_div_scale_f32 v14, s[12:13], v12, v12, 1.0
	v_div_scale_f32 v16, vcc, 1.0, v12, 1.0
	v_mov_b32_e32 v21, 0x3b820821
	v_rcp_f32_e32 v18, v14
	v_fma_f32 v19, -v14, v18, 1.0
	v_fmac_f32_e32 v18, v19, v18
	v_mul_f32_e32 v19, v16, v18
	v_fma_f32 v20, -v14, v19, v16
	v_fmac_f32_e32 v19, v20, v18
	v_fma_f32 v14, -v14, v19, v16
	v_div_fmas_f32 v14, v14, v18, v19
	v_mov_b32_e32 v16, 0x3daaaaab
	v_mov_b32_e32 v18, 0xbcaccacd
	;; [unrolled: 1-line block ×4, first 2 shown]
	v_div_fixup_f32 v12, v14, v12, 1.0
	v_fma_f32 v14, 0, v12, v16
	v_fmac_f32_e32 v18, v12, v14
	v_fmac_f32_e32 v19, v12, v18
	v_fmac_f32_e32 v20, v12, v19
	v_fmac_f32_e32 v21, v12, v20
	v_mov_b32_e32 v14, 0xbc088889
	v_fmac_f32_e32 v14, v12, v21
	v_fmac_f32_e32 v16, v12, v14
	v_mul_f32_e32 v12, v12, v16
.LBB27_193:
	s_or_b64 exec, exec, s[0:1]
	v_div_scale_f32 v14, s[0:1], v8, v8, -0.5
	v_div_scale_f32 v16, vcc, -0.5, v8, -0.5
	s_mov_b32 s0, 0x800000
	v_cmp_gt_f32_e64 s[0:1], s0, v8
	v_cndmask_b32_e64 v19, 0, 32, s[0:1]
	s_mov_b32 s12, 0x3f317217
	v_rcp_f32_e32 v18, v14
	v_fma_f32 v20, -v14, v18, 1.0
	v_fmac_f32_e32 v18, v20, v18
	v_mul_f32_e32 v20, v16, v18
	v_fma_f32 v21, -v14, v20, v16
	v_fmac_f32_e32 v20, v21, v18
	v_fma_f32 v14, -v14, v20, v16
	v_div_fmas_f32 v14, v14, v18, v20
	v_ldexp_f32 v16, v8, v19
	v_log_f32_e32 v16, v16
	v_mul_f32_e32 v18, 0x3f317217, v16
	v_fma_f32 v18, v16, s12, -v18
	v_fmac_f32_e32 v18, 0x3377d1cf, v16
	s_mov_b32 s12, 0x7f800000
	v_fmac_f32_e32 v18, 0x3f317217, v16
	v_cmp_lt_f32_e64 vcc, |v16|, s12
	v_cndmask_b32_e32 v16, v16, v18, vcc
	v_mov_b32_e32 v18, 0x41b17218
	v_cndmask_b32_e64 v18, 0, v18, s[0:1]
	v_sub_f32_e32 v16, v16, v18
	v_div_fixup_f32 v8, v14, v8, -0.5
	v_add_f32_e32 v8, v16, v8
	v_sub_f32_e32 v8, v8, v12
	v_add_f32_e32 v8, v10, v8
	v_cvt_f16_f32_e32 v22, v8
                                        ; implicit-def: $vgpr10
.LBB27_194:
	s_andn2_saveexec_b64 s[0:1], s[10:11]
; %bb.195:
	v_add_f32_e32 v8, 0x40101cb7, v10
	v_cvt_f16_f32_e32 v22, v8
; %bb.196:
	s_or_b64 exec, exec, s[0:1]
.LBB27_197:
	s_or_b64 exec, exec, s[8:9]
                                        ; implicit-def: $vgpr8
.LBB27_198:
	s_andn2_saveexec_b64 s[0:1], s[2:3]
; %bb.199:
	v_xor_b32_e32 v8, 0x80000000, v8
	v_lshrrev_b32_e32 v8, 16, v8
	s_movk_i32 s2, 0x7fff
	v_mov_b32_e32 v10, 0x7c00
	v_bfi_b32 v22, s2, v10, v8
; %bb.200:
	s_or_b64 exec, exec, s[0:1]
	global_load_ushort v12, v17, s[6:7]
                                        ; implicit-def: $vgpr20
	s_waitcnt vmcnt(0)
	v_cvt_f32_f16_e32 v8, v12
	v_cmp_neq_f16_e32 vcc, 0, v12
	s_and_saveexec_b64 s[0:1], vcc
	s_xor_b64 s[2:3], exec, s[0:1]
	s_cbranch_execz .LBB27_222
; %bb.201:
	v_cmp_gt_f16_e32 vcc, 0, v12
	s_mov_b64 s[0:1], -1
	v_mov_b32_e32 v10, 0
	s_and_saveexec_b64 s[8:9], vcc
	s_cbranch_execz .LBB27_209
; %bb.202:
	v_trunc_f32_e32 v10, v8
	v_cmp_neq_f32_e32 vcc, v10, v8
	s_mov_b64 s[12:13], 0
	v_mov_b32_e32 v10, 0
	s_and_saveexec_b64 s[10:11], vcc
	s_cbranch_execz .LBB27_208
; %bb.203:
	v_cvt_f32_f16_e32 v10, v12
	s_mov_b32 s0, 0
	s_mov_b32 s13, 0xc00921fb
	;; [unrolled: 1-line block ×3, first 2 shown]
	v_cvt_f64_f32_e32 v[16:17], v10
	s_mov_b32 s1, 0x7ff00000
	v_bfrev_b32_e32 v10, 1
	s_mov_b32 s14, 0
	v_trunc_f64_e32 v[18:19], v[16:17]
	v_cmp_neq_f64_e64 vcc, |v[16:17]|, s[0:1]
	s_mov_b32 s15, 0x41d00000
                                        ; implicit-def: $vgpr20_vgpr21
	v_add_f64 v[18:19], v[16:17], -v[18:19]
	v_mul_f64 v[18:19], |v[18:19]|, s[12:13]
	v_cndmask_b32_e32 v17, v10, v19, vcc
	v_cndmask_b32_e32 v16, 0, v18, vcc
	v_cmp_nlt_f64_e64 s[14:15], |v[16:17]|, s[14:15]
                                        ; implicit-def: $vgpr10
                                        ; implicit-def: $vgpr18_vgpr19
	s_and_saveexec_b64 s[16:17], s[14:15]
	s_xor_b64 s[14:15], exec, s[16:17]
	s_cbranch_execz .LBB27_205
; %bb.204:
	v_trig_preop_f64 v[18:19], |v[16:17]|, 0
	s_mov_b32 s16, 0
	s_mov_b32 s17, 0x7b000000
	s_movk_i32 s13, 0xff80
	v_ldexp_f64 v[27:28], |v[16:17]|, s13
	v_cmp_ge_f64_e64 vcc, |v[16:17]|, s[16:17]
	v_trig_preop_f64 v[20:21], |v[16:17]|, 1
	v_and_b32_e32 v10, 0x7fffffff, v17
	v_trig_preop_f64 v[35:36], |v[16:17]|, 2
	v_mov_b32_e32 v45, 0
	v_mov_b32_e32 v12, 0x3ff00000
	s_mov_b32 s13, 0x3ff921fb
	v_cndmask_b32_e32 v28, v10, v28, vcc
	v_cndmask_b32_e32 v27, v16, v27, vcc
	v_mov_b32_e32 v10, 0x40100000
	v_mul_f64 v[29:30], v[18:19], v[27:28]
	v_mul_f64 v[31:32], v[20:21], v[27:28]
	;; [unrolled: 1-line block ×3, first 2 shown]
	v_fma_f64 v[18:19], v[18:19], v[27:28], -v[29:30]
	v_fma_f64 v[20:21], v[20:21], v[27:28], -v[31:32]
	;; [unrolled: 1-line block ×3, first 2 shown]
	v_add_f64 v[33:34], v[31:32], v[18:19]
	v_add_f64 v[37:38], v[33:34], -v[31:32]
	v_add_f64 v[43:44], v[29:30], v[33:34]
	v_add_f64 v[39:40], v[33:34], -v[37:38]
	v_add_f64 v[18:19], v[18:19], -v[37:38]
	v_add_f64 v[37:38], v[41:42], v[20:21]
	v_add_f64 v[29:30], v[43:44], -v[29:30]
	v_add_f64 v[31:32], v[31:32], -v[39:40]
	v_ldexp_f64 v[39:40], v[43:44], -2
	v_add_f64 v[47:48], v[37:38], -v[41:42]
	v_add_f64 v[29:30], v[33:34], -v[29:30]
	v_add_f64 v[18:19], v[18:19], v[31:32]
	v_fract_f64_e32 v[31:32], v[39:40]
	v_cmp_neq_f64_e64 vcc, |v[39:40]|, s[0:1]
	v_add_f64 v[20:21], v[20:21], -v[47:48]
	v_add_f64 v[33:34], v[37:38], v[18:19]
	v_ldexp_f64 v[31:32], v[31:32], 2
	v_add_f64 v[39:40], v[29:30], v[33:34]
	v_cndmask_b32_e32 v32, 0, v32, vcc
	v_cndmask_b32_e32 v31, 0, v31, vcc
	v_add_f64 v[49:50], v[33:34], -v[37:38]
	v_add_f64 v[43:44], v[39:40], v[31:32]
	v_add_f64 v[29:30], v[39:40], -v[29:30]
	v_add_f64 v[51:52], v[33:34], -v[49:50]
	;; [unrolled: 1-line block ×3, first 2 shown]
	v_cmp_gt_f64_e32 vcc, 0, v[43:44]
	v_add_f64 v[43:44], v[37:38], -v[47:48]
	v_add_f64 v[29:30], v[33:34], -v[29:30]
	;; [unrolled: 1-line block ×3, first 2 shown]
	v_cndmask_b32_e32 v46, 0, v10, vcc
	v_add_f64 v[31:32], v[31:32], v[45:46]
	v_add_f64 v[43:44], v[41:42], -v[43:44]
	v_add_f64 v[18:19], v[18:19], v[37:38]
	v_add_f64 v[53:54], v[39:40], v[31:32]
	;; [unrolled: 1-line block ×3, first 2 shown]
	v_cvt_i32_f64_e32 v10, v[53:54]
	v_add_f64 v[18:19], v[20:21], v[18:19]
	v_cvt_f64_i32_e32 v[46:47], v10
	v_add_f64 v[31:32], v[31:32], -v[46:47]
	v_add_f64 v[18:19], v[27:28], v[18:19]
	v_add_f64 v[20:21], v[39:40], v[31:32]
	;; [unrolled: 1-line block ×3, first 2 shown]
	v_add_f64 v[27:28], v[20:21], -v[31:32]
	v_cmp_le_f64_e32 vcc, 0.5, v[20:21]
	v_add_f64 v[27:28], v[39:40], -v[27:28]
	v_cndmask_b32_e32 v46, 0, v12, vcc
	v_add_f64 v[20:21], v[20:21], -v[45:46]
	v_addc_co_u32_e64 v10, s[0:1], 0, v10, vcc
	s_mov_b32 s0, 0x33145c07
	s_mov_b32 s1, 0x3c91a626
	v_add_f64 v[18:19], v[18:19], v[27:28]
	v_add_f64 v[27:28], v[20:21], v[18:19]
	v_mul_f64 v[29:30], v[27:28], s[12:13]
	v_add_f64 v[20:21], v[27:28], -v[20:21]
	v_fma_f64 v[31:32], v[27:28], s[12:13], -v[29:30]
	v_add_f64 v[18:19], v[18:19], -v[20:21]
	v_fma_f64 v[20:21], v[27:28], s[0:1], v[31:32]
	v_fma_f64 v[20:21], v[18:19], s[12:13], v[20:21]
	v_add_f64 v[18:19], v[29:30], v[20:21]
	v_add_f64 v[27:28], v[18:19], -v[29:30]
	v_add_f64 v[20:21], v[20:21], -v[27:28]
.LBB27_205:
	s_andn2_saveexec_b64 s[0:1], s[14:15]
	s_cbranch_execz .LBB27_207
; %bb.206:
	s_mov_b32 s12, 0x6dc9c883
	s_mov_b32 s13, 0x3fe45f30
	v_mul_f64 v[18:19], |v[16:17]|, s[12:13]
	s_mov_b32 s12, 0x54442d18
	s_mov_b32 s13, 0xbff921fb
	s_mov_b32 s15, 0xbc91a626
	s_mov_b32 s14, 0x33145c00
	v_rndne_f64_e32 v[27:28], v[18:19]
	v_fma_f64 v[18:19], v[27:28], s[12:13], |v[16:17]|
	v_mul_f64 v[20:21], v[27:28], s[14:15]
	s_mov_b32 s12, 0x252049c0
	s_mov_b32 s13, 0xb97b839a
	v_cvt_i32_f64_e32 v10, v[27:28]
	v_fma_f64 v[33:34], v[27:28], s[14:15], v[18:19]
	v_add_f64 v[29:30], v[18:19], v[20:21]
	s_mov_b32 s15, 0x3c91a626
	v_add_f64 v[31:32], v[18:19], -v[29:30]
	v_add_f64 v[29:30], v[29:30], -v[33:34]
	v_add_f64 v[18:19], v[31:32], v[20:21]
	v_fma_f64 v[20:21], v[27:28], s[14:15], v[20:21]
	v_add_f64 v[18:19], v[29:30], v[18:19]
	v_add_f64 v[18:19], v[18:19], -v[20:21]
	v_fma_f64 v[20:21], v[27:28], s[12:13], v[18:19]
	v_add_f64 v[18:19], v[33:34], v[20:21]
	v_add_f64 v[29:30], v[18:19], -v[33:34]
	v_add_f64 v[20:21], v[20:21], -v[29:30]
.LBB27_207:
	s_or_b64 exec, exec, s[0:1]
	v_mul_f64 v[27:28], v[18:19], v[18:19]
	v_add_f64 v[29:30], v[20:21], v[20:21]
	s_mov_b32 s0, 0xc751c08c
	s_mov_b32 s1, 0x3ef5e089
	v_and_b32_e32 v10, 1, v10
	v_cmp_eq_u32_e32 vcc, 0, v10
	v_and_b32_e32 v12, 0x80000000, v17
	v_mov_b32_e32 v14, 0x7ff80000
	v_fma_f64 v[31:32], v[18:19], v[18:19], -v[27:28]
	s_mov_b32 s14, 0x54442d18
	s_mov_b32 s15, 0xc00921fb
	s_mov_b64 s[12:13], exec
	v_sub_f32_e32 v8, 1.0, v8
	v_fma_f64 v[29:30], v[18:19], v[29:30], v[31:32]
	v_add_f64 v[27:28], v[27:28], v[29:30]
	v_mov_b32_e32 v29, 0xa9a29f71
	v_mov_b32_e32 v30, 0xbf078809
	v_fma_f64 v[29:30], v[27:28], s[0:1], v[29:30]
	s_mov_b32 s0, 0x90a8aae0
	s_mov_b32 s1, 0x3f17746f
	v_fma_f64 v[29:30], v[27:28], v[29:30], s[0:1]
	s_mov_b32 s0, 0xa6fbf144
	s_mov_b32 s1, 0xbefbb44d
	;; [unrolled: 3-line block ×12, first 2 shown]
	v_fma_f64 v[29:30], v[27:28], v[29:30], s[0:1]
	s_movk_i32 s0, 0x1f8
	v_cmp_class_f64_e64 s[0:1], v[16:17], s0
	v_mul_f64 v[27:28], v[27:28], v[29:30]
	v_mul_f64 v[29:30], v[18:19], v[27:28]
	v_add_f64 v[31:32], v[18:19], v[29:30]
	v_fma_f64 v[27:28], v[18:19], v[27:28], -v[29:30]
	v_add_f64 v[18:19], v[31:32], -v[18:19]
	v_add_f64 v[20:21], v[20:21], v[27:28]
	v_add_f64 v[18:19], v[29:30], -v[18:19]
	v_add_f64 v[18:19], v[20:21], v[18:19]
	v_add_f64 v[20:21], v[31:32], v[18:19]
	v_rcp_f64_e32 v[27:28], v[20:21]
	v_fma_f64 v[29:30], -v[20:21], v[27:28], 1.0
	v_fma_f64 v[27:28], v[29:30], v[27:28], v[27:28]
	v_fma_f64 v[29:30], -v[20:21], v[27:28], 1.0
	v_fma_f64 v[27:28], v[29:30], v[27:28], v[27:28]
	v_add_f64 v[29:30], v[20:21], -v[31:32]
	v_mul_f64 v[31:32], v[20:21], v[27:28]
	v_add_f64 v[18:19], v[18:19], -v[29:30]
	v_fma_f64 v[29:30], v[27:28], v[20:21], -v[31:32]
	v_fma_f64 v[18:19], v[27:28], v[18:19], v[29:30]
	v_add_f64 v[29:30], v[31:32], v[18:19]
	v_add_f64 v[33:34], -v[29:30], 1.0
	v_add_f64 v[31:32], v[29:30], -v[31:32]
	v_add_f64 v[35:36], -v[33:34], 1.0
	v_add_f64 v[18:19], v[31:32], -v[18:19]
	v_add_f64 v[29:30], v[35:36], -v[29:30]
	v_add_f64 v[18:19], v[18:19], v[29:30]
	v_add_f64 v[18:19], v[33:34], v[18:19]
	v_mul_f64 v[18:19], v[27:28], v[18:19]
	v_add_f64 v[18:19], v[27:28], v[18:19]
	v_xor_b32_e32 v16, 0x80000000, v19
	v_cndmask_b32_e32 v10, v18, v20, vcc
	v_cndmask_b32_e32 v17, v16, v21, vcc
	v_cndmask_b32_e64 v16, 0, v10, s[0:1]
	v_xor_b32_e32 v10, v17, v12
	v_cndmask_b32_e64 v17, v14, v10, s[0:1]
	v_div_scale_f64 v[18:19], s[0:1], v[16:17], v[16:17], s[14:15]
	v_div_scale_f64 v[29:30], vcc, s[14:15], v[16:17], s[14:15]
	v_rcp_f64_e32 v[20:21], v[18:19]
	v_fma_f64 v[27:28], -v[18:19], v[20:21], 1.0
	v_fma_f64 v[20:21], v[20:21], v[27:28], v[20:21]
	v_fma_f64 v[27:28], -v[18:19], v[20:21], 1.0
	v_fma_f64 v[20:21], v[20:21], v[27:28], v[20:21]
	v_mul_f64 v[27:28], v[29:30], v[20:21]
	v_fma_f64 v[18:19], -v[18:19], v[27:28], v[29:30]
	v_div_fmas_f64 v[18:19], v[18:19], v[20:21], v[27:28]
	v_div_fixup_f64 v[16:17], v[18:19], v[16:17], s[14:15]
	v_cvt_f32_f64_e32 v10, v[16:17]
.LBB27_208:
	s_or_b64 exec, exec, s[10:11]
	s_orn2_b64 s[0:1], s[12:13], exec
.LBB27_209:
	s_or_b64 exec, exec, s[8:9]
	v_mov_b32_e32 v20, 0x7e00
	s_and_saveexec_b64 s[8:9], s[0:1]
	s_cbranch_execz .LBB27_221
; %bb.210:
	s_mov_b32 s12, 0x41200000
	v_cmp_gt_f32_e32 vcc, s12, v8
	s_and_saveexec_b64 s[0:1], vcc
	s_cbranch_execz .LBB27_214
; %bb.211:
	s_mov_b64 s[10:11], 0
.LBB27_212:                             ; =>This Inner Loop Header: Depth=1
	v_div_scale_f32 v12, s[14:15], v8, v8, 1.0
	v_div_scale_f32 v14, vcc, 1.0, v8, 1.0
	v_rcp_f32_e32 v16, v12
	v_fma_f32 v17, -v12, v16, 1.0
	v_fmac_f32_e32 v16, v17, v16
	v_mul_f32_e32 v17, v14, v16
	v_fma_f32 v18, -v12, v17, v14
	v_fmac_f32_e32 v17, v18, v16
	v_fma_f32 v12, -v12, v17, v14
	v_div_fmas_f32 v12, v12, v16, v17
	v_div_fixup_f32 v12, v12, v8, 1.0
	v_add_f32_e32 v8, 1.0, v8
	v_cmp_ngt_f32_e32 vcc, s12, v8
	s_or_b64 s[10:11], vcc, s[10:11]
	v_sub_f32_e32 v10, v10, v12
	s_andn2_b64 exec, exec, s[10:11]
	s_cbranch_execnz .LBB27_212
; %bb.213:
	s_or_b64 exec, exec, s[10:11]
.LBB27_214:
	s_or_b64 exec, exec, s[0:1]
	s_mov_b32 s0, 0x41200000
	v_cmp_neq_f32_e32 vcc, s0, v8
                                        ; implicit-def: $vgpr20
	s_and_saveexec_b64 s[0:1], vcc
	s_xor_b64 s[10:11], exec, s[0:1]
	s_cbranch_execz .LBB27_218
; %bb.215:
	v_cvt_f64_f32_e32 v[16:17], v8
	s_mov_b32 s0, 0x85d8a000
	s_mov_b32 s1, 0x43763457
	v_mov_b32_e32 v12, 0
	v_cmp_gt_f64_e32 vcc, s[0:1], v[16:17]
	s_and_saveexec_b64 s[0:1], vcc
	s_cbranch_execz .LBB27_217
; %bb.216:
	v_mul_f32_e32 v12, v8, v8
	v_div_scale_f32 v14, s[12:13], v12, v12, 1.0
	v_div_scale_f32 v16, vcc, 1.0, v12, 1.0
	v_mov_b32_e32 v20, 0x3b820821
	v_rcp_f32_e32 v17, v14
	v_fma_f32 v18, -v14, v17, 1.0
	v_fmac_f32_e32 v17, v18, v17
	v_mul_f32_e32 v18, v16, v17
	v_fma_f32 v19, -v14, v18, v16
	v_fmac_f32_e32 v18, v19, v17
	v_fma_f32 v14, -v14, v18, v16
	v_div_fmas_f32 v14, v14, v17, v18
	v_mov_b32_e32 v16, 0x3daaaaab
	v_mov_b32_e32 v17, 0xbcaccacd
	;; [unrolled: 1-line block ×4, first 2 shown]
	v_div_fixup_f32 v12, v14, v12, 1.0
	v_fma_f32 v14, 0, v12, v16
	v_fmac_f32_e32 v17, v12, v14
	v_fmac_f32_e32 v18, v12, v17
	;; [unrolled: 1-line block ×4, first 2 shown]
	v_mov_b32_e32 v14, 0xbc088889
	v_fmac_f32_e32 v14, v12, v20
	v_fmac_f32_e32 v16, v12, v14
	v_mul_f32_e32 v12, v12, v16
.LBB27_217:
	s_or_b64 exec, exec, s[0:1]
	v_div_scale_f32 v14, s[0:1], v8, v8, -0.5
	v_div_scale_f32 v16, vcc, -0.5, v8, -0.5
	s_mov_b32 s0, 0x800000
	v_cmp_gt_f32_e64 s[0:1], s0, v8
	v_cndmask_b32_e64 v18, 0, 32, s[0:1]
	s_mov_b32 s12, 0x3f317217
	v_rcp_f32_e32 v17, v14
	v_fma_f32 v19, -v14, v17, 1.0
	v_fmac_f32_e32 v17, v19, v17
	v_mul_f32_e32 v19, v16, v17
	v_fma_f32 v20, -v14, v19, v16
	v_fmac_f32_e32 v19, v20, v17
	v_fma_f32 v14, -v14, v19, v16
	v_div_fmas_f32 v14, v14, v17, v19
	v_ldexp_f32 v16, v8, v18
	v_log_f32_e32 v16, v16
	v_mul_f32_e32 v17, 0x3f317217, v16
	v_fma_f32 v17, v16, s12, -v17
	v_fmac_f32_e32 v17, 0x3377d1cf, v16
	s_mov_b32 s12, 0x7f800000
	v_fmac_f32_e32 v17, 0x3f317217, v16
	v_cmp_lt_f32_e64 vcc, |v16|, s12
	v_cndmask_b32_e32 v16, v16, v17, vcc
	v_mov_b32_e32 v17, 0x41b17218
	v_cndmask_b32_e64 v17, 0, v17, s[0:1]
	v_sub_f32_e32 v16, v16, v17
	v_div_fixup_f32 v8, v14, v8, -0.5
	v_add_f32_e32 v8, v16, v8
	v_sub_f32_e32 v8, v8, v12
	v_add_f32_e32 v8, v10, v8
	v_cvt_f16_f32_e32 v20, v8
                                        ; implicit-def: $vgpr10
.LBB27_218:
	s_andn2_saveexec_b64 s[0:1], s[10:11]
; %bb.219:
	v_add_f32_e32 v8, 0x40101cb7, v10
	v_cvt_f16_f32_e32 v20, v8
; %bb.220:
	s_or_b64 exec, exec, s[0:1]
.LBB27_221:
	s_or_b64 exec, exec, s[8:9]
                                        ; implicit-def: $vgpr8
.LBB27_222:
	s_andn2_saveexec_b64 s[0:1], s[2:3]
; %bb.223:
	v_xor_b32_e32 v8, 0x80000000, v8
	v_lshrrev_b32_e32 v8, 16, v8
	s_movk_i32 s2, 0x7fff
	v_mov_b32_e32 v10, 0x7c00
	v_bfi_b32 v20, s2, v10, v8
; %bb.224:
	s_or_b64 exec, exec, s[0:1]
	global_load_ushort v12, v15, s[6:7]
                                        ; implicit-def: $vgpr18
	s_waitcnt vmcnt(0)
	v_cvt_f32_f16_e32 v8, v12
	v_cmp_neq_f16_e32 vcc, 0, v12
	s_and_saveexec_b64 s[0:1], vcc
	s_xor_b64 s[2:3], exec, s[0:1]
	s_cbranch_execz .LBB27_246
; %bb.225:
	v_cmp_gt_f16_e32 vcc, 0, v12
	s_mov_b64 s[0:1], -1
	v_mov_b32_e32 v10, 0
	s_and_saveexec_b64 s[8:9], vcc
	s_cbranch_execz .LBB27_233
; %bb.226:
	v_trunc_f32_e32 v10, v8
	v_cmp_neq_f32_e32 vcc, v10, v8
	s_mov_b64 s[12:13], 0
	v_mov_b32_e32 v10, 0
	s_and_saveexec_b64 s[10:11], vcc
	s_cbranch_execz .LBB27_232
; %bb.227:
	v_cvt_f32_f16_e32 v10, v12
	s_mov_b32 s0, 0
	s_mov_b32 s13, 0xc00921fb
	s_mov_b32 s12, 0x54442d18
	v_cvt_f64_f32_e32 v[14:15], v10
	s_mov_b32 s1, 0x7ff00000
	v_bfrev_b32_e32 v10, 1
	s_mov_b32 s14, 0
	v_trunc_f64_e32 v[16:17], v[14:15]
	v_cmp_neq_f64_e64 vcc, |v[14:15]|, s[0:1]
	s_mov_b32 s15, 0x41d00000
                                        ; implicit-def: $vgpr18_vgpr19
	v_add_f64 v[16:17], v[14:15], -v[16:17]
	v_mul_f64 v[16:17], |v[16:17]|, s[12:13]
	v_cndmask_b32_e32 v15, v10, v17, vcc
	v_cndmask_b32_e32 v14, 0, v16, vcc
	v_cmp_nlt_f64_e64 s[14:15], |v[14:15]|, s[14:15]
                                        ; implicit-def: $vgpr10
                                        ; implicit-def: $vgpr16_vgpr17
	s_and_saveexec_b64 s[16:17], s[14:15]
	s_xor_b64 s[14:15], exec, s[16:17]
	s_cbranch_execz .LBB27_229
; %bb.228:
	v_trig_preop_f64 v[16:17], |v[14:15]|, 0
	s_mov_b32 s16, 0
	s_mov_b32 s17, 0x7b000000
	s_movk_i32 s13, 0xff80
	v_ldexp_f64 v[27:28], |v[14:15]|, s13
	v_cmp_ge_f64_e64 vcc, |v[14:15]|, s[16:17]
	v_trig_preop_f64 v[18:19], |v[14:15]|, 1
	v_and_b32_e32 v10, 0x7fffffff, v15
	v_trig_preop_f64 v[35:36], |v[14:15]|, 2
	v_mov_b32_e32 v45, 0
	v_mov_b32_e32 v12, 0x3ff00000
	s_mov_b32 s13, 0x3ff921fb
	v_cndmask_b32_e32 v28, v10, v28, vcc
	v_cndmask_b32_e32 v27, v14, v27, vcc
	v_mov_b32_e32 v10, 0x40100000
	v_mul_f64 v[29:30], v[16:17], v[27:28]
	v_mul_f64 v[31:32], v[18:19], v[27:28]
	;; [unrolled: 1-line block ×3, first 2 shown]
	v_fma_f64 v[16:17], v[16:17], v[27:28], -v[29:30]
	v_fma_f64 v[18:19], v[18:19], v[27:28], -v[31:32]
	;; [unrolled: 1-line block ×3, first 2 shown]
	v_add_f64 v[33:34], v[31:32], v[16:17]
	v_add_f64 v[37:38], v[33:34], -v[31:32]
	v_add_f64 v[43:44], v[29:30], v[33:34]
	v_add_f64 v[39:40], v[33:34], -v[37:38]
	v_add_f64 v[16:17], v[16:17], -v[37:38]
	v_add_f64 v[37:38], v[41:42], v[18:19]
	v_add_f64 v[29:30], v[43:44], -v[29:30]
	v_add_f64 v[31:32], v[31:32], -v[39:40]
	v_ldexp_f64 v[39:40], v[43:44], -2
	v_add_f64 v[47:48], v[37:38], -v[41:42]
	v_add_f64 v[29:30], v[33:34], -v[29:30]
	v_add_f64 v[16:17], v[16:17], v[31:32]
	v_fract_f64_e32 v[31:32], v[39:40]
	v_cmp_neq_f64_e64 vcc, |v[39:40]|, s[0:1]
	v_add_f64 v[18:19], v[18:19], -v[47:48]
	v_add_f64 v[33:34], v[37:38], v[16:17]
	v_ldexp_f64 v[31:32], v[31:32], 2
	v_add_f64 v[39:40], v[29:30], v[33:34]
	v_cndmask_b32_e32 v32, 0, v32, vcc
	v_cndmask_b32_e32 v31, 0, v31, vcc
	v_add_f64 v[49:50], v[33:34], -v[37:38]
	v_add_f64 v[43:44], v[39:40], v[31:32]
	v_add_f64 v[29:30], v[39:40], -v[29:30]
	v_add_f64 v[51:52], v[33:34], -v[49:50]
	;; [unrolled: 1-line block ×3, first 2 shown]
	v_cmp_gt_f64_e32 vcc, 0, v[43:44]
	v_add_f64 v[43:44], v[37:38], -v[47:48]
	v_add_f64 v[29:30], v[33:34], -v[29:30]
	;; [unrolled: 1-line block ×3, first 2 shown]
	v_cndmask_b32_e32 v46, 0, v10, vcc
	v_add_f64 v[31:32], v[31:32], v[45:46]
	v_add_f64 v[43:44], v[41:42], -v[43:44]
	v_add_f64 v[16:17], v[16:17], v[37:38]
	v_add_f64 v[53:54], v[39:40], v[31:32]
	;; [unrolled: 1-line block ×3, first 2 shown]
	v_cvt_i32_f64_e32 v10, v[53:54]
	v_add_f64 v[16:17], v[18:19], v[16:17]
	v_cvt_f64_i32_e32 v[46:47], v10
	v_add_f64 v[31:32], v[31:32], -v[46:47]
	v_add_f64 v[16:17], v[27:28], v[16:17]
	v_add_f64 v[18:19], v[39:40], v[31:32]
	;; [unrolled: 1-line block ×3, first 2 shown]
	v_add_f64 v[27:28], v[18:19], -v[31:32]
	v_cmp_le_f64_e32 vcc, 0.5, v[18:19]
	v_add_f64 v[27:28], v[39:40], -v[27:28]
	v_cndmask_b32_e32 v46, 0, v12, vcc
	v_add_f64 v[18:19], v[18:19], -v[45:46]
	v_addc_co_u32_e64 v10, s[0:1], 0, v10, vcc
	s_mov_b32 s0, 0x33145c07
	s_mov_b32 s1, 0x3c91a626
	v_add_f64 v[16:17], v[16:17], v[27:28]
	v_add_f64 v[27:28], v[18:19], v[16:17]
	v_mul_f64 v[29:30], v[27:28], s[12:13]
	v_add_f64 v[18:19], v[27:28], -v[18:19]
	v_fma_f64 v[31:32], v[27:28], s[12:13], -v[29:30]
	v_add_f64 v[16:17], v[16:17], -v[18:19]
	v_fma_f64 v[18:19], v[27:28], s[0:1], v[31:32]
	v_fma_f64 v[18:19], v[16:17], s[12:13], v[18:19]
	v_add_f64 v[16:17], v[29:30], v[18:19]
	v_add_f64 v[27:28], v[16:17], -v[29:30]
	v_add_f64 v[18:19], v[18:19], -v[27:28]
.LBB27_229:
	s_andn2_saveexec_b64 s[0:1], s[14:15]
	s_cbranch_execz .LBB27_231
; %bb.230:
	s_mov_b32 s12, 0x6dc9c883
	s_mov_b32 s13, 0x3fe45f30
	v_mul_f64 v[16:17], |v[14:15]|, s[12:13]
	s_mov_b32 s12, 0x54442d18
	s_mov_b32 s13, 0xbff921fb
	;; [unrolled: 1-line block ×4, first 2 shown]
	v_rndne_f64_e32 v[27:28], v[16:17]
	v_fma_f64 v[16:17], v[27:28], s[12:13], |v[14:15]|
	v_mul_f64 v[18:19], v[27:28], s[14:15]
	s_mov_b32 s12, 0x252049c0
	s_mov_b32 s13, 0xb97b839a
	v_cvt_i32_f64_e32 v10, v[27:28]
	v_fma_f64 v[33:34], v[27:28], s[14:15], v[16:17]
	v_add_f64 v[29:30], v[16:17], v[18:19]
	s_mov_b32 s15, 0x3c91a626
	v_add_f64 v[31:32], v[16:17], -v[29:30]
	v_add_f64 v[29:30], v[29:30], -v[33:34]
	v_add_f64 v[16:17], v[31:32], v[18:19]
	v_fma_f64 v[18:19], v[27:28], s[14:15], v[18:19]
	v_add_f64 v[16:17], v[29:30], v[16:17]
	v_add_f64 v[16:17], v[16:17], -v[18:19]
	v_fma_f64 v[18:19], v[27:28], s[12:13], v[16:17]
	v_add_f64 v[16:17], v[33:34], v[18:19]
	v_add_f64 v[29:30], v[16:17], -v[33:34]
	v_add_f64 v[18:19], v[18:19], -v[29:30]
.LBB27_231:
	s_or_b64 exec, exec, s[0:1]
	v_mul_f64 v[27:28], v[16:17], v[16:17]
	v_add_f64 v[29:30], v[18:19], v[18:19]
	s_mov_b32 s0, 0xc751c08c
	s_mov_b32 s1, 0x3ef5e089
	v_and_b32_e32 v10, 1, v10
	v_cmp_eq_u32_e32 vcc, 0, v10
	v_and_b32_e32 v12, 0x80000000, v15
	s_mov_b32 s14, 0x54442d18
	v_fma_f64 v[31:32], v[16:17], v[16:17], -v[27:28]
	s_mov_b32 s15, 0xc00921fb
	s_mov_b64 s[12:13], exec
	v_sub_f32_e32 v8, 1.0, v8
	v_fma_f64 v[29:30], v[16:17], v[29:30], v[31:32]
	v_add_f64 v[27:28], v[27:28], v[29:30]
	v_mov_b32_e32 v29, 0xa9a29f71
	v_mov_b32_e32 v30, 0xbf078809
	v_fma_f64 v[29:30], v[27:28], s[0:1], v[29:30]
	s_mov_b32 s0, 0x90a8aae0
	s_mov_b32 s1, 0x3f17746f
	v_fma_f64 v[29:30], v[27:28], v[29:30], s[0:1]
	s_mov_b32 s0, 0xa6fbf144
	s_mov_b32 s1, 0xbefbb44d
	;; [unrolled: 3-line block ×12, first 2 shown]
	v_fma_f64 v[29:30], v[27:28], v[29:30], s[0:1]
	s_movk_i32 s0, 0x1f8
	v_cmp_class_f64_e64 s[0:1], v[14:15], s0
	v_mov_b32_e32 v15, 0x7ff80000
	v_mul_f64 v[27:28], v[27:28], v[29:30]
	v_mul_f64 v[29:30], v[16:17], v[27:28]
	v_add_f64 v[31:32], v[16:17], v[29:30]
	v_fma_f64 v[27:28], v[16:17], v[27:28], -v[29:30]
	v_add_f64 v[16:17], v[31:32], -v[16:17]
	v_add_f64 v[18:19], v[18:19], v[27:28]
	v_add_f64 v[16:17], v[29:30], -v[16:17]
	v_add_f64 v[16:17], v[18:19], v[16:17]
	v_add_f64 v[18:19], v[31:32], v[16:17]
	v_rcp_f64_e32 v[27:28], v[18:19]
	v_fma_f64 v[29:30], -v[18:19], v[27:28], 1.0
	v_fma_f64 v[27:28], v[29:30], v[27:28], v[27:28]
	v_fma_f64 v[29:30], -v[18:19], v[27:28], 1.0
	v_fma_f64 v[27:28], v[29:30], v[27:28], v[27:28]
	v_add_f64 v[29:30], v[18:19], -v[31:32]
	v_mul_f64 v[31:32], v[18:19], v[27:28]
	v_add_f64 v[16:17], v[16:17], -v[29:30]
	v_fma_f64 v[29:30], v[27:28], v[18:19], -v[31:32]
	v_fma_f64 v[16:17], v[27:28], v[16:17], v[29:30]
	v_add_f64 v[29:30], v[31:32], v[16:17]
	v_add_f64 v[33:34], -v[29:30], 1.0
	v_add_f64 v[31:32], v[29:30], -v[31:32]
	v_add_f64 v[35:36], -v[33:34], 1.0
	v_add_f64 v[16:17], v[31:32], -v[16:17]
	v_add_f64 v[29:30], v[35:36], -v[29:30]
	v_add_f64 v[16:17], v[16:17], v[29:30]
	v_add_f64 v[16:17], v[33:34], v[16:17]
	v_mul_f64 v[16:17], v[27:28], v[16:17]
	v_add_f64 v[16:17], v[27:28], v[16:17]
	v_xor_b32_e32 v14, 0x80000000, v17
	v_cndmask_b32_e32 v10, v16, v18, vcc
	v_cndmask_b32_e32 v16, v14, v19, vcc
	v_cndmask_b32_e64 v14, 0, v10, s[0:1]
	v_xor_b32_e32 v10, v16, v12
	v_cndmask_b32_e64 v15, v15, v10, s[0:1]
	v_div_scale_f64 v[16:17], s[0:1], v[14:15], v[14:15], s[14:15]
	v_div_scale_f64 v[29:30], vcc, s[14:15], v[14:15], s[14:15]
	v_rcp_f64_e32 v[18:19], v[16:17]
	v_fma_f64 v[27:28], -v[16:17], v[18:19], 1.0
	v_fma_f64 v[18:19], v[18:19], v[27:28], v[18:19]
	v_fma_f64 v[27:28], -v[16:17], v[18:19], 1.0
	v_fma_f64 v[18:19], v[18:19], v[27:28], v[18:19]
	v_mul_f64 v[27:28], v[29:30], v[18:19]
	v_fma_f64 v[16:17], -v[16:17], v[27:28], v[29:30]
	v_div_fmas_f64 v[16:17], v[16:17], v[18:19], v[27:28]
	v_div_fixup_f64 v[14:15], v[16:17], v[14:15], s[14:15]
	v_cvt_f32_f64_e32 v10, v[14:15]
.LBB27_232:
	s_or_b64 exec, exec, s[10:11]
	s_orn2_b64 s[0:1], s[12:13], exec
.LBB27_233:
	s_or_b64 exec, exec, s[8:9]
	v_mov_b32_e32 v18, 0x7e00
	s_and_saveexec_b64 s[8:9], s[0:1]
	s_cbranch_execz .LBB27_245
; %bb.234:
	s_mov_b32 s12, 0x41200000
	v_cmp_gt_f32_e32 vcc, s12, v8
	s_and_saveexec_b64 s[0:1], vcc
	s_cbranch_execz .LBB27_238
; %bb.235:
	s_mov_b64 s[10:11], 0
.LBB27_236:                             ; =>This Inner Loop Header: Depth=1
	v_div_scale_f32 v12, s[14:15], v8, v8, 1.0
	v_div_scale_f32 v14, vcc, 1.0, v8, 1.0
	v_rcp_f32_e32 v15, v12
	v_fma_f32 v16, -v12, v15, 1.0
	v_fmac_f32_e32 v15, v16, v15
	v_mul_f32_e32 v16, v14, v15
	v_fma_f32 v17, -v12, v16, v14
	v_fmac_f32_e32 v16, v17, v15
	v_fma_f32 v12, -v12, v16, v14
	v_div_fmas_f32 v12, v12, v15, v16
	v_div_fixup_f32 v12, v12, v8, 1.0
	v_add_f32_e32 v8, 1.0, v8
	v_cmp_ngt_f32_e32 vcc, s12, v8
	s_or_b64 s[10:11], vcc, s[10:11]
	v_sub_f32_e32 v10, v10, v12
	s_andn2_b64 exec, exec, s[10:11]
	s_cbranch_execnz .LBB27_236
; %bb.237:
	s_or_b64 exec, exec, s[10:11]
.LBB27_238:
	s_or_b64 exec, exec, s[0:1]
	s_mov_b32 s0, 0x41200000
	v_cmp_neq_f32_e32 vcc, s0, v8
                                        ; implicit-def: $vgpr18
	s_and_saveexec_b64 s[0:1], vcc
	s_xor_b64 s[10:11], exec, s[0:1]
	s_cbranch_execz .LBB27_242
; %bb.239:
	v_cvt_f64_f32_e32 v[14:15], v8
	s_mov_b32 s0, 0x85d8a000
	s_mov_b32 s1, 0x43763457
	v_mov_b32_e32 v12, 0
	v_cmp_gt_f64_e32 vcc, s[0:1], v[14:15]
	s_and_saveexec_b64 s[0:1], vcc
	s_cbranch_execz .LBB27_241
; %bb.240:
	v_mul_f32_e32 v12, v8, v8
	v_div_scale_f32 v14, s[12:13], v12, v12, 1.0
	v_div_scale_f32 v15, vcc, 1.0, v12, 1.0
	v_mov_b32_e32 v19, 0x3b820821
	v_rcp_f32_e32 v16, v14
	v_fma_f32 v17, -v14, v16, 1.0
	v_fmac_f32_e32 v16, v17, v16
	v_mul_f32_e32 v17, v15, v16
	v_fma_f32 v18, -v14, v17, v15
	v_fmac_f32_e32 v17, v18, v16
	v_fma_f32 v14, -v14, v17, v15
	v_div_fmas_f32 v14, v14, v16, v17
	v_mov_b32_e32 v15, 0x3daaaaab
	v_mov_b32_e32 v16, 0xbcaccacd
	;; [unrolled: 1-line block ×4, first 2 shown]
	v_div_fixup_f32 v12, v14, v12, 1.0
	v_fma_f32 v14, 0, v12, v15
	v_fmac_f32_e32 v16, v12, v14
	v_fmac_f32_e32 v17, v12, v16
	;; [unrolled: 1-line block ×4, first 2 shown]
	v_mov_b32_e32 v14, 0xbc088889
	v_fmac_f32_e32 v14, v12, v19
	v_fmac_f32_e32 v15, v12, v14
	v_mul_f32_e32 v12, v12, v15
.LBB27_241:
	s_or_b64 exec, exec, s[0:1]
	v_div_scale_f32 v14, s[0:1], v8, v8, -0.5
	v_div_scale_f32 v15, vcc, -0.5, v8, -0.5
	s_mov_b32 s0, 0x800000
	v_cmp_gt_f32_e64 s[0:1], s0, v8
	v_cndmask_b32_e64 v17, 0, 32, s[0:1]
	s_mov_b32 s12, 0x3f317217
	v_rcp_f32_e32 v16, v14
	v_fma_f32 v18, -v14, v16, 1.0
	v_fmac_f32_e32 v16, v18, v16
	v_mul_f32_e32 v18, v15, v16
	v_fma_f32 v19, -v14, v18, v15
	v_fmac_f32_e32 v18, v19, v16
	v_fma_f32 v14, -v14, v18, v15
	v_div_fmas_f32 v14, v14, v16, v18
	v_ldexp_f32 v15, v8, v17
	v_log_f32_e32 v15, v15
	v_mul_f32_e32 v16, 0x3f317217, v15
	v_fma_f32 v16, v15, s12, -v16
	v_fmac_f32_e32 v16, 0x3377d1cf, v15
	s_mov_b32 s12, 0x7f800000
	v_fmac_f32_e32 v16, 0x3f317217, v15
	v_cmp_lt_f32_e64 vcc, |v15|, s12
	v_cndmask_b32_e32 v15, v15, v16, vcc
	v_mov_b32_e32 v16, 0x41b17218
	v_cndmask_b32_e64 v16, 0, v16, s[0:1]
	v_sub_f32_e32 v15, v15, v16
	v_div_fixup_f32 v8, v14, v8, -0.5
	v_add_f32_e32 v8, v15, v8
	v_sub_f32_e32 v8, v8, v12
	v_add_f32_e32 v8, v10, v8
	v_cvt_f16_f32_e32 v18, v8
                                        ; implicit-def: $vgpr10
.LBB27_242:
	s_andn2_saveexec_b64 s[0:1], s[10:11]
; %bb.243:
	v_add_f32_e32 v8, 0x40101cb7, v10
	v_cvt_f16_f32_e32 v18, v8
; %bb.244:
	s_or_b64 exec, exec, s[0:1]
.LBB27_245:
	s_or_b64 exec, exec, s[8:9]
                                        ; implicit-def: $vgpr8
.LBB27_246:
	s_andn2_saveexec_b64 s[0:1], s[2:3]
; %bb.247:
	v_xor_b32_e32 v8, 0x80000000, v8
	v_lshrrev_b32_e32 v8, 16, v8
	s_movk_i32 s2, 0x7fff
	v_mov_b32_e32 v10, 0x7c00
	v_bfi_b32 v18, s2, v10, v8
; %bb.248:
	s_or_b64 exec, exec, s[0:1]
	global_load_ushort v12, v13, s[6:7]
                                        ; implicit-def: $vgpr16
	s_waitcnt vmcnt(0)
	v_cvt_f32_f16_e32 v8, v12
	v_cmp_neq_f16_e32 vcc, 0, v12
	s_and_saveexec_b64 s[0:1], vcc
	s_xor_b64 s[2:3], exec, s[0:1]
	s_cbranch_execz .LBB27_270
; %bb.249:
	v_cmp_gt_f16_e32 vcc, 0, v12
	s_mov_b64 s[0:1], -1
	v_mov_b32_e32 v10, 0
	s_and_saveexec_b64 s[8:9], vcc
	s_cbranch_execz .LBB27_257
; %bb.250:
	v_trunc_f32_e32 v10, v8
	v_cmp_neq_f32_e32 vcc, v10, v8
	s_mov_b64 s[12:13], 0
	v_mov_b32_e32 v10, 0
	s_and_saveexec_b64 s[10:11], vcc
	s_cbranch_execz .LBB27_256
; %bb.251:
	v_cvt_f32_f16_e32 v10, v12
	s_mov_b32 s0, 0
	s_mov_b32 s13, 0xc00921fb
	;; [unrolled: 1-line block ×3, first 2 shown]
	v_cvt_f64_f32_e32 v[12:13], v10
	s_mov_b32 s1, 0x7ff00000
	v_bfrev_b32_e32 v10, 1
	s_mov_b32 s14, 0
	v_trunc_f64_e32 v[14:15], v[12:13]
	v_cmp_neq_f64_e64 vcc, |v[12:13]|, s[0:1]
	s_mov_b32 s15, 0x41d00000
                                        ; implicit-def: $vgpr16_vgpr17
	v_add_f64 v[14:15], v[12:13], -v[14:15]
	v_mul_f64 v[14:15], |v[14:15]|, s[12:13]
	v_cndmask_b32_e32 v13, v10, v15, vcc
	v_cndmask_b32_e32 v12, 0, v14, vcc
	v_cmp_nlt_f64_e64 s[14:15], |v[12:13]|, s[14:15]
                                        ; implicit-def: $vgpr10
                                        ; implicit-def: $vgpr14_vgpr15
	s_and_saveexec_b64 s[16:17], s[14:15]
	s_xor_b64 s[14:15], exec, s[16:17]
	s_cbranch_execz .LBB27_253
; %bb.252:
	v_trig_preop_f64 v[14:15], |v[12:13]|, 0
	s_mov_b32 s16, 0
	s_mov_b32 s17, 0x7b000000
	s_movk_i32 s13, 0xff80
	v_ldexp_f64 v[27:28], |v[12:13]|, s13
	v_cmp_ge_f64_e64 vcc, |v[12:13]|, s[16:17]
	v_trig_preop_f64 v[16:17], |v[12:13]|, 1
	v_and_b32_e32 v10, 0x7fffffff, v13
	v_trig_preop_f64 v[35:36], |v[12:13]|, 2
	v_mov_b32_e32 v45, 0
	v_mov_b32_e32 v19, 0x3ff00000
	s_mov_b32 s13, 0x3ff921fb
	v_cndmask_b32_e32 v28, v10, v28, vcc
	v_cndmask_b32_e32 v27, v12, v27, vcc
	v_mov_b32_e32 v10, 0x40100000
	v_mul_f64 v[29:30], v[14:15], v[27:28]
	v_mul_f64 v[31:32], v[16:17], v[27:28]
	;; [unrolled: 1-line block ×3, first 2 shown]
	v_fma_f64 v[14:15], v[14:15], v[27:28], -v[29:30]
	v_fma_f64 v[16:17], v[16:17], v[27:28], -v[31:32]
	;; [unrolled: 1-line block ×3, first 2 shown]
	v_add_f64 v[33:34], v[31:32], v[14:15]
	v_add_f64 v[37:38], v[33:34], -v[31:32]
	v_add_f64 v[43:44], v[29:30], v[33:34]
	v_add_f64 v[39:40], v[33:34], -v[37:38]
	v_add_f64 v[14:15], v[14:15], -v[37:38]
	v_add_f64 v[37:38], v[41:42], v[16:17]
	v_add_f64 v[29:30], v[43:44], -v[29:30]
	v_add_f64 v[31:32], v[31:32], -v[39:40]
	v_ldexp_f64 v[39:40], v[43:44], -2
	v_add_f64 v[47:48], v[37:38], -v[41:42]
	v_add_f64 v[29:30], v[33:34], -v[29:30]
	v_add_f64 v[14:15], v[14:15], v[31:32]
	v_fract_f64_e32 v[31:32], v[39:40]
	v_cmp_neq_f64_e64 vcc, |v[39:40]|, s[0:1]
	v_add_f64 v[16:17], v[16:17], -v[47:48]
	v_add_f64 v[33:34], v[37:38], v[14:15]
	v_ldexp_f64 v[31:32], v[31:32], 2
	v_add_f64 v[39:40], v[29:30], v[33:34]
	v_cndmask_b32_e32 v32, 0, v32, vcc
	v_cndmask_b32_e32 v31, 0, v31, vcc
	v_add_f64 v[49:50], v[33:34], -v[37:38]
	v_add_f64 v[43:44], v[39:40], v[31:32]
	v_add_f64 v[29:30], v[39:40], -v[29:30]
	v_add_f64 v[51:52], v[33:34], -v[49:50]
	;; [unrolled: 1-line block ×3, first 2 shown]
	v_cmp_gt_f64_e32 vcc, 0, v[43:44]
	v_add_f64 v[43:44], v[37:38], -v[47:48]
	v_add_f64 v[29:30], v[33:34], -v[29:30]
	;; [unrolled: 1-line block ×3, first 2 shown]
	v_cndmask_b32_e32 v46, 0, v10, vcc
	v_add_f64 v[31:32], v[31:32], v[45:46]
	v_add_f64 v[43:44], v[41:42], -v[43:44]
	v_add_f64 v[14:15], v[14:15], v[37:38]
	v_add_f64 v[53:54], v[39:40], v[31:32]
	;; [unrolled: 1-line block ×3, first 2 shown]
	v_cvt_i32_f64_e32 v10, v[53:54]
	v_add_f64 v[14:15], v[16:17], v[14:15]
	v_cvt_f64_i32_e32 v[46:47], v10
	v_add_f64 v[31:32], v[31:32], -v[46:47]
	v_add_f64 v[14:15], v[27:28], v[14:15]
	v_add_f64 v[16:17], v[39:40], v[31:32]
	;; [unrolled: 1-line block ×3, first 2 shown]
	v_add_f64 v[27:28], v[16:17], -v[31:32]
	v_cmp_le_f64_e32 vcc, 0.5, v[16:17]
	v_add_f64 v[27:28], v[39:40], -v[27:28]
	v_cndmask_b32_e32 v46, 0, v19, vcc
	v_add_f64 v[16:17], v[16:17], -v[45:46]
	v_addc_co_u32_e64 v10, s[0:1], 0, v10, vcc
	s_mov_b32 s0, 0x33145c07
	s_mov_b32 s1, 0x3c91a626
	v_add_f64 v[14:15], v[14:15], v[27:28]
	v_add_f64 v[27:28], v[16:17], v[14:15]
	v_mul_f64 v[29:30], v[27:28], s[12:13]
	v_add_f64 v[16:17], v[27:28], -v[16:17]
	v_fma_f64 v[31:32], v[27:28], s[12:13], -v[29:30]
	v_add_f64 v[14:15], v[14:15], -v[16:17]
	v_fma_f64 v[16:17], v[27:28], s[0:1], v[31:32]
	v_fma_f64 v[16:17], v[14:15], s[12:13], v[16:17]
	v_add_f64 v[14:15], v[29:30], v[16:17]
	v_add_f64 v[27:28], v[14:15], -v[29:30]
	v_add_f64 v[16:17], v[16:17], -v[27:28]
.LBB27_253:
	s_andn2_saveexec_b64 s[0:1], s[14:15]
	s_cbranch_execz .LBB27_255
; %bb.254:
	s_mov_b32 s12, 0x6dc9c883
	s_mov_b32 s13, 0x3fe45f30
	v_mul_f64 v[14:15], |v[12:13]|, s[12:13]
	s_mov_b32 s12, 0x54442d18
	s_mov_b32 s13, 0xbff921fb
	s_mov_b32 s15, 0xbc91a626
	s_mov_b32 s14, 0x33145c00
	v_rndne_f64_e32 v[27:28], v[14:15]
	v_fma_f64 v[14:15], v[27:28], s[12:13], |v[12:13]|
	v_mul_f64 v[16:17], v[27:28], s[14:15]
	s_mov_b32 s12, 0x252049c0
	s_mov_b32 s13, 0xb97b839a
	v_cvt_i32_f64_e32 v10, v[27:28]
	v_fma_f64 v[33:34], v[27:28], s[14:15], v[14:15]
	v_add_f64 v[29:30], v[14:15], v[16:17]
	s_mov_b32 s15, 0x3c91a626
	v_add_f64 v[31:32], v[14:15], -v[29:30]
	v_add_f64 v[29:30], v[29:30], -v[33:34]
	v_add_f64 v[14:15], v[31:32], v[16:17]
	v_fma_f64 v[16:17], v[27:28], s[14:15], v[16:17]
	v_add_f64 v[14:15], v[29:30], v[14:15]
	v_add_f64 v[14:15], v[14:15], -v[16:17]
	v_fma_f64 v[16:17], v[27:28], s[12:13], v[14:15]
	v_add_f64 v[14:15], v[33:34], v[16:17]
	v_add_f64 v[29:30], v[14:15], -v[33:34]
	v_add_f64 v[16:17], v[16:17], -v[29:30]
.LBB27_255:
	s_or_b64 exec, exec, s[0:1]
	v_mul_f64 v[27:28], v[14:15], v[14:15]
	v_add_f64 v[29:30], v[16:17], v[16:17]
	s_mov_b32 s0, 0xc751c08c
	s_mov_b32 s1, 0x3ef5e089
	v_and_b32_e32 v10, 1, v10
	v_cmp_eq_u32_e32 vcc, 0, v10
	v_and_b32_e32 v19, 0x80000000, v13
	s_mov_b32 s14, 0x54442d18
	v_fma_f64 v[31:32], v[14:15], v[14:15], -v[27:28]
	s_mov_b32 s15, 0xc00921fb
	s_mov_b64 s[12:13], exec
	v_sub_f32_e32 v8, 1.0, v8
	v_fma_f64 v[29:30], v[14:15], v[29:30], v[31:32]
	v_add_f64 v[27:28], v[27:28], v[29:30]
	v_mov_b32_e32 v29, 0xa9a29f71
	v_mov_b32_e32 v30, 0xbf078809
	v_fma_f64 v[29:30], v[27:28], s[0:1], v[29:30]
	s_mov_b32 s0, 0x90a8aae0
	s_mov_b32 s1, 0x3f17746f
	v_fma_f64 v[29:30], v[27:28], v[29:30], s[0:1]
	s_mov_b32 s0, 0xa6fbf144
	s_mov_b32 s1, 0xbefbb44d
	;; [unrolled: 3-line block ×12, first 2 shown]
	v_fma_f64 v[29:30], v[27:28], v[29:30], s[0:1]
	s_movk_i32 s0, 0x1f8
	v_cmp_class_f64_e64 s[0:1], v[12:13], s0
	v_mov_b32_e32 v13, 0x7ff80000
	v_mul_f64 v[27:28], v[27:28], v[29:30]
	v_mul_f64 v[29:30], v[14:15], v[27:28]
	v_add_f64 v[31:32], v[14:15], v[29:30]
	v_fma_f64 v[27:28], v[14:15], v[27:28], -v[29:30]
	v_add_f64 v[14:15], v[31:32], -v[14:15]
	v_add_f64 v[16:17], v[16:17], v[27:28]
	v_add_f64 v[14:15], v[29:30], -v[14:15]
	v_add_f64 v[14:15], v[16:17], v[14:15]
	v_add_f64 v[16:17], v[31:32], v[14:15]
	v_rcp_f64_e32 v[27:28], v[16:17]
	v_fma_f64 v[29:30], -v[16:17], v[27:28], 1.0
	v_fma_f64 v[27:28], v[29:30], v[27:28], v[27:28]
	v_fma_f64 v[29:30], -v[16:17], v[27:28], 1.0
	v_fma_f64 v[27:28], v[29:30], v[27:28], v[27:28]
	v_add_f64 v[29:30], v[16:17], -v[31:32]
	v_mul_f64 v[31:32], v[16:17], v[27:28]
	v_add_f64 v[14:15], v[14:15], -v[29:30]
	v_fma_f64 v[29:30], v[27:28], v[16:17], -v[31:32]
	v_fma_f64 v[14:15], v[27:28], v[14:15], v[29:30]
	v_add_f64 v[29:30], v[31:32], v[14:15]
	v_add_f64 v[33:34], -v[29:30], 1.0
	v_add_f64 v[31:32], v[29:30], -v[31:32]
	v_add_f64 v[35:36], -v[33:34], 1.0
	v_add_f64 v[14:15], v[31:32], -v[14:15]
	v_add_f64 v[29:30], v[35:36], -v[29:30]
	v_add_f64 v[14:15], v[14:15], v[29:30]
	v_add_f64 v[14:15], v[33:34], v[14:15]
	v_mul_f64 v[14:15], v[27:28], v[14:15]
	v_add_f64 v[14:15], v[27:28], v[14:15]
	v_xor_b32_e32 v12, 0x80000000, v15
	v_cndmask_b32_e32 v10, v14, v16, vcc
	v_cndmask_b32_e32 v14, v12, v17, vcc
	v_cndmask_b32_e64 v12, 0, v10, s[0:1]
	v_xor_b32_e32 v10, v14, v19
	v_cndmask_b32_e64 v13, v13, v10, s[0:1]
	v_div_scale_f64 v[14:15], s[0:1], v[12:13], v[12:13], s[14:15]
	v_div_scale_f64 v[29:30], vcc, s[14:15], v[12:13], s[14:15]
	v_rcp_f64_e32 v[16:17], v[14:15]
	v_fma_f64 v[27:28], -v[14:15], v[16:17], 1.0
	v_fma_f64 v[16:17], v[16:17], v[27:28], v[16:17]
	v_fma_f64 v[27:28], -v[14:15], v[16:17], 1.0
	v_fma_f64 v[16:17], v[16:17], v[27:28], v[16:17]
	v_mul_f64 v[27:28], v[29:30], v[16:17]
	v_fma_f64 v[14:15], -v[14:15], v[27:28], v[29:30]
	v_div_fmas_f64 v[14:15], v[14:15], v[16:17], v[27:28]
	v_div_fixup_f64 v[12:13], v[14:15], v[12:13], s[14:15]
	v_cvt_f32_f64_e32 v10, v[12:13]
.LBB27_256:
	s_or_b64 exec, exec, s[10:11]
	s_orn2_b64 s[0:1], s[12:13], exec
.LBB27_257:
	s_or_b64 exec, exec, s[8:9]
	v_mov_b32_e32 v16, 0x7e00
	s_and_saveexec_b64 s[8:9], s[0:1]
	s_cbranch_execz .LBB27_269
; %bb.258:
	s_mov_b32 s12, 0x41200000
	v_cmp_gt_f32_e32 vcc, s12, v8
	s_and_saveexec_b64 s[0:1], vcc
	s_cbranch_execz .LBB27_262
; %bb.259:
	s_mov_b64 s[10:11], 0
.LBB27_260:                             ; =>This Inner Loop Header: Depth=1
	v_div_scale_f32 v12, s[14:15], v8, v8, 1.0
	v_div_scale_f32 v13, vcc, 1.0, v8, 1.0
	v_rcp_f32_e32 v14, v12
	v_fma_f32 v15, -v12, v14, 1.0
	v_fmac_f32_e32 v14, v15, v14
	v_mul_f32_e32 v15, v13, v14
	v_fma_f32 v16, -v12, v15, v13
	v_fmac_f32_e32 v15, v16, v14
	v_fma_f32 v12, -v12, v15, v13
	v_div_fmas_f32 v12, v12, v14, v15
	v_div_fixup_f32 v12, v12, v8, 1.0
	v_add_f32_e32 v8, 1.0, v8
	v_cmp_ngt_f32_e32 vcc, s12, v8
	s_or_b64 s[10:11], vcc, s[10:11]
	v_sub_f32_e32 v10, v10, v12
	s_andn2_b64 exec, exec, s[10:11]
	s_cbranch_execnz .LBB27_260
; %bb.261:
	s_or_b64 exec, exec, s[10:11]
.LBB27_262:
	s_or_b64 exec, exec, s[0:1]
	s_mov_b32 s0, 0x41200000
	v_cmp_neq_f32_e32 vcc, s0, v8
                                        ; implicit-def: $vgpr16
	s_and_saveexec_b64 s[0:1], vcc
	s_xor_b64 s[10:11], exec, s[0:1]
	s_cbranch_execz .LBB27_266
; %bb.263:
	v_cvt_f64_f32_e32 v[12:13], v8
	s_mov_b32 s0, 0x85d8a000
	s_mov_b32 s1, 0x43763457
	v_cmp_gt_f64_e32 vcc, s[0:1], v[12:13]
	v_mov_b32_e32 v12, 0
	s_and_saveexec_b64 s[0:1], vcc
	s_cbranch_execz .LBB27_265
; %bb.264:
	v_mul_f32_e32 v12, v8, v8
	v_div_scale_f32 v13, s[12:13], v12, v12, 1.0
	v_div_scale_f32 v14, vcc, 1.0, v12, 1.0
	v_mov_b32_e32 v19, 0x3b820821
	v_rcp_f32_e32 v15, v13
	v_fma_f32 v16, -v13, v15, 1.0
	v_fmac_f32_e32 v15, v16, v15
	v_mul_f32_e32 v16, v14, v15
	v_fma_f32 v17, -v13, v16, v14
	v_fmac_f32_e32 v16, v17, v15
	v_fma_f32 v13, -v13, v16, v14
	v_div_fmas_f32 v13, v13, v15, v16
	v_mov_b32_e32 v14, 0x3daaaaab
	v_mov_b32_e32 v15, 0xbcaccacd
	;; [unrolled: 1-line block ×4, first 2 shown]
	v_div_fixup_f32 v12, v13, v12, 1.0
	v_fma_f32 v13, 0, v12, v14
	v_fmac_f32_e32 v15, v12, v13
	v_fmac_f32_e32 v16, v12, v15
	;; [unrolled: 1-line block ×4, first 2 shown]
	v_mov_b32_e32 v13, 0xbc088889
	v_fmac_f32_e32 v13, v12, v19
	v_fmac_f32_e32 v14, v12, v13
	v_mul_f32_e32 v12, v12, v14
.LBB27_265:
	s_or_b64 exec, exec, s[0:1]
	v_div_scale_f32 v13, s[0:1], v8, v8, -0.5
	v_div_scale_f32 v14, vcc, -0.5, v8, -0.5
	s_mov_b32 s0, 0x800000
	v_cmp_gt_f32_e64 s[0:1], s0, v8
	v_cndmask_b32_e64 v16, 0, 32, s[0:1]
	s_mov_b32 s12, 0x3f317217
	v_rcp_f32_e32 v15, v13
	v_fma_f32 v17, -v13, v15, 1.0
	v_fmac_f32_e32 v15, v17, v15
	v_mul_f32_e32 v17, v14, v15
	v_fma_f32 v19, -v13, v17, v14
	v_fmac_f32_e32 v17, v19, v15
	v_fma_f32 v13, -v13, v17, v14
	v_div_fmas_f32 v13, v13, v15, v17
	v_ldexp_f32 v14, v8, v16
	v_log_f32_e32 v14, v14
	v_mul_f32_e32 v15, 0x3f317217, v14
	v_fma_f32 v15, v14, s12, -v15
	v_fmac_f32_e32 v15, 0x3377d1cf, v14
	s_mov_b32 s12, 0x7f800000
	v_fmac_f32_e32 v15, 0x3f317217, v14
	v_cmp_lt_f32_e64 vcc, |v14|, s12
	v_cndmask_b32_e32 v14, v14, v15, vcc
	v_mov_b32_e32 v15, 0x41b17218
	v_cndmask_b32_e64 v15, 0, v15, s[0:1]
	v_sub_f32_e32 v14, v14, v15
	v_div_fixup_f32 v8, v13, v8, -0.5
	v_add_f32_e32 v8, v14, v8
	v_sub_f32_e32 v8, v8, v12
	v_add_f32_e32 v8, v10, v8
	v_cvt_f16_f32_e32 v16, v8
                                        ; implicit-def: $vgpr10
.LBB27_266:
	s_andn2_saveexec_b64 s[0:1], s[10:11]
; %bb.267:
	v_add_f32_e32 v8, 0x40101cb7, v10
	v_cvt_f16_f32_e32 v16, v8
; %bb.268:
	s_or_b64 exec, exec, s[0:1]
.LBB27_269:
	s_or_b64 exec, exec, s[8:9]
                                        ; implicit-def: $vgpr8
.LBB27_270:
	s_andn2_saveexec_b64 s[0:1], s[2:3]
; %bb.271:
	v_xor_b32_e32 v8, 0x80000000, v8
	v_lshrrev_b32_e32 v8, 16, v8
	s_movk_i32 s2, 0x7fff
	v_mov_b32_e32 v10, 0x7c00
	v_bfi_b32 v16, s2, v10, v8
; %bb.272:
	s_or_b64 exec, exec, s[0:1]
	global_load_ushort v11, v11, s[6:7]
                                        ; implicit-def: $vgpr14
	s_waitcnt vmcnt(0)
	v_cvt_f32_f16_e32 v8, v11
	v_cmp_neq_f16_e32 vcc, 0, v11
	s_and_saveexec_b64 s[0:1], vcc
	s_xor_b64 s[2:3], exec, s[0:1]
	s_cbranch_execz .LBB27_294
; %bb.273:
	v_cmp_gt_f16_e32 vcc, 0, v11
	s_mov_b64 s[0:1], -1
	v_mov_b32_e32 v10, 0
	s_and_saveexec_b64 s[8:9], vcc
	s_cbranch_execz .LBB27_281
; %bb.274:
	v_trunc_f32_e32 v10, v8
	v_cmp_neq_f32_e32 vcc, v10, v8
	s_mov_b64 s[12:13], 0
	v_mov_b32_e32 v10, 0
	s_and_saveexec_b64 s[10:11], vcc
	s_cbranch_execz .LBB27_280
; %bb.275:
	v_cvt_f32_f16_e32 v10, v11
	s_mov_b32 s0, 0
	s_mov_b32 s13, 0xc00921fb
	;; [unrolled: 1-line block ×3, first 2 shown]
	v_cvt_f64_f32_e32 v[10:11], v10
	s_mov_b32 s1, 0x7ff00000
	v_bfrev_b32_e32 v14, 1
	s_mov_b32 s14, 0
	v_trunc_f64_e32 v[12:13], v[10:11]
	v_cmp_neq_f64_e64 vcc, |v[10:11]|, s[0:1]
	s_mov_b32 s15, 0x41d00000
                                        ; implicit-def: $vgpr17
	v_add_f64 v[12:13], v[10:11], -v[12:13]
	v_mul_f64 v[12:13], |v[12:13]|, s[12:13]
	v_cndmask_b32_e32 v11, v14, v13, vcc
	v_cndmask_b32_e32 v10, 0, v12, vcc
	v_cmp_nlt_f64_e64 s[14:15], |v[10:11]|, s[14:15]
                                        ; implicit-def: $vgpr12_vgpr13
                                        ; implicit-def: $vgpr14_vgpr15
	s_and_saveexec_b64 s[16:17], s[14:15]
	s_xor_b64 s[14:15], exec, s[16:17]
	s_cbranch_execz .LBB27_277
; %bb.276:
	v_trig_preop_f64 v[12:13], |v[10:11]|, 0
	s_mov_b32 s16, 0
	s_mov_b32 s17, 0x7b000000
	s_movk_i32 s13, 0xff80
	v_ldexp_f64 v[27:28], |v[10:11]|, s13
	v_cmp_ge_f64_e64 vcc, |v[10:11]|, s[16:17]
	v_trig_preop_f64 v[14:15], |v[10:11]|, 1
	v_and_b32_e32 v17, 0x7fffffff, v11
	v_trig_preop_f64 v[35:36], |v[10:11]|, 2
	v_mov_b32_e32 v45, 0
	v_mov_b32_e32 v19, 0x3ff00000
	s_mov_b32 s13, 0x3ff921fb
	v_cndmask_b32_e32 v28, v17, v28, vcc
	v_cndmask_b32_e32 v27, v10, v27, vcc
	v_mov_b32_e32 v17, 0x40100000
	v_mul_f64 v[29:30], v[12:13], v[27:28]
	v_mul_f64 v[31:32], v[14:15], v[27:28]
	;; [unrolled: 1-line block ×3, first 2 shown]
	v_fma_f64 v[12:13], v[12:13], v[27:28], -v[29:30]
	v_fma_f64 v[14:15], v[14:15], v[27:28], -v[31:32]
	v_fma_f64 v[27:28], v[35:36], v[27:28], -v[41:42]
	v_add_f64 v[33:34], v[31:32], v[12:13]
	v_add_f64 v[37:38], v[33:34], -v[31:32]
	v_add_f64 v[43:44], v[29:30], v[33:34]
	v_add_f64 v[39:40], v[33:34], -v[37:38]
	v_add_f64 v[12:13], v[12:13], -v[37:38]
	v_add_f64 v[37:38], v[41:42], v[14:15]
	v_add_f64 v[29:30], v[43:44], -v[29:30]
	v_add_f64 v[31:32], v[31:32], -v[39:40]
	v_ldexp_f64 v[39:40], v[43:44], -2
	v_add_f64 v[47:48], v[37:38], -v[41:42]
	v_add_f64 v[29:30], v[33:34], -v[29:30]
	v_add_f64 v[12:13], v[12:13], v[31:32]
	v_fract_f64_e32 v[31:32], v[39:40]
	v_cmp_neq_f64_e64 vcc, |v[39:40]|, s[0:1]
	v_add_f64 v[14:15], v[14:15], -v[47:48]
	v_add_f64 v[33:34], v[37:38], v[12:13]
	v_ldexp_f64 v[31:32], v[31:32], 2
	v_add_f64 v[39:40], v[29:30], v[33:34]
	v_cndmask_b32_e32 v32, 0, v32, vcc
	v_cndmask_b32_e32 v31, 0, v31, vcc
	v_add_f64 v[49:50], v[33:34], -v[37:38]
	v_add_f64 v[43:44], v[39:40], v[31:32]
	v_add_f64 v[29:30], v[39:40], -v[29:30]
	v_add_f64 v[51:52], v[33:34], -v[49:50]
	;; [unrolled: 1-line block ×3, first 2 shown]
	v_cmp_gt_f64_e32 vcc, 0, v[43:44]
	v_add_f64 v[43:44], v[37:38], -v[47:48]
	v_add_f64 v[29:30], v[33:34], -v[29:30]
	;; [unrolled: 1-line block ×3, first 2 shown]
	v_cndmask_b32_e32 v46, 0, v17, vcc
	v_add_f64 v[31:32], v[31:32], v[45:46]
	v_add_f64 v[43:44], v[41:42], -v[43:44]
	v_add_f64 v[12:13], v[12:13], v[37:38]
	v_add_f64 v[53:54], v[39:40], v[31:32]
	;; [unrolled: 1-line block ×3, first 2 shown]
	v_cvt_i32_f64_e32 v17, v[53:54]
	v_add_f64 v[12:13], v[14:15], v[12:13]
	v_cvt_f64_i32_e32 v[46:47], v17
	v_add_f64 v[31:32], v[31:32], -v[46:47]
	v_add_f64 v[12:13], v[27:28], v[12:13]
	v_add_f64 v[14:15], v[39:40], v[31:32]
	;; [unrolled: 1-line block ×3, first 2 shown]
	v_add_f64 v[27:28], v[14:15], -v[31:32]
	v_cmp_le_f64_e32 vcc, 0.5, v[14:15]
	v_add_f64 v[27:28], v[39:40], -v[27:28]
	v_cndmask_b32_e32 v46, 0, v19, vcc
	v_add_f64 v[14:15], v[14:15], -v[45:46]
	v_addc_co_u32_e64 v17, s[0:1], 0, v17, vcc
	s_mov_b32 s0, 0x33145c07
	s_mov_b32 s1, 0x3c91a626
	v_add_f64 v[12:13], v[12:13], v[27:28]
	v_add_f64 v[27:28], v[14:15], v[12:13]
	v_mul_f64 v[29:30], v[27:28], s[12:13]
	v_add_f64 v[14:15], v[27:28], -v[14:15]
	v_fma_f64 v[31:32], v[27:28], s[12:13], -v[29:30]
	v_add_f64 v[12:13], v[12:13], -v[14:15]
	v_fma_f64 v[14:15], v[27:28], s[0:1], v[31:32]
	v_fma_f64 v[14:15], v[12:13], s[12:13], v[14:15]
	v_add_f64 v[12:13], v[29:30], v[14:15]
	v_add_f64 v[27:28], v[12:13], -v[29:30]
	v_add_f64 v[14:15], v[14:15], -v[27:28]
.LBB27_277:
	s_andn2_saveexec_b64 s[0:1], s[14:15]
	s_cbranch_execz .LBB27_279
; %bb.278:
	s_mov_b32 s12, 0x6dc9c883
	s_mov_b32 s13, 0x3fe45f30
	v_mul_f64 v[12:13], |v[10:11]|, s[12:13]
	s_mov_b32 s12, 0x54442d18
	s_mov_b32 s13, 0xbff921fb
	;; [unrolled: 1-line block ×4, first 2 shown]
	v_rndne_f64_e32 v[27:28], v[12:13]
	v_fma_f64 v[12:13], v[27:28], s[12:13], |v[10:11]|
	v_mul_f64 v[14:15], v[27:28], s[14:15]
	s_mov_b32 s12, 0x252049c0
	s_mov_b32 s13, 0xb97b839a
	v_cvt_i32_f64_e32 v17, v[27:28]
	v_fma_f64 v[33:34], v[27:28], s[14:15], v[12:13]
	v_add_f64 v[29:30], v[12:13], v[14:15]
	s_mov_b32 s15, 0x3c91a626
	v_add_f64 v[31:32], v[12:13], -v[29:30]
	v_add_f64 v[29:30], v[29:30], -v[33:34]
	v_add_f64 v[12:13], v[31:32], v[14:15]
	v_fma_f64 v[14:15], v[27:28], s[14:15], v[14:15]
	v_add_f64 v[12:13], v[29:30], v[12:13]
	v_add_f64 v[12:13], v[12:13], -v[14:15]
	v_fma_f64 v[14:15], v[27:28], s[12:13], v[12:13]
	v_add_f64 v[12:13], v[33:34], v[14:15]
	v_add_f64 v[29:30], v[12:13], -v[33:34]
	v_add_f64 v[14:15], v[14:15], -v[29:30]
.LBB27_279:
	s_or_b64 exec, exec, s[0:1]
	v_mul_f64 v[27:28], v[12:13], v[12:13]
	v_add_f64 v[29:30], v[14:15], v[14:15]
	s_mov_b32 s0, 0xc751c08c
	s_mov_b32 s1, 0x3ef5e089
	v_and_b32_e32 v17, 1, v17
	v_cmp_eq_u32_e32 vcc, 0, v17
	v_and_b32_e32 v19, 0x80000000, v11
	s_mov_b32 s14, 0x54442d18
	v_fma_f64 v[31:32], v[12:13], v[12:13], -v[27:28]
	s_mov_b32 s15, 0xc00921fb
	s_mov_b64 s[12:13], exec
	v_sub_f32_e32 v8, 1.0, v8
	v_fma_f64 v[29:30], v[12:13], v[29:30], v[31:32]
	v_add_f64 v[27:28], v[27:28], v[29:30]
	v_mov_b32_e32 v29, 0xa9a29f71
	v_mov_b32_e32 v30, 0xbf078809
	v_fma_f64 v[29:30], v[27:28], s[0:1], v[29:30]
	s_mov_b32 s0, 0x90a8aae0
	s_mov_b32 s1, 0x3f17746f
	v_fma_f64 v[29:30], v[27:28], v[29:30], s[0:1]
	s_mov_b32 s0, 0xa6fbf144
	s_mov_b32 s1, 0xbefbb44d
	;; [unrolled: 3-line block ×12, first 2 shown]
	v_fma_f64 v[29:30], v[27:28], v[29:30], s[0:1]
	s_movk_i32 s0, 0x1f8
	v_cmp_class_f64_e64 s[0:1], v[10:11], s0
	v_mov_b32_e32 v11, 0x7ff80000
	v_mul_f64 v[27:28], v[27:28], v[29:30]
	v_mul_f64 v[29:30], v[12:13], v[27:28]
	v_add_f64 v[31:32], v[12:13], v[29:30]
	v_fma_f64 v[27:28], v[12:13], v[27:28], -v[29:30]
	v_add_f64 v[12:13], v[31:32], -v[12:13]
	v_add_f64 v[14:15], v[14:15], v[27:28]
	v_add_f64 v[12:13], v[29:30], -v[12:13]
	v_add_f64 v[12:13], v[14:15], v[12:13]
	v_add_f64 v[14:15], v[31:32], v[12:13]
	v_rcp_f64_e32 v[27:28], v[14:15]
	v_fma_f64 v[29:30], -v[14:15], v[27:28], 1.0
	v_fma_f64 v[27:28], v[29:30], v[27:28], v[27:28]
	v_fma_f64 v[29:30], -v[14:15], v[27:28], 1.0
	v_fma_f64 v[27:28], v[29:30], v[27:28], v[27:28]
	v_add_f64 v[29:30], v[14:15], -v[31:32]
	v_mul_f64 v[31:32], v[14:15], v[27:28]
	v_add_f64 v[12:13], v[12:13], -v[29:30]
	v_fma_f64 v[29:30], v[27:28], v[14:15], -v[31:32]
	v_fma_f64 v[12:13], v[27:28], v[12:13], v[29:30]
	v_add_f64 v[29:30], v[31:32], v[12:13]
	v_add_f64 v[33:34], -v[29:30], 1.0
	v_add_f64 v[31:32], v[29:30], -v[31:32]
	v_add_f64 v[35:36], -v[33:34], 1.0
	v_add_f64 v[12:13], v[31:32], -v[12:13]
	v_add_f64 v[29:30], v[35:36], -v[29:30]
	v_add_f64 v[12:13], v[12:13], v[29:30]
	v_add_f64 v[12:13], v[33:34], v[12:13]
	v_mul_f64 v[12:13], v[27:28], v[12:13]
	v_add_f64 v[12:13], v[27:28], v[12:13]
	v_xor_b32_e32 v10, 0x80000000, v13
	v_cndmask_b32_e32 v12, v12, v14, vcc
	v_cndmask_b32_e32 v13, v10, v15, vcc
	v_cndmask_b32_e64 v10, 0, v12, s[0:1]
	v_xor_b32_e32 v12, v13, v19
	v_cndmask_b32_e64 v11, v11, v12, s[0:1]
	v_div_scale_f64 v[12:13], s[0:1], v[10:11], v[10:11], s[14:15]
	v_div_scale_f64 v[29:30], vcc, s[14:15], v[10:11], s[14:15]
	v_rcp_f64_e32 v[14:15], v[12:13]
	v_fma_f64 v[27:28], -v[12:13], v[14:15], 1.0
	v_fma_f64 v[14:15], v[14:15], v[27:28], v[14:15]
	v_fma_f64 v[27:28], -v[12:13], v[14:15], 1.0
	v_fma_f64 v[14:15], v[14:15], v[27:28], v[14:15]
	v_mul_f64 v[27:28], v[29:30], v[14:15]
	v_fma_f64 v[12:13], -v[12:13], v[27:28], v[29:30]
	v_div_fmas_f64 v[12:13], v[12:13], v[14:15], v[27:28]
	v_div_fixup_f64 v[10:11], v[12:13], v[10:11], s[14:15]
	v_cvt_f32_f64_e32 v10, v[10:11]
.LBB27_280:
	s_or_b64 exec, exec, s[10:11]
	s_orn2_b64 s[0:1], s[12:13], exec
.LBB27_281:
	s_or_b64 exec, exec, s[8:9]
	v_mov_b32_e32 v14, 0x7e00
	s_and_saveexec_b64 s[8:9], s[0:1]
	s_cbranch_execz .LBB27_293
; %bb.282:
	s_mov_b32 s12, 0x41200000
	v_cmp_gt_f32_e32 vcc, s12, v8
	s_and_saveexec_b64 s[0:1], vcc
	s_cbranch_execz .LBB27_286
; %bb.283:
	s_mov_b64 s[10:11], 0
.LBB27_284:                             ; =>This Inner Loop Header: Depth=1
	v_div_scale_f32 v11, s[14:15], v8, v8, 1.0
	v_div_scale_f32 v12, vcc, 1.0, v8, 1.0
	v_rcp_f32_e32 v13, v11
	v_fma_f32 v14, -v11, v13, 1.0
	v_fmac_f32_e32 v13, v14, v13
	v_mul_f32_e32 v14, v12, v13
	v_fma_f32 v15, -v11, v14, v12
	v_fmac_f32_e32 v14, v15, v13
	v_fma_f32 v11, -v11, v14, v12
	v_div_fmas_f32 v11, v11, v13, v14
	v_div_fixup_f32 v11, v11, v8, 1.0
	v_add_f32_e32 v8, 1.0, v8
	v_cmp_ngt_f32_e32 vcc, s12, v8
	s_or_b64 s[10:11], vcc, s[10:11]
	v_sub_f32_e32 v10, v10, v11
	s_andn2_b64 exec, exec, s[10:11]
	s_cbranch_execnz .LBB27_284
; %bb.285:
	s_or_b64 exec, exec, s[10:11]
.LBB27_286:
	s_or_b64 exec, exec, s[0:1]
	s_mov_b32 s0, 0x41200000
	v_cmp_neq_f32_e32 vcc, s0, v8
                                        ; implicit-def: $vgpr14
	s_and_saveexec_b64 s[0:1], vcc
	s_xor_b64 s[10:11], exec, s[0:1]
	s_cbranch_execz .LBB27_290
; %bb.287:
	v_cvt_f64_f32_e32 v[11:12], v8
	s_mov_b32 s0, 0x85d8a000
	s_mov_b32 s1, 0x43763457
	v_cmp_gt_f64_e32 vcc, s[0:1], v[11:12]
	v_mov_b32_e32 v11, 0
	s_and_saveexec_b64 s[0:1], vcc
	s_cbranch_execz .LBB27_289
; %bb.288:
	v_mul_f32_e32 v11, v8, v8
	v_div_scale_f32 v12, s[12:13], v11, v11, 1.0
	v_div_scale_f32 v13, vcc, 1.0, v11, 1.0
	v_mov_b32_e32 v19, 0x3b820821
	v_rcp_f32_e32 v14, v12
	v_fma_f32 v15, -v12, v14, 1.0
	v_fmac_f32_e32 v14, v15, v14
	v_mul_f32_e32 v15, v13, v14
	v_fma_f32 v17, -v12, v15, v13
	v_fmac_f32_e32 v15, v17, v14
	v_fma_f32 v12, -v12, v15, v13
	v_div_fmas_f32 v12, v12, v14, v15
	v_mov_b32_e32 v13, 0x3daaaaab
	v_mov_b32_e32 v14, 0xbcaccacd
	;; [unrolled: 1-line block ×4, first 2 shown]
	v_div_fixup_f32 v11, v12, v11, 1.0
	v_fma_f32 v12, 0, v11, v13
	v_fmac_f32_e32 v14, v11, v12
	v_fmac_f32_e32 v15, v11, v14
	;; [unrolled: 1-line block ×4, first 2 shown]
	v_mov_b32_e32 v12, 0xbc088889
	v_fmac_f32_e32 v12, v11, v19
	v_fmac_f32_e32 v13, v11, v12
	v_mul_f32_e32 v11, v11, v13
.LBB27_289:
	s_or_b64 exec, exec, s[0:1]
	v_div_scale_f32 v12, s[0:1], v8, v8, -0.5
	v_div_scale_f32 v13, vcc, -0.5, v8, -0.5
	s_mov_b32 s0, 0x800000
	v_cmp_gt_f32_e64 s[0:1], s0, v8
	v_cndmask_b32_e64 v15, 0, 32, s[0:1]
	s_mov_b32 s12, 0x3f317217
	v_rcp_f32_e32 v14, v12
	v_fma_f32 v17, -v12, v14, 1.0
	v_fmac_f32_e32 v14, v17, v14
	v_mul_f32_e32 v17, v13, v14
	v_fma_f32 v19, -v12, v17, v13
	v_fmac_f32_e32 v17, v19, v14
	v_fma_f32 v12, -v12, v17, v13
	v_div_fmas_f32 v12, v12, v14, v17
	v_ldexp_f32 v13, v8, v15
	v_log_f32_e32 v13, v13
	v_mul_f32_e32 v14, 0x3f317217, v13
	v_fma_f32 v14, v13, s12, -v14
	v_fmac_f32_e32 v14, 0x3377d1cf, v13
	s_mov_b32 s12, 0x7f800000
	v_fmac_f32_e32 v14, 0x3f317217, v13
	v_cmp_lt_f32_e64 vcc, |v13|, s12
	v_cndmask_b32_e32 v13, v13, v14, vcc
	v_mov_b32_e32 v14, 0x41b17218
	v_cndmask_b32_e64 v14, 0, v14, s[0:1]
	v_sub_f32_e32 v13, v13, v14
	v_div_fixup_f32 v8, v12, v8, -0.5
	v_add_f32_e32 v8, v13, v8
	v_sub_f32_e32 v8, v8, v11
	v_add_f32_e32 v8, v10, v8
	v_cvt_f16_f32_e32 v14, v8
                                        ; implicit-def: $vgpr10
.LBB27_290:
	s_andn2_saveexec_b64 s[0:1], s[10:11]
; %bb.291:
	v_add_f32_e32 v8, 0x40101cb7, v10
	v_cvt_f16_f32_e32 v14, v8
; %bb.292:
	s_or_b64 exec, exec, s[0:1]
.LBB27_293:
	s_or_b64 exec, exec, s[8:9]
                                        ; implicit-def: $vgpr8
.LBB27_294:
	s_andn2_saveexec_b64 s[0:1], s[2:3]
; %bb.295:
	v_xor_b32_e32 v8, 0x80000000, v8
	v_lshrrev_b32_e32 v8, 16, v8
	s_movk_i32 s2, 0x7fff
	v_mov_b32_e32 v10, 0x7c00
	v_bfi_b32 v14, s2, v10, v8
; %bb.296:
	s_or_b64 exec, exec, s[0:1]
	global_load_ushort v10, v9, s[6:7]
                                        ; implicit-def: $vgpr9
	s_waitcnt vmcnt(0)
	v_cvt_f32_f16_e32 v15, v10
	v_cmp_neq_f16_e32 vcc, 0, v10
	s_and_saveexec_b64 s[0:1], vcc
	s_xor_b64 s[2:3], exec, s[0:1]
	s_cbranch_execz .LBB27_318
; %bb.297:
	v_cmp_gt_f16_e32 vcc, 0, v10
	s_mov_b64 s[0:1], -1
	v_mov_b32_e32 v8, 0
	s_and_saveexec_b64 s[6:7], vcc
	s_cbranch_execz .LBB27_305
; %bb.298:
	v_trunc_f32_e32 v8, v15
	v_cmp_neq_f32_e32 vcc, v8, v15
	s_mov_b64 s[10:11], 0
	v_mov_b32_e32 v8, 0
	s_and_saveexec_b64 s[8:9], vcc
	s_cbranch_execz .LBB27_304
; %bb.299:
	v_cvt_f32_f16_e32 v8, v10
	s_mov_b32 s0, 0
	s_mov_b32 s11, 0xc00921fb
	;; [unrolled: 1-line block ×3, first 2 shown]
	v_cvt_f64_f32_e32 v[8:9], v8
	s_mov_b32 s1, 0x7ff00000
	v_bfrev_b32_e32 v12, 1
	s_mov_b32 s12, 0
	v_trunc_f64_e32 v[10:11], v[8:9]
	v_cmp_neq_f64_e64 vcc, |v[8:9]|, s[0:1]
	s_mov_b32 s13, 0x41d00000
                                        ; implicit-def: $vgpr17
	v_add_f64 v[10:11], v[8:9], -v[10:11]
	v_mul_f64 v[10:11], |v[10:11]|, s[10:11]
	v_cndmask_b32_e32 v9, v12, v11, vcc
	v_cndmask_b32_e32 v8, 0, v10, vcc
	v_cmp_nlt_f64_e64 s[12:13], |v[8:9]|, s[12:13]
                                        ; implicit-def: $vgpr10_vgpr11
                                        ; implicit-def: $vgpr12_vgpr13
	s_and_saveexec_b64 s[14:15], s[12:13]
	s_xor_b64 s[12:13], exec, s[14:15]
	s_cbranch_execz .LBB27_301
; %bb.300:
	v_trig_preop_f64 v[10:11], |v[8:9]|, 0
	s_mov_b32 s14, 0
	s_mov_b32 s15, 0x7b000000
	s_movk_i32 s11, 0xff80
	v_ldexp_f64 v[27:28], |v[8:9]|, s11
	v_cmp_ge_f64_e64 vcc, |v[8:9]|, s[14:15]
	v_trig_preop_f64 v[12:13], |v[8:9]|, 1
	v_and_b32_e32 v17, 0x7fffffff, v9
	v_trig_preop_f64 v[35:36], |v[8:9]|, 2
	v_mov_b32_e32 v45, 0
	v_mov_b32_e32 v19, 0x3ff00000
	s_mov_b32 s11, 0x3ff921fb
	v_cndmask_b32_e32 v28, v17, v28, vcc
	v_cndmask_b32_e32 v27, v8, v27, vcc
	v_mov_b32_e32 v17, 0x40100000
	v_mul_f64 v[29:30], v[10:11], v[27:28]
	v_mul_f64 v[31:32], v[12:13], v[27:28]
	;; [unrolled: 1-line block ×3, first 2 shown]
	v_fma_f64 v[10:11], v[10:11], v[27:28], -v[29:30]
	v_fma_f64 v[12:13], v[12:13], v[27:28], -v[31:32]
	;; [unrolled: 1-line block ×3, first 2 shown]
	v_add_f64 v[33:34], v[31:32], v[10:11]
	v_add_f64 v[37:38], v[33:34], -v[31:32]
	v_add_f64 v[43:44], v[29:30], v[33:34]
	v_add_f64 v[39:40], v[33:34], -v[37:38]
	v_add_f64 v[10:11], v[10:11], -v[37:38]
	v_add_f64 v[37:38], v[41:42], v[12:13]
	v_add_f64 v[29:30], v[43:44], -v[29:30]
	v_add_f64 v[31:32], v[31:32], -v[39:40]
	v_ldexp_f64 v[39:40], v[43:44], -2
	v_add_f64 v[47:48], v[37:38], -v[41:42]
	v_add_f64 v[29:30], v[33:34], -v[29:30]
	v_add_f64 v[10:11], v[10:11], v[31:32]
	v_fract_f64_e32 v[31:32], v[39:40]
	v_cmp_neq_f64_e64 vcc, |v[39:40]|, s[0:1]
	v_add_f64 v[12:13], v[12:13], -v[47:48]
	v_add_f64 v[33:34], v[37:38], v[10:11]
	v_ldexp_f64 v[31:32], v[31:32], 2
	v_add_f64 v[39:40], v[29:30], v[33:34]
	v_cndmask_b32_e32 v32, 0, v32, vcc
	v_cndmask_b32_e32 v31, 0, v31, vcc
	v_add_f64 v[49:50], v[33:34], -v[37:38]
	v_add_f64 v[43:44], v[39:40], v[31:32]
	v_add_f64 v[29:30], v[39:40], -v[29:30]
	v_add_f64 v[51:52], v[33:34], -v[49:50]
	;; [unrolled: 1-line block ×3, first 2 shown]
	v_cmp_gt_f64_e32 vcc, 0, v[43:44]
	v_add_f64 v[43:44], v[37:38], -v[47:48]
	v_add_f64 v[29:30], v[33:34], -v[29:30]
	;; [unrolled: 1-line block ×3, first 2 shown]
	v_cndmask_b32_e32 v46, 0, v17, vcc
	v_add_f64 v[31:32], v[31:32], v[45:46]
	v_add_f64 v[43:44], v[41:42], -v[43:44]
	v_add_f64 v[10:11], v[10:11], v[37:38]
	v_add_f64 v[53:54], v[39:40], v[31:32]
	;; [unrolled: 1-line block ×3, first 2 shown]
	v_cvt_i32_f64_e32 v17, v[53:54]
	v_add_f64 v[10:11], v[12:13], v[10:11]
	v_cvt_f64_i32_e32 v[46:47], v17
	v_add_f64 v[31:32], v[31:32], -v[46:47]
	v_add_f64 v[10:11], v[27:28], v[10:11]
	v_add_f64 v[12:13], v[39:40], v[31:32]
	;; [unrolled: 1-line block ×3, first 2 shown]
	v_add_f64 v[27:28], v[12:13], -v[31:32]
	v_cmp_le_f64_e32 vcc, 0.5, v[12:13]
	v_add_f64 v[27:28], v[39:40], -v[27:28]
	v_cndmask_b32_e32 v46, 0, v19, vcc
	v_add_f64 v[12:13], v[12:13], -v[45:46]
	v_addc_co_u32_e64 v17, s[0:1], 0, v17, vcc
	s_mov_b32 s0, 0x33145c07
	s_mov_b32 s1, 0x3c91a626
	v_add_f64 v[10:11], v[10:11], v[27:28]
	v_add_f64 v[27:28], v[12:13], v[10:11]
	v_mul_f64 v[29:30], v[27:28], s[10:11]
	v_add_f64 v[12:13], v[27:28], -v[12:13]
	v_fma_f64 v[31:32], v[27:28], s[10:11], -v[29:30]
	v_add_f64 v[10:11], v[10:11], -v[12:13]
	v_fma_f64 v[12:13], v[27:28], s[0:1], v[31:32]
	v_fma_f64 v[12:13], v[10:11], s[10:11], v[12:13]
	v_add_f64 v[10:11], v[29:30], v[12:13]
	v_add_f64 v[27:28], v[10:11], -v[29:30]
	v_add_f64 v[12:13], v[12:13], -v[27:28]
.LBB27_301:
	s_andn2_saveexec_b64 s[0:1], s[12:13]
	s_cbranch_execz .LBB27_303
; %bb.302:
	s_mov_b32 s10, 0x6dc9c883
	s_mov_b32 s11, 0x3fe45f30
	v_mul_f64 v[10:11], |v[8:9]|, s[10:11]
	s_mov_b32 s10, 0x54442d18
	s_mov_b32 s11, 0xbff921fb
	s_mov_b32 s13, 0xbc91a626
	s_mov_b32 s12, 0x33145c00
	v_rndne_f64_e32 v[27:28], v[10:11]
	v_fma_f64 v[10:11], v[27:28], s[10:11], |v[8:9]|
	v_mul_f64 v[12:13], v[27:28], s[12:13]
	s_mov_b32 s10, 0x252049c0
	s_mov_b32 s11, 0xb97b839a
	v_cvt_i32_f64_e32 v17, v[27:28]
	v_fma_f64 v[33:34], v[27:28], s[12:13], v[10:11]
	v_add_f64 v[29:30], v[10:11], v[12:13]
	s_mov_b32 s13, 0x3c91a626
	v_add_f64 v[31:32], v[10:11], -v[29:30]
	v_add_f64 v[29:30], v[29:30], -v[33:34]
	v_add_f64 v[10:11], v[31:32], v[12:13]
	v_fma_f64 v[12:13], v[27:28], s[12:13], v[12:13]
	v_add_f64 v[10:11], v[29:30], v[10:11]
	v_add_f64 v[10:11], v[10:11], -v[12:13]
	v_fma_f64 v[12:13], v[27:28], s[10:11], v[10:11]
	v_add_f64 v[10:11], v[33:34], v[12:13]
	v_add_f64 v[29:30], v[10:11], -v[33:34]
	v_add_f64 v[12:13], v[12:13], -v[29:30]
.LBB27_303:
	s_or_b64 exec, exec, s[0:1]
	v_mul_f64 v[27:28], v[10:11], v[10:11]
	v_add_f64 v[29:30], v[12:13], v[12:13]
	s_mov_b32 s0, 0xc751c08c
	s_mov_b32 s1, 0x3ef5e089
	v_and_b32_e32 v17, 1, v17
	v_cmp_eq_u32_e32 vcc, 0, v17
	v_and_b32_e32 v19, 0x80000000, v9
	s_mov_b32 s12, 0x54442d18
	v_fma_f64 v[31:32], v[10:11], v[10:11], -v[27:28]
	s_mov_b32 s13, 0xc00921fb
	s_mov_b64 s[10:11], exec
	v_sub_f32_e32 v15, 1.0, v15
	v_fma_f64 v[29:30], v[10:11], v[29:30], v[31:32]
	v_add_f64 v[27:28], v[27:28], v[29:30]
	v_mov_b32_e32 v29, 0xa9a29f71
	v_mov_b32_e32 v30, 0xbf078809
	v_fma_f64 v[29:30], v[27:28], s[0:1], v[29:30]
	s_mov_b32 s0, 0x90a8aae0
	s_mov_b32 s1, 0x3f17746f
	v_fma_f64 v[29:30], v[27:28], v[29:30], s[0:1]
	s_mov_b32 s0, 0xa6fbf144
	s_mov_b32 s1, 0xbefbb44d
	;; [unrolled: 3-line block ×12, first 2 shown]
	v_fma_f64 v[29:30], v[27:28], v[29:30], s[0:1]
	s_movk_i32 s0, 0x1f8
	v_cmp_class_f64_e64 s[0:1], v[8:9], s0
	v_mov_b32_e32 v9, 0x7ff80000
	v_mul_f64 v[27:28], v[27:28], v[29:30]
	v_mul_f64 v[29:30], v[10:11], v[27:28]
	v_add_f64 v[31:32], v[10:11], v[29:30]
	v_fma_f64 v[27:28], v[10:11], v[27:28], -v[29:30]
	v_add_f64 v[10:11], v[31:32], -v[10:11]
	v_add_f64 v[12:13], v[12:13], v[27:28]
	v_add_f64 v[10:11], v[29:30], -v[10:11]
	v_add_f64 v[10:11], v[12:13], v[10:11]
	v_add_f64 v[12:13], v[31:32], v[10:11]
	v_rcp_f64_e32 v[27:28], v[12:13]
	v_fma_f64 v[29:30], -v[12:13], v[27:28], 1.0
	v_fma_f64 v[27:28], v[29:30], v[27:28], v[27:28]
	v_fma_f64 v[29:30], -v[12:13], v[27:28], 1.0
	v_fma_f64 v[27:28], v[29:30], v[27:28], v[27:28]
	v_add_f64 v[29:30], v[12:13], -v[31:32]
	v_mul_f64 v[31:32], v[12:13], v[27:28]
	v_add_f64 v[10:11], v[10:11], -v[29:30]
	v_fma_f64 v[29:30], v[27:28], v[12:13], -v[31:32]
	v_fma_f64 v[10:11], v[27:28], v[10:11], v[29:30]
	v_add_f64 v[29:30], v[31:32], v[10:11]
	v_add_f64 v[33:34], -v[29:30], 1.0
	v_add_f64 v[31:32], v[29:30], -v[31:32]
	v_add_f64 v[35:36], -v[33:34], 1.0
	v_add_f64 v[10:11], v[31:32], -v[10:11]
	v_add_f64 v[29:30], v[35:36], -v[29:30]
	v_add_f64 v[10:11], v[10:11], v[29:30]
	v_add_f64 v[10:11], v[33:34], v[10:11]
	v_mul_f64 v[10:11], v[27:28], v[10:11]
	v_add_f64 v[10:11], v[27:28], v[10:11]
	v_xor_b32_e32 v8, 0x80000000, v11
	v_cndmask_b32_e32 v10, v10, v12, vcc
	v_cndmask_b32_e32 v11, v8, v13, vcc
	v_cndmask_b32_e64 v8, 0, v10, s[0:1]
	v_xor_b32_e32 v10, v11, v19
	v_cndmask_b32_e64 v9, v9, v10, s[0:1]
	v_div_scale_f64 v[10:11], s[0:1], v[8:9], v[8:9], s[12:13]
	v_div_scale_f64 v[29:30], vcc, s[12:13], v[8:9], s[12:13]
	v_rcp_f64_e32 v[12:13], v[10:11]
	v_fma_f64 v[27:28], -v[10:11], v[12:13], 1.0
	v_fma_f64 v[12:13], v[12:13], v[27:28], v[12:13]
	v_fma_f64 v[27:28], -v[10:11], v[12:13], 1.0
	v_fma_f64 v[12:13], v[12:13], v[27:28], v[12:13]
	v_mul_f64 v[27:28], v[29:30], v[12:13]
	v_fma_f64 v[10:11], -v[10:11], v[27:28], v[29:30]
	v_div_fmas_f64 v[10:11], v[10:11], v[12:13], v[27:28]
	v_div_fixup_f64 v[8:9], v[10:11], v[8:9], s[12:13]
	v_cvt_f32_f64_e32 v8, v[8:9]
.LBB27_304:
	s_or_b64 exec, exec, s[8:9]
	s_orn2_b64 s[0:1], s[10:11], exec
.LBB27_305:
	s_or_b64 exec, exec, s[6:7]
	v_mov_b32_e32 v9, 0x7e00
	s_and_saveexec_b64 s[6:7], s[0:1]
	s_cbranch_execz .LBB27_317
; %bb.306:
	s_mov_b32 s10, 0x41200000
	v_cmp_gt_f32_e32 vcc, s10, v15
	s_and_saveexec_b64 s[0:1], vcc
	s_cbranch_execz .LBB27_310
; %bb.307:
	s_mov_b64 s[8:9], 0
.LBB27_308:                             ; =>This Inner Loop Header: Depth=1
	v_div_scale_f32 v9, s[12:13], v15, v15, 1.0
	v_div_scale_f32 v10, vcc, 1.0, v15, 1.0
	v_rcp_f32_e32 v11, v9
	v_fma_f32 v12, -v9, v11, 1.0
	v_fmac_f32_e32 v11, v12, v11
	v_mul_f32_e32 v12, v10, v11
	v_fma_f32 v13, -v9, v12, v10
	v_fmac_f32_e32 v12, v13, v11
	v_fma_f32 v9, -v9, v12, v10
	v_div_fmas_f32 v9, v9, v11, v12
	v_div_fixup_f32 v9, v9, v15, 1.0
	v_add_f32_e32 v15, 1.0, v15
	v_cmp_ngt_f32_e32 vcc, s10, v15
	s_or_b64 s[8:9], vcc, s[8:9]
	v_sub_f32_e32 v8, v8, v9
	s_andn2_b64 exec, exec, s[8:9]
	s_cbranch_execnz .LBB27_308
; %bb.309:
	s_or_b64 exec, exec, s[8:9]
.LBB27_310:
	s_or_b64 exec, exec, s[0:1]
	s_mov_b32 s0, 0x41200000
	v_cmp_neq_f32_e32 vcc, s0, v15
                                        ; implicit-def: $vgpr9
	s_and_saveexec_b64 s[0:1], vcc
	s_xor_b64 s[8:9], exec, s[0:1]
	s_cbranch_execz .LBB27_314
; %bb.311:
	v_cvt_f64_f32_e32 v[9:10], v15
	s_mov_b32 s0, 0x85d8a000
	s_mov_b32 s1, 0x43763457
	v_cmp_gt_f64_e32 vcc, s[0:1], v[9:10]
	v_mov_b32_e32 v9, 0
	s_and_saveexec_b64 s[0:1], vcc
	s_cbranch_execz .LBB27_313
; %bb.312:
	v_mul_f32_e32 v9, v15, v15
	v_div_scale_f32 v10, s[10:11], v9, v9, 1.0
	v_div_scale_f32 v11, vcc, 1.0, v9, 1.0
	v_mov_b32_e32 v19, 0x3b820821
	v_rcp_f32_e32 v12, v10
	v_fma_f32 v13, -v10, v12, 1.0
	v_fmac_f32_e32 v12, v13, v12
	v_mul_f32_e32 v13, v11, v12
	v_fma_f32 v17, -v10, v13, v11
	v_fmac_f32_e32 v13, v17, v12
	v_fma_f32 v10, -v10, v13, v11
	v_div_fmas_f32 v10, v10, v12, v13
	v_mov_b32_e32 v11, 0x3daaaaab
	v_mov_b32_e32 v12, 0xbcaccacd
	;; [unrolled: 1-line block ×4, first 2 shown]
	v_div_fixup_f32 v9, v10, v9, 1.0
	v_fma_f32 v10, 0, v9, v11
	v_fmac_f32_e32 v12, v9, v10
	v_fmac_f32_e32 v13, v9, v12
	;; [unrolled: 1-line block ×4, first 2 shown]
	v_mov_b32_e32 v10, 0xbc088889
	v_fmac_f32_e32 v10, v9, v19
	v_fmac_f32_e32 v11, v9, v10
	v_mul_f32_e32 v9, v9, v11
.LBB27_313:
	s_or_b64 exec, exec, s[0:1]
	v_div_scale_f32 v10, s[0:1], v15, v15, -0.5
	v_div_scale_f32 v11, vcc, -0.5, v15, -0.5
	s_mov_b32 s0, 0x800000
	v_cmp_gt_f32_e64 s[0:1], s0, v15
	v_cndmask_b32_e64 v13, 0, 32, s[0:1]
	s_mov_b32 s10, 0x3f317217
	v_rcp_f32_e32 v12, v10
	v_fma_f32 v17, -v10, v12, 1.0
	v_fmac_f32_e32 v12, v17, v12
	v_mul_f32_e32 v17, v11, v12
	v_fma_f32 v19, -v10, v17, v11
	v_fmac_f32_e32 v17, v19, v12
	v_fma_f32 v10, -v10, v17, v11
	v_div_fmas_f32 v10, v10, v12, v17
	v_ldexp_f32 v11, v15, v13
	v_log_f32_e32 v11, v11
	v_mul_f32_e32 v12, 0x3f317217, v11
	v_fma_f32 v12, v11, s10, -v12
	v_fmac_f32_e32 v12, 0x3377d1cf, v11
	s_mov_b32 s10, 0x7f800000
	v_fmac_f32_e32 v12, 0x3f317217, v11
	v_cmp_lt_f32_e64 vcc, |v11|, s10
	v_cndmask_b32_e32 v11, v11, v12, vcc
	v_mov_b32_e32 v12, 0x41b17218
	v_cndmask_b32_e64 v12, 0, v12, s[0:1]
	v_sub_f32_e32 v11, v11, v12
	v_div_fixup_f32 v10, v10, v15, -0.5
	v_add_f32_e32 v10, v11, v10
	v_sub_f32_e32 v9, v10, v9
	v_add_f32_e32 v8, v8, v9
	v_cvt_f16_f32_e32 v9, v8
                                        ; implicit-def: $vgpr8
.LBB27_314:
	s_andn2_saveexec_b64 s[0:1], s[8:9]
; %bb.315:
	v_add_f32_e32 v8, 0x40101cb7, v8
	v_cvt_f16_f32_e32 v9, v8
; %bb.316:
	s_or_b64 exec, exec, s[0:1]
.LBB27_317:
	s_or_b64 exec, exec, s[6:7]
                                        ; implicit-def: $vgpr15
.LBB27_318:
	s_andn2_saveexec_b64 s[0:1], s[2:3]
; %bb.319:
	v_xor_b32_e32 v8, 0x80000000, v15
	v_lshrrev_b32_e32 v8, 16, v8
	s_movk_i32 s2, 0x7fff
	v_mov_b32_e32 v9, 0x7c00
	v_bfi_b32 v9, s2, v9, v8
; %bb.320:
	s_or_b64 exec, exec, s[0:1]
	global_store_short v0, v26, s[4:5]
	global_store_short v1, v24, s[4:5]
	;; [unrolled: 1-line block ×8, first 2 shown]
	s_endpgm
.LBB27_321:
	v_mov_b32_e32 v0, 0
	v_mov_b32_e32 v2, 0
	s_branch .LBB27_327
.LBB27_322:
	v_mov_b32_e32 v0, 0
	v_mov_b32_e32 v2, 0
	s_branch .LBB27_367
.LBB27_323:
	s_mov_b32 s57, 0
	v_mov_b32_e32 v0, 0
	v_mov_b32_e32 v2, 0
	;; [unrolled: 1-line block ×3, first 2 shown]
.LBB27_324:
	s_and_b32 s4, s58, 3
	s_cmp_eq_u32 s4, 0
	s_cbranch_scc1 .LBB27_327
; %bb.325:
	s_lshl_b32 s0, s57, 3
	s_add_u32 s0, s34, s0
	s_addc_u32 s1, s35, 0
	s_add_u32 s0, s0, 0xc4
	s_addc_u32 s1, s1, 0
	s_mul_i32 s2, s57, 12
	s_add_u32 s2, s34, s2
	s_addc_u32 s3, s35, 0
.LBB27_326:                             ; =>This Inner Loop Header: Depth=1
	s_load_dwordx2 s[6:7], s[2:3], 0x4
	s_load_dword s5, s[2:3], 0xc
	s_load_dwordx2 s[8:9], s[0:1], 0x0
	s_add_u32 s2, s2, 12
	s_addc_u32 s3, s3, 0
	s_waitcnt lgkmcnt(0)
	v_mul_hi_u32 v3, s7, v1
	s_add_u32 s0, s0, 8
	s_addc_u32 s1, s1, 0
	s_add_i32 s4, s4, -1
	v_add_u32_e32 v3, v1, v3
	v_lshrrev_b32_e32 v4, s5, v3
	v_mul_lo_u32 v3, v4, s6
	s_cmp_lg_u32 s4, 0
	v_sub_u32_e32 v3, v1, v3
	v_mad_u64_u32 v[0:1], s[6:7], v3, s8, v[0:1]
	v_mad_u64_u32 v[2:3], s[6:7], v3, s9, v[2:3]
	v_mov_b32_e32 v1, v4
	s_cbranch_scc1 .LBB27_326
.LBB27_327:
	s_cbranch_execnz .LBB27_330
.LBB27_328:
	s_waitcnt lgkmcnt(0)
	v_mul_hi_u32 v0, s25, v7
	s_andn2_b64 vcc, exec, s[42:43]
	v_add_u32_e32 v0, v7, v0
	v_lshrrev_b32_e32 v1, s26, v0
	v_mul_lo_u32 v0, v1, s24
	v_sub_u32_e32 v2, v7, v0
	v_mul_lo_u32 v0, v2, s20
	v_mul_lo_u32 v2, v2, s21
	s_cbranch_vccnz .LBB27_330
; %bb.329:
	v_mul_hi_u32 v3, s40, v1
	v_add_u32_e32 v3, v1, v3
	v_lshrrev_b32_e32 v3, s41, v3
	v_mul_lo_u32 v3, v3, s27
	v_sub_u32_e32 v3, v1, v3
	v_mad_u64_u32 v[0:1], s[0:1], v3, s22, v[0:1]
	v_mad_u64_u32 v[2:3], s[0:1], v3, s23, v[2:3]
.LBB27_330:
	s_waitcnt lgkmcnt(0)
	global_load_ushort v3, v2, s[18:19]
                                        ; implicit-def: $vgpr2
	s_waitcnt vmcnt(0)
	v_cvt_f32_f16_e32 v8, v3
	v_cmp_neq_f16_e32 vcc, 0, v3
	s_and_saveexec_b64 s[0:1], vcc
	s_xor_b64 s[2:3], exec, s[0:1]
	s_cbranch_execz .LBB27_352
; %bb.331:
	v_cmp_gt_f16_e32 vcc, 0, v3
	s_mov_b64 s[0:1], -1
	v_mov_b32_e32 v1, 0
	s_and_saveexec_b64 s[4:5], vcc
	s_cbranch_execz .LBB27_339
; %bb.332:
	v_trunc_f32_e32 v1, v8
	v_cmp_neq_f32_e32 vcc, v1, v8
	s_mov_b64 s[8:9], 0
	v_mov_b32_e32 v1, 0
	s_and_saveexec_b64 s[6:7], vcc
	s_cbranch_execz .LBB27_338
; %bb.333:
	v_cvt_f32_f16_e32 v1, v3
	s_mov_b32 s0, 0
	s_mov_b32 s9, 0xc00921fb
	;; [unrolled: 1-line block ×3, first 2 shown]
	v_cvt_f64_f32_e32 v[1:2], v1
	s_mov_b32 s1, 0x7ff00000
	v_bfrev_b32_e32 v5, 1
	s_mov_b32 s10, 0
	v_trunc_f64_e32 v[3:4], v[1:2]
	v_cmp_neq_f64_e64 vcc, |v[1:2]|, s[0:1]
	s_mov_b32 s11, 0x41d00000
                                        ; implicit-def: $vgpr9
	v_add_f64 v[3:4], v[1:2], -v[3:4]
	v_mul_f64 v[3:4], |v[3:4]|, s[8:9]
	v_cndmask_b32_e32 v2, v5, v4, vcc
	v_cndmask_b32_e32 v1, 0, v3, vcc
	v_cmp_nlt_f64_e64 s[10:11], |v[1:2]|, s[10:11]
                                        ; implicit-def: $vgpr3_vgpr4
                                        ; implicit-def: $vgpr5_vgpr6
	s_and_saveexec_b64 s[12:13], s[10:11]
	s_xor_b64 s[10:11], exec, s[12:13]
	s_cbranch_execz .LBB27_335
; %bb.334:
	v_trig_preop_f64 v[3:4], |v[1:2]|, 0
	s_mov_b32 s12, 0
	s_mov_b32 s13, 0x7b000000
	s_movk_i32 s9, 0xff80
	v_ldexp_f64 v[9:10], |v[1:2]|, s9
	v_cmp_ge_f64_e64 vcc, |v[1:2]|, s[12:13]
	v_trig_preop_f64 v[5:6], |v[1:2]|, 1
	v_and_b32_e32 v11, 0x7fffffff, v2
	v_trig_preop_f64 v[17:18], |v[1:2]|, 2
	v_mov_b32_e32 v28, 0x40100000
	v_mov_b32_e32 v27, 0
	s_mov_b32 s9, 0x3ff921fb
	v_cndmask_b32_e32 v10, v11, v10, vcc
	v_cndmask_b32_e32 v9, v1, v9, vcc
	v_mul_f64 v[11:12], v[3:4], v[9:10]
	v_mul_f64 v[13:14], v[5:6], v[9:10]
	;; [unrolled: 1-line block ×3, first 2 shown]
	v_fma_f64 v[3:4], v[3:4], v[9:10], -v[11:12]
	v_fma_f64 v[5:6], v[5:6], v[9:10], -v[13:14]
	;; [unrolled: 1-line block ×3, first 2 shown]
	v_add_f64 v[15:16], v[13:14], v[3:4]
	v_add_f64 v[19:20], v[15:16], -v[13:14]
	v_add_f64 v[25:26], v[11:12], v[15:16]
	v_add_f64 v[21:22], v[15:16], -v[19:20]
	v_add_f64 v[3:4], v[3:4], -v[19:20]
	v_add_f64 v[19:20], v[23:24], v[5:6]
	v_add_f64 v[11:12], v[25:26], -v[11:12]
	v_add_f64 v[13:14], v[13:14], -v[21:22]
	v_ldexp_f64 v[21:22], v[25:26], -2
	v_add_f64 v[29:30], v[19:20], -v[23:24]
	v_add_f64 v[11:12], v[15:16], -v[11:12]
	v_add_f64 v[3:4], v[3:4], v[13:14]
	v_fract_f64_e32 v[13:14], v[21:22]
	v_cmp_neq_f64_e64 vcc, |v[21:22]|, s[0:1]
	v_add_f64 v[5:6], v[5:6], -v[29:30]
	v_add_f64 v[15:16], v[19:20], v[3:4]
	v_ldexp_f64 v[13:14], v[13:14], 2
	v_add_f64 v[21:22], v[11:12], v[15:16]
	v_cndmask_b32_e32 v14, 0, v14, vcc
	v_cndmask_b32_e32 v13, 0, v13, vcc
	v_add_f64 v[31:32], v[15:16], -v[19:20]
	v_add_f64 v[25:26], v[21:22], v[13:14]
	v_add_f64 v[11:12], v[21:22], -v[11:12]
	v_add_f64 v[33:34], v[15:16], -v[31:32]
	;; [unrolled: 1-line block ×3, first 2 shown]
	v_cmp_gt_f64_e32 vcc, 0, v[25:26]
	v_add_f64 v[25:26], v[19:20], -v[29:30]
	v_add_f64 v[11:12], v[15:16], -v[11:12]
	;; [unrolled: 1-line block ×3, first 2 shown]
	v_cndmask_b32_e32 v28, 0, v28, vcc
	v_add_f64 v[13:14], v[13:14], v[27:28]
	v_add_f64 v[25:26], v[23:24], -v[25:26]
	v_add_f64 v[3:4], v[3:4], v[19:20]
	v_add_f64 v[35:36], v[21:22], v[13:14]
	;; [unrolled: 1-line block ×3, first 2 shown]
	v_cvt_i32_f64_e32 v30, v[35:36]
	v_add_f64 v[3:4], v[5:6], v[3:4]
	v_cvt_f64_i32_e32 v[28:29], v30
	v_add_f64 v[13:14], v[13:14], -v[28:29]
	v_add_f64 v[3:4], v[9:10], v[3:4]
	v_add_f64 v[5:6], v[21:22], v[13:14]
	;; [unrolled: 1-line block ×3, first 2 shown]
	v_mov_b32_e32 v12, 0x3ff00000
	v_add_f64 v[9:10], v[5:6], -v[13:14]
	v_cmp_le_f64_e32 vcc, 0.5, v[5:6]
	v_add_f64 v[10:11], v[21:22], -v[9:10]
	v_cndmask_b32_e32 v28, 0, v12, vcc
	v_add_f64 v[5:6], v[5:6], -v[27:28]
	v_addc_co_u32_e64 v9, s[0:1], 0, v30, vcc
	s_mov_b32 s0, 0x33145c07
	s_mov_b32 s1, 0x3c91a626
	v_add_f64 v[3:4], v[3:4], v[10:11]
	v_add_f64 v[10:11], v[5:6], v[3:4]
	v_mul_f64 v[12:13], v[10:11], s[8:9]
	v_add_f64 v[5:6], v[10:11], -v[5:6]
	v_fma_f64 v[14:15], v[10:11], s[8:9], -v[12:13]
	v_add_f64 v[3:4], v[3:4], -v[5:6]
	v_fma_f64 v[5:6], v[10:11], s[0:1], v[14:15]
	v_fma_f64 v[5:6], v[3:4], s[8:9], v[5:6]
	v_add_f64 v[3:4], v[12:13], v[5:6]
	v_add_f64 v[10:11], v[3:4], -v[12:13]
	v_add_f64 v[5:6], v[5:6], -v[10:11]
.LBB27_335:
	s_andn2_saveexec_b64 s[0:1], s[10:11]
	s_cbranch_execz .LBB27_337
; %bb.336:
	s_mov_b32 s8, 0x6dc9c883
	s_mov_b32 s9, 0x3fe45f30
	v_mul_f64 v[3:4], |v[1:2]|, s[8:9]
	s_mov_b32 s8, 0x54442d18
	s_mov_b32 s9, 0xbff921fb
	;; [unrolled: 1-line block ×4, first 2 shown]
	v_rndne_f64_e32 v[9:10], v[3:4]
	v_fma_f64 v[3:4], v[9:10], s[8:9], |v[1:2]|
	v_mul_f64 v[5:6], v[9:10], s[10:11]
	s_mov_b32 s8, 0x252049c0
	s_mov_b32 s9, 0xb97b839a
	v_fma_f64 v[15:16], v[9:10], s[10:11], v[3:4]
	v_add_f64 v[11:12], v[3:4], v[5:6]
	s_mov_b32 s11, 0x3c91a626
	v_add_f64 v[13:14], v[3:4], -v[11:12]
	v_add_f64 v[11:12], v[11:12], -v[15:16]
	v_add_f64 v[3:4], v[13:14], v[5:6]
	v_fma_f64 v[5:6], v[9:10], s[10:11], v[5:6]
	v_add_f64 v[3:4], v[11:12], v[3:4]
	v_add_f64 v[3:4], v[3:4], -v[5:6]
	v_fma_f64 v[5:6], v[9:10], s[8:9], v[3:4]
	v_cvt_i32_f64_e32 v9, v[9:10]
	v_add_f64 v[3:4], v[15:16], v[5:6]
	v_add_f64 v[11:12], v[3:4], -v[15:16]
	v_add_f64 v[5:6], v[5:6], -v[11:12]
.LBB27_337:
	s_or_b64 exec, exec, s[0:1]
	v_mul_f64 v[10:11], v[3:4], v[3:4]
	v_add_f64 v[12:13], v[5:6], v[5:6]
	s_mov_b32 s0, 0xc751c08c
	s_mov_b32 s1, 0x3ef5e089
	v_and_b32_e32 v9, 1, v9
	v_cmp_eq_u32_e32 vcc, 0, v9
	s_mov_b32 s10, 0x54442d18
	s_mov_b32 s11, 0xc00921fb
	v_fma_f64 v[14:15], v[3:4], v[3:4], -v[10:11]
	s_mov_b64 s[8:9], exec
	v_sub_f32_e32 v8, 1.0, v8
	v_fma_f64 v[12:13], v[3:4], v[12:13], v[14:15]
	v_add_f64 v[10:11], v[10:11], v[12:13]
	v_mov_b32_e32 v12, 0xa9a29f71
	v_mov_b32_e32 v13, 0xbf078809
	v_fma_f64 v[12:13], v[10:11], s[0:1], v[12:13]
	s_mov_b32 s0, 0x90a8aae0
	s_mov_b32 s1, 0x3f17746f
	v_fma_f64 v[12:13], v[10:11], v[12:13], s[0:1]
	s_mov_b32 s0, 0xa6fbf144
	s_mov_b32 s1, 0xbefbb44d
	;; [unrolled: 3-line block ×12, first 2 shown]
	v_fma_f64 v[12:13], v[10:11], v[12:13], s[0:1]
	s_movk_i32 s0, 0x1f8
	v_cmp_class_f64_e64 s[0:1], v[1:2], s0
	v_mul_f64 v[10:11], v[10:11], v[12:13]
	v_mul_f64 v[12:13], v[3:4], v[10:11]
	v_add_f64 v[14:15], v[3:4], v[12:13]
	v_fma_f64 v[10:11], v[3:4], v[10:11], -v[12:13]
	v_add_f64 v[3:4], v[14:15], -v[3:4]
	v_add_f64 v[5:6], v[5:6], v[10:11]
	v_add_f64 v[3:4], v[12:13], -v[3:4]
	v_add_f64 v[3:4], v[5:6], v[3:4]
	v_add_f64 v[5:6], v[14:15], v[3:4]
	v_rcp_f64_e32 v[10:11], v[5:6]
	v_fma_f64 v[12:13], -v[5:6], v[10:11], 1.0
	v_fma_f64 v[10:11], v[12:13], v[10:11], v[10:11]
	v_fma_f64 v[12:13], -v[5:6], v[10:11], 1.0
	v_fma_f64 v[10:11], v[12:13], v[10:11], v[10:11]
	v_add_f64 v[12:13], v[5:6], -v[14:15]
	v_mul_f64 v[14:15], v[5:6], v[10:11]
	v_add_f64 v[3:4], v[3:4], -v[12:13]
	v_fma_f64 v[12:13], v[10:11], v[5:6], -v[14:15]
	v_fma_f64 v[3:4], v[10:11], v[3:4], v[12:13]
	v_add_f64 v[12:13], v[14:15], v[3:4]
	v_add_f64 v[16:17], -v[12:13], 1.0
	v_add_f64 v[14:15], v[12:13], -v[14:15]
	v_add_f64 v[18:19], -v[16:17], 1.0
	v_add_f64 v[3:4], v[14:15], -v[3:4]
	v_add_f64 v[12:13], v[18:19], -v[12:13]
	v_add_f64 v[3:4], v[3:4], v[12:13]
	v_add_f64 v[3:4], v[16:17], v[3:4]
	v_mul_f64 v[3:4], v[10:11], v[3:4]
	v_add_f64 v[3:4], v[10:11], v[3:4]
	v_and_b32_e32 v10, 0x80000000, v2
	v_mov_b32_e32 v2, 0x7ff80000
	v_xor_b32_e32 v1, 0x80000000, v4
	v_cndmask_b32_e32 v3, v3, v5, vcc
	v_cndmask_b32_e32 v4, v1, v6, vcc
	v_cndmask_b32_e64 v1, 0, v3, s[0:1]
	v_xor_b32_e32 v3, v4, v10
	v_cndmask_b32_e64 v2, v2, v3, s[0:1]
	v_div_scale_f64 v[3:4], s[0:1], v[1:2], v[1:2], s[10:11]
	v_div_scale_f64 v[11:12], vcc, s[10:11], v[1:2], s[10:11]
	v_rcp_f64_e32 v[5:6], v[3:4]
	v_fma_f64 v[9:10], -v[3:4], v[5:6], 1.0
	v_fma_f64 v[5:6], v[5:6], v[9:10], v[5:6]
	v_fma_f64 v[9:10], -v[3:4], v[5:6], 1.0
	v_fma_f64 v[5:6], v[5:6], v[9:10], v[5:6]
	v_mul_f64 v[9:10], v[11:12], v[5:6]
	v_fma_f64 v[3:4], -v[3:4], v[9:10], v[11:12]
	v_div_fmas_f64 v[3:4], v[3:4], v[5:6], v[9:10]
	v_div_fixup_f64 v[1:2], v[3:4], v[1:2], s[10:11]
	v_cvt_f32_f64_e32 v1, v[1:2]
.LBB27_338:
	s_or_b64 exec, exec, s[6:7]
	s_orn2_b64 s[0:1], s[8:9], exec
.LBB27_339:
	s_or_b64 exec, exec, s[4:5]
	v_mov_b32_e32 v2, 0x7e00
	s_and_saveexec_b64 s[4:5], s[0:1]
	s_cbranch_execz .LBB27_351
; %bb.340:
	s_mov_b32 s8, 0x41200000
	v_cmp_gt_f32_e32 vcc, s8, v8
	s_and_saveexec_b64 s[0:1], vcc
	s_cbranch_execz .LBB27_344
; %bb.341:
	s_mov_b64 s[6:7], 0
.LBB27_342:                             ; =>This Inner Loop Header: Depth=1
	v_div_scale_f32 v2, s[10:11], v8, v8, 1.0
	v_div_scale_f32 v3, vcc, 1.0, v8, 1.0
	v_rcp_f32_e32 v4, v2
	v_fma_f32 v5, -v2, v4, 1.0
	v_fmac_f32_e32 v4, v5, v4
	v_mul_f32_e32 v5, v3, v4
	v_fma_f32 v6, -v2, v5, v3
	v_fmac_f32_e32 v5, v6, v4
	v_fma_f32 v2, -v2, v5, v3
	v_div_fmas_f32 v2, v2, v4, v5
	v_div_fixup_f32 v2, v2, v8, 1.0
	v_add_f32_e32 v8, 1.0, v8
	v_cmp_ngt_f32_e32 vcc, s8, v8
	s_or_b64 s[6:7], vcc, s[6:7]
	v_sub_f32_e32 v1, v1, v2
	s_andn2_b64 exec, exec, s[6:7]
	s_cbranch_execnz .LBB27_342
; %bb.343:
	s_or_b64 exec, exec, s[6:7]
.LBB27_344:
	s_or_b64 exec, exec, s[0:1]
	s_mov_b32 s0, 0x41200000
	v_cmp_neq_f32_e32 vcc, s0, v8
                                        ; implicit-def: $vgpr2
	s_and_saveexec_b64 s[0:1], vcc
	s_xor_b64 s[6:7], exec, s[0:1]
	s_cbranch_execz .LBB27_348
; %bb.345:
	v_cvt_f64_f32_e32 v[2:3], v8
	s_mov_b32 s0, 0x85d8a000
	s_mov_b32 s1, 0x43763457
	v_cmp_gt_f64_e32 vcc, s[0:1], v[2:3]
	v_mov_b32_e32 v2, 0
	s_and_saveexec_b64 s[0:1], vcc
	s_cbranch_execz .LBB27_347
; %bb.346:
	v_mul_f32_e32 v2, v8, v8
	v_div_scale_f32 v3, s[8:9], v2, v2, 1.0
	v_div_scale_f32 v4, vcc, 1.0, v2, 1.0
	v_mov_b32_e32 v10, 0x3b820821
	v_rcp_f32_e32 v5, v3
	v_fma_f32 v6, -v3, v5, 1.0
	v_fmac_f32_e32 v5, v6, v5
	v_mul_f32_e32 v6, v4, v5
	v_fma_f32 v9, -v3, v6, v4
	v_fmac_f32_e32 v6, v9, v5
	v_fma_f32 v3, -v3, v6, v4
	v_div_fmas_f32 v3, v3, v5, v6
	v_mov_b32_e32 v4, 0x3daaaaab
	v_mov_b32_e32 v5, 0xbcaccacd
	;; [unrolled: 1-line block ×4, first 2 shown]
	v_div_fixup_f32 v2, v3, v2, 1.0
	v_fma_f32 v3, 0, v2, v4
	v_fmac_f32_e32 v5, v2, v3
	v_fmac_f32_e32 v6, v2, v5
	;; [unrolled: 1-line block ×4, first 2 shown]
	v_mov_b32_e32 v3, 0xbc088889
	v_fmac_f32_e32 v3, v2, v10
	v_fmac_f32_e32 v4, v2, v3
	v_mul_f32_e32 v2, v2, v4
.LBB27_347:
	s_or_b64 exec, exec, s[0:1]
	v_div_scale_f32 v3, s[0:1], v8, v8, -0.5
	v_div_scale_f32 v4, vcc, -0.5, v8, -0.5
	s_mov_b32 s0, 0x800000
	v_cmp_gt_f32_e64 s[0:1], s0, v8
	v_cndmask_b32_e64 v6, 0, 32, s[0:1]
	s_mov_b32 s8, 0x3f317217
	v_rcp_f32_e32 v5, v3
	v_fma_f32 v9, -v3, v5, 1.0
	v_fmac_f32_e32 v5, v9, v5
	v_mul_f32_e32 v9, v4, v5
	v_fma_f32 v10, -v3, v9, v4
	v_fmac_f32_e32 v9, v10, v5
	v_fma_f32 v3, -v3, v9, v4
	v_div_fmas_f32 v3, v3, v5, v9
	v_ldexp_f32 v4, v8, v6
	v_log_f32_e32 v4, v4
	v_mul_f32_e32 v5, 0x3f317217, v4
	v_fma_f32 v5, v4, s8, -v5
	v_fmac_f32_e32 v5, 0x3377d1cf, v4
	s_mov_b32 s8, 0x7f800000
	v_fmac_f32_e32 v5, 0x3f317217, v4
	v_cmp_lt_f32_e64 vcc, |v4|, s8
	v_cndmask_b32_e32 v4, v4, v5, vcc
	v_mov_b32_e32 v5, 0x41b17218
	v_cndmask_b32_e64 v5, 0, v5, s[0:1]
	v_sub_f32_e32 v4, v4, v5
	v_div_fixup_f32 v3, v3, v8, -0.5
	v_add_f32_e32 v3, v4, v3
	v_sub_f32_e32 v2, v3, v2
	v_add_f32_e32 v1, v1, v2
	v_cvt_f16_f32_e32 v2, v1
                                        ; implicit-def: $vgpr1
.LBB27_348:
	s_andn2_saveexec_b64 s[0:1], s[6:7]
; %bb.349:
	v_add_f32_e32 v1, 0x40101cb7, v1
	v_cvt_f16_f32_e32 v2, v1
; %bb.350:
	s_or_b64 exec, exec, s[0:1]
.LBB27_351:
	s_or_b64 exec, exec, s[4:5]
                                        ; implicit-def: $vgpr8
.LBB27_352:
	s_andn2_saveexec_b64 s[0:1], s[2:3]
; %bb.353:
	v_xor_b32_e32 v1, 0x80000000, v8
	v_lshrrev_b32_e32 v1, 16, v1
	s_movk_i32 s2, 0x7fff
	v_mov_b32_e32 v2, 0x7c00
	v_bfi_b32 v2, s2, v2, v1
; %bb.354:
	s_or_b64 exec, exec, s[0:1]
	v_add_u32_e32 v7, 0x80, v7
	global_store_short v0, v2, s[16:17]
	s_or_b64 exec, exec, s[48:49]
	v_cmp_gt_i32_e32 vcc, s55, v7
	s_and_saveexec_b64 s[48:49], vcc
	s_cbranch_execnz .LBB27_15
.LBB27_355:
	s_or_b64 exec, exec, s[48:49]
	v_cmp_gt_i32_e32 vcc, s55, v7
	s_and_saveexec_b64 s[48:49], vcc
	s_cbranch_execz .LBB27_395
.LBB27_356:
	s_andn2_b64 vcc, exec, s[36:37]
	s_cbranch_vccnz .LBB27_361
; %bb.357:
	s_andn2_b64 vcc, exec, s[46:47]
	s_cbranch_vccnz .LBB27_362
; %bb.358:
	s_add_i32 s58, s56, 1
	s_cmp_eq_u32 s54, 2
	s_cbranch_scc1 .LBB27_403
; %bb.359:
	s_and_b32 s57, s58, 28
	v_mov_b32_e32 v2, 0
	s_mov_b32 s59, 0
	s_mov_b64 s[50:51], s[34:35]
	s_mov_b64 s[52:53], s[44:45]
	v_mov_b32_e32 v0, 0
	v_mov_b32_e32 v1, v7
.LBB27_360:                             ; =>This Inner Loop Header: Depth=1
	s_load_dwordx8 s[8:15], s[50:51], 0x4
	s_load_dwordx4 s[28:31], s[50:51], 0x24
	s_load_dwordx8 s[0:7], s[52:53], 0x0
	s_add_u32 s50, s50, 48
	s_addc_u32 s51, s51, 0
	s_waitcnt lgkmcnt(0)
	v_mul_hi_u32 v3, s9, v1
	s_add_i32 s59, s59, 4
	s_add_u32 s52, s52, 32
	s_addc_u32 s53, s53, 0
	v_add_u32_e32 v3, v1, v3
	v_lshrrev_b32_e32 v3, s10, v3
	v_mul_lo_u32 v4, v3, s8
	v_mul_hi_u32 v5, s12, v3
	s_cmp_eq_u32 s57, s59
	v_sub_u32_e32 v1, v1, v4
	v_add_u32_e32 v4, v3, v5
	v_mul_lo_u32 v5, v1, s0
	v_mul_lo_u32 v6, v1, s1
	v_lshrrev_b32_e32 v1, s13, v4
	v_mul_lo_u32 v4, v1, s11
	v_mul_hi_u32 v8, s15, v1
	v_sub_u32_e32 v3, v3, v4
	v_add_u32_e32 v4, v1, v8
	v_lshrrev_b32_e32 v4, s28, v4
	v_mul_hi_u32 v9, s30, v4
	v_mul_lo_u32 v10, v4, s14
	v_mul_lo_u32 v8, v3, s2
	;; [unrolled: 1-line block ×3, first 2 shown]
	v_sub_u32_e32 v10, v1, v10
	v_add_u32_e32 v1, v4, v9
	v_lshrrev_b32_e32 v1, s31, v1
	v_mul_lo_u32 v9, v1, s29
	v_mul_lo_u32 v11, v10, s4
	;; [unrolled: 1-line block ×3, first 2 shown]
	v_add3_u32 v0, v5, v0, v8
	v_sub_u32_e32 v4, v4, v9
	v_mul_lo_u32 v9, v4, s6
	v_mul_lo_u32 v4, v4, s7
	v_add3_u32 v2, v6, v2, v3
	v_add3_u32 v0, v11, v0, v9
	;; [unrolled: 1-line block ×3, first 2 shown]
	s_cbranch_scc0 .LBB27_360
	s_branch .LBB27_404
.LBB27_361:
                                        ; implicit-def: $vgpr0
                                        ; implicit-def: $vgpr2
	s_branch .LBB27_408
.LBB27_362:
	v_mov_b32_e32 v0, 0
	v_mov_b32_e32 v2, 0
	s_branch .LBB27_407
.LBB27_363:
	s_mov_b32 s57, 0
	v_mov_b32_e32 v0, 0
	v_mov_b32_e32 v2, 0
	;; [unrolled: 1-line block ×3, first 2 shown]
.LBB27_364:
	s_and_b32 s4, s58, 3
	s_cmp_eq_u32 s4, 0
	s_cbranch_scc1 .LBB27_367
; %bb.365:
	s_lshl_b32 s0, s57, 3
	s_add_u32 s0, s34, s0
	s_addc_u32 s1, s35, 0
	s_add_u32 s0, s0, 0xc4
	s_addc_u32 s1, s1, 0
	s_mul_i32 s2, s57, 12
	s_add_u32 s2, s34, s2
	s_addc_u32 s3, s35, 0
.LBB27_366:                             ; =>This Inner Loop Header: Depth=1
	s_load_dwordx2 s[6:7], s[2:3], 0x4
	s_load_dword s5, s[2:3], 0xc
	s_load_dwordx2 s[8:9], s[0:1], 0x0
	s_add_u32 s2, s2, 12
	s_addc_u32 s3, s3, 0
	s_waitcnt lgkmcnt(0)
	v_mul_hi_u32 v3, s7, v1
	s_add_u32 s0, s0, 8
	s_addc_u32 s1, s1, 0
	s_add_i32 s4, s4, -1
	v_add_u32_e32 v3, v1, v3
	v_lshrrev_b32_e32 v4, s5, v3
	v_mul_lo_u32 v3, v4, s6
	s_cmp_lg_u32 s4, 0
	v_sub_u32_e32 v3, v1, v3
	v_mad_u64_u32 v[0:1], s[6:7], v3, s8, v[0:1]
	v_mad_u64_u32 v[2:3], s[6:7], v3, s9, v[2:3]
	v_mov_b32_e32 v1, v4
	s_cbranch_scc1 .LBB27_366
.LBB27_367:
	s_cbranch_execnz .LBB27_370
.LBB27_368:
	s_waitcnt lgkmcnt(0)
	v_mul_hi_u32 v0, s25, v7
	s_andn2_b64 vcc, exec, s[42:43]
	v_add_u32_e32 v0, v7, v0
	v_lshrrev_b32_e32 v1, s26, v0
	v_mul_lo_u32 v0, v1, s24
	v_sub_u32_e32 v2, v7, v0
	v_mul_lo_u32 v0, v2, s20
	v_mul_lo_u32 v2, v2, s21
	s_cbranch_vccnz .LBB27_370
; %bb.369:
	v_mul_hi_u32 v3, s40, v1
	v_add_u32_e32 v3, v1, v3
	v_lshrrev_b32_e32 v3, s41, v3
	v_mul_lo_u32 v3, v3, s27
	v_sub_u32_e32 v3, v1, v3
	v_mad_u64_u32 v[0:1], s[0:1], v3, s22, v[0:1]
	v_mad_u64_u32 v[2:3], s[0:1], v3, s23, v[2:3]
.LBB27_370:
	s_waitcnt lgkmcnt(0)
	global_load_ushort v3, v2, s[18:19]
                                        ; implicit-def: $vgpr2
	s_waitcnt vmcnt(0)
	v_cvt_f32_f16_e32 v8, v3
	v_cmp_neq_f16_e32 vcc, 0, v3
	s_and_saveexec_b64 s[0:1], vcc
	s_xor_b64 s[2:3], exec, s[0:1]
	s_cbranch_execz .LBB27_392
; %bb.371:
	v_cmp_gt_f16_e32 vcc, 0, v3
	s_mov_b64 s[0:1], -1
	v_mov_b32_e32 v1, 0
	s_and_saveexec_b64 s[4:5], vcc
	s_cbranch_execz .LBB27_379
; %bb.372:
	v_trunc_f32_e32 v1, v8
	v_cmp_neq_f32_e32 vcc, v1, v8
	s_mov_b64 s[8:9], 0
	v_mov_b32_e32 v1, 0
	s_and_saveexec_b64 s[6:7], vcc
	s_cbranch_execz .LBB27_378
; %bb.373:
	v_cvt_f32_f16_e32 v1, v3
	s_mov_b32 s0, 0
	s_mov_b32 s9, 0xc00921fb
	;; [unrolled: 1-line block ×3, first 2 shown]
	v_cvt_f64_f32_e32 v[1:2], v1
	s_mov_b32 s1, 0x7ff00000
	v_bfrev_b32_e32 v5, 1
	s_mov_b32 s10, 0
	v_trunc_f64_e32 v[3:4], v[1:2]
	v_cmp_neq_f64_e64 vcc, |v[1:2]|, s[0:1]
	s_mov_b32 s11, 0x41d00000
                                        ; implicit-def: $vgpr9
	v_add_f64 v[3:4], v[1:2], -v[3:4]
	v_mul_f64 v[3:4], |v[3:4]|, s[8:9]
	v_cndmask_b32_e32 v2, v5, v4, vcc
	v_cndmask_b32_e32 v1, 0, v3, vcc
	v_cmp_nlt_f64_e64 s[10:11], |v[1:2]|, s[10:11]
                                        ; implicit-def: $vgpr3_vgpr4
                                        ; implicit-def: $vgpr5_vgpr6
	s_and_saveexec_b64 s[12:13], s[10:11]
	s_xor_b64 s[10:11], exec, s[12:13]
	s_cbranch_execz .LBB27_375
; %bb.374:
	v_trig_preop_f64 v[3:4], |v[1:2]|, 0
	s_mov_b32 s12, 0
	s_mov_b32 s13, 0x7b000000
	s_movk_i32 s9, 0xff80
	v_ldexp_f64 v[9:10], |v[1:2]|, s9
	v_cmp_ge_f64_e64 vcc, |v[1:2]|, s[12:13]
	v_trig_preop_f64 v[5:6], |v[1:2]|, 1
	v_and_b32_e32 v11, 0x7fffffff, v2
	v_trig_preop_f64 v[17:18], |v[1:2]|, 2
	v_mov_b32_e32 v28, 0x40100000
	v_mov_b32_e32 v27, 0
	s_mov_b32 s9, 0x3ff921fb
	v_cndmask_b32_e32 v10, v11, v10, vcc
	v_cndmask_b32_e32 v9, v1, v9, vcc
	v_mul_f64 v[11:12], v[3:4], v[9:10]
	v_mul_f64 v[13:14], v[5:6], v[9:10]
	;; [unrolled: 1-line block ×3, first 2 shown]
	v_fma_f64 v[3:4], v[3:4], v[9:10], -v[11:12]
	v_fma_f64 v[5:6], v[5:6], v[9:10], -v[13:14]
	;; [unrolled: 1-line block ×3, first 2 shown]
	v_add_f64 v[15:16], v[13:14], v[3:4]
	v_add_f64 v[19:20], v[15:16], -v[13:14]
	v_add_f64 v[25:26], v[11:12], v[15:16]
	v_add_f64 v[21:22], v[15:16], -v[19:20]
	v_add_f64 v[3:4], v[3:4], -v[19:20]
	v_add_f64 v[19:20], v[23:24], v[5:6]
	v_add_f64 v[11:12], v[25:26], -v[11:12]
	v_add_f64 v[13:14], v[13:14], -v[21:22]
	v_ldexp_f64 v[21:22], v[25:26], -2
	v_add_f64 v[29:30], v[19:20], -v[23:24]
	v_add_f64 v[11:12], v[15:16], -v[11:12]
	v_add_f64 v[3:4], v[3:4], v[13:14]
	v_fract_f64_e32 v[13:14], v[21:22]
	v_cmp_neq_f64_e64 vcc, |v[21:22]|, s[0:1]
	v_add_f64 v[5:6], v[5:6], -v[29:30]
	v_add_f64 v[15:16], v[19:20], v[3:4]
	v_ldexp_f64 v[13:14], v[13:14], 2
	v_add_f64 v[21:22], v[11:12], v[15:16]
	v_cndmask_b32_e32 v14, 0, v14, vcc
	v_cndmask_b32_e32 v13, 0, v13, vcc
	v_add_f64 v[31:32], v[15:16], -v[19:20]
	v_add_f64 v[25:26], v[21:22], v[13:14]
	v_add_f64 v[11:12], v[21:22], -v[11:12]
	v_add_f64 v[33:34], v[15:16], -v[31:32]
	v_add_f64 v[3:4], v[3:4], -v[31:32]
	v_cmp_gt_f64_e32 vcc, 0, v[25:26]
	v_add_f64 v[25:26], v[19:20], -v[29:30]
	v_add_f64 v[11:12], v[15:16], -v[11:12]
	v_add_f64 v[19:20], v[19:20], -v[33:34]
	v_cndmask_b32_e32 v28, 0, v28, vcc
	v_add_f64 v[13:14], v[13:14], v[27:28]
	v_add_f64 v[25:26], v[23:24], -v[25:26]
	v_add_f64 v[3:4], v[3:4], v[19:20]
	v_add_f64 v[35:36], v[21:22], v[13:14]
	;; [unrolled: 1-line block ×3, first 2 shown]
	v_cvt_i32_f64_e32 v30, v[35:36]
	v_add_f64 v[3:4], v[5:6], v[3:4]
	v_cvt_f64_i32_e32 v[28:29], v30
	v_add_f64 v[13:14], v[13:14], -v[28:29]
	v_add_f64 v[3:4], v[9:10], v[3:4]
	v_add_f64 v[5:6], v[21:22], v[13:14]
	;; [unrolled: 1-line block ×3, first 2 shown]
	v_mov_b32_e32 v12, 0x3ff00000
	v_add_f64 v[9:10], v[5:6], -v[13:14]
	v_cmp_le_f64_e32 vcc, 0.5, v[5:6]
	v_add_f64 v[10:11], v[21:22], -v[9:10]
	v_cndmask_b32_e32 v28, 0, v12, vcc
	v_add_f64 v[5:6], v[5:6], -v[27:28]
	v_addc_co_u32_e64 v9, s[0:1], 0, v30, vcc
	s_mov_b32 s0, 0x33145c07
	s_mov_b32 s1, 0x3c91a626
	v_add_f64 v[3:4], v[3:4], v[10:11]
	v_add_f64 v[10:11], v[5:6], v[3:4]
	v_mul_f64 v[12:13], v[10:11], s[8:9]
	v_add_f64 v[5:6], v[10:11], -v[5:6]
	v_fma_f64 v[14:15], v[10:11], s[8:9], -v[12:13]
	v_add_f64 v[3:4], v[3:4], -v[5:6]
	v_fma_f64 v[5:6], v[10:11], s[0:1], v[14:15]
	v_fma_f64 v[5:6], v[3:4], s[8:9], v[5:6]
	v_add_f64 v[3:4], v[12:13], v[5:6]
	v_add_f64 v[10:11], v[3:4], -v[12:13]
	v_add_f64 v[5:6], v[5:6], -v[10:11]
.LBB27_375:
	s_andn2_saveexec_b64 s[0:1], s[10:11]
	s_cbranch_execz .LBB27_377
; %bb.376:
	s_mov_b32 s8, 0x6dc9c883
	s_mov_b32 s9, 0x3fe45f30
	v_mul_f64 v[3:4], |v[1:2]|, s[8:9]
	s_mov_b32 s8, 0x54442d18
	s_mov_b32 s9, 0xbff921fb
	;; [unrolled: 1-line block ×4, first 2 shown]
	v_rndne_f64_e32 v[9:10], v[3:4]
	v_fma_f64 v[3:4], v[9:10], s[8:9], |v[1:2]|
	v_mul_f64 v[5:6], v[9:10], s[10:11]
	s_mov_b32 s8, 0x252049c0
	s_mov_b32 s9, 0xb97b839a
	v_fma_f64 v[15:16], v[9:10], s[10:11], v[3:4]
	v_add_f64 v[11:12], v[3:4], v[5:6]
	s_mov_b32 s11, 0x3c91a626
	v_add_f64 v[13:14], v[3:4], -v[11:12]
	v_add_f64 v[11:12], v[11:12], -v[15:16]
	v_add_f64 v[3:4], v[13:14], v[5:6]
	v_fma_f64 v[5:6], v[9:10], s[10:11], v[5:6]
	v_add_f64 v[3:4], v[11:12], v[3:4]
	v_add_f64 v[3:4], v[3:4], -v[5:6]
	v_fma_f64 v[5:6], v[9:10], s[8:9], v[3:4]
	v_cvt_i32_f64_e32 v9, v[9:10]
	v_add_f64 v[3:4], v[15:16], v[5:6]
	v_add_f64 v[11:12], v[3:4], -v[15:16]
	v_add_f64 v[5:6], v[5:6], -v[11:12]
.LBB27_377:
	s_or_b64 exec, exec, s[0:1]
	v_mul_f64 v[10:11], v[3:4], v[3:4]
	v_add_f64 v[12:13], v[5:6], v[5:6]
	s_mov_b32 s0, 0xc751c08c
	s_mov_b32 s1, 0x3ef5e089
	v_and_b32_e32 v9, 1, v9
	v_cmp_eq_u32_e32 vcc, 0, v9
	s_mov_b32 s10, 0x54442d18
	s_mov_b32 s11, 0xc00921fb
	v_fma_f64 v[14:15], v[3:4], v[3:4], -v[10:11]
	s_mov_b64 s[8:9], exec
	v_sub_f32_e32 v8, 1.0, v8
	v_fma_f64 v[12:13], v[3:4], v[12:13], v[14:15]
	v_add_f64 v[10:11], v[10:11], v[12:13]
	v_mov_b32_e32 v12, 0xa9a29f71
	v_mov_b32_e32 v13, 0xbf078809
	v_fma_f64 v[12:13], v[10:11], s[0:1], v[12:13]
	s_mov_b32 s0, 0x90a8aae0
	s_mov_b32 s1, 0x3f17746f
	v_fma_f64 v[12:13], v[10:11], v[12:13], s[0:1]
	s_mov_b32 s0, 0xa6fbf144
	s_mov_b32 s1, 0xbefbb44d
	;; [unrolled: 3-line block ×12, first 2 shown]
	v_fma_f64 v[12:13], v[10:11], v[12:13], s[0:1]
	s_movk_i32 s0, 0x1f8
	v_cmp_class_f64_e64 s[0:1], v[1:2], s0
	v_mul_f64 v[10:11], v[10:11], v[12:13]
	v_mul_f64 v[12:13], v[3:4], v[10:11]
	v_add_f64 v[14:15], v[3:4], v[12:13]
	v_fma_f64 v[10:11], v[3:4], v[10:11], -v[12:13]
	v_add_f64 v[3:4], v[14:15], -v[3:4]
	v_add_f64 v[5:6], v[5:6], v[10:11]
	v_add_f64 v[3:4], v[12:13], -v[3:4]
	v_add_f64 v[3:4], v[5:6], v[3:4]
	v_add_f64 v[5:6], v[14:15], v[3:4]
	v_rcp_f64_e32 v[10:11], v[5:6]
	v_fma_f64 v[12:13], -v[5:6], v[10:11], 1.0
	v_fma_f64 v[10:11], v[12:13], v[10:11], v[10:11]
	v_fma_f64 v[12:13], -v[5:6], v[10:11], 1.0
	v_fma_f64 v[10:11], v[12:13], v[10:11], v[10:11]
	v_add_f64 v[12:13], v[5:6], -v[14:15]
	v_mul_f64 v[14:15], v[5:6], v[10:11]
	v_add_f64 v[3:4], v[3:4], -v[12:13]
	v_fma_f64 v[12:13], v[10:11], v[5:6], -v[14:15]
	v_fma_f64 v[3:4], v[10:11], v[3:4], v[12:13]
	v_add_f64 v[12:13], v[14:15], v[3:4]
	v_add_f64 v[16:17], -v[12:13], 1.0
	v_add_f64 v[14:15], v[12:13], -v[14:15]
	v_add_f64 v[18:19], -v[16:17], 1.0
	v_add_f64 v[3:4], v[14:15], -v[3:4]
	v_add_f64 v[12:13], v[18:19], -v[12:13]
	v_add_f64 v[3:4], v[3:4], v[12:13]
	v_add_f64 v[3:4], v[16:17], v[3:4]
	v_mul_f64 v[3:4], v[10:11], v[3:4]
	v_add_f64 v[3:4], v[10:11], v[3:4]
	v_and_b32_e32 v10, 0x80000000, v2
	v_mov_b32_e32 v2, 0x7ff80000
	v_xor_b32_e32 v1, 0x80000000, v4
	v_cndmask_b32_e32 v3, v3, v5, vcc
	v_cndmask_b32_e32 v4, v1, v6, vcc
	v_cndmask_b32_e64 v1, 0, v3, s[0:1]
	v_xor_b32_e32 v3, v4, v10
	v_cndmask_b32_e64 v2, v2, v3, s[0:1]
	v_div_scale_f64 v[3:4], s[0:1], v[1:2], v[1:2], s[10:11]
	v_div_scale_f64 v[11:12], vcc, s[10:11], v[1:2], s[10:11]
	v_rcp_f64_e32 v[5:6], v[3:4]
	v_fma_f64 v[9:10], -v[3:4], v[5:6], 1.0
	v_fma_f64 v[5:6], v[5:6], v[9:10], v[5:6]
	v_fma_f64 v[9:10], -v[3:4], v[5:6], 1.0
	v_fma_f64 v[5:6], v[5:6], v[9:10], v[5:6]
	v_mul_f64 v[9:10], v[11:12], v[5:6]
	v_fma_f64 v[3:4], -v[3:4], v[9:10], v[11:12]
	v_div_fmas_f64 v[3:4], v[3:4], v[5:6], v[9:10]
	v_div_fixup_f64 v[1:2], v[3:4], v[1:2], s[10:11]
	v_cvt_f32_f64_e32 v1, v[1:2]
.LBB27_378:
	s_or_b64 exec, exec, s[6:7]
	s_orn2_b64 s[0:1], s[8:9], exec
.LBB27_379:
	s_or_b64 exec, exec, s[4:5]
	v_mov_b32_e32 v2, 0x7e00
	s_and_saveexec_b64 s[4:5], s[0:1]
	s_cbranch_execz .LBB27_391
; %bb.380:
	s_mov_b32 s8, 0x41200000
	v_cmp_gt_f32_e32 vcc, s8, v8
	s_and_saveexec_b64 s[0:1], vcc
	s_cbranch_execz .LBB27_384
; %bb.381:
	s_mov_b64 s[6:7], 0
.LBB27_382:                             ; =>This Inner Loop Header: Depth=1
	v_div_scale_f32 v2, s[10:11], v8, v8, 1.0
	v_div_scale_f32 v3, vcc, 1.0, v8, 1.0
	v_rcp_f32_e32 v4, v2
	v_fma_f32 v5, -v2, v4, 1.0
	v_fmac_f32_e32 v4, v5, v4
	v_mul_f32_e32 v5, v3, v4
	v_fma_f32 v6, -v2, v5, v3
	v_fmac_f32_e32 v5, v6, v4
	v_fma_f32 v2, -v2, v5, v3
	v_div_fmas_f32 v2, v2, v4, v5
	v_div_fixup_f32 v2, v2, v8, 1.0
	v_add_f32_e32 v8, 1.0, v8
	v_cmp_ngt_f32_e32 vcc, s8, v8
	s_or_b64 s[6:7], vcc, s[6:7]
	v_sub_f32_e32 v1, v1, v2
	s_andn2_b64 exec, exec, s[6:7]
	s_cbranch_execnz .LBB27_382
; %bb.383:
	s_or_b64 exec, exec, s[6:7]
.LBB27_384:
	s_or_b64 exec, exec, s[0:1]
	s_mov_b32 s0, 0x41200000
	v_cmp_neq_f32_e32 vcc, s0, v8
                                        ; implicit-def: $vgpr2
	s_and_saveexec_b64 s[0:1], vcc
	s_xor_b64 s[6:7], exec, s[0:1]
	s_cbranch_execz .LBB27_388
; %bb.385:
	v_cvt_f64_f32_e32 v[2:3], v8
	s_mov_b32 s0, 0x85d8a000
	s_mov_b32 s1, 0x43763457
	v_cmp_gt_f64_e32 vcc, s[0:1], v[2:3]
	v_mov_b32_e32 v2, 0
	s_and_saveexec_b64 s[0:1], vcc
	s_cbranch_execz .LBB27_387
; %bb.386:
	v_mul_f32_e32 v2, v8, v8
	v_div_scale_f32 v3, s[8:9], v2, v2, 1.0
	v_div_scale_f32 v4, vcc, 1.0, v2, 1.0
	v_mov_b32_e32 v10, 0x3b820821
	v_rcp_f32_e32 v5, v3
	v_fma_f32 v6, -v3, v5, 1.0
	v_fmac_f32_e32 v5, v6, v5
	v_mul_f32_e32 v6, v4, v5
	v_fma_f32 v9, -v3, v6, v4
	v_fmac_f32_e32 v6, v9, v5
	v_fma_f32 v3, -v3, v6, v4
	v_div_fmas_f32 v3, v3, v5, v6
	v_mov_b32_e32 v4, 0x3daaaaab
	v_mov_b32_e32 v5, 0xbcaccacd
	;; [unrolled: 1-line block ×4, first 2 shown]
	v_div_fixup_f32 v2, v3, v2, 1.0
	v_fma_f32 v3, 0, v2, v4
	v_fmac_f32_e32 v5, v2, v3
	v_fmac_f32_e32 v6, v2, v5
	;; [unrolled: 1-line block ×4, first 2 shown]
	v_mov_b32_e32 v3, 0xbc088889
	v_fmac_f32_e32 v3, v2, v10
	v_fmac_f32_e32 v4, v2, v3
	v_mul_f32_e32 v2, v2, v4
.LBB27_387:
	s_or_b64 exec, exec, s[0:1]
	v_div_scale_f32 v3, s[0:1], v8, v8, -0.5
	v_div_scale_f32 v4, vcc, -0.5, v8, -0.5
	s_mov_b32 s0, 0x800000
	v_cmp_gt_f32_e64 s[0:1], s0, v8
	v_cndmask_b32_e64 v6, 0, 32, s[0:1]
	s_mov_b32 s8, 0x3f317217
	v_rcp_f32_e32 v5, v3
	v_fma_f32 v9, -v3, v5, 1.0
	v_fmac_f32_e32 v5, v9, v5
	v_mul_f32_e32 v9, v4, v5
	v_fma_f32 v10, -v3, v9, v4
	v_fmac_f32_e32 v9, v10, v5
	v_fma_f32 v3, -v3, v9, v4
	v_div_fmas_f32 v3, v3, v5, v9
	v_ldexp_f32 v4, v8, v6
	v_log_f32_e32 v4, v4
	v_mul_f32_e32 v5, 0x3f317217, v4
	v_fma_f32 v5, v4, s8, -v5
	v_fmac_f32_e32 v5, 0x3377d1cf, v4
	s_mov_b32 s8, 0x7f800000
	v_fmac_f32_e32 v5, 0x3f317217, v4
	v_cmp_lt_f32_e64 vcc, |v4|, s8
	v_cndmask_b32_e32 v4, v4, v5, vcc
	v_mov_b32_e32 v5, 0x41b17218
	v_cndmask_b32_e64 v5, 0, v5, s[0:1]
	v_sub_f32_e32 v4, v4, v5
	v_div_fixup_f32 v3, v3, v8, -0.5
	v_add_f32_e32 v3, v4, v3
	v_sub_f32_e32 v2, v3, v2
	v_add_f32_e32 v1, v1, v2
	v_cvt_f16_f32_e32 v2, v1
                                        ; implicit-def: $vgpr1
.LBB27_388:
	s_andn2_saveexec_b64 s[0:1], s[6:7]
; %bb.389:
	v_add_f32_e32 v1, 0x40101cb7, v1
	v_cvt_f16_f32_e32 v2, v1
; %bb.390:
	s_or_b64 exec, exec, s[0:1]
.LBB27_391:
	s_or_b64 exec, exec, s[4:5]
                                        ; implicit-def: $vgpr8
.LBB27_392:
	s_andn2_saveexec_b64 s[0:1], s[2:3]
; %bb.393:
	v_xor_b32_e32 v1, 0x80000000, v8
	v_lshrrev_b32_e32 v1, 16, v1
	s_movk_i32 s2, 0x7fff
	v_mov_b32_e32 v2, 0x7c00
	v_bfi_b32 v2, s2, v2, v1
; %bb.394:
	s_or_b64 exec, exec, s[0:1]
	v_add_u32_e32 v7, 0x80, v7
	global_store_short v0, v2, s[16:17]
	s_or_b64 exec, exec, s[48:49]
	v_cmp_gt_i32_e32 vcc, s55, v7
	s_and_saveexec_b64 s[48:49], vcc
	s_cbranch_execnz .LBB27_356
.LBB27_395:
	s_or_b64 exec, exec, s[48:49]
	v_cmp_gt_i32_e32 vcc, s55, v7
	s_and_saveexec_b64 s[48:49], vcc
	s_cbranch_execz .LBB27_435
.LBB27_396:
	s_andn2_b64 vcc, exec, s[36:37]
	s_cbranch_vccnz .LBB27_401
; %bb.397:
	s_andn2_b64 vcc, exec, s[46:47]
	s_cbranch_vccnz .LBB27_402
; %bb.398:
	s_add_i32 s58, s56, 1
	s_cmp_eq_u32 s54, 2
	s_cbranch_scc1 .LBB27_443
; %bb.399:
	s_and_b32 s57, s58, 28
	v_mov_b32_e32 v2, 0
	s_mov_b32 s59, 0
	s_mov_b64 s[50:51], s[34:35]
	s_mov_b64 s[52:53], s[44:45]
	v_mov_b32_e32 v0, 0
	v_mov_b32_e32 v1, v7
.LBB27_400:                             ; =>This Inner Loop Header: Depth=1
	s_load_dwordx8 s[8:15], s[50:51], 0x4
	s_load_dwordx4 s[28:31], s[50:51], 0x24
	s_load_dwordx8 s[0:7], s[52:53], 0x0
	s_add_u32 s50, s50, 48
	s_addc_u32 s51, s51, 0
	s_waitcnt lgkmcnt(0)
	v_mul_hi_u32 v3, s9, v1
	s_add_i32 s59, s59, 4
	s_add_u32 s52, s52, 32
	s_addc_u32 s53, s53, 0
	v_add_u32_e32 v3, v1, v3
	v_lshrrev_b32_e32 v3, s10, v3
	v_mul_lo_u32 v4, v3, s8
	v_mul_hi_u32 v5, s12, v3
	s_cmp_eq_u32 s57, s59
	v_sub_u32_e32 v1, v1, v4
	v_add_u32_e32 v4, v3, v5
	v_mul_lo_u32 v5, v1, s0
	v_mul_lo_u32 v6, v1, s1
	v_lshrrev_b32_e32 v1, s13, v4
	v_mul_lo_u32 v4, v1, s11
	v_mul_hi_u32 v8, s15, v1
	v_sub_u32_e32 v3, v3, v4
	v_add_u32_e32 v4, v1, v8
	v_lshrrev_b32_e32 v4, s28, v4
	v_mul_hi_u32 v9, s30, v4
	v_mul_lo_u32 v10, v4, s14
	v_mul_lo_u32 v8, v3, s2
	;; [unrolled: 1-line block ×3, first 2 shown]
	v_sub_u32_e32 v10, v1, v10
	v_add_u32_e32 v1, v4, v9
	v_lshrrev_b32_e32 v1, s31, v1
	v_mul_lo_u32 v9, v1, s29
	v_mul_lo_u32 v11, v10, s4
	;; [unrolled: 1-line block ×3, first 2 shown]
	v_add3_u32 v0, v5, v0, v8
	v_sub_u32_e32 v4, v4, v9
	v_mul_lo_u32 v9, v4, s6
	v_mul_lo_u32 v4, v4, s7
	v_add3_u32 v2, v6, v2, v3
	v_add3_u32 v0, v11, v0, v9
	;; [unrolled: 1-line block ×3, first 2 shown]
	s_cbranch_scc0 .LBB27_400
	s_branch .LBB27_444
.LBB27_401:
                                        ; implicit-def: $vgpr0
                                        ; implicit-def: $vgpr2
	s_branch .LBB27_448
.LBB27_402:
	v_mov_b32_e32 v0, 0
	v_mov_b32_e32 v2, 0
	s_branch .LBB27_447
.LBB27_403:
	s_mov_b32 s57, 0
	v_mov_b32_e32 v0, 0
	v_mov_b32_e32 v2, 0
	;; [unrolled: 1-line block ×3, first 2 shown]
.LBB27_404:
	s_and_b32 s4, s58, 3
	s_cmp_eq_u32 s4, 0
	s_cbranch_scc1 .LBB27_407
; %bb.405:
	s_lshl_b32 s0, s57, 3
	s_add_u32 s0, s34, s0
	s_addc_u32 s1, s35, 0
	s_add_u32 s0, s0, 0xc4
	s_addc_u32 s1, s1, 0
	s_mul_i32 s2, s57, 12
	s_add_u32 s2, s34, s2
	s_addc_u32 s3, s35, 0
.LBB27_406:                             ; =>This Inner Loop Header: Depth=1
	s_load_dwordx2 s[6:7], s[2:3], 0x4
	s_load_dword s5, s[2:3], 0xc
	s_load_dwordx2 s[8:9], s[0:1], 0x0
	s_add_u32 s2, s2, 12
	s_addc_u32 s3, s3, 0
	s_waitcnt lgkmcnt(0)
	v_mul_hi_u32 v3, s7, v1
	s_add_u32 s0, s0, 8
	s_addc_u32 s1, s1, 0
	s_add_i32 s4, s4, -1
	v_add_u32_e32 v3, v1, v3
	v_lshrrev_b32_e32 v4, s5, v3
	v_mul_lo_u32 v3, v4, s6
	s_cmp_lg_u32 s4, 0
	v_sub_u32_e32 v3, v1, v3
	v_mad_u64_u32 v[0:1], s[6:7], v3, s8, v[0:1]
	v_mad_u64_u32 v[2:3], s[6:7], v3, s9, v[2:3]
	v_mov_b32_e32 v1, v4
	s_cbranch_scc1 .LBB27_406
.LBB27_407:
	s_cbranch_execnz .LBB27_410
.LBB27_408:
	s_waitcnt lgkmcnt(0)
	v_mul_hi_u32 v0, s25, v7
	s_andn2_b64 vcc, exec, s[42:43]
	v_add_u32_e32 v0, v7, v0
	v_lshrrev_b32_e32 v1, s26, v0
	v_mul_lo_u32 v0, v1, s24
	v_sub_u32_e32 v2, v7, v0
	v_mul_lo_u32 v0, v2, s20
	v_mul_lo_u32 v2, v2, s21
	s_cbranch_vccnz .LBB27_410
; %bb.409:
	v_mul_hi_u32 v3, s40, v1
	v_add_u32_e32 v3, v1, v3
	v_lshrrev_b32_e32 v3, s41, v3
	v_mul_lo_u32 v3, v3, s27
	v_sub_u32_e32 v3, v1, v3
	v_mad_u64_u32 v[0:1], s[0:1], v3, s22, v[0:1]
	v_mad_u64_u32 v[2:3], s[0:1], v3, s23, v[2:3]
.LBB27_410:
	s_waitcnt lgkmcnt(0)
	global_load_ushort v3, v2, s[18:19]
                                        ; implicit-def: $vgpr2
	s_waitcnt vmcnt(0)
	v_cvt_f32_f16_e32 v8, v3
	v_cmp_neq_f16_e32 vcc, 0, v3
	s_and_saveexec_b64 s[0:1], vcc
	s_xor_b64 s[2:3], exec, s[0:1]
	s_cbranch_execz .LBB27_432
; %bb.411:
	v_cmp_gt_f16_e32 vcc, 0, v3
	s_mov_b64 s[0:1], -1
	v_mov_b32_e32 v1, 0
	s_and_saveexec_b64 s[4:5], vcc
	s_cbranch_execz .LBB27_419
; %bb.412:
	v_trunc_f32_e32 v1, v8
	v_cmp_neq_f32_e32 vcc, v1, v8
	s_mov_b64 s[8:9], 0
	v_mov_b32_e32 v1, 0
	s_and_saveexec_b64 s[6:7], vcc
	s_cbranch_execz .LBB27_418
; %bb.413:
	v_cvt_f32_f16_e32 v1, v3
	s_mov_b32 s0, 0
	s_mov_b32 s9, 0xc00921fb
	;; [unrolled: 1-line block ×3, first 2 shown]
	v_cvt_f64_f32_e32 v[1:2], v1
	s_mov_b32 s1, 0x7ff00000
	v_bfrev_b32_e32 v5, 1
	s_mov_b32 s10, 0
	v_trunc_f64_e32 v[3:4], v[1:2]
	v_cmp_neq_f64_e64 vcc, |v[1:2]|, s[0:1]
	s_mov_b32 s11, 0x41d00000
                                        ; implicit-def: $vgpr9
	v_add_f64 v[3:4], v[1:2], -v[3:4]
	v_mul_f64 v[3:4], |v[3:4]|, s[8:9]
	v_cndmask_b32_e32 v2, v5, v4, vcc
	v_cndmask_b32_e32 v1, 0, v3, vcc
	v_cmp_nlt_f64_e64 s[10:11], |v[1:2]|, s[10:11]
                                        ; implicit-def: $vgpr3_vgpr4
                                        ; implicit-def: $vgpr5_vgpr6
	s_and_saveexec_b64 s[12:13], s[10:11]
	s_xor_b64 s[10:11], exec, s[12:13]
	s_cbranch_execz .LBB27_415
; %bb.414:
	v_trig_preop_f64 v[3:4], |v[1:2]|, 0
	s_mov_b32 s12, 0
	s_mov_b32 s13, 0x7b000000
	s_movk_i32 s9, 0xff80
	v_ldexp_f64 v[9:10], |v[1:2]|, s9
	v_cmp_ge_f64_e64 vcc, |v[1:2]|, s[12:13]
	v_trig_preop_f64 v[5:6], |v[1:2]|, 1
	v_and_b32_e32 v11, 0x7fffffff, v2
	v_trig_preop_f64 v[17:18], |v[1:2]|, 2
	v_mov_b32_e32 v28, 0x40100000
	v_mov_b32_e32 v27, 0
	s_mov_b32 s9, 0x3ff921fb
	v_cndmask_b32_e32 v10, v11, v10, vcc
	v_cndmask_b32_e32 v9, v1, v9, vcc
	v_mul_f64 v[11:12], v[3:4], v[9:10]
	v_mul_f64 v[13:14], v[5:6], v[9:10]
	;; [unrolled: 1-line block ×3, first 2 shown]
	v_fma_f64 v[3:4], v[3:4], v[9:10], -v[11:12]
	v_fma_f64 v[5:6], v[5:6], v[9:10], -v[13:14]
	;; [unrolled: 1-line block ×3, first 2 shown]
	v_add_f64 v[15:16], v[13:14], v[3:4]
	v_add_f64 v[19:20], v[15:16], -v[13:14]
	v_add_f64 v[25:26], v[11:12], v[15:16]
	v_add_f64 v[21:22], v[15:16], -v[19:20]
	v_add_f64 v[3:4], v[3:4], -v[19:20]
	v_add_f64 v[19:20], v[23:24], v[5:6]
	v_add_f64 v[11:12], v[25:26], -v[11:12]
	v_add_f64 v[13:14], v[13:14], -v[21:22]
	v_ldexp_f64 v[21:22], v[25:26], -2
	v_add_f64 v[29:30], v[19:20], -v[23:24]
	v_add_f64 v[11:12], v[15:16], -v[11:12]
	v_add_f64 v[3:4], v[3:4], v[13:14]
	v_fract_f64_e32 v[13:14], v[21:22]
	v_cmp_neq_f64_e64 vcc, |v[21:22]|, s[0:1]
	v_add_f64 v[5:6], v[5:6], -v[29:30]
	v_add_f64 v[15:16], v[19:20], v[3:4]
	v_ldexp_f64 v[13:14], v[13:14], 2
	v_add_f64 v[21:22], v[11:12], v[15:16]
	v_cndmask_b32_e32 v14, 0, v14, vcc
	v_cndmask_b32_e32 v13, 0, v13, vcc
	v_add_f64 v[31:32], v[15:16], -v[19:20]
	v_add_f64 v[25:26], v[21:22], v[13:14]
	v_add_f64 v[11:12], v[21:22], -v[11:12]
	v_add_f64 v[33:34], v[15:16], -v[31:32]
	;; [unrolled: 1-line block ×3, first 2 shown]
	v_cmp_gt_f64_e32 vcc, 0, v[25:26]
	v_add_f64 v[25:26], v[19:20], -v[29:30]
	v_add_f64 v[11:12], v[15:16], -v[11:12]
	;; [unrolled: 1-line block ×3, first 2 shown]
	v_cndmask_b32_e32 v28, 0, v28, vcc
	v_add_f64 v[13:14], v[13:14], v[27:28]
	v_add_f64 v[25:26], v[23:24], -v[25:26]
	v_add_f64 v[3:4], v[3:4], v[19:20]
	v_add_f64 v[35:36], v[21:22], v[13:14]
	;; [unrolled: 1-line block ×3, first 2 shown]
	v_cvt_i32_f64_e32 v30, v[35:36]
	v_add_f64 v[3:4], v[5:6], v[3:4]
	v_cvt_f64_i32_e32 v[28:29], v30
	v_add_f64 v[13:14], v[13:14], -v[28:29]
	v_add_f64 v[3:4], v[9:10], v[3:4]
	v_add_f64 v[5:6], v[21:22], v[13:14]
	;; [unrolled: 1-line block ×3, first 2 shown]
	v_mov_b32_e32 v12, 0x3ff00000
	v_add_f64 v[9:10], v[5:6], -v[13:14]
	v_cmp_le_f64_e32 vcc, 0.5, v[5:6]
	v_add_f64 v[10:11], v[21:22], -v[9:10]
	v_cndmask_b32_e32 v28, 0, v12, vcc
	v_add_f64 v[5:6], v[5:6], -v[27:28]
	v_addc_co_u32_e64 v9, s[0:1], 0, v30, vcc
	s_mov_b32 s0, 0x33145c07
	s_mov_b32 s1, 0x3c91a626
	v_add_f64 v[3:4], v[3:4], v[10:11]
	v_add_f64 v[10:11], v[5:6], v[3:4]
	v_mul_f64 v[12:13], v[10:11], s[8:9]
	v_add_f64 v[5:6], v[10:11], -v[5:6]
	v_fma_f64 v[14:15], v[10:11], s[8:9], -v[12:13]
	v_add_f64 v[3:4], v[3:4], -v[5:6]
	v_fma_f64 v[5:6], v[10:11], s[0:1], v[14:15]
	v_fma_f64 v[5:6], v[3:4], s[8:9], v[5:6]
	v_add_f64 v[3:4], v[12:13], v[5:6]
	v_add_f64 v[10:11], v[3:4], -v[12:13]
	v_add_f64 v[5:6], v[5:6], -v[10:11]
.LBB27_415:
	s_andn2_saveexec_b64 s[0:1], s[10:11]
	s_cbranch_execz .LBB27_417
; %bb.416:
	s_mov_b32 s8, 0x6dc9c883
	s_mov_b32 s9, 0x3fe45f30
	v_mul_f64 v[3:4], |v[1:2]|, s[8:9]
	s_mov_b32 s8, 0x54442d18
	s_mov_b32 s9, 0xbff921fb
	;; [unrolled: 1-line block ×4, first 2 shown]
	v_rndne_f64_e32 v[9:10], v[3:4]
	v_fma_f64 v[3:4], v[9:10], s[8:9], |v[1:2]|
	v_mul_f64 v[5:6], v[9:10], s[10:11]
	s_mov_b32 s8, 0x252049c0
	s_mov_b32 s9, 0xb97b839a
	v_fma_f64 v[15:16], v[9:10], s[10:11], v[3:4]
	v_add_f64 v[11:12], v[3:4], v[5:6]
	s_mov_b32 s11, 0x3c91a626
	v_add_f64 v[13:14], v[3:4], -v[11:12]
	v_add_f64 v[11:12], v[11:12], -v[15:16]
	v_add_f64 v[3:4], v[13:14], v[5:6]
	v_fma_f64 v[5:6], v[9:10], s[10:11], v[5:6]
	v_add_f64 v[3:4], v[11:12], v[3:4]
	v_add_f64 v[3:4], v[3:4], -v[5:6]
	v_fma_f64 v[5:6], v[9:10], s[8:9], v[3:4]
	v_cvt_i32_f64_e32 v9, v[9:10]
	v_add_f64 v[3:4], v[15:16], v[5:6]
	v_add_f64 v[11:12], v[3:4], -v[15:16]
	v_add_f64 v[5:6], v[5:6], -v[11:12]
.LBB27_417:
	s_or_b64 exec, exec, s[0:1]
	v_mul_f64 v[10:11], v[3:4], v[3:4]
	v_add_f64 v[12:13], v[5:6], v[5:6]
	s_mov_b32 s0, 0xc751c08c
	s_mov_b32 s1, 0x3ef5e089
	v_and_b32_e32 v9, 1, v9
	v_cmp_eq_u32_e32 vcc, 0, v9
	s_mov_b32 s10, 0x54442d18
	s_mov_b32 s11, 0xc00921fb
	v_fma_f64 v[14:15], v[3:4], v[3:4], -v[10:11]
	s_mov_b64 s[8:9], exec
	v_sub_f32_e32 v8, 1.0, v8
	v_fma_f64 v[12:13], v[3:4], v[12:13], v[14:15]
	v_add_f64 v[10:11], v[10:11], v[12:13]
	v_mov_b32_e32 v12, 0xa9a29f71
	v_mov_b32_e32 v13, 0xbf078809
	v_fma_f64 v[12:13], v[10:11], s[0:1], v[12:13]
	s_mov_b32 s0, 0x90a8aae0
	s_mov_b32 s1, 0x3f17746f
	v_fma_f64 v[12:13], v[10:11], v[12:13], s[0:1]
	s_mov_b32 s0, 0xa6fbf144
	s_mov_b32 s1, 0xbefbb44d
	;; [unrolled: 3-line block ×12, first 2 shown]
	v_fma_f64 v[12:13], v[10:11], v[12:13], s[0:1]
	s_movk_i32 s0, 0x1f8
	v_cmp_class_f64_e64 s[0:1], v[1:2], s0
	v_mul_f64 v[10:11], v[10:11], v[12:13]
	v_mul_f64 v[12:13], v[3:4], v[10:11]
	v_add_f64 v[14:15], v[3:4], v[12:13]
	v_fma_f64 v[10:11], v[3:4], v[10:11], -v[12:13]
	v_add_f64 v[3:4], v[14:15], -v[3:4]
	v_add_f64 v[5:6], v[5:6], v[10:11]
	v_add_f64 v[3:4], v[12:13], -v[3:4]
	v_add_f64 v[3:4], v[5:6], v[3:4]
	v_add_f64 v[5:6], v[14:15], v[3:4]
	v_rcp_f64_e32 v[10:11], v[5:6]
	v_fma_f64 v[12:13], -v[5:6], v[10:11], 1.0
	v_fma_f64 v[10:11], v[12:13], v[10:11], v[10:11]
	v_fma_f64 v[12:13], -v[5:6], v[10:11], 1.0
	v_fma_f64 v[10:11], v[12:13], v[10:11], v[10:11]
	v_add_f64 v[12:13], v[5:6], -v[14:15]
	v_mul_f64 v[14:15], v[5:6], v[10:11]
	v_add_f64 v[3:4], v[3:4], -v[12:13]
	v_fma_f64 v[12:13], v[10:11], v[5:6], -v[14:15]
	v_fma_f64 v[3:4], v[10:11], v[3:4], v[12:13]
	v_add_f64 v[12:13], v[14:15], v[3:4]
	v_add_f64 v[16:17], -v[12:13], 1.0
	v_add_f64 v[14:15], v[12:13], -v[14:15]
	v_add_f64 v[18:19], -v[16:17], 1.0
	v_add_f64 v[3:4], v[14:15], -v[3:4]
	v_add_f64 v[12:13], v[18:19], -v[12:13]
	v_add_f64 v[3:4], v[3:4], v[12:13]
	v_add_f64 v[3:4], v[16:17], v[3:4]
	v_mul_f64 v[3:4], v[10:11], v[3:4]
	v_add_f64 v[3:4], v[10:11], v[3:4]
	v_and_b32_e32 v10, 0x80000000, v2
	v_mov_b32_e32 v2, 0x7ff80000
	v_xor_b32_e32 v1, 0x80000000, v4
	v_cndmask_b32_e32 v3, v3, v5, vcc
	v_cndmask_b32_e32 v4, v1, v6, vcc
	v_cndmask_b32_e64 v1, 0, v3, s[0:1]
	v_xor_b32_e32 v3, v4, v10
	v_cndmask_b32_e64 v2, v2, v3, s[0:1]
	v_div_scale_f64 v[3:4], s[0:1], v[1:2], v[1:2], s[10:11]
	v_div_scale_f64 v[11:12], vcc, s[10:11], v[1:2], s[10:11]
	v_rcp_f64_e32 v[5:6], v[3:4]
	v_fma_f64 v[9:10], -v[3:4], v[5:6], 1.0
	v_fma_f64 v[5:6], v[5:6], v[9:10], v[5:6]
	v_fma_f64 v[9:10], -v[3:4], v[5:6], 1.0
	v_fma_f64 v[5:6], v[5:6], v[9:10], v[5:6]
	v_mul_f64 v[9:10], v[11:12], v[5:6]
	v_fma_f64 v[3:4], -v[3:4], v[9:10], v[11:12]
	v_div_fmas_f64 v[3:4], v[3:4], v[5:6], v[9:10]
	v_div_fixup_f64 v[1:2], v[3:4], v[1:2], s[10:11]
	v_cvt_f32_f64_e32 v1, v[1:2]
.LBB27_418:
	s_or_b64 exec, exec, s[6:7]
	s_orn2_b64 s[0:1], s[8:9], exec
.LBB27_419:
	s_or_b64 exec, exec, s[4:5]
	v_mov_b32_e32 v2, 0x7e00
	s_and_saveexec_b64 s[4:5], s[0:1]
	s_cbranch_execz .LBB27_431
; %bb.420:
	s_mov_b32 s8, 0x41200000
	v_cmp_gt_f32_e32 vcc, s8, v8
	s_and_saveexec_b64 s[0:1], vcc
	s_cbranch_execz .LBB27_424
; %bb.421:
	s_mov_b64 s[6:7], 0
.LBB27_422:                             ; =>This Inner Loop Header: Depth=1
	v_div_scale_f32 v2, s[10:11], v8, v8, 1.0
	v_div_scale_f32 v3, vcc, 1.0, v8, 1.0
	v_rcp_f32_e32 v4, v2
	v_fma_f32 v5, -v2, v4, 1.0
	v_fmac_f32_e32 v4, v5, v4
	v_mul_f32_e32 v5, v3, v4
	v_fma_f32 v6, -v2, v5, v3
	v_fmac_f32_e32 v5, v6, v4
	v_fma_f32 v2, -v2, v5, v3
	v_div_fmas_f32 v2, v2, v4, v5
	v_div_fixup_f32 v2, v2, v8, 1.0
	v_add_f32_e32 v8, 1.0, v8
	v_cmp_ngt_f32_e32 vcc, s8, v8
	s_or_b64 s[6:7], vcc, s[6:7]
	v_sub_f32_e32 v1, v1, v2
	s_andn2_b64 exec, exec, s[6:7]
	s_cbranch_execnz .LBB27_422
; %bb.423:
	s_or_b64 exec, exec, s[6:7]
.LBB27_424:
	s_or_b64 exec, exec, s[0:1]
	s_mov_b32 s0, 0x41200000
	v_cmp_neq_f32_e32 vcc, s0, v8
                                        ; implicit-def: $vgpr2
	s_and_saveexec_b64 s[0:1], vcc
	s_xor_b64 s[6:7], exec, s[0:1]
	s_cbranch_execz .LBB27_428
; %bb.425:
	v_cvt_f64_f32_e32 v[2:3], v8
	s_mov_b32 s0, 0x85d8a000
	s_mov_b32 s1, 0x43763457
	v_cmp_gt_f64_e32 vcc, s[0:1], v[2:3]
	v_mov_b32_e32 v2, 0
	s_and_saveexec_b64 s[0:1], vcc
	s_cbranch_execz .LBB27_427
; %bb.426:
	v_mul_f32_e32 v2, v8, v8
	v_div_scale_f32 v3, s[8:9], v2, v2, 1.0
	v_div_scale_f32 v4, vcc, 1.0, v2, 1.0
	v_mov_b32_e32 v10, 0x3b820821
	v_rcp_f32_e32 v5, v3
	v_fma_f32 v6, -v3, v5, 1.0
	v_fmac_f32_e32 v5, v6, v5
	v_mul_f32_e32 v6, v4, v5
	v_fma_f32 v9, -v3, v6, v4
	v_fmac_f32_e32 v6, v9, v5
	v_fma_f32 v3, -v3, v6, v4
	v_div_fmas_f32 v3, v3, v5, v6
	v_mov_b32_e32 v4, 0x3daaaaab
	v_mov_b32_e32 v5, 0xbcaccacd
	;; [unrolled: 1-line block ×4, first 2 shown]
	v_div_fixup_f32 v2, v3, v2, 1.0
	v_fma_f32 v3, 0, v2, v4
	v_fmac_f32_e32 v5, v2, v3
	v_fmac_f32_e32 v6, v2, v5
	;; [unrolled: 1-line block ×4, first 2 shown]
	v_mov_b32_e32 v3, 0xbc088889
	v_fmac_f32_e32 v3, v2, v10
	v_fmac_f32_e32 v4, v2, v3
	v_mul_f32_e32 v2, v2, v4
.LBB27_427:
	s_or_b64 exec, exec, s[0:1]
	v_div_scale_f32 v3, s[0:1], v8, v8, -0.5
	v_div_scale_f32 v4, vcc, -0.5, v8, -0.5
	s_mov_b32 s0, 0x800000
	v_cmp_gt_f32_e64 s[0:1], s0, v8
	v_cndmask_b32_e64 v6, 0, 32, s[0:1]
	s_mov_b32 s8, 0x3f317217
	v_rcp_f32_e32 v5, v3
	v_fma_f32 v9, -v3, v5, 1.0
	v_fmac_f32_e32 v5, v9, v5
	v_mul_f32_e32 v9, v4, v5
	v_fma_f32 v10, -v3, v9, v4
	v_fmac_f32_e32 v9, v10, v5
	v_fma_f32 v3, -v3, v9, v4
	v_div_fmas_f32 v3, v3, v5, v9
	v_ldexp_f32 v4, v8, v6
	v_log_f32_e32 v4, v4
	v_mul_f32_e32 v5, 0x3f317217, v4
	v_fma_f32 v5, v4, s8, -v5
	v_fmac_f32_e32 v5, 0x3377d1cf, v4
	s_mov_b32 s8, 0x7f800000
	v_fmac_f32_e32 v5, 0x3f317217, v4
	v_cmp_lt_f32_e64 vcc, |v4|, s8
	v_cndmask_b32_e32 v4, v4, v5, vcc
	v_mov_b32_e32 v5, 0x41b17218
	v_cndmask_b32_e64 v5, 0, v5, s[0:1]
	v_sub_f32_e32 v4, v4, v5
	v_div_fixup_f32 v3, v3, v8, -0.5
	v_add_f32_e32 v3, v4, v3
	v_sub_f32_e32 v2, v3, v2
	v_add_f32_e32 v1, v1, v2
	v_cvt_f16_f32_e32 v2, v1
                                        ; implicit-def: $vgpr1
.LBB27_428:
	s_andn2_saveexec_b64 s[0:1], s[6:7]
; %bb.429:
	v_add_f32_e32 v1, 0x40101cb7, v1
	v_cvt_f16_f32_e32 v2, v1
; %bb.430:
	s_or_b64 exec, exec, s[0:1]
.LBB27_431:
	s_or_b64 exec, exec, s[4:5]
                                        ; implicit-def: $vgpr8
.LBB27_432:
	s_andn2_saveexec_b64 s[0:1], s[2:3]
; %bb.433:
	v_xor_b32_e32 v1, 0x80000000, v8
	v_lshrrev_b32_e32 v1, 16, v1
	s_movk_i32 s2, 0x7fff
	v_mov_b32_e32 v2, 0x7c00
	v_bfi_b32 v2, s2, v2, v1
; %bb.434:
	s_or_b64 exec, exec, s[0:1]
	v_add_u32_e32 v7, 0x80, v7
	global_store_short v0, v2, s[16:17]
	s_or_b64 exec, exec, s[48:49]
	v_cmp_gt_i32_e32 vcc, s55, v7
	s_and_saveexec_b64 s[48:49], vcc
	s_cbranch_execnz .LBB27_396
.LBB27_435:
	s_or_b64 exec, exec, s[48:49]
	v_cmp_gt_i32_e32 vcc, s55, v7
	s_and_saveexec_b64 s[48:49], vcc
	s_cbranch_execz .LBB27_475
.LBB27_436:
	s_andn2_b64 vcc, exec, s[36:37]
	s_cbranch_vccnz .LBB27_441
; %bb.437:
	s_andn2_b64 vcc, exec, s[46:47]
	s_cbranch_vccnz .LBB27_442
; %bb.438:
	s_add_i32 s58, s56, 1
	s_cmp_eq_u32 s54, 2
	s_cbranch_scc1 .LBB27_483
; %bb.439:
	s_and_b32 s57, s58, 28
	v_mov_b32_e32 v2, 0
	s_mov_b32 s59, 0
	s_mov_b64 s[50:51], s[34:35]
	s_mov_b64 s[52:53], s[44:45]
	v_mov_b32_e32 v0, 0
	v_mov_b32_e32 v1, v7
.LBB27_440:                             ; =>This Inner Loop Header: Depth=1
	s_load_dwordx8 s[8:15], s[50:51], 0x4
	s_load_dwordx4 s[28:31], s[50:51], 0x24
	s_load_dwordx8 s[0:7], s[52:53], 0x0
	s_add_u32 s50, s50, 48
	s_addc_u32 s51, s51, 0
	s_waitcnt lgkmcnt(0)
	v_mul_hi_u32 v3, s9, v1
	s_add_i32 s59, s59, 4
	s_add_u32 s52, s52, 32
	s_addc_u32 s53, s53, 0
	v_add_u32_e32 v3, v1, v3
	v_lshrrev_b32_e32 v3, s10, v3
	v_mul_lo_u32 v4, v3, s8
	v_mul_hi_u32 v5, s12, v3
	s_cmp_eq_u32 s57, s59
	v_sub_u32_e32 v1, v1, v4
	v_add_u32_e32 v4, v3, v5
	v_mul_lo_u32 v5, v1, s0
	v_mul_lo_u32 v6, v1, s1
	v_lshrrev_b32_e32 v1, s13, v4
	v_mul_lo_u32 v4, v1, s11
	v_mul_hi_u32 v8, s15, v1
	v_sub_u32_e32 v3, v3, v4
	v_add_u32_e32 v4, v1, v8
	v_lshrrev_b32_e32 v4, s28, v4
	v_mul_hi_u32 v9, s30, v4
	v_mul_lo_u32 v10, v4, s14
	v_mul_lo_u32 v8, v3, s2
	;; [unrolled: 1-line block ×3, first 2 shown]
	v_sub_u32_e32 v10, v1, v10
	v_add_u32_e32 v1, v4, v9
	v_lshrrev_b32_e32 v1, s31, v1
	v_mul_lo_u32 v9, v1, s29
	v_mul_lo_u32 v11, v10, s4
	;; [unrolled: 1-line block ×3, first 2 shown]
	v_add3_u32 v0, v5, v0, v8
	v_sub_u32_e32 v4, v4, v9
	v_mul_lo_u32 v9, v4, s6
	v_mul_lo_u32 v4, v4, s7
	v_add3_u32 v2, v6, v2, v3
	v_add3_u32 v0, v11, v0, v9
	;; [unrolled: 1-line block ×3, first 2 shown]
	s_cbranch_scc0 .LBB27_440
	s_branch .LBB27_484
.LBB27_441:
                                        ; implicit-def: $vgpr0
                                        ; implicit-def: $vgpr2
	s_branch .LBB27_488
.LBB27_442:
	v_mov_b32_e32 v0, 0
	v_mov_b32_e32 v2, 0
	s_branch .LBB27_487
.LBB27_443:
	s_mov_b32 s57, 0
	v_mov_b32_e32 v0, 0
	v_mov_b32_e32 v2, 0
	;; [unrolled: 1-line block ×3, first 2 shown]
.LBB27_444:
	s_and_b32 s4, s58, 3
	s_cmp_eq_u32 s4, 0
	s_cbranch_scc1 .LBB27_447
; %bb.445:
	s_lshl_b32 s0, s57, 3
	s_add_u32 s0, s34, s0
	s_addc_u32 s1, s35, 0
	s_add_u32 s0, s0, 0xc4
	s_addc_u32 s1, s1, 0
	s_mul_i32 s2, s57, 12
	s_add_u32 s2, s34, s2
	s_addc_u32 s3, s35, 0
.LBB27_446:                             ; =>This Inner Loop Header: Depth=1
	s_load_dwordx2 s[6:7], s[2:3], 0x4
	s_load_dword s5, s[2:3], 0xc
	s_load_dwordx2 s[8:9], s[0:1], 0x0
	s_add_u32 s2, s2, 12
	s_addc_u32 s3, s3, 0
	s_waitcnt lgkmcnt(0)
	v_mul_hi_u32 v3, s7, v1
	s_add_u32 s0, s0, 8
	s_addc_u32 s1, s1, 0
	s_add_i32 s4, s4, -1
	v_add_u32_e32 v3, v1, v3
	v_lshrrev_b32_e32 v4, s5, v3
	v_mul_lo_u32 v3, v4, s6
	s_cmp_lg_u32 s4, 0
	v_sub_u32_e32 v3, v1, v3
	v_mad_u64_u32 v[0:1], s[6:7], v3, s8, v[0:1]
	v_mad_u64_u32 v[2:3], s[6:7], v3, s9, v[2:3]
	v_mov_b32_e32 v1, v4
	s_cbranch_scc1 .LBB27_446
.LBB27_447:
	s_cbranch_execnz .LBB27_450
.LBB27_448:
	s_waitcnt lgkmcnt(0)
	v_mul_hi_u32 v0, s25, v7
	s_andn2_b64 vcc, exec, s[42:43]
	v_add_u32_e32 v0, v7, v0
	v_lshrrev_b32_e32 v1, s26, v0
	v_mul_lo_u32 v0, v1, s24
	v_sub_u32_e32 v2, v7, v0
	v_mul_lo_u32 v0, v2, s20
	v_mul_lo_u32 v2, v2, s21
	s_cbranch_vccnz .LBB27_450
; %bb.449:
	v_mul_hi_u32 v3, s40, v1
	v_add_u32_e32 v3, v1, v3
	v_lshrrev_b32_e32 v3, s41, v3
	v_mul_lo_u32 v3, v3, s27
	v_sub_u32_e32 v3, v1, v3
	v_mad_u64_u32 v[0:1], s[0:1], v3, s22, v[0:1]
	v_mad_u64_u32 v[2:3], s[0:1], v3, s23, v[2:3]
.LBB27_450:
	s_waitcnt lgkmcnt(0)
	global_load_ushort v3, v2, s[18:19]
                                        ; implicit-def: $vgpr2
	s_waitcnt vmcnt(0)
	v_cvt_f32_f16_e32 v8, v3
	v_cmp_neq_f16_e32 vcc, 0, v3
	s_and_saveexec_b64 s[0:1], vcc
	s_xor_b64 s[2:3], exec, s[0:1]
	s_cbranch_execz .LBB27_472
; %bb.451:
	v_cmp_gt_f16_e32 vcc, 0, v3
	s_mov_b64 s[0:1], -1
	v_mov_b32_e32 v1, 0
	s_and_saveexec_b64 s[4:5], vcc
	s_cbranch_execz .LBB27_459
; %bb.452:
	v_trunc_f32_e32 v1, v8
	v_cmp_neq_f32_e32 vcc, v1, v8
	s_mov_b64 s[8:9], 0
	v_mov_b32_e32 v1, 0
	s_and_saveexec_b64 s[6:7], vcc
	s_cbranch_execz .LBB27_458
; %bb.453:
	v_cvt_f32_f16_e32 v1, v3
	s_mov_b32 s0, 0
	s_mov_b32 s9, 0xc00921fb
	;; [unrolled: 1-line block ×3, first 2 shown]
	v_cvt_f64_f32_e32 v[1:2], v1
	s_mov_b32 s1, 0x7ff00000
	v_bfrev_b32_e32 v5, 1
	s_mov_b32 s10, 0
	v_trunc_f64_e32 v[3:4], v[1:2]
	v_cmp_neq_f64_e64 vcc, |v[1:2]|, s[0:1]
	s_mov_b32 s11, 0x41d00000
                                        ; implicit-def: $vgpr9
	v_add_f64 v[3:4], v[1:2], -v[3:4]
	v_mul_f64 v[3:4], |v[3:4]|, s[8:9]
	v_cndmask_b32_e32 v2, v5, v4, vcc
	v_cndmask_b32_e32 v1, 0, v3, vcc
	v_cmp_nlt_f64_e64 s[10:11], |v[1:2]|, s[10:11]
                                        ; implicit-def: $vgpr3_vgpr4
                                        ; implicit-def: $vgpr5_vgpr6
	s_and_saveexec_b64 s[12:13], s[10:11]
	s_xor_b64 s[10:11], exec, s[12:13]
	s_cbranch_execz .LBB27_455
; %bb.454:
	v_trig_preop_f64 v[3:4], |v[1:2]|, 0
	s_mov_b32 s12, 0
	s_mov_b32 s13, 0x7b000000
	s_movk_i32 s9, 0xff80
	v_ldexp_f64 v[9:10], |v[1:2]|, s9
	v_cmp_ge_f64_e64 vcc, |v[1:2]|, s[12:13]
	v_trig_preop_f64 v[5:6], |v[1:2]|, 1
	v_and_b32_e32 v11, 0x7fffffff, v2
	v_trig_preop_f64 v[17:18], |v[1:2]|, 2
	v_mov_b32_e32 v28, 0x40100000
	v_mov_b32_e32 v27, 0
	s_mov_b32 s9, 0x3ff921fb
	v_cndmask_b32_e32 v10, v11, v10, vcc
	v_cndmask_b32_e32 v9, v1, v9, vcc
	v_mul_f64 v[11:12], v[3:4], v[9:10]
	v_mul_f64 v[13:14], v[5:6], v[9:10]
	;; [unrolled: 1-line block ×3, first 2 shown]
	v_fma_f64 v[3:4], v[3:4], v[9:10], -v[11:12]
	v_fma_f64 v[5:6], v[5:6], v[9:10], -v[13:14]
	;; [unrolled: 1-line block ×3, first 2 shown]
	v_add_f64 v[15:16], v[13:14], v[3:4]
	v_add_f64 v[19:20], v[15:16], -v[13:14]
	v_add_f64 v[25:26], v[11:12], v[15:16]
	v_add_f64 v[21:22], v[15:16], -v[19:20]
	v_add_f64 v[3:4], v[3:4], -v[19:20]
	v_add_f64 v[19:20], v[23:24], v[5:6]
	v_add_f64 v[11:12], v[25:26], -v[11:12]
	v_add_f64 v[13:14], v[13:14], -v[21:22]
	v_ldexp_f64 v[21:22], v[25:26], -2
	v_add_f64 v[29:30], v[19:20], -v[23:24]
	v_add_f64 v[11:12], v[15:16], -v[11:12]
	v_add_f64 v[3:4], v[3:4], v[13:14]
	v_fract_f64_e32 v[13:14], v[21:22]
	v_cmp_neq_f64_e64 vcc, |v[21:22]|, s[0:1]
	v_add_f64 v[5:6], v[5:6], -v[29:30]
	v_add_f64 v[15:16], v[19:20], v[3:4]
	v_ldexp_f64 v[13:14], v[13:14], 2
	v_add_f64 v[21:22], v[11:12], v[15:16]
	v_cndmask_b32_e32 v14, 0, v14, vcc
	v_cndmask_b32_e32 v13, 0, v13, vcc
	v_add_f64 v[31:32], v[15:16], -v[19:20]
	v_add_f64 v[25:26], v[21:22], v[13:14]
	v_add_f64 v[11:12], v[21:22], -v[11:12]
	v_add_f64 v[33:34], v[15:16], -v[31:32]
	;; [unrolled: 1-line block ×3, first 2 shown]
	v_cmp_gt_f64_e32 vcc, 0, v[25:26]
	v_add_f64 v[25:26], v[19:20], -v[29:30]
	v_add_f64 v[11:12], v[15:16], -v[11:12]
	;; [unrolled: 1-line block ×3, first 2 shown]
	v_cndmask_b32_e32 v28, 0, v28, vcc
	v_add_f64 v[13:14], v[13:14], v[27:28]
	v_add_f64 v[25:26], v[23:24], -v[25:26]
	v_add_f64 v[3:4], v[3:4], v[19:20]
	v_add_f64 v[35:36], v[21:22], v[13:14]
	;; [unrolled: 1-line block ×3, first 2 shown]
	v_cvt_i32_f64_e32 v30, v[35:36]
	v_add_f64 v[3:4], v[5:6], v[3:4]
	v_cvt_f64_i32_e32 v[28:29], v30
	v_add_f64 v[13:14], v[13:14], -v[28:29]
	v_add_f64 v[3:4], v[9:10], v[3:4]
	v_add_f64 v[5:6], v[21:22], v[13:14]
	;; [unrolled: 1-line block ×3, first 2 shown]
	v_mov_b32_e32 v12, 0x3ff00000
	v_add_f64 v[9:10], v[5:6], -v[13:14]
	v_cmp_le_f64_e32 vcc, 0.5, v[5:6]
	v_add_f64 v[10:11], v[21:22], -v[9:10]
	v_cndmask_b32_e32 v28, 0, v12, vcc
	v_add_f64 v[5:6], v[5:6], -v[27:28]
	v_addc_co_u32_e64 v9, s[0:1], 0, v30, vcc
	s_mov_b32 s0, 0x33145c07
	s_mov_b32 s1, 0x3c91a626
	v_add_f64 v[3:4], v[3:4], v[10:11]
	v_add_f64 v[10:11], v[5:6], v[3:4]
	v_mul_f64 v[12:13], v[10:11], s[8:9]
	v_add_f64 v[5:6], v[10:11], -v[5:6]
	v_fma_f64 v[14:15], v[10:11], s[8:9], -v[12:13]
	v_add_f64 v[3:4], v[3:4], -v[5:6]
	v_fma_f64 v[5:6], v[10:11], s[0:1], v[14:15]
	v_fma_f64 v[5:6], v[3:4], s[8:9], v[5:6]
	v_add_f64 v[3:4], v[12:13], v[5:6]
	v_add_f64 v[10:11], v[3:4], -v[12:13]
	v_add_f64 v[5:6], v[5:6], -v[10:11]
.LBB27_455:
	s_andn2_saveexec_b64 s[0:1], s[10:11]
	s_cbranch_execz .LBB27_457
; %bb.456:
	s_mov_b32 s8, 0x6dc9c883
	s_mov_b32 s9, 0x3fe45f30
	v_mul_f64 v[3:4], |v[1:2]|, s[8:9]
	s_mov_b32 s8, 0x54442d18
	s_mov_b32 s9, 0xbff921fb
	;; [unrolled: 1-line block ×4, first 2 shown]
	v_rndne_f64_e32 v[9:10], v[3:4]
	v_fma_f64 v[3:4], v[9:10], s[8:9], |v[1:2]|
	v_mul_f64 v[5:6], v[9:10], s[10:11]
	s_mov_b32 s8, 0x252049c0
	s_mov_b32 s9, 0xb97b839a
	v_fma_f64 v[15:16], v[9:10], s[10:11], v[3:4]
	v_add_f64 v[11:12], v[3:4], v[5:6]
	s_mov_b32 s11, 0x3c91a626
	v_add_f64 v[13:14], v[3:4], -v[11:12]
	v_add_f64 v[11:12], v[11:12], -v[15:16]
	v_add_f64 v[3:4], v[13:14], v[5:6]
	v_fma_f64 v[5:6], v[9:10], s[10:11], v[5:6]
	v_add_f64 v[3:4], v[11:12], v[3:4]
	v_add_f64 v[3:4], v[3:4], -v[5:6]
	v_fma_f64 v[5:6], v[9:10], s[8:9], v[3:4]
	v_cvt_i32_f64_e32 v9, v[9:10]
	v_add_f64 v[3:4], v[15:16], v[5:6]
	v_add_f64 v[11:12], v[3:4], -v[15:16]
	v_add_f64 v[5:6], v[5:6], -v[11:12]
.LBB27_457:
	s_or_b64 exec, exec, s[0:1]
	v_mul_f64 v[10:11], v[3:4], v[3:4]
	v_add_f64 v[12:13], v[5:6], v[5:6]
	s_mov_b32 s0, 0xc751c08c
	s_mov_b32 s1, 0x3ef5e089
	v_and_b32_e32 v9, 1, v9
	v_cmp_eq_u32_e32 vcc, 0, v9
	s_mov_b32 s10, 0x54442d18
	s_mov_b32 s11, 0xc00921fb
	v_fma_f64 v[14:15], v[3:4], v[3:4], -v[10:11]
	s_mov_b64 s[8:9], exec
	v_sub_f32_e32 v8, 1.0, v8
	v_fma_f64 v[12:13], v[3:4], v[12:13], v[14:15]
	v_add_f64 v[10:11], v[10:11], v[12:13]
	v_mov_b32_e32 v12, 0xa9a29f71
	v_mov_b32_e32 v13, 0xbf078809
	v_fma_f64 v[12:13], v[10:11], s[0:1], v[12:13]
	s_mov_b32 s0, 0x90a8aae0
	s_mov_b32 s1, 0x3f17746f
	v_fma_f64 v[12:13], v[10:11], v[12:13], s[0:1]
	s_mov_b32 s0, 0xa6fbf144
	s_mov_b32 s1, 0xbefbb44d
	;; [unrolled: 3-line block ×12, first 2 shown]
	v_fma_f64 v[12:13], v[10:11], v[12:13], s[0:1]
	s_movk_i32 s0, 0x1f8
	v_cmp_class_f64_e64 s[0:1], v[1:2], s0
	v_mul_f64 v[10:11], v[10:11], v[12:13]
	v_mul_f64 v[12:13], v[3:4], v[10:11]
	v_add_f64 v[14:15], v[3:4], v[12:13]
	v_fma_f64 v[10:11], v[3:4], v[10:11], -v[12:13]
	v_add_f64 v[3:4], v[14:15], -v[3:4]
	v_add_f64 v[5:6], v[5:6], v[10:11]
	v_add_f64 v[3:4], v[12:13], -v[3:4]
	v_add_f64 v[3:4], v[5:6], v[3:4]
	v_add_f64 v[5:6], v[14:15], v[3:4]
	v_rcp_f64_e32 v[10:11], v[5:6]
	v_fma_f64 v[12:13], -v[5:6], v[10:11], 1.0
	v_fma_f64 v[10:11], v[12:13], v[10:11], v[10:11]
	v_fma_f64 v[12:13], -v[5:6], v[10:11], 1.0
	v_fma_f64 v[10:11], v[12:13], v[10:11], v[10:11]
	v_add_f64 v[12:13], v[5:6], -v[14:15]
	v_mul_f64 v[14:15], v[5:6], v[10:11]
	v_add_f64 v[3:4], v[3:4], -v[12:13]
	v_fma_f64 v[12:13], v[10:11], v[5:6], -v[14:15]
	v_fma_f64 v[3:4], v[10:11], v[3:4], v[12:13]
	v_add_f64 v[12:13], v[14:15], v[3:4]
	v_add_f64 v[16:17], -v[12:13], 1.0
	v_add_f64 v[14:15], v[12:13], -v[14:15]
	v_add_f64 v[18:19], -v[16:17], 1.0
	v_add_f64 v[3:4], v[14:15], -v[3:4]
	v_add_f64 v[12:13], v[18:19], -v[12:13]
	v_add_f64 v[3:4], v[3:4], v[12:13]
	v_add_f64 v[3:4], v[16:17], v[3:4]
	v_mul_f64 v[3:4], v[10:11], v[3:4]
	v_add_f64 v[3:4], v[10:11], v[3:4]
	v_and_b32_e32 v10, 0x80000000, v2
	v_mov_b32_e32 v2, 0x7ff80000
	v_xor_b32_e32 v1, 0x80000000, v4
	v_cndmask_b32_e32 v3, v3, v5, vcc
	v_cndmask_b32_e32 v4, v1, v6, vcc
	v_cndmask_b32_e64 v1, 0, v3, s[0:1]
	v_xor_b32_e32 v3, v4, v10
	v_cndmask_b32_e64 v2, v2, v3, s[0:1]
	v_div_scale_f64 v[3:4], s[0:1], v[1:2], v[1:2], s[10:11]
	v_div_scale_f64 v[11:12], vcc, s[10:11], v[1:2], s[10:11]
	v_rcp_f64_e32 v[5:6], v[3:4]
	v_fma_f64 v[9:10], -v[3:4], v[5:6], 1.0
	v_fma_f64 v[5:6], v[5:6], v[9:10], v[5:6]
	v_fma_f64 v[9:10], -v[3:4], v[5:6], 1.0
	v_fma_f64 v[5:6], v[5:6], v[9:10], v[5:6]
	v_mul_f64 v[9:10], v[11:12], v[5:6]
	v_fma_f64 v[3:4], -v[3:4], v[9:10], v[11:12]
	v_div_fmas_f64 v[3:4], v[3:4], v[5:6], v[9:10]
	v_div_fixup_f64 v[1:2], v[3:4], v[1:2], s[10:11]
	v_cvt_f32_f64_e32 v1, v[1:2]
.LBB27_458:
	s_or_b64 exec, exec, s[6:7]
	s_orn2_b64 s[0:1], s[8:9], exec
.LBB27_459:
	s_or_b64 exec, exec, s[4:5]
	v_mov_b32_e32 v2, 0x7e00
	s_and_saveexec_b64 s[4:5], s[0:1]
	s_cbranch_execz .LBB27_471
; %bb.460:
	s_mov_b32 s8, 0x41200000
	v_cmp_gt_f32_e32 vcc, s8, v8
	s_and_saveexec_b64 s[0:1], vcc
	s_cbranch_execz .LBB27_464
; %bb.461:
	s_mov_b64 s[6:7], 0
.LBB27_462:                             ; =>This Inner Loop Header: Depth=1
	v_div_scale_f32 v2, s[10:11], v8, v8, 1.0
	v_div_scale_f32 v3, vcc, 1.0, v8, 1.0
	v_rcp_f32_e32 v4, v2
	v_fma_f32 v5, -v2, v4, 1.0
	v_fmac_f32_e32 v4, v5, v4
	v_mul_f32_e32 v5, v3, v4
	v_fma_f32 v6, -v2, v5, v3
	v_fmac_f32_e32 v5, v6, v4
	v_fma_f32 v2, -v2, v5, v3
	v_div_fmas_f32 v2, v2, v4, v5
	v_div_fixup_f32 v2, v2, v8, 1.0
	v_add_f32_e32 v8, 1.0, v8
	v_cmp_ngt_f32_e32 vcc, s8, v8
	s_or_b64 s[6:7], vcc, s[6:7]
	v_sub_f32_e32 v1, v1, v2
	s_andn2_b64 exec, exec, s[6:7]
	s_cbranch_execnz .LBB27_462
; %bb.463:
	s_or_b64 exec, exec, s[6:7]
.LBB27_464:
	s_or_b64 exec, exec, s[0:1]
	s_mov_b32 s0, 0x41200000
	v_cmp_neq_f32_e32 vcc, s0, v8
                                        ; implicit-def: $vgpr2
	s_and_saveexec_b64 s[0:1], vcc
	s_xor_b64 s[6:7], exec, s[0:1]
	s_cbranch_execz .LBB27_468
; %bb.465:
	v_cvt_f64_f32_e32 v[2:3], v8
	s_mov_b32 s0, 0x85d8a000
	s_mov_b32 s1, 0x43763457
	v_cmp_gt_f64_e32 vcc, s[0:1], v[2:3]
	v_mov_b32_e32 v2, 0
	s_and_saveexec_b64 s[0:1], vcc
	s_cbranch_execz .LBB27_467
; %bb.466:
	v_mul_f32_e32 v2, v8, v8
	v_div_scale_f32 v3, s[8:9], v2, v2, 1.0
	v_div_scale_f32 v4, vcc, 1.0, v2, 1.0
	v_mov_b32_e32 v10, 0x3b820821
	v_rcp_f32_e32 v5, v3
	v_fma_f32 v6, -v3, v5, 1.0
	v_fmac_f32_e32 v5, v6, v5
	v_mul_f32_e32 v6, v4, v5
	v_fma_f32 v9, -v3, v6, v4
	v_fmac_f32_e32 v6, v9, v5
	v_fma_f32 v3, -v3, v6, v4
	v_div_fmas_f32 v3, v3, v5, v6
	v_mov_b32_e32 v4, 0x3daaaaab
	v_mov_b32_e32 v5, 0xbcaccacd
	v_mov_b32_e32 v6, 0x3bf83e10
	v_mov_b32_e32 v9, 0xbb888889
	v_div_fixup_f32 v2, v3, v2, 1.0
	v_fma_f32 v3, 0, v2, v4
	v_fmac_f32_e32 v5, v2, v3
	v_fmac_f32_e32 v6, v2, v5
	;; [unrolled: 1-line block ×4, first 2 shown]
	v_mov_b32_e32 v3, 0xbc088889
	v_fmac_f32_e32 v3, v2, v10
	v_fmac_f32_e32 v4, v2, v3
	v_mul_f32_e32 v2, v2, v4
.LBB27_467:
	s_or_b64 exec, exec, s[0:1]
	v_div_scale_f32 v3, s[0:1], v8, v8, -0.5
	v_div_scale_f32 v4, vcc, -0.5, v8, -0.5
	s_mov_b32 s0, 0x800000
	v_cmp_gt_f32_e64 s[0:1], s0, v8
	v_cndmask_b32_e64 v6, 0, 32, s[0:1]
	s_mov_b32 s8, 0x3f317217
	v_rcp_f32_e32 v5, v3
	v_fma_f32 v9, -v3, v5, 1.0
	v_fmac_f32_e32 v5, v9, v5
	v_mul_f32_e32 v9, v4, v5
	v_fma_f32 v10, -v3, v9, v4
	v_fmac_f32_e32 v9, v10, v5
	v_fma_f32 v3, -v3, v9, v4
	v_div_fmas_f32 v3, v3, v5, v9
	v_ldexp_f32 v4, v8, v6
	v_log_f32_e32 v4, v4
	v_mul_f32_e32 v5, 0x3f317217, v4
	v_fma_f32 v5, v4, s8, -v5
	v_fmac_f32_e32 v5, 0x3377d1cf, v4
	s_mov_b32 s8, 0x7f800000
	v_fmac_f32_e32 v5, 0x3f317217, v4
	v_cmp_lt_f32_e64 vcc, |v4|, s8
	v_cndmask_b32_e32 v4, v4, v5, vcc
	v_mov_b32_e32 v5, 0x41b17218
	v_cndmask_b32_e64 v5, 0, v5, s[0:1]
	v_sub_f32_e32 v4, v4, v5
	v_div_fixup_f32 v3, v3, v8, -0.5
	v_add_f32_e32 v3, v4, v3
	v_sub_f32_e32 v2, v3, v2
	v_add_f32_e32 v1, v1, v2
	v_cvt_f16_f32_e32 v2, v1
                                        ; implicit-def: $vgpr1
.LBB27_468:
	s_andn2_saveexec_b64 s[0:1], s[6:7]
; %bb.469:
	v_add_f32_e32 v1, 0x40101cb7, v1
	v_cvt_f16_f32_e32 v2, v1
; %bb.470:
	s_or_b64 exec, exec, s[0:1]
.LBB27_471:
	s_or_b64 exec, exec, s[4:5]
                                        ; implicit-def: $vgpr8
.LBB27_472:
	s_andn2_saveexec_b64 s[0:1], s[2:3]
; %bb.473:
	v_xor_b32_e32 v1, 0x80000000, v8
	v_lshrrev_b32_e32 v1, 16, v1
	s_movk_i32 s2, 0x7fff
	v_mov_b32_e32 v2, 0x7c00
	v_bfi_b32 v2, s2, v2, v1
; %bb.474:
	s_or_b64 exec, exec, s[0:1]
	v_add_u32_e32 v7, 0x80, v7
	global_store_short v0, v2, s[16:17]
	s_or_b64 exec, exec, s[48:49]
	v_cmp_gt_i32_e32 vcc, s55, v7
	s_and_saveexec_b64 s[48:49], vcc
	s_cbranch_execnz .LBB27_436
.LBB27_475:
	s_or_b64 exec, exec, s[48:49]
	v_cmp_gt_i32_e32 vcc, s55, v7
	s_and_saveexec_b64 s[48:49], vcc
	s_cbranch_execz .LBB27_515
.LBB27_476:
	s_andn2_b64 vcc, exec, s[36:37]
	s_cbranch_vccnz .LBB27_481
; %bb.477:
	s_andn2_b64 vcc, exec, s[46:47]
	s_cbranch_vccnz .LBB27_482
; %bb.478:
	s_add_i32 s58, s56, 1
	s_cmp_eq_u32 s54, 2
	s_cbranch_scc1 .LBB27_523
; %bb.479:
	s_and_b32 s57, s58, 28
	v_mov_b32_e32 v2, 0
	s_mov_b32 s59, 0
	s_mov_b64 s[50:51], s[34:35]
	s_mov_b64 s[52:53], s[44:45]
	v_mov_b32_e32 v0, 0
	v_mov_b32_e32 v1, v7
.LBB27_480:                             ; =>This Inner Loop Header: Depth=1
	s_load_dwordx8 s[8:15], s[50:51], 0x4
	s_load_dwordx4 s[28:31], s[50:51], 0x24
	s_load_dwordx8 s[0:7], s[52:53], 0x0
	s_add_u32 s50, s50, 48
	s_addc_u32 s51, s51, 0
	s_waitcnt lgkmcnt(0)
	v_mul_hi_u32 v3, s9, v1
	s_add_i32 s59, s59, 4
	s_add_u32 s52, s52, 32
	s_addc_u32 s53, s53, 0
	v_add_u32_e32 v3, v1, v3
	v_lshrrev_b32_e32 v3, s10, v3
	v_mul_lo_u32 v4, v3, s8
	v_mul_hi_u32 v5, s12, v3
	s_cmp_eq_u32 s57, s59
	v_sub_u32_e32 v1, v1, v4
	v_add_u32_e32 v4, v3, v5
	v_mul_lo_u32 v5, v1, s0
	v_mul_lo_u32 v6, v1, s1
	v_lshrrev_b32_e32 v1, s13, v4
	v_mul_lo_u32 v4, v1, s11
	v_mul_hi_u32 v8, s15, v1
	v_sub_u32_e32 v3, v3, v4
	v_add_u32_e32 v4, v1, v8
	v_lshrrev_b32_e32 v4, s28, v4
	v_mul_hi_u32 v9, s30, v4
	v_mul_lo_u32 v10, v4, s14
	v_mul_lo_u32 v8, v3, s2
	;; [unrolled: 1-line block ×3, first 2 shown]
	v_sub_u32_e32 v10, v1, v10
	v_add_u32_e32 v1, v4, v9
	v_lshrrev_b32_e32 v1, s31, v1
	v_mul_lo_u32 v9, v1, s29
	v_mul_lo_u32 v11, v10, s4
	;; [unrolled: 1-line block ×3, first 2 shown]
	v_add3_u32 v0, v5, v0, v8
	v_sub_u32_e32 v4, v4, v9
	v_mul_lo_u32 v9, v4, s6
	v_mul_lo_u32 v4, v4, s7
	v_add3_u32 v2, v6, v2, v3
	v_add3_u32 v0, v11, v0, v9
	;; [unrolled: 1-line block ×3, first 2 shown]
	s_cbranch_scc0 .LBB27_480
	s_branch .LBB27_524
.LBB27_481:
                                        ; implicit-def: $vgpr0
                                        ; implicit-def: $vgpr2
	s_branch .LBB27_528
.LBB27_482:
	v_mov_b32_e32 v0, 0
	v_mov_b32_e32 v2, 0
	s_branch .LBB27_527
.LBB27_483:
	s_mov_b32 s57, 0
	v_mov_b32_e32 v0, 0
	v_mov_b32_e32 v2, 0
	;; [unrolled: 1-line block ×3, first 2 shown]
.LBB27_484:
	s_and_b32 s4, s58, 3
	s_cmp_eq_u32 s4, 0
	s_cbranch_scc1 .LBB27_487
; %bb.485:
	s_lshl_b32 s0, s57, 3
	s_add_u32 s0, s34, s0
	s_addc_u32 s1, s35, 0
	s_add_u32 s0, s0, 0xc4
	s_addc_u32 s1, s1, 0
	s_mul_i32 s2, s57, 12
	s_add_u32 s2, s34, s2
	s_addc_u32 s3, s35, 0
.LBB27_486:                             ; =>This Inner Loop Header: Depth=1
	s_load_dwordx2 s[6:7], s[2:3], 0x4
	s_load_dword s5, s[2:3], 0xc
	s_load_dwordx2 s[8:9], s[0:1], 0x0
	s_add_u32 s2, s2, 12
	s_addc_u32 s3, s3, 0
	s_waitcnt lgkmcnt(0)
	v_mul_hi_u32 v3, s7, v1
	s_add_u32 s0, s0, 8
	s_addc_u32 s1, s1, 0
	s_add_i32 s4, s4, -1
	v_add_u32_e32 v3, v1, v3
	v_lshrrev_b32_e32 v4, s5, v3
	v_mul_lo_u32 v3, v4, s6
	s_cmp_lg_u32 s4, 0
	v_sub_u32_e32 v3, v1, v3
	v_mad_u64_u32 v[0:1], s[6:7], v3, s8, v[0:1]
	v_mad_u64_u32 v[2:3], s[6:7], v3, s9, v[2:3]
	v_mov_b32_e32 v1, v4
	s_cbranch_scc1 .LBB27_486
.LBB27_487:
	s_cbranch_execnz .LBB27_490
.LBB27_488:
	s_waitcnt lgkmcnt(0)
	v_mul_hi_u32 v0, s25, v7
	s_andn2_b64 vcc, exec, s[42:43]
	v_add_u32_e32 v0, v7, v0
	v_lshrrev_b32_e32 v1, s26, v0
	v_mul_lo_u32 v0, v1, s24
	v_sub_u32_e32 v2, v7, v0
	v_mul_lo_u32 v0, v2, s20
	v_mul_lo_u32 v2, v2, s21
	s_cbranch_vccnz .LBB27_490
; %bb.489:
	v_mul_hi_u32 v3, s40, v1
	v_add_u32_e32 v3, v1, v3
	v_lshrrev_b32_e32 v3, s41, v3
	v_mul_lo_u32 v3, v3, s27
	v_sub_u32_e32 v3, v1, v3
	v_mad_u64_u32 v[0:1], s[0:1], v3, s22, v[0:1]
	v_mad_u64_u32 v[2:3], s[0:1], v3, s23, v[2:3]
.LBB27_490:
	s_waitcnt lgkmcnt(0)
	global_load_ushort v3, v2, s[18:19]
                                        ; implicit-def: $vgpr2
	s_waitcnt vmcnt(0)
	v_cvt_f32_f16_e32 v8, v3
	v_cmp_neq_f16_e32 vcc, 0, v3
	s_and_saveexec_b64 s[0:1], vcc
	s_xor_b64 s[2:3], exec, s[0:1]
	s_cbranch_execz .LBB27_512
; %bb.491:
	v_cmp_gt_f16_e32 vcc, 0, v3
	s_mov_b64 s[0:1], -1
	v_mov_b32_e32 v1, 0
	s_and_saveexec_b64 s[4:5], vcc
	s_cbranch_execz .LBB27_499
; %bb.492:
	v_trunc_f32_e32 v1, v8
	v_cmp_neq_f32_e32 vcc, v1, v8
	s_mov_b64 s[8:9], 0
	v_mov_b32_e32 v1, 0
	s_and_saveexec_b64 s[6:7], vcc
	s_cbranch_execz .LBB27_498
; %bb.493:
	v_cvt_f32_f16_e32 v1, v3
	s_mov_b32 s0, 0
	s_mov_b32 s9, 0xc00921fb
	;; [unrolled: 1-line block ×3, first 2 shown]
	v_cvt_f64_f32_e32 v[1:2], v1
	s_mov_b32 s1, 0x7ff00000
	v_bfrev_b32_e32 v5, 1
	s_mov_b32 s10, 0
	v_trunc_f64_e32 v[3:4], v[1:2]
	v_cmp_neq_f64_e64 vcc, |v[1:2]|, s[0:1]
	s_mov_b32 s11, 0x41d00000
                                        ; implicit-def: $vgpr9
	v_add_f64 v[3:4], v[1:2], -v[3:4]
	v_mul_f64 v[3:4], |v[3:4]|, s[8:9]
	v_cndmask_b32_e32 v2, v5, v4, vcc
	v_cndmask_b32_e32 v1, 0, v3, vcc
	v_cmp_nlt_f64_e64 s[10:11], |v[1:2]|, s[10:11]
                                        ; implicit-def: $vgpr3_vgpr4
                                        ; implicit-def: $vgpr5_vgpr6
	s_and_saveexec_b64 s[12:13], s[10:11]
	s_xor_b64 s[10:11], exec, s[12:13]
	s_cbranch_execz .LBB27_495
; %bb.494:
	v_trig_preop_f64 v[3:4], |v[1:2]|, 0
	s_mov_b32 s12, 0
	s_mov_b32 s13, 0x7b000000
	s_movk_i32 s9, 0xff80
	v_ldexp_f64 v[9:10], |v[1:2]|, s9
	v_cmp_ge_f64_e64 vcc, |v[1:2]|, s[12:13]
	v_trig_preop_f64 v[5:6], |v[1:2]|, 1
	v_and_b32_e32 v11, 0x7fffffff, v2
	v_trig_preop_f64 v[17:18], |v[1:2]|, 2
	v_mov_b32_e32 v28, 0x40100000
	v_mov_b32_e32 v27, 0
	s_mov_b32 s9, 0x3ff921fb
	v_cndmask_b32_e32 v10, v11, v10, vcc
	v_cndmask_b32_e32 v9, v1, v9, vcc
	v_mul_f64 v[11:12], v[3:4], v[9:10]
	v_mul_f64 v[13:14], v[5:6], v[9:10]
	;; [unrolled: 1-line block ×3, first 2 shown]
	v_fma_f64 v[3:4], v[3:4], v[9:10], -v[11:12]
	v_fma_f64 v[5:6], v[5:6], v[9:10], -v[13:14]
	;; [unrolled: 1-line block ×3, first 2 shown]
	v_add_f64 v[15:16], v[13:14], v[3:4]
	v_add_f64 v[19:20], v[15:16], -v[13:14]
	v_add_f64 v[25:26], v[11:12], v[15:16]
	v_add_f64 v[21:22], v[15:16], -v[19:20]
	v_add_f64 v[3:4], v[3:4], -v[19:20]
	v_add_f64 v[19:20], v[23:24], v[5:6]
	v_add_f64 v[11:12], v[25:26], -v[11:12]
	v_add_f64 v[13:14], v[13:14], -v[21:22]
	v_ldexp_f64 v[21:22], v[25:26], -2
	v_add_f64 v[29:30], v[19:20], -v[23:24]
	v_add_f64 v[11:12], v[15:16], -v[11:12]
	v_add_f64 v[3:4], v[3:4], v[13:14]
	v_fract_f64_e32 v[13:14], v[21:22]
	v_cmp_neq_f64_e64 vcc, |v[21:22]|, s[0:1]
	v_add_f64 v[5:6], v[5:6], -v[29:30]
	v_add_f64 v[15:16], v[19:20], v[3:4]
	v_ldexp_f64 v[13:14], v[13:14], 2
	v_add_f64 v[21:22], v[11:12], v[15:16]
	v_cndmask_b32_e32 v14, 0, v14, vcc
	v_cndmask_b32_e32 v13, 0, v13, vcc
	v_add_f64 v[31:32], v[15:16], -v[19:20]
	v_add_f64 v[25:26], v[21:22], v[13:14]
	v_add_f64 v[11:12], v[21:22], -v[11:12]
	v_add_f64 v[33:34], v[15:16], -v[31:32]
	;; [unrolled: 1-line block ×3, first 2 shown]
	v_cmp_gt_f64_e32 vcc, 0, v[25:26]
	v_add_f64 v[25:26], v[19:20], -v[29:30]
	v_add_f64 v[11:12], v[15:16], -v[11:12]
	;; [unrolled: 1-line block ×3, first 2 shown]
	v_cndmask_b32_e32 v28, 0, v28, vcc
	v_add_f64 v[13:14], v[13:14], v[27:28]
	v_add_f64 v[25:26], v[23:24], -v[25:26]
	v_add_f64 v[3:4], v[3:4], v[19:20]
	v_add_f64 v[35:36], v[21:22], v[13:14]
	;; [unrolled: 1-line block ×3, first 2 shown]
	v_cvt_i32_f64_e32 v30, v[35:36]
	v_add_f64 v[3:4], v[5:6], v[3:4]
	v_cvt_f64_i32_e32 v[28:29], v30
	v_add_f64 v[13:14], v[13:14], -v[28:29]
	v_add_f64 v[3:4], v[9:10], v[3:4]
	v_add_f64 v[5:6], v[21:22], v[13:14]
	;; [unrolled: 1-line block ×3, first 2 shown]
	v_mov_b32_e32 v12, 0x3ff00000
	v_add_f64 v[9:10], v[5:6], -v[13:14]
	v_cmp_le_f64_e32 vcc, 0.5, v[5:6]
	v_add_f64 v[10:11], v[21:22], -v[9:10]
	v_cndmask_b32_e32 v28, 0, v12, vcc
	v_add_f64 v[5:6], v[5:6], -v[27:28]
	v_addc_co_u32_e64 v9, s[0:1], 0, v30, vcc
	s_mov_b32 s0, 0x33145c07
	s_mov_b32 s1, 0x3c91a626
	v_add_f64 v[3:4], v[3:4], v[10:11]
	v_add_f64 v[10:11], v[5:6], v[3:4]
	v_mul_f64 v[12:13], v[10:11], s[8:9]
	v_add_f64 v[5:6], v[10:11], -v[5:6]
	v_fma_f64 v[14:15], v[10:11], s[8:9], -v[12:13]
	v_add_f64 v[3:4], v[3:4], -v[5:6]
	v_fma_f64 v[5:6], v[10:11], s[0:1], v[14:15]
	v_fma_f64 v[5:6], v[3:4], s[8:9], v[5:6]
	v_add_f64 v[3:4], v[12:13], v[5:6]
	v_add_f64 v[10:11], v[3:4], -v[12:13]
	v_add_f64 v[5:6], v[5:6], -v[10:11]
.LBB27_495:
	s_andn2_saveexec_b64 s[0:1], s[10:11]
	s_cbranch_execz .LBB27_497
; %bb.496:
	s_mov_b32 s8, 0x6dc9c883
	s_mov_b32 s9, 0x3fe45f30
	v_mul_f64 v[3:4], |v[1:2]|, s[8:9]
	s_mov_b32 s8, 0x54442d18
	s_mov_b32 s9, 0xbff921fb
	;; [unrolled: 1-line block ×4, first 2 shown]
	v_rndne_f64_e32 v[9:10], v[3:4]
	v_fma_f64 v[3:4], v[9:10], s[8:9], |v[1:2]|
	v_mul_f64 v[5:6], v[9:10], s[10:11]
	s_mov_b32 s8, 0x252049c0
	s_mov_b32 s9, 0xb97b839a
	v_fma_f64 v[15:16], v[9:10], s[10:11], v[3:4]
	v_add_f64 v[11:12], v[3:4], v[5:6]
	s_mov_b32 s11, 0x3c91a626
	v_add_f64 v[13:14], v[3:4], -v[11:12]
	v_add_f64 v[11:12], v[11:12], -v[15:16]
	v_add_f64 v[3:4], v[13:14], v[5:6]
	v_fma_f64 v[5:6], v[9:10], s[10:11], v[5:6]
	v_add_f64 v[3:4], v[11:12], v[3:4]
	v_add_f64 v[3:4], v[3:4], -v[5:6]
	v_fma_f64 v[5:6], v[9:10], s[8:9], v[3:4]
	v_cvt_i32_f64_e32 v9, v[9:10]
	v_add_f64 v[3:4], v[15:16], v[5:6]
	v_add_f64 v[11:12], v[3:4], -v[15:16]
	v_add_f64 v[5:6], v[5:6], -v[11:12]
.LBB27_497:
	s_or_b64 exec, exec, s[0:1]
	v_mul_f64 v[10:11], v[3:4], v[3:4]
	v_add_f64 v[12:13], v[5:6], v[5:6]
	s_mov_b32 s0, 0xc751c08c
	s_mov_b32 s1, 0x3ef5e089
	v_and_b32_e32 v9, 1, v9
	v_cmp_eq_u32_e32 vcc, 0, v9
	s_mov_b32 s10, 0x54442d18
	s_mov_b32 s11, 0xc00921fb
	v_fma_f64 v[14:15], v[3:4], v[3:4], -v[10:11]
	s_mov_b64 s[8:9], exec
	v_sub_f32_e32 v8, 1.0, v8
	v_fma_f64 v[12:13], v[3:4], v[12:13], v[14:15]
	v_add_f64 v[10:11], v[10:11], v[12:13]
	v_mov_b32_e32 v12, 0xa9a29f71
	v_mov_b32_e32 v13, 0xbf078809
	v_fma_f64 v[12:13], v[10:11], s[0:1], v[12:13]
	s_mov_b32 s0, 0x90a8aae0
	s_mov_b32 s1, 0x3f17746f
	v_fma_f64 v[12:13], v[10:11], v[12:13], s[0:1]
	s_mov_b32 s0, 0xa6fbf144
	s_mov_b32 s1, 0xbefbb44d
	;; [unrolled: 3-line block ×12, first 2 shown]
	v_fma_f64 v[12:13], v[10:11], v[12:13], s[0:1]
	s_movk_i32 s0, 0x1f8
	v_cmp_class_f64_e64 s[0:1], v[1:2], s0
	v_mul_f64 v[10:11], v[10:11], v[12:13]
	v_mul_f64 v[12:13], v[3:4], v[10:11]
	v_add_f64 v[14:15], v[3:4], v[12:13]
	v_fma_f64 v[10:11], v[3:4], v[10:11], -v[12:13]
	v_add_f64 v[3:4], v[14:15], -v[3:4]
	v_add_f64 v[5:6], v[5:6], v[10:11]
	v_add_f64 v[3:4], v[12:13], -v[3:4]
	v_add_f64 v[3:4], v[5:6], v[3:4]
	v_add_f64 v[5:6], v[14:15], v[3:4]
	v_rcp_f64_e32 v[10:11], v[5:6]
	v_fma_f64 v[12:13], -v[5:6], v[10:11], 1.0
	v_fma_f64 v[10:11], v[12:13], v[10:11], v[10:11]
	v_fma_f64 v[12:13], -v[5:6], v[10:11], 1.0
	v_fma_f64 v[10:11], v[12:13], v[10:11], v[10:11]
	v_add_f64 v[12:13], v[5:6], -v[14:15]
	v_mul_f64 v[14:15], v[5:6], v[10:11]
	v_add_f64 v[3:4], v[3:4], -v[12:13]
	v_fma_f64 v[12:13], v[10:11], v[5:6], -v[14:15]
	v_fma_f64 v[3:4], v[10:11], v[3:4], v[12:13]
	v_add_f64 v[12:13], v[14:15], v[3:4]
	v_add_f64 v[16:17], -v[12:13], 1.0
	v_add_f64 v[14:15], v[12:13], -v[14:15]
	v_add_f64 v[18:19], -v[16:17], 1.0
	v_add_f64 v[3:4], v[14:15], -v[3:4]
	v_add_f64 v[12:13], v[18:19], -v[12:13]
	v_add_f64 v[3:4], v[3:4], v[12:13]
	v_add_f64 v[3:4], v[16:17], v[3:4]
	v_mul_f64 v[3:4], v[10:11], v[3:4]
	v_add_f64 v[3:4], v[10:11], v[3:4]
	v_and_b32_e32 v10, 0x80000000, v2
	v_mov_b32_e32 v2, 0x7ff80000
	v_xor_b32_e32 v1, 0x80000000, v4
	v_cndmask_b32_e32 v3, v3, v5, vcc
	v_cndmask_b32_e32 v4, v1, v6, vcc
	v_cndmask_b32_e64 v1, 0, v3, s[0:1]
	v_xor_b32_e32 v3, v4, v10
	v_cndmask_b32_e64 v2, v2, v3, s[0:1]
	v_div_scale_f64 v[3:4], s[0:1], v[1:2], v[1:2], s[10:11]
	v_div_scale_f64 v[11:12], vcc, s[10:11], v[1:2], s[10:11]
	v_rcp_f64_e32 v[5:6], v[3:4]
	v_fma_f64 v[9:10], -v[3:4], v[5:6], 1.0
	v_fma_f64 v[5:6], v[5:6], v[9:10], v[5:6]
	v_fma_f64 v[9:10], -v[3:4], v[5:6], 1.0
	v_fma_f64 v[5:6], v[5:6], v[9:10], v[5:6]
	v_mul_f64 v[9:10], v[11:12], v[5:6]
	v_fma_f64 v[3:4], -v[3:4], v[9:10], v[11:12]
	v_div_fmas_f64 v[3:4], v[3:4], v[5:6], v[9:10]
	v_div_fixup_f64 v[1:2], v[3:4], v[1:2], s[10:11]
	v_cvt_f32_f64_e32 v1, v[1:2]
.LBB27_498:
	s_or_b64 exec, exec, s[6:7]
	s_orn2_b64 s[0:1], s[8:9], exec
.LBB27_499:
	s_or_b64 exec, exec, s[4:5]
	v_mov_b32_e32 v2, 0x7e00
	s_and_saveexec_b64 s[4:5], s[0:1]
	s_cbranch_execz .LBB27_511
; %bb.500:
	s_mov_b32 s8, 0x41200000
	v_cmp_gt_f32_e32 vcc, s8, v8
	s_and_saveexec_b64 s[0:1], vcc
	s_cbranch_execz .LBB27_504
; %bb.501:
	s_mov_b64 s[6:7], 0
.LBB27_502:                             ; =>This Inner Loop Header: Depth=1
	v_div_scale_f32 v2, s[10:11], v8, v8, 1.0
	v_div_scale_f32 v3, vcc, 1.0, v8, 1.0
	v_rcp_f32_e32 v4, v2
	v_fma_f32 v5, -v2, v4, 1.0
	v_fmac_f32_e32 v4, v5, v4
	v_mul_f32_e32 v5, v3, v4
	v_fma_f32 v6, -v2, v5, v3
	v_fmac_f32_e32 v5, v6, v4
	v_fma_f32 v2, -v2, v5, v3
	v_div_fmas_f32 v2, v2, v4, v5
	v_div_fixup_f32 v2, v2, v8, 1.0
	v_add_f32_e32 v8, 1.0, v8
	v_cmp_ngt_f32_e32 vcc, s8, v8
	s_or_b64 s[6:7], vcc, s[6:7]
	v_sub_f32_e32 v1, v1, v2
	s_andn2_b64 exec, exec, s[6:7]
	s_cbranch_execnz .LBB27_502
; %bb.503:
	s_or_b64 exec, exec, s[6:7]
.LBB27_504:
	s_or_b64 exec, exec, s[0:1]
	s_mov_b32 s0, 0x41200000
	v_cmp_neq_f32_e32 vcc, s0, v8
                                        ; implicit-def: $vgpr2
	s_and_saveexec_b64 s[0:1], vcc
	s_xor_b64 s[6:7], exec, s[0:1]
	s_cbranch_execz .LBB27_508
; %bb.505:
	v_cvt_f64_f32_e32 v[2:3], v8
	s_mov_b32 s0, 0x85d8a000
	s_mov_b32 s1, 0x43763457
	v_cmp_gt_f64_e32 vcc, s[0:1], v[2:3]
	v_mov_b32_e32 v2, 0
	s_and_saveexec_b64 s[0:1], vcc
	s_cbranch_execz .LBB27_507
; %bb.506:
	v_mul_f32_e32 v2, v8, v8
	v_div_scale_f32 v3, s[8:9], v2, v2, 1.0
	v_div_scale_f32 v4, vcc, 1.0, v2, 1.0
	v_mov_b32_e32 v10, 0x3b820821
	v_rcp_f32_e32 v5, v3
	v_fma_f32 v6, -v3, v5, 1.0
	v_fmac_f32_e32 v5, v6, v5
	v_mul_f32_e32 v6, v4, v5
	v_fma_f32 v9, -v3, v6, v4
	v_fmac_f32_e32 v6, v9, v5
	v_fma_f32 v3, -v3, v6, v4
	v_div_fmas_f32 v3, v3, v5, v6
	v_mov_b32_e32 v4, 0x3daaaaab
	v_mov_b32_e32 v5, 0xbcaccacd
	;; [unrolled: 1-line block ×4, first 2 shown]
	v_div_fixup_f32 v2, v3, v2, 1.0
	v_fma_f32 v3, 0, v2, v4
	v_fmac_f32_e32 v5, v2, v3
	v_fmac_f32_e32 v6, v2, v5
	;; [unrolled: 1-line block ×4, first 2 shown]
	v_mov_b32_e32 v3, 0xbc088889
	v_fmac_f32_e32 v3, v2, v10
	v_fmac_f32_e32 v4, v2, v3
	v_mul_f32_e32 v2, v2, v4
.LBB27_507:
	s_or_b64 exec, exec, s[0:1]
	v_div_scale_f32 v3, s[0:1], v8, v8, -0.5
	v_div_scale_f32 v4, vcc, -0.5, v8, -0.5
	s_mov_b32 s0, 0x800000
	v_cmp_gt_f32_e64 s[0:1], s0, v8
	v_cndmask_b32_e64 v6, 0, 32, s[0:1]
	s_mov_b32 s8, 0x3f317217
	v_rcp_f32_e32 v5, v3
	v_fma_f32 v9, -v3, v5, 1.0
	v_fmac_f32_e32 v5, v9, v5
	v_mul_f32_e32 v9, v4, v5
	v_fma_f32 v10, -v3, v9, v4
	v_fmac_f32_e32 v9, v10, v5
	v_fma_f32 v3, -v3, v9, v4
	v_div_fmas_f32 v3, v3, v5, v9
	v_ldexp_f32 v4, v8, v6
	v_log_f32_e32 v4, v4
	v_mul_f32_e32 v5, 0x3f317217, v4
	v_fma_f32 v5, v4, s8, -v5
	v_fmac_f32_e32 v5, 0x3377d1cf, v4
	s_mov_b32 s8, 0x7f800000
	v_fmac_f32_e32 v5, 0x3f317217, v4
	v_cmp_lt_f32_e64 vcc, |v4|, s8
	v_cndmask_b32_e32 v4, v4, v5, vcc
	v_mov_b32_e32 v5, 0x41b17218
	v_cndmask_b32_e64 v5, 0, v5, s[0:1]
	v_sub_f32_e32 v4, v4, v5
	v_div_fixup_f32 v3, v3, v8, -0.5
	v_add_f32_e32 v3, v4, v3
	v_sub_f32_e32 v2, v3, v2
	v_add_f32_e32 v1, v1, v2
	v_cvt_f16_f32_e32 v2, v1
                                        ; implicit-def: $vgpr1
.LBB27_508:
	s_andn2_saveexec_b64 s[0:1], s[6:7]
; %bb.509:
	v_add_f32_e32 v1, 0x40101cb7, v1
	v_cvt_f16_f32_e32 v2, v1
; %bb.510:
	s_or_b64 exec, exec, s[0:1]
.LBB27_511:
	s_or_b64 exec, exec, s[4:5]
                                        ; implicit-def: $vgpr8
.LBB27_512:
	s_andn2_saveexec_b64 s[0:1], s[2:3]
; %bb.513:
	v_xor_b32_e32 v1, 0x80000000, v8
	v_lshrrev_b32_e32 v1, 16, v1
	s_movk_i32 s2, 0x7fff
	v_mov_b32_e32 v2, 0x7c00
	v_bfi_b32 v2, s2, v2, v1
; %bb.514:
	s_or_b64 exec, exec, s[0:1]
	v_add_u32_e32 v7, 0x80, v7
	global_store_short v0, v2, s[16:17]
	s_or_b64 exec, exec, s[48:49]
	v_cmp_gt_i32_e32 vcc, s55, v7
	s_and_saveexec_b64 s[48:49], vcc
	s_cbranch_execnz .LBB27_476
.LBB27_515:
	s_or_b64 exec, exec, s[48:49]
	v_cmp_gt_i32_e32 vcc, s55, v7
	s_and_saveexec_b64 s[48:49], vcc
	s_cbranch_execz .LBB27_555
.LBB27_516:
	s_andn2_b64 vcc, exec, s[36:37]
	s_cbranch_vccnz .LBB27_521
; %bb.517:
	s_andn2_b64 vcc, exec, s[46:47]
	s_cbranch_vccnz .LBB27_522
; %bb.518:
	s_add_i32 s58, s56, 1
	s_cmp_eq_u32 s54, 2
	s_cbranch_scc1 .LBB27_558
; %bb.519:
	s_and_b32 s57, s58, 28
	v_mov_b32_e32 v2, 0
	s_mov_b32 s59, 0
	s_mov_b64 s[50:51], s[34:35]
	s_mov_b64 s[52:53], s[44:45]
	v_mov_b32_e32 v0, 0
	v_mov_b32_e32 v1, v7
.LBB27_520:                             ; =>This Inner Loop Header: Depth=1
	s_load_dwordx8 s[8:15], s[50:51], 0x4
	s_load_dwordx4 s[28:31], s[50:51], 0x24
	s_load_dwordx8 s[0:7], s[52:53], 0x0
	s_add_u32 s50, s50, 48
	s_addc_u32 s51, s51, 0
	s_waitcnt lgkmcnt(0)
	v_mul_hi_u32 v3, s9, v1
	s_add_i32 s59, s59, 4
	s_add_u32 s52, s52, 32
	s_addc_u32 s53, s53, 0
	v_add_u32_e32 v3, v1, v3
	v_lshrrev_b32_e32 v3, s10, v3
	v_mul_lo_u32 v4, v3, s8
	v_mul_hi_u32 v5, s12, v3
	s_cmp_eq_u32 s57, s59
	v_sub_u32_e32 v1, v1, v4
	v_add_u32_e32 v4, v3, v5
	v_mul_lo_u32 v5, v1, s0
	v_mul_lo_u32 v6, v1, s1
	v_lshrrev_b32_e32 v1, s13, v4
	v_mul_lo_u32 v4, v1, s11
	v_mul_hi_u32 v8, s15, v1
	v_sub_u32_e32 v3, v3, v4
	v_add_u32_e32 v4, v1, v8
	v_lshrrev_b32_e32 v4, s28, v4
	v_mul_hi_u32 v9, s30, v4
	v_mul_lo_u32 v10, v4, s14
	v_mul_lo_u32 v8, v3, s2
	;; [unrolled: 1-line block ×3, first 2 shown]
	v_sub_u32_e32 v10, v1, v10
	v_add_u32_e32 v1, v4, v9
	v_lshrrev_b32_e32 v1, s31, v1
	v_mul_lo_u32 v9, v1, s29
	v_mul_lo_u32 v11, v10, s4
	;; [unrolled: 1-line block ×3, first 2 shown]
	v_add3_u32 v0, v5, v0, v8
	v_sub_u32_e32 v4, v4, v9
	v_mul_lo_u32 v9, v4, s6
	v_mul_lo_u32 v4, v4, s7
	v_add3_u32 v2, v6, v2, v3
	v_add3_u32 v0, v11, v0, v9
	;; [unrolled: 1-line block ×3, first 2 shown]
	s_cbranch_scc0 .LBB27_520
	s_branch .LBB27_559
.LBB27_521:
                                        ; implicit-def: $vgpr0
                                        ; implicit-def: $vgpr2
	s_branch .LBB27_563
.LBB27_522:
	v_mov_b32_e32 v0, 0
	v_mov_b32_e32 v2, 0
	s_branch .LBB27_562
.LBB27_523:
	s_mov_b32 s57, 0
	v_mov_b32_e32 v0, 0
	v_mov_b32_e32 v2, 0
	;; [unrolled: 1-line block ×3, first 2 shown]
.LBB27_524:
	s_and_b32 s4, s58, 3
	s_cmp_eq_u32 s4, 0
	s_cbranch_scc1 .LBB27_527
; %bb.525:
	s_lshl_b32 s0, s57, 3
	s_add_u32 s0, s34, s0
	s_addc_u32 s1, s35, 0
	s_add_u32 s0, s0, 0xc4
	s_addc_u32 s1, s1, 0
	s_mul_i32 s2, s57, 12
	s_add_u32 s2, s34, s2
	s_addc_u32 s3, s35, 0
.LBB27_526:                             ; =>This Inner Loop Header: Depth=1
	s_load_dwordx2 s[6:7], s[2:3], 0x4
	s_load_dword s5, s[2:3], 0xc
	s_load_dwordx2 s[8:9], s[0:1], 0x0
	s_add_u32 s2, s2, 12
	s_addc_u32 s3, s3, 0
	s_waitcnt lgkmcnt(0)
	v_mul_hi_u32 v3, s7, v1
	s_add_u32 s0, s0, 8
	s_addc_u32 s1, s1, 0
	s_add_i32 s4, s4, -1
	v_add_u32_e32 v3, v1, v3
	v_lshrrev_b32_e32 v4, s5, v3
	v_mul_lo_u32 v3, v4, s6
	s_cmp_lg_u32 s4, 0
	v_sub_u32_e32 v3, v1, v3
	v_mad_u64_u32 v[0:1], s[6:7], v3, s8, v[0:1]
	v_mad_u64_u32 v[2:3], s[6:7], v3, s9, v[2:3]
	v_mov_b32_e32 v1, v4
	s_cbranch_scc1 .LBB27_526
.LBB27_527:
	s_cbranch_execnz .LBB27_530
.LBB27_528:
	s_waitcnt lgkmcnt(0)
	v_mul_hi_u32 v0, s25, v7
	s_andn2_b64 vcc, exec, s[42:43]
	v_add_u32_e32 v0, v7, v0
	v_lshrrev_b32_e32 v1, s26, v0
	v_mul_lo_u32 v0, v1, s24
	v_sub_u32_e32 v2, v7, v0
	v_mul_lo_u32 v0, v2, s20
	v_mul_lo_u32 v2, v2, s21
	s_cbranch_vccnz .LBB27_530
; %bb.529:
	v_mul_hi_u32 v3, s40, v1
	v_add_u32_e32 v3, v1, v3
	v_lshrrev_b32_e32 v3, s41, v3
	v_mul_lo_u32 v3, v3, s27
	v_sub_u32_e32 v3, v1, v3
	v_mad_u64_u32 v[0:1], s[0:1], v3, s22, v[0:1]
	v_mad_u64_u32 v[2:3], s[0:1], v3, s23, v[2:3]
.LBB27_530:
	s_waitcnt lgkmcnt(0)
	global_load_ushort v3, v2, s[18:19]
                                        ; implicit-def: $vgpr2
	s_waitcnt vmcnt(0)
	v_cvt_f32_f16_e32 v8, v3
	v_cmp_neq_f16_e32 vcc, 0, v3
	s_and_saveexec_b64 s[0:1], vcc
	s_xor_b64 s[2:3], exec, s[0:1]
	s_cbranch_execz .LBB27_552
; %bb.531:
	v_cmp_gt_f16_e32 vcc, 0, v3
	s_mov_b64 s[0:1], -1
	v_mov_b32_e32 v1, 0
	s_and_saveexec_b64 s[4:5], vcc
	s_cbranch_execz .LBB27_539
; %bb.532:
	v_trunc_f32_e32 v1, v8
	v_cmp_neq_f32_e32 vcc, v1, v8
	s_mov_b64 s[8:9], 0
	v_mov_b32_e32 v1, 0
	s_and_saveexec_b64 s[6:7], vcc
	s_cbranch_execz .LBB27_538
; %bb.533:
	v_cvt_f32_f16_e32 v1, v3
	s_mov_b32 s0, 0
	s_mov_b32 s9, 0xc00921fb
	;; [unrolled: 1-line block ×3, first 2 shown]
	v_cvt_f64_f32_e32 v[1:2], v1
	s_mov_b32 s1, 0x7ff00000
	v_bfrev_b32_e32 v5, 1
	s_mov_b32 s10, 0
	v_trunc_f64_e32 v[3:4], v[1:2]
	v_cmp_neq_f64_e64 vcc, |v[1:2]|, s[0:1]
	s_mov_b32 s11, 0x41d00000
                                        ; implicit-def: $vgpr9
	v_add_f64 v[3:4], v[1:2], -v[3:4]
	v_mul_f64 v[3:4], |v[3:4]|, s[8:9]
	v_cndmask_b32_e32 v2, v5, v4, vcc
	v_cndmask_b32_e32 v1, 0, v3, vcc
	v_cmp_nlt_f64_e64 s[10:11], |v[1:2]|, s[10:11]
                                        ; implicit-def: $vgpr3_vgpr4
                                        ; implicit-def: $vgpr5_vgpr6
	s_and_saveexec_b64 s[12:13], s[10:11]
	s_xor_b64 s[10:11], exec, s[12:13]
	s_cbranch_execz .LBB27_535
; %bb.534:
	v_trig_preop_f64 v[3:4], |v[1:2]|, 0
	s_mov_b32 s12, 0
	s_mov_b32 s13, 0x7b000000
	s_movk_i32 s9, 0xff80
	v_ldexp_f64 v[9:10], |v[1:2]|, s9
	v_cmp_ge_f64_e64 vcc, |v[1:2]|, s[12:13]
	v_trig_preop_f64 v[5:6], |v[1:2]|, 1
	v_and_b32_e32 v11, 0x7fffffff, v2
	v_trig_preop_f64 v[17:18], |v[1:2]|, 2
	v_mov_b32_e32 v28, 0x40100000
	v_mov_b32_e32 v27, 0
	s_mov_b32 s9, 0x3ff921fb
	v_cndmask_b32_e32 v10, v11, v10, vcc
	v_cndmask_b32_e32 v9, v1, v9, vcc
	v_mul_f64 v[11:12], v[3:4], v[9:10]
	v_mul_f64 v[13:14], v[5:6], v[9:10]
	;; [unrolled: 1-line block ×3, first 2 shown]
	v_fma_f64 v[3:4], v[3:4], v[9:10], -v[11:12]
	v_fma_f64 v[5:6], v[5:6], v[9:10], -v[13:14]
	;; [unrolled: 1-line block ×3, first 2 shown]
	v_add_f64 v[15:16], v[13:14], v[3:4]
	v_add_f64 v[19:20], v[15:16], -v[13:14]
	v_add_f64 v[25:26], v[11:12], v[15:16]
	v_add_f64 v[21:22], v[15:16], -v[19:20]
	v_add_f64 v[3:4], v[3:4], -v[19:20]
	v_add_f64 v[19:20], v[23:24], v[5:6]
	v_add_f64 v[11:12], v[25:26], -v[11:12]
	v_add_f64 v[13:14], v[13:14], -v[21:22]
	v_ldexp_f64 v[21:22], v[25:26], -2
	v_add_f64 v[29:30], v[19:20], -v[23:24]
	v_add_f64 v[11:12], v[15:16], -v[11:12]
	v_add_f64 v[3:4], v[3:4], v[13:14]
	v_fract_f64_e32 v[13:14], v[21:22]
	v_cmp_neq_f64_e64 vcc, |v[21:22]|, s[0:1]
	v_add_f64 v[5:6], v[5:6], -v[29:30]
	v_add_f64 v[15:16], v[19:20], v[3:4]
	v_ldexp_f64 v[13:14], v[13:14], 2
	v_add_f64 v[21:22], v[11:12], v[15:16]
	v_cndmask_b32_e32 v14, 0, v14, vcc
	v_cndmask_b32_e32 v13, 0, v13, vcc
	v_add_f64 v[31:32], v[15:16], -v[19:20]
	v_add_f64 v[25:26], v[21:22], v[13:14]
	v_add_f64 v[11:12], v[21:22], -v[11:12]
	v_add_f64 v[33:34], v[15:16], -v[31:32]
	;; [unrolled: 1-line block ×3, first 2 shown]
	v_cmp_gt_f64_e32 vcc, 0, v[25:26]
	v_add_f64 v[25:26], v[19:20], -v[29:30]
	v_add_f64 v[11:12], v[15:16], -v[11:12]
	;; [unrolled: 1-line block ×3, first 2 shown]
	v_cndmask_b32_e32 v28, 0, v28, vcc
	v_add_f64 v[13:14], v[13:14], v[27:28]
	v_add_f64 v[25:26], v[23:24], -v[25:26]
	v_add_f64 v[3:4], v[3:4], v[19:20]
	v_add_f64 v[35:36], v[21:22], v[13:14]
	;; [unrolled: 1-line block ×3, first 2 shown]
	v_cvt_i32_f64_e32 v30, v[35:36]
	v_add_f64 v[3:4], v[5:6], v[3:4]
	v_cvt_f64_i32_e32 v[28:29], v30
	v_add_f64 v[13:14], v[13:14], -v[28:29]
	v_add_f64 v[3:4], v[9:10], v[3:4]
	v_add_f64 v[5:6], v[21:22], v[13:14]
	v_add_f64 v[3:4], v[11:12], v[3:4]
	v_mov_b32_e32 v12, 0x3ff00000
	v_add_f64 v[9:10], v[5:6], -v[13:14]
	v_cmp_le_f64_e32 vcc, 0.5, v[5:6]
	v_add_f64 v[10:11], v[21:22], -v[9:10]
	v_cndmask_b32_e32 v28, 0, v12, vcc
	v_add_f64 v[5:6], v[5:6], -v[27:28]
	v_addc_co_u32_e64 v9, s[0:1], 0, v30, vcc
	s_mov_b32 s0, 0x33145c07
	s_mov_b32 s1, 0x3c91a626
	v_add_f64 v[3:4], v[3:4], v[10:11]
	v_add_f64 v[10:11], v[5:6], v[3:4]
	v_mul_f64 v[12:13], v[10:11], s[8:9]
	v_add_f64 v[5:6], v[10:11], -v[5:6]
	v_fma_f64 v[14:15], v[10:11], s[8:9], -v[12:13]
	v_add_f64 v[3:4], v[3:4], -v[5:6]
	v_fma_f64 v[5:6], v[10:11], s[0:1], v[14:15]
	v_fma_f64 v[5:6], v[3:4], s[8:9], v[5:6]
	v_add_f64 v[3:4], v[12:13], v[5:6]
	v_add_f64 v[10:11], v[3:4], -v[12:13]
	v_add_f64 v[5:6], v[5:6], -v[10:11]
.LBB27_535:
	s_andn2_saveexec_b64 s[0:1], s[10:11]
	s_cbranch_execz .LBB27_537
; %bb.536:
	s_mov_b32 s8, 0x6dc9c883
	s_mov_b32 s9, 0x3fe45f30
	v_mul_f64 v[3:4], |v[1:2]|, s[8:9]
	s_mov_b32 s8, 0x54442d18
	s_mov_b32 s9, 0xbff921fb
	;; [unrolled: 1-line block ×4, first 2 shown]
	v_rndne_f64_e32 v[9:10], v[3:4]
	v_fma_f64 v[3:4], v[9:10], s[8:9], |v[1:2]|
	v_mul_f64 v[5:6], v[9:10], s[10:11]
	s_mov_b32 s8, 0x252049c0
	s_mov_b32 s9, 0xb97b839a
	v_fma_f64 v[15:16], v[9:10], s[10:11], v[3:4]
	v_add_f64 v[11:12], v[3:4], v[5:6]
	s_mov_b32 s11, 0x3c91a626
	v_add_f64 v[13:14], v[3:4], -v[11:12]
	v_add_f64 v[11:12], v[11:12], -v[15:16]
	v_add_f64 v[3:4], v[13:14], v[5:6]
	v_fma_f64 v[5:6], v[9:10], s[10:11], v[5:6]
	v_add_f64 v[3:4], v[11:12], v[3:4]
	v_add_f64 v[3:4], v[3:4], -v[5:6]
	v_fma_f64 v[5:6], v[9:10], s[8:9], v[3:4]
	v_cvt_i32_f64_e32 v9, v[9:10]
	v_add_f64 v[3:4], v[15:16], v[5:6]
	v_add_f64 v[11:12], v[3:4], -v[15:16]
	v_add_f64 v[5:6], v[5:6], -v[11:12]
.LBB27_537:
	s_or_b64 exec, exec, s[0:1]
	v_mul_f64 v[10:11], v[3:4], v[3:4]
	v_add_f64 v[12:13], v[5:6], v[5:6]
	s_mov_b32 s0, 0xc751c08c
	s_mov_b32 s1, 0x3ef5e089
	v_and_b32_e32 v9, 1, v9
	v_cmp_eq_u32_e32 vcc, 0, v9
	s_mov_b32 s10, 0x54442d18
	s_mov_b32 s11, 0xc00921fb
	v_fma_f64 v[14:15], v[3:4], v[3:4], -v[10:11]
	s_mov_b64 s[8:9], exec
	v_sub_f32_e32 v8, 1.0, v8
	v_fma_f64 v[12:13], v[3:4], v[12:13], v[14:15]
	v_add_f64 v[10:11], v[10:11], v[12:13]
	v_mov_b32_e32 v12, 0xa9a29f71
	v_mov_b32_e32 v13, 0xbf078809
	v_fma_f64 v[12:13], v[10:11], s[0:1], v[12:13]
	s_mov_b32 s0, 0x90a8aae0
	s_mov_b32 s1, 0x3f17746f
	v_fma_f64 v[12:13], v[10:11], v[12:13], s[0:1]
	s_mov_b32 s0, 0xa6fbf144
	s_mov_b32 s1, 0xbefbb44d
	;; [unrolled: 3-line block ×12, first 2 shown]
	v_fma_f64 v[12:13], v[10:11], v[12:13], s[0:1]
	s_movk_i32 s0, 0x1f8
	v_cmp_class_f64_e64 s[0:1], v[1:2], s0
	v_mul_f64 v[10:11], v[10:11], v[12:13]
	v_mul_f64 v[12:13], v[3:4], v[10:11]
	v_add_f64 v[14:15], v[3:4], v[12:13]
	v_fma_f64 v[10:11], v[3:4], v[10:11], -v[12:13]
	v_add_f64 v[3:4], v[14:15], -v[3:4]
	v_add_f64 v[5:6], v[5:6], v[10:11]
	v_add_f64 v[3:4], v[12:13], -v[3:4]
	v_add_f64 v[3:4], v[5:6], v[3:4]
	v_add_f64 v[5:6], v[14:15], v[3:4]
	v_rcp_f64_e32 v[10:11], v[5:6]
	v_fma_f64 v[12:13], -v[5:6], v[10:11], 1.0
	v_fma_f64 v[10:11], v[12:13], v[10:11], v[10:11]
	v_fma_f64 v[12:13], -v[5:6], v[10:11], 1.0
	v_fma_f64 v[10:11], v[12:13], v[10:11], v[10:11]
	v_add_f64 v[12:13], v[5:6], -v[14:15]
	v_mul_f64 v[14:15], v[5:6], v[10:11]
	v_add_f64 v[3:4], v[3:4], -v[12:13]
	v_fma_f64 v[12:13], v[10:11], v[5:6], -v[14:15]
	v_fma_f64 v[3:4], v[10:11], v[3:4], v[12:13]
	v_add_f64 v[12:13], v[14:15], v[3:4]
	v_add_f64 v[16:17], -v[12:13], 1.0
	v_add_f64 v[14:15], v[12:13], -v[14:15]
	v_add_f64 v[18:19], -v[16:17], 1.0
	v_add_f64 v[3:4], v[14:15], -v[3:4]
	v_add_f64 v[12:13], v[18:19], -v[12:13]
	v_add_f64 v[3:4], v[3:4], v[12:13]
	v_add_f64 v[3:4], v[16:17], v[3:4]
	v_mul_f64 v[3:4], v[10:11], v[3:4]
	v_add_f64 v[3:4], v[10:11], v[3:4]
	v_and_b32_e32 v10, 0x80000000, v2
	v_mov_b32_e32 v2, 0x7ff80000
	v_xor_b32_e32 v1, 0x80000000, v4
	v_cndmask_b32_e32 v3, v3, v5, vcc
	v_cndmask_b32_e32 v4, v1, v6, vcc
	v_cndmask_b32_e64 v1, 0, v3, s[0:1]
	v_xor_b32_e32 v3, v4, v10
	v_cndmask_b32_e64 v2, v2, v3, s[0:1]
	v_div_scale_f64 v[3:4], s[0:1], v[1:2], v[1:2], s[10:11]
	v_div_scale_f64 v[11:12], vcc, s[10:11], v[1:2], s[10:11]
	v_rcp_f64_e32 v[5:6], v[3:4]
	v_fma_f64 v[9:10], -v[3:4], v[5:6], 1.0
	v_fma_f64 v[5:6], v[5:6], v[9:10], v[5:6]
	v_fma_f64 v[9:10], -v[3:4], v[5:6], 1.0
	v_fma_f64 v[5:6], v[5:6], v[9:10], v[5:6]
	v_mul_f64 v[9:10], v[11:12], v[5:6]
	v_fma_f64 v[3:4], -v[3:4], v[9:10], v[11:12]
	v_div_fmas_f64 v[3:4], v[3:4], v[5:6], v[9:10]
	v_div_fixup_f64 v[1:2], v[3:4], v[1:2], s[10:11]
	v_cvt_f32_f64_e32 v1, v[1:2]
.LBB27_538:
	s_or_b64 exec, exec, s[6:7]
	s_orn2_b64 s[0:1], s[8:9], exec
.LBB27_539:
	s_or_b64 exec, exec, s[4:5]
	v_mov_b32_e32 v2, 0x7e00
	s_and_saveexec_b64 s[4:5], s[0:1]
	s_cbranch_execz .LBB27_551
; %bb.540:
	s_mov_b32 s8, 0x41200000
	v_cmp_gt_f32_e32 vcc, s8, v8
	s_and_saveexec_b64 s[0:1], vcc
	s_cbranch_execz .LBB27_544
; %bb.541:
	s_mov_b64 s[6:7], 0
.LBB27_542:                             ; =>This Inner Loop Header: Depth=1
	v_div_scale_f32 v2, s[10:11], v8, v8, 1.0
	v_div_scale_f32 v3, vcc, 1.0, v8, 1.0
	v_rcp_f32_e32 v4, v2
	v_fma_f32 v5, -v2, v4, 1.0
	v_fmac_f32_e32 v4, v5, v4
	v_mul_f32_e32 v5, v3, v4
	v_fma_f32 v6, -v2, v5, v3
	v_fmac_f32_e32 v5, v6, v4
	v_fma_f32 v2, -v2, v5, v3
	v_div_fmas_f32 v2, v2, v4, v5
	v_div_fixup_f32 v2, v2, v8, 1.0
	v_add_f32_e32 v8, 1.0, v8
	v_cmp_ngt_f32_e32 vcc, s8, v8
	s_or_b64 s[6:7], vcc, s[6:7]
	v_sub_f32_e32 v1, v1, v2
	s_andn2_b64 exec, exec, s[6:7]
	s_cbranch_execnz .LBB27_542
; %bb.543:
	s_or_b64 exec, exec, s[6:7]
.LBB27_544:
	s_or_b64 exec, exec, s[0:1]
	s_mov_b32 s0, 0x41200000
	v_cmp_neq_f32_e32 vcc, s0, v8
                                        ; implicit-def: $vgpr2
	s_and_saveexec_b64 s[0:1], vcc
	s_xor_b64 s[6:7], exec, s[0:1]
	s_cbranch_execz .LBB27_548
; %bb.545:
	v_cvt_f64_f32_e32 v[2:3], v8
	s_mov_b32 s0, 0x85d8a000
	s_mov_b32 s1, 0x43763457
	v_cmp_gt_f64_e32 vcc, s[0:1], v[2:3]
	v_mov_b32_e32 v2, 0
	s_and_saveexec_b64 s[0:1], vcc
	s_cbranch_execz .LBB27_547
; %bb.546:
	v_mul_f32_e32 v2, v8, v8
	v_div_scale_f32 v3, s[8:9], v2, v2, 1.0
	v_div_scale_f32 v4, vcc, 1.0, v2, 1.0
	v_mov_b32_e32 v10, 0x3b820821
	v_rcp_f32_e32 v5, v3
	v_fma_f32 v6, -v3, v5, 1.0
	v_fmac_f32_e32 v5, v6, v5
	v_mul_f32_e32 v6, v4, v5
	v_fma_f32 v9, -v3, v6, v4
	v_fmac_f32_e32 v6, v9, v5
	v_fma_f32 v3, -v3, v6, v4
	v_div_fmas_f32 v3, v3, v5, v6
	v_mov_b32_e32 v4, 0x3daaaaab
	v_mov_b32_e32 v5, 0xbcaccacd
	;; [unrolled: 1-line block ×4, first 2 shown]
	v_div_fixup_f32 v2, v3, v2, 1.0
	v_fma_f32 v3, 0, v2, v4
	v_fmac_f32_e32 v5, v2, v3
	v_fmac_f32_e32 v6, v2, v5
	;; [unrolled: 1-line block ×4, first 2 shown]
	v_mov_b32_e32 v3, 0xbc088889
	v_fmac_f32_e32 v3, v2, v10
	v_fmac_f32_e32 v4, v2, v3
	v_mul_f32_e32 v2, v2, v4
.LBB27_547:
	s_or_b64 exec, exec, s[0:1]
	v_div_scale_f32 v3, s[0:1], v8, v8, -0.5
	v_div_scale_f32 v4, vcc, -0.5, v8, -0.5
	s_mov_b32 s0, 0x800000
	v_cmp_gt_f32_e64 s[0:1], s0, v8
	v_cndmask_b32_e64 v6, 0, 32, s[0:1]
	s_mov_b32 s8, 0x3f317217
	v_rcp_f32_e32 v5, v3
	v_fma_f32 v9, -v3, v5, 1.0
	v_fmac_f32_e32 v5, v9, v5
	v_mul_f32_e32 v9, v4, v5
	v_fma_f32 v10, -v3, v9, v4
	v_fmac_f32_e32 v9, v10, v5
	v_fma_f32 v3, -v3, v9, v4
	v_div_fmas_f32 v3, v3, v5, v9
	v_ldexp_f32 v4, v8, v6
	v_log_f32_e32 v4, v4
	v_mul_f32_e32 v5, 0x3f317217, v4
	v_fma_f32 v5, v4, s8, -v5
	v_fmac_f32_e32 v5, 0x3377d1cf, v4
	s_mov_b32 s8, 0x7f800000
	v_fmac_f32_e32 v5, 0x3f317217, v4
	v_cmp_lt_f32_e64 vcc, |v4|, s8
	v_cndmask_b32_e32 v4, v4, v5, vcc
	v_mov_b32_e32 v5, 0x41b17218
	v_cndmask_b32_e64 v5, 0, v5, s[0:1]
	v_sub_f32_e32 v4, v4, v5
	v_div_fixup_f32 v3, v3, v8, -0.5
	v_add_f32_e32 v3, v4, v3
	v_sub_f32_e32 v2, v3, v2
	v_add_f32_e32 v1, v1, v2
	v_cvt_f16_f32_e32 v2, v1
                                        ; implicit-def: $vgpr1
.LBB27_548:
	s_andn2_saveexec_b64 s[0:1], s[6:7]
; %bb.549:
	v_add_f32_e32 v1, 0x40101cb7, v1
	v_cvt_f16_f32_e32 v2, v1
; %bb.550:
	s_or_b64 exec, exec, s[0:1]
.LBB27_551:
	s_or_b64 exec, exec, s[4:5]
                                        ; implicit-def: $vgpr8
.LBB27_552:
	s_andn2_saveexec_b64 s[0:1], s[2:3]
; %bb.553:
	v_xor_b32_e32 v1, 0x80000000, v8
	v_lshrrev_b32_e32 v1, 16, v1
	s_movk_i32 s2, 0x7fff
	v_mov_b32_e32 v2, 0x7c00
	v_bfi_b32 v2, s2, v2, v1
; %bb.554:
	s_or_b64 exec, exec, s[0:1]
	v_add_u32_e32 v7, 0x80, v7
	global_store_short v0, v2, s[16:17]
	s_or_b64 exec, exec, s[48:49]
	v_cmp_gt_i32_e32 vcc, s55, v7
	s_and_saveexec_b64 s[48:49], vcc
	s_cbranch_execnz .LBB27_516
.LBB27_555:
	s_or_b64 exec, exec, s[48:49]
	v_cmp_gt_i32_e32 vcc, s55, v7
	s_and_saveexec_b64 s[48:49], vcc
	s_cbranch_execnz .LBB27_590
.LBB27_556:
	s_or_b64 exec, exec, s[48:49]
                                        ; implicit-def: $vgpr25
                                        ; implicit-def: $vgpr7
	s_andn2_saveexec_b64 s[0:1], s[38:39]
	s_cbranch_execnz .LBB27_8
.LBB27_557:
	s_endpgm
.LBB27_558:
	s_mov_b32 s57, 0
	v_mov_b32_e32 v0, 0
	v_mov_b32_e32 v2, 0
	v_mov_b32_e32 v1, v7
.LBB27_559:
	s_and_b32 s4, s58, 3
	s_cmp_eq_u32 s4, 0
	s_cbranch_scc1 .LBB27_562
; %bb.560:
	s_lshl_b32 s0, s57, 3
	s_add_u32 s0, s34, s0
	s_addc_u32 s1, s35, 0
	s_add_u32 s0, s0, 0xc4
	s_addc_u32 s1, s1, 0
	s_mul_i32 s2, s57, 12
	s_add_u32 s2, s34, s2
	s_addc_u32 s3, s35, 0
.LBB27_561:                             ; =>This Inner Loop Header: Depth=1
	s_load_dwordx2 s[6:7], s[2:3], 0x4
	s_load_dword s5, s[2:3], 0xc
	s_load_dwordx2 s[8:9], s[0:1], 0x0
	s_add_u32 s2, s2, 12
	s_addc_u32 s3, s3, 0
	s_waitcnt lgkmcnt(0)
	v_mul_hi_u32 v3, s7, v1
	s_add_u32 s0, s0, 8
	s_addc_u32 s1, s1, 0
	s_add_i32 s4, s4, -1
	v_add_u32_e32 v3, v1, v3
	v_lshrrev_b32_e32 v4, s5, v3
	v_mul_lo_u32 v3, v4, s6
	s_cmp_lg_u32 s4, 0
	v_sub_u32_e32 v3, v1, v3
	v_mad_u64_u32 v[0:1], s[6:7], v3, s8, v[0:1]
	v_mad_u64_u32 v[2:3], s[6:7], v3, s9, v[2:3]
	v_mov_b32_e32 v1, v4
	s_cbranch_scc1 .LBB27_561
.LBB27_562:
	s_cbranch_execnz .LBB27_565
.LBB27_563:
	s_waitcnt lgkmcnt(0)
	v_mul_hi_u32 v0, s25, v7
	s_andn2_b64 vcc, exec, s[42:43]
	v_add_u32_e32 v0, v7, v0
	v_lshrrev_b32_e32 v1, s26, v0
	v_mul_lo_u32 v0, v1, s24
	v_sub_u32_e32 v2, v7, v0
	v_mul_lo_u32 v0, v2, s20
	v_mul_lo_u32 v2, v2, s21
	s_cbranch_vccnz .LBB27_565
; %bb.564:
	v_mul_hi_u32 v3, s40, v1
	v_add_u32_e32 v3, v1, v3
	v_lshrrev_b32_e32 v3, s41, v3
	v_mul_lo_u32 v3, v3, s27
	v_sub_u32_e32 v3, v1, v3
	v_mad_u64_u32 v[0:1], s[0:1], v3, s22, v[0:1]
	v_mad_u64_u32 v[2:3], s[0:1], v3, s23, v[2:3]
.LBB27_565:
	s_waitcnt lgkmcnt(0)
	global_load_ushort v3, v2, s[18:19]
                                        ; implicit-def: $vgpr2
	s_waitcnt vmcnt(0)
	v_cvt_f32_f16_e32 v8, v3
	v_cmp_neq_f16_e32 vcc, 0, v3
	s_and_saveexec_b64 s[0:1], vcc
	s_xor_b64 s[2:3], exec, s[0:1]
	s_cbranch_execz .LBB27_587
; %bb.566:
	v_cmp_gt_f16_e32 vcc, 0, v3
	s_mov_b64 s[0:1], -1
	v_mov_b32_e32 v1, 0
	s_and_saveexec_b64 s[4:5], vcc
	s_cbranch_execz .LBB27_574
; %bb.567:
	v_trunc_f32_e32 v1, v8
	v_cmp_neq_f32_e32 vcc, v1, v8
	s_mov_b64 s[8:9], 0
	v_mov_b32_e32 v1, 0
	s_and_saveexec_b64 s[6:7], vcc
	s_cbranch_execz .LBB27_573
; %bb.568:
	v_cvt_f32_f16_e32 v1, v3
	s_mov_b32 s0, 0
	s_mov_b32 s9, 0xc00921fb
	;; [unrolled: 1-line block ×3, first 2 shown]
	v_cvt_f64_f32_e32 v[1:2], v1
	s_mov_b32 s1, 0x7ff00000
	v_bfrev_b32_e32 v5, 1
	s_mov_b32 s10, 0
	v_trunc_f64_e32 v[3:4], v[1:2]
	v_cmp_neq_f64_e64 vcc, |v[1:2]|, s[0:1]
	s_mov_b32 s11, 0x41d00000
                                        ; implicit-def: $vgpr9
	v_add_f64 v[3:4], v[1:2], -v[3:4]
	v_mul_f64 v[3:4], |v[3:4]|, s[8:9]
	v_cndmask_b32_e32 v2, v5, v4, vcc
	v_cndmask_b32_e32 v1, 0, v3, vcc
	v_cmp_nlt_f64_e64 s[10:11], |v[1:2]|, s[10:11]
                                        ; implicit-def: $vgpr3_vgpr4
                                        ; implicit-def: $vgpr5_vgpr6
	s_and_saveexec_b64 s[12:13], s[10:11]
	s_xor_b64 s[10:11], exec, s[12:13]
	s_cbranch_execz .LBB27_570
; %bb.569:
	v_trig_preop_f64 v[3:4], |v[1:2]|, 0
	s_mov_b32 s12, 0
	s_mov_b32 s13, 0x7b000000
	s_movk_i32 s9, 0xff80
	v_ldexp_f64 v[9:10], |v[1:2]|, s9
	v_cmp_ge_f64_e64 vcc, |v[1:2]|, s[12:13]
	v_trig_preop_f64 v[5:6], |v[1:2]|, 1
	v_and_b32_e32 v11, 0x7fffffff, v2
	v_trig_preop_f64 v[17:18], |v[1:2]|, 2
	v_mov_b32_e32 v28, 0x40100000
	v_mov_b32_e32 v27, 0
	s_mov_b32 s9, 0x3ff921fb
	v_cndmask_b32_e32 v10, v11, v10, vcc
	v_cndmask_b32_e32 v9, v1, v9, vcc
	v_mul_f64 v[11:12], v[3:4], v[9:10]
	v_mul_f64 v[13:14], v[5:6], v[9:10]
	;; [unrolled: 1-line block ×3, first 2 shown]
	v_fma_f64 v[3:4], v[3:4], v[9:10], -v[11:12]
	v_fma_f64 v[5:6], v[5:6], v[9:10], -v[13:14]
	;; [unrolled: 1-line block ×3, first 2 shown]
	v_add_f64 v[15:16], v[13:14], v[3:4]
	v_add_f64 v[19:20], v[15:16], -v[13:14]
	v_add_f64 v[25:26], v[11:12], v[15:16]
	v_add_f64 v[21:22], v[15:16], -v[19:20]
	v_add_f64 v[3:4], v[3:4], -v[19:20]
	v_add_f64 v[19:20], v[23:24], v[5:6]
	v_add_f64 v[11:12], v[25:26], -v[11:12]
	v_add_f64 v[13:14], v[13:14], -v[21:22]
	v_ldexp_f64 v[21:22], v[25:26], -2
	v_add_f64 v[29:30], v[19:20], -v[23:24]
	v_add_f64 v[11:12], v[15:16], -v[11:12]
	v_add_f64 v[3:4], v[3:4], v[13:14]
	v_fract_f64_e32 v[13:14], v[21:22]
	v_cmp_neq_f64_e64 vcc, |v[21:22]|, s[0:1]
	v_add_f64 v[5:6], v[5:6], -v[29:30]
	v_add_f64 v[15:16], v[19:20], v[3:4]
	v_ldexp_f64 v[13:14], v[13:14], 2
	v_add_f64 v[21:22], v[11:12], v[15:16]
	v_cndmask_b32_e32 v14, 0, v14, vcc
	v_cndmask_b32_e32 v13, 0, v13, vcc
	v_add_f64 v[31:32], v[15:16], -v[19:20]
	v_add_f64 v[25:26], v[21:22], v[13:14]
	v_add_f64 v[11:12], v[21:22], -v[11:12]
	v_add_f64 v[33:34], v[15:16], -v[31:32]
	;; [unrolled: 1-line block ×3, first 2 shown]
	v_cmp_gt_f64_e32 vcc, 0, v[25:26]
	v_add_f64 v[25:26], v[19:20], -v[29:30]
	v_add_f64 v[11:12], v[15:16], -v[11:12]
	;; [unrolled: 1-line block ×3, first 2 shown]
	v_cndmask_b32_e32 v28, 0, v28, vcc
	v_add_f64 v[13:14], v[13:14], v[27:28]
	v_add_f64 v[25:26], v[23:24], -v[25:26]
	v_add_f64 v[3:4], v[3:4], v[19:20]
	v_add_f64 v[35:36], v[21:22], v[13:14]
	;; [unrolled: 1-line block ×3, first 2 shown]
	v_cvt_i32_f64_e32 v30, v[35:36]
	v_add_f64 v[3:4], v[5:6], v[3:4]
	v_cvt_f64_i32_e32 v[28:29], v30
	v_add_f64 v[13:14], v[13:14], -v[28:29]
	v_add_f64 v[3:4], v[9:10], v[3:4]
	v_add_f64 v[5:6], v[21:22], v[13:14]
	;; [unrolled: 1-line block ×3, first 2 shown]
	v_mov_b32_e32 v12, 0x3ff00000
	v_add_f64 v[9:10], v[5:6], -v[13:14]
	v_cmp_le_f64_e32 vcc, 0.5, v[5:6]
	v_add_f64 v[10:11], v[21:22], -v[9:10]
	v_cndmask_b32_e32 v28, 0, v12, vcc
	v_add_f64 v[5:6], v[5:6], -v[27:28]
	v_addc_co_u32_e64 v9, s[0:1], 0, v30, vcc
	s_mov_b32 s0, 0x33145c07
	s_mov_b32 s1, 0x3c91a626
	v_add_f64 v[3:4], v[3:4], v[10:11]
	v_add_f64 v[10:11], v[5:6], v[3:4]
	v_mul_f64 v[12:13], v[10:11], s[8:9]
	v_add_f64 v[5:6], v[10:11], -v[5:6]
	v_fma_f64 v[14:15], v[10:11], s[8:9], -v[12:13]
	v_add_f64 v[3:4], v[3:4], -v[5:6]
	v_fma_f64 v[5:6], v[10:11], s[0:1], v[14:15]
	v_fma_f64 v[5:6], v[3:4], s[8:9], v[5:6]
	v_add_f64 v[3:4], v[12:13], v[5:6]
	v_add_f64 v[10:11], v[3:4], -v[12:13]
	v_add_f64 v[5:6], v[5:6], -v[10:11]
.LBB27_570:
	s_andn2_saveexec_b64 s[0:1], s[10:11]
	s_cbranch_execz .LBB27_572
; %bb.571:
	s_mov_b32 s8, 0x6dc9c883
	s_mov_b32 s9, 0x3fe45f30
	v_mul_f64 v[3:4], |v[1:2]|, s[8:9]
	s_mov_b32 s8, 0x54442d18
	s_mov_b32 s9, 0xbff921fb
	;; [unrolled: 1-line block ×4, first 2 shown]
	v_rndne_f64_e32 v[9:10], v[3:4]
	v_fma_f64 v[3:4], v[9:10], s[8:9], |v[1:2]|
	v_mul_f64 v[5:6], v[9:10], s[10:11]
	s_mov_b32 s8, 0x252049c0
	s_mov_b32 s9, 0xb97b839a
	v_fma_f64 v[15:16], v[9:10], s[10:11], v[3:4]
	v_add_f64 v[11:12], v[3:4], v[5:6]
	s_mov_b32 s11, 0x3c91a626
	v_add_f64 v[13:14], v[3:4], -v[11:12]
	v_add_f64 v[11:12], v[11:12], -v[15:16]
	v_add_f64 v[3:4], v[13:14], v[5:6]
	v_fma_f64 v[5:6], v[9:10], s[10:11], v[5:6]
	v_add_f64 v[3:4], v[11:12], v[3:4]
	v_add_f64 v[3:4], v[3:4], -v[5:6]
	v_fma_f64 v[5:6], v[9:10], s[8:9], v[3:4]
	v_cvt_i32_f64_e32 v9, v[9:10]
	v_add_f64 v[3:4], v[15:16], v[5:6]
	v_add_f64 v[11:12], v[3:4], -v[15:16]
	v_add_f64 v[5:6], v[5:6], -v[11:12]
.LBB27_572:
	s_or_b64 exec, exec, s[0:1]
	v_mul_f64 v[10:11], v[3:4], v[3:4]
	v_add_f64 v[12:13], v[5:6], v[5:6]
	s_mov_b32 s0, 0xc751c08c
	s_mov_b32 s1, 0x3ef5e089
	v_and_b32_e32 v9, 1, v9
	v_cmp_eq_u32_e32 vcc, 0, v9
	s_mov_b32 s10, 0x54442d18
	s_mov_b32 s11, 0xc00921fb
	v_fma_f64 v[14:15], v[3:4], v[3:4], -v[10:11]
	s_mov_b64 s[8:9], exec
	v_sub_f32_e32 v8, 1.0, v8
	v_fma_f64 v[12:13], v[3:4], v[12:13], v[14:15]
	v_add_f64 v[10:11], v[10:11], v[12:13]
	v_mov_b32_e32 v12, 0xa9a29f71
	v_mov_b32_e32 v13, 0xbf078809
	v_fma_f64 v[12:13], v[10:11], s[0:1], v[12:13]
	s_mov_b32 s0, 0x90a8aae0
	s_mov_b32 s1, 0x3f17746f
	v_fma_f64 v[12:13], v[10:11], v[12:13], s[0:1]
	s_mov_b32 s0, 0xa6fbf144
	s_mov_b32 s1, 0xbefbb44d
	;; [unrolled: 3-line block ×12, first 2 shown]
	v_fma_f64 v[12:13], v[10:11], v[12:13], s[0:1]
	s_movk_i32 s0, 0x1f8
	v_cmp_class_f64_e64 s[0:1], v[1:2], s0
	v_mul_f64 v[10:11], v[10:11], v[12:13]
	v_mul_f64 v[12:13], v[3:4], v[10:11]
	v_add_f64 v[14:15], v[3:4], v[12:13]
	v_fma_f64 v[10:11], v[3:4], v[10:11], -v[12:13]
	v_add_f64 v[3:4], v[14:15], -v[3:4]
	v_add_f64 v[5:6], v[5:6], v[10:11]
	v_add_f64 v[3:4], v[12:13], -v[3:4]
	v_add_f64 v[3:4], v[5:6], v[3:4]
	v_add_f64 v[5:6], v[14:15], v[3:4]
	v_rcp_f64_e32 v[10:11], v[5:6]
	v_fma_f64 v[12:13], -v[5:6], v[10:11], 1.0
	v_fma_f64 v[10:11], v[12:13], v[10:11], v[10:11]
	v_fma_f64 v[12:13], -v[5:6], v[10:11], 1.0
	v_fma_f64 v[10:11], v[12:13], v[10:11], v[10:11]
	v_add_f64 v[12:13], v[5:6], -v[14:15]
	v_mul_f64 v[14:15], v[5:6], v[10:11]
	v_add_f64 v[3:4], v[3:4], -v[12:13]
	v_fma_f64 v[12:13], v[10:11], v[5:6], -v[14:15]
	v_fma_f64 v[3:4], v[10:11], v[3:4], v[12:13]
	v_add_f64 v[12:13], v[14:15], v[3:4]
	v_add_f64 v[16:17], -v[12:13], 1.0
	v_add_f64 v[14:15], v[12:13], -v[14:15]
	v_add_f64 v[18:19], -v[16:17], 1.0
	v_add_f64 v[3:4], v[14:15], -v[3:4]
	v_add_f64 v[12:13], v[18:19], -v[12:13]
	v_add_f64 v[3:4], v[3:4], v[12:13]
	v_add_f64 v[3:4], v[16:17], v[3:4]
	v_mul_f64 v[3:4], v[10:11], v[3:4]
	v_add_f64 v[3:4], v[10:11], v[3:4]
	v_and_b32_e32 v10, 0x80000000, v2
	v_mov_b32_e32 v2, 0x7ff80000
	v_xor_b32_e32 v1, 0x80000000, v4
	v_cndmask_b32_e32 v3, v3, v5, vcc
	v_cndmask_b32_e32 v4, v1, v6, vcc
	v_cndmask_b32_e64 v1, 0, v3, s[0:1]
	v_xor_b32_e32 v3, v4, v10
	v_cndmask_b32_e64 v2, v2, v3, s[0:1]
	v_div_scale_f64 v[3:4], s[0:1], v[1:2], v[1:2], s[10:11]
	v_div_scale_f64 v[11:12], vcc, s[10:11], v[1:2], s[10:11]
	v_rcp_f64_e32 v[5:6], v[3:4]
	v_fma_f64 v[9:10], -v[3:4], v[5:6], 1.0
	v_fma_f64 v[5:6], v[5:6], v[9:10], v[5:6]
	v_fma_f64 v[9:10], -v[3:4], v[5:6], 1.0
	v_fma_f64 v[5:6], v[5:6], v[9:10], v[5:6]
	v_mul_f64 v[9:10], v[11:12], v[5:6]
	v_fma_f64 v[3:4], -v[3:4], v[9:10], v[11:12]
	v_div_fmas_f64 v[3:4], v[3:4], v[5:6], v[9:10]
	v_div_fixup_f64 v[1:2], v[3:4], v[1:2], s[10:11]
	v_cvt_f32_f64_e32 v1, v[1:2]
.LBB27_573:
	s_or_b64 exec, exec, s[6:7]
	s_orn2_b64 s[0:1], s[8:9], exec
.LBB27_574:
	s_or_b64 exec, exec, s[4:5]
	v_mov_b32_e32 v2, 0x7e00
	s_and_saveexec_b64 s[4:5], s[0:1]
	s_cbranch_execz .LBB27_586
; %bb.575:
	s_mov_b32 s8, 0x41200000
	v_cmp_gt_f32_e32 vcc, s8, v8
	s_and_saveexec_b64 s[0:1], vcc
	s_cbranch_execz .LBB27_579
; %bb.576:
	s_mov_b64 s[6:7], 0
.LBB27_577:                             ; =>This Inner Loop Header: Depth=1
	v_div_scale_f32 v2, s[10:11], v8, v8, 1.0
	v_div_scale_f32 v3, vcc, 1.0, v8, 1.0
	v_rcp_f32_e32 v4, v2
	v_fma_f32 v5, -v2, v4, 1.0
	v_fmac_f32_e32 v4, v5, v4
	v_mul_f32_e32 v5, v3, v4
	v_fma_f32 v6, -v2, v5, v3
	v_fmac_f32_e32 v5, v6, v4
	v_fma_f32 v2, -v2, v5, v3
	v_div_fmas_f32 v2, v2, v4, v5
	v_div_fixup_f32 v2, v2, v8, 1.0
	v_add_f32_e32 v8, 1.0, v8
	v_cmp_ngt_f32_e32 vcc, s8, v8
	s_or_b64 s[6:7], vcc, s[6:7]
	v_sub_f32_e32 v1, v1, v2
	s_andn2_b64 exec, exec, s[6:7]
	s_cbranch_execnz .LBB27_577
; %bb.578:
	s_or_b64 exec, exec, s[6:7]
.LBB27_579:
	s_or_b64 exec, exec, s[0:1]
	s_mov_b32 s0, 0x41200000
	v_cmp_neq_f32_e32 vcc, s0, v8
                                        ; implicit-def: $vgpr2
	s_and_saveexec_b64 s[0:1], vcc
	s_xor_b64 s[6:7], exec, s[0:1]
	s_cbranch_execz .LBB27_583
; %bb.580:
	v_cvt_f64_f32_e32 v[2:3], v8
	s_mov_b32 s0, 0x85d8a000
	s_mov_b32 s1, 0x43763457
	v_cmp_gt_f64_e32 vcc, s[0:1], v[2:3]
	v_mov_b32_e32 v2, 0
	s_and_saveexec_b64 s[0:1], vcc
	s_cbranch_execz .LBB27_582
; %bb.581:
	v_mul_f32_e32 v2, v8, v8
	v_div_scale_f32 v3, s[8:9], v2, v2, 1.0
	v_div_scale_f32 v4, vcc, 1.0, v2, 1.0
	v_mov_b32_e32 v10, 0x3b820821
	v_rcp_f32_e32 v5, v3
	v_fma_f32 v6, -v3, v5, 1.0
	v_fmac_f32_e32 v5, v6, v5
	v_mul_f32_e32 v6, v4, v5
	v_fma_f32 v9, -v3, v6, v4
	v_fmac_f32_e32 v6, v9, v5
	v_fma_f32 v3, -v3, v6, v4
	v_div_fmas_f32 v3, v3, v5, v6
	v_mov_b32_e32 v4, 0x3daaaaab
	v_mov_b32_e32 v5, 0xbcaccacd
	;; [unrolled: 1-line block ×4, first 2 shown]
	v_div_fixup_f32 v2, v3, v2, 1.0
	v_fma_f32 v3, 0, v2, v4
	v_fmac_f32_e32 v5, v2, v3
	v_fmac_f32_e32 v6, v2, v5
	;; [unrolled: 1-line block ×4, first 2 shown]
	v_mov_b32_e32 v3, 0xbc088889
	v_fmac_f32_e32 v3, v2, v10
	v_fmac_f32_e32 v4, v2, v3
	v_mul_f32_e32 v2, v2, v4
.LBB27_582:
	s_or_b64 exec, exec, s[0:1]
	v_div_scale_f32 v3, s[0:1], v8, v8, -0.5
	v_div_scale_f32 v4, vcc, -0.5, v8, -0.5
	s_mov_b32 s0, 0x800000
	v_cmp_gt_f32_e64 s[0:1], s0, v8
	v_cndmask_b32_e64 v6, 0, 32, s[0:1]
	s_mov_b32 s8, 0x3f317217
	v_rcp_f32_e32 v5, v3
	v_fma_f32 v9, -v3, v5, 1.0
	v_fmac_f32_e32 v5, v9, v5
	v_mul_f32_e32 v9, v4, v5
	v_fma_f32 v10, -v3, v9, v4
	v_fmac_f32_e32 v9, v10, v5
	v_fma_f32 v3, -v3, v9, v4
	v_div_fmas_f32 v3, v3, v5, v9
	v_ldexp_f32 v4, v8, v6
	v_log_f32_e32 v4, v4
	v_mul_f32_e32 v5, 0x3f317217, v4
	v_fma_f32 v5, v4, s8, -v5
	v_fmac_f32_e32 v5, 0x3377d1cf, v4
	s_mov_b32 s8, 0x7f800000
	v_fmac_f32_e32 v5, 0x3f317217, v4
	v_cmp_lt_f32_e64 vcc, |v4|, s8
	v_cndmask_b32_e32 v4, v4, v5, vcc
	v_mov_b32_e32 v5, 0x41b17218
	v_cndmask_b32_e64 v5, 0, v5, s[0:1]
	v_sub_f32_e32 v4, v4, v5
	v_div_fixup_f32 v3, v3, v8, -0.5
	v_add_f32_e32 v3, v4, v3
	v_sub_f32_e32 v2, v3, v2
	v_add_f32_e32 v1, v1, v2
	v_cvt_f16_f32_e32 v2, v1
                                        ; implicit-def: $vgpr1
.LBB27_583:
	s_andn2_saveexec_b64 s[0:1], s[6:7]
; %bb.584:
	v_add_f32_e32 v1, 0x40101cb7, v1
	v_cvt_f16_f32_e32 v2, v1
; %bb.585:
	s_or_b64 exec, exec, s[0:1]
.LBB27_586:
	s_or_b64 exec, exec, s[4:5]
                                        ; implicit-def: $vgpr8
.LBB27_587:
	s_andn2_saveexec_b64 s[0:1], s[2:3]
; %bb.588:
	v_xor_b32_e32 v1, 0x80000000, v8
	v_lshrrev_b32_e32 v1, 16, v1
	s_movk_i32 s2, 0x7fff
	v_mov_b32_e32 v2, 0x7c00
	v_bfi_b32 v2, s2, v2, v1
; %bb.589:
	s_or_b64 exec, exec, s[0:1]
	v_add_u32_e32 v7, 0x80, v7
	global_store_short v0, v2, s[16:17]
	s_or_b64 exec, exec, s[48:49]
	v_cmp_gt_i32_e32 vcc, s55, v7
	s_and_saveexec_b64 s[48:49], vcc
	s_cbranch_execz .LBB27_556
.LBB27_590:
	s_andn2_b64 vcc, exec, s[36:37]
	s_cbranch_vccnz .LBB27_595
; %bb.591:
	s_andn2_b64 vcc, exec, s[46:47]
	s_cbranch_vccnz .LBB27_596
; %bb.592:
	s_add_i32 s56, s56, 1
	s_cmp_eq_u32 s54, 2
	s_cbranch_scc1 .LBB27_597
; %bb.593:
	s_and_b32 s50, s56, 28
	v_mov_b32_e32 v2, 0
	s_mov_b32 s51, 0
	s_mov_b64 s[46:47], s[34:35]
	v_mov_b32_e32 v0, 0
	v_mov_b32_e32 v1, v7
.LBB27_594:                             ; =>This Inner Loop Header: Depth=1
	s_load_dwordx8 s[8:15], s[46:47], 0x4
	s_load_dwordx4 s[28:31], s[46:47], 0x24
	s_load_dwordx8 s[0:7], s[44:45], 0x0
	s_add_u32 s46, s46, 48
	s_addc_u32 s47, s47, 0
	s_waitcnt lgkmcnt(0)
	v_mul_hi_u32 v3, s9, v1
	s_add_i32 s51, s51, 4
	s_add_u32 s44, s44, 32
	s_addc_u32 s45, s45, 0
	v_add_u32_e32 v3, v1, v3
	v_lshrrev_b32_e32 v3, s10, v3
	v_mul_lo_u32 v4, v3, s8
	v_mul_hi_u32 v5, s12, v3
	s_cmp_eq_u32 s50, s51
	v_sub_u32_e32 v1, v1, v4
	v_add_u32_e32 v4, v3, v5
	v_mul_lo_u32 v5, v1, s0
	v_mul_lo_u32 v6, v1, s1
	v_lshrrev_b32_e32 v1, s13, v4
	v_mul_lo_u32 v4, v1, s11
	v_mul_hi_u32 v8, s15, v1
	v_sub_u32_e32 v3, v3, v4
	v_add_u32_e32 v4, v1, v8
	v_lshrrev_b32_e32 v4, s28, v4
	v_mul_hi_u32 v9, s30, v4
	v_mul_lo_u32 v10, v4, s14
	v_mul_lo_u32 v8, v3, s2
	;; [unrolled: 1-line block ×3, first 2 shown]
	v_sub_u32_e32 v10, v1, v10
	v_add_u32_e32 v1, v4, v9
	v_lshrrev_b32_e32 v1, s31, v1
	v_mul_lo_u32 v9, v1, s29
	v_mul_lo_u32 v11, v10, s4
	;; [unrolled: 1-line block ×3, first 2 shown]
	v_add3_u32 v0, v5, v0, v8
	v_sub_u32_e32 v4, v4, v9
	v_mul_lo_u32 v9, v4, s6
	v_mul_lo_u32 v4, v4, s7
	v_add3_u32 v2, v6, v2, v3
	v_add3_u32 v0, v11, v0, v9
	v_add3_u32 v2, v10, v2, v4
	s_cbranch_scc0 .LBB27_594
	s_branch .LBB27_598
.LBB27_595:
                                        ; implicit-def: $vgpr0
                                        ; implicit-def: $vgpr2
	s_branch .LBB27_602
.LBB27_596:
	v_mov_b32_e32 v0, 0
	v_mov_b32_e32 v2, 0
	s_branch .LBB27_601
.LBB27_597:
	s_mov_b32 s50, 0
	v_mov_b32_e32 v0, 0
	v_mov_b32_e32 v2, 0
	;; [unrolled: 1-line block ×3, first 2 shown]
.LBB27_598:
	s_and_b32 s4, s56, 3
	s_cmp_eq_u32 s4, 0
	s_cbranch_scc1 .LBB27_601
; %bb.599:
	s_lshl_b32 s0, s50, 3
	s_add_u32 s0, s34, s0
	s_addc_u32 s1, s35, 0
	s_add_u32 s0, s0, 0xc4
	s_addc_u32 s1, s1, 0
	s_mul_i32 s2, s50, 12
	s_add_u32 s2, s34, s2
	s_addc_u32 s3, s35, 0
.LBB27_600:                             ; =>This Inner Loop Header: Depth=1
	s_load_dwordx2 s[6:7], s[2:3], 0x4
	s_load_dword s5, s[2:3], 0xc
	s_load_dwordx2 s[8:9], s[0:1], 0x0
	s_add_u32 s2, s2, 12
	s_addc_u32 s3, s3, 0
	s_waitcnt lgkmcnt(0)
	v_mul_hi_u32 v3, s7, v1
	s_add_u32 s0, s0, 8
	s_addc_u32 s1, s1, 0
	s_add_i32 s4, s4, -1
	v_add_u32_e32 v3, v1, v3
	v_lshrrev_b32_e32 v4, s5, v3
	v_mul_lo_u32 v3, v4, s6
	s_cmp_lg_u32 s4, 0
	v_sub_u32_e32 v3, v1, v3
	v_mad_u64_u32 v[0:1], s[6:7], v3, s8, v[0:1]
	v_mad_u64_u32 v[2:3], s[6:7], v3, s9, v[2:3]
	v_mov_b32_e32 v1, v4
	s_cbranch_scc1 .LBB27_600
.LBB27_601:
	s_cbranch_execnz .LBB27_604
.LBB27_602:
	s_waitcnt lgkmcnt(0)
	v_mul_hi_u32 v0, s25, v7
	s_andn2_b64 vcc, exec, s[42:43]
	v_add_u32_e32 v0, v7, v0
	v_lshrrev_b32_e32 v1, s26, v0
	v_mul_lo_u32 v0, v1, s24
	v_sub_u32_e32 v2, v7, v0
	v_mul_lo_u32 v0, v2, s20
	v_mul_lo_u32 v2, v2, s21
	s_cbranch_vccnz .LBB27_604
; %bb.603:
	v_mul_hi_u32 v3, s40, v1
	v_add_u32_e32 v3, v1, v3
	v_lshrrev_b32_e32 v3, s41, v3
	v_mul_lo_u32 v3, v3, s27
	v_sub_u32_e32 v3, v1, v3
	v_mad_u64_u32 v[0:1], s[0:1], v3, s22, v[0:1]
	v_mad_u64_u32 v[2:3], s[0:1], v3, s23, v[2:3]
.LBB27_604:
	s_waitcnt lgkmcnt(0)
	global_load_ushort v3, v2, s[18:19]
                                        ; implicit-def: $vgpr2
	s_waitcnt vmcnt(0)
	v_cvt_f32_f16_e32 v7, v3
	v_cmp_neq_f16_e32 vcc, 0, v3
	s_and_saveexec_b64 s[0:1], vcc
	s_xor_b64 s[2:3], exec, s[0:1]
	s_cbranch_execz .LBB27_626
; %bb.605:
	v_cmp_gt_f16_e32 vcc, 0, v3
	s_mov_b64 s[0:1], -1
	v_mov_b32_e32 v1, 0
	s_and_saveexec_b64 s[4:5], vcc
	s_cbranch_execz .LBB27_613
; %bb.606:
	v_trunc_f32_e32 v1, v7
	v_cmp_neq_f32_e32 vcc, v1, v7
	s_mov_b64 s[8:9], 0
	v_mov_b32_e32 v1, 0
	s_and_saveexec_b64 s[6:7], vcc
	s_cbranch_execz .LBB27_612
; %bb.607:
	v_cvt_f32_f16_e32 v1, v3
	s_mov_b32 s0, 0
	s_mov_b32 s9, 0xc00921fb
	;; [unrolled: 1-line block ×3, first 2 shown]
	v_cvt_f64_f32_e32 v[1:2], v1
	s_mov_b32 s1, 0x7ff00000
	v_bfrev_b32_e32 v5, 1
	s_mov_b32 s10, 0
	v_trunc_f64_e32 v[3:4], v[1:2]
	v_cmp_neq_f64_e64 vcc, |v[1:2]|, s[0:1]
	s_mov_b32 s11, 0x41d00000
                                        ; implicit-def: $vgpr8
	v_add_f64 v[3:4], v[1:2], -v[3:4]
	v_mul_f64 v[3:4], |v[3:4]|, s[8:9]
	v_cndmask_b32_e32 v2, v5, v4, vcc
	v_cndmask_b32_e32 v1, 0, v3, vcc
	v_cmp_nlt_f64_e64 s[10:11], |v[1:2]|, s[10:11]
                                        ; implicit-def: $vgpr3_vgpr4
                                        ; implicit-def: $vgpr5_vgpr6
	s_and_saveexec_b64 s[12:13], s[10:11]
	s_xor_b64 s[10:11], exec, s[12:13]
	s_cbranch_execz .LBB27_609
; %bb.608:
	v_trig_preop_f64 v[3:4], |v[1:2]|, 0
	s_mov_b32 s12, 0
	s_mov_b32 s13, 0x7b000000
	s_movk_i32 s9, 0xff80
	v_ldexp_f64 v[8:9], |v[1:2]|, s9
	v_cmp_ge_f64_e64 vcc, |v[1:2]|, s[12:13]
	v_trig_preop_f64 v[5:6], |v[1:2]|, 1
	v_and_b32_e32 v10, 0x7fffffff, v2
	v_trig_preop_f64 v[16:17], |v[1:2]|, 2
	v_mov_b32_e32 v27, 0x40100000
	v_mov_b32_e32 v26, 0
	s_mov_b32 s9, 0x3ff921fb
	v_cndmask_b32_e32 v9, v10, v9, vcc
	v_cndmask_b32_e32 v8, v1, v8, vcc
	v_mul_f64 v[10:11], v[3:4], v[8:9]
	v_mul_f64 v[12:13], v[5:6], v[8:9]
	;; [unrolled: 1-line block ×3, first 2 shown]
	v_fma_f64 v[3:4], v[3:4], v[8:9], -v[10:11]
	v_fma_f64 v[5:6], v[5:6], v[8:9], -v[12:13]
	;; [unrolled: 1-line block ×3, first 2 shown]
	v_add_f64 v[14:15], v[12:13], v[3:4]
	v_add_f64 v[18:19], v[14:15], -v[12:13]
	v_add_f64 v[24:25], v[10:11], v[14:15]
	v_add_f64 v[20:21], v[14:15], -v[18:19]
	v_add_f64 v[3:4], v[3:4], -v[18:19]
	v_add_f64 v[18:19], v[22:23], v[5:6]
	v_add_f64 v[10:11], v[24:25], -v[10:11]
	v_add_f64 v[12:13], v[12:13], -v[20:21]
	v_ldexp_f64 v[20:21], v[24:25], -2
	v_add_f64 v[28:29], v[18:19], -v[22:23]
	v_add_f64 v[10:11], v[14:15], -v[10:11]
	v_add_f64 v[3:4], v[3:4], v[12:13]
	v_fract_f64_e32 v[12:13], v[20:21]
	v_cmp_neq_f64_e64 vcc, |v[20:21]|, s[0:1]
	v_add_f64 v[5:6], v[5:6], -v[28:29]
	v_add_f64 v[14:15], v[18:19], v[3:4]
	v_ldexp_f64 v[12:13], v[12:13], 2
	v_add_f64 v[20:21], v[10:11], v[14:15]
	v_cndmask_b32_e32 v13, 0, v13, vcc
	v_cndmask_b32_e32 v12, 0, v12, vcc
	v_add_f64 v[30:31], v[14:15], -v[18:19]
	v_add_f64 v[24:25], v[20:21], v[12:13]
	v_add_f64 v[10:11], v[20:21], -v[10:11]
	v_add_f64 v[32:33], v[14:15], -v[30:31]
	;; [unrolled: 1-line block ×3, first 2 shown]
	v_cmp_gt_f64_e32 vcc, 0, v[24:25]
	v_add_f64 v[24:25], v[18:19], -v[28:29]
	v_add_f64 v[10:11], v[14:15], -v[10:11]
	;; [unrolled: 1-line block ×3, first 2 shown]
	v_cndmask_b32_e32 v27, 0, v27, vcc
	v_add_f64 v[12:13], v[12:13], v[26:27]
	v_add_f64 v[24:25], v[22:23], -v[24:25]
	v_add_f64 v[3:4], v[3:4], v[18:19]
	v_add_f64 v[34:35], v[20:21], v[12:13]
	;; [unrolled: 1-line block ×3, first 2 shown]
	v_cvt_i32_f64_e32 v29, v[34:35]
	v_add_f64 v[3:4], v[5:6], v[3:4]
	v_cvt_f64_i32_e32 v[27:28], v29
	v_add_f64 v[12:13], v[12:13], -v[27:28]
	v_add_f64 v[3:4], v[8:9], v[3:4]
	v_add_f64 v[5:6], v[20:21], v[12:13]
	;; [unrolled: 1-line block ×3, first 2 shown]
	v_mov_b32_e32 v11, 0x3ff00000
	v_add_f64 v[8:9], v[5:6], -v[12:13]
	v_cmp_le_f64_e32 vcc, 0.5, v[5:6]
	v_add_f64 v[9:10], v[20:21], -v[8:9]
	v_cndmask_b32_e32 v27, 0, v11, vcc
	v_add_f64 v[5:6], v[5:6], -v[26:27]
	v_addc_co_u32_e64 v8, s[0:1], 0, v29, vcc
	s_mov_b32 s0, 0x33145c07
	s_mov_b32 s1, 0x3c91a626
	v_add_f64 v[3:4], v[3:4], v[9:10]
	v_add_f64 v[9:10], v[5:6], v[3:4]
	v_mul_f64 v[11:12], v[9:10], s[8:9]
	v_add_f64 v[5:6], v[9:10], -v[5:6]
	v_fma_f64 v[13:14], v[9:10], s[8:9], -v[11:12]
	v_add_f64 v[3:4], v[3:4], -v[5:6]
	v_fma_f64 v[5:6], v[9:10], s[0:1], v[13:14]
	v_fma_f64 v[5:6], v[3:4], s[8:9], v[5:6]
	v_add_f64 v[3:4], v[11:12], v[5:6]
	v_add_f64 v[9:10], v[3:4], -v[11:12]
	v_add_f64 v[5:6], v[5:6], -v[9:10]
.LBB27_609:
	s_andn2_saveexec_b64 s[0:1], s[10:11]
	s_cbranch_execz .LBB27_611
; %bb.610:
	s_mov_b32 s8, 0x6dc9c883
	s_mov_b32 s9, 0x3fe45f30
	v_mul_f64 v[3:4], |v[1:2]|, s[8:9]
	s_mov_b32 s8, 0x54442d18
	s_mov_b32 s9, 0xbff921fb
	;; [unrolled: 1-line block ×4, first 2 shown]
	v_rndne_f64_e32 v[8:9], v[3:4]
	v_fma_f64 v[3:4], v[8:9], s[8:9], |v[1:2]|
	v_mul_f64 v[5:6], v[8:9], s[10:11]
	s_mov_b32 s8, 0x252049c0
	s_mov_b32 s9, 0xb97b839a
	v_fma_f64 v[14:15], v[8:9], s[10:11], v[3:4]
	v_add_f64 v[10:11], v[3:4], v[5:6]
	s_mov_b32 s11, 0x3c91a626
	v_add_f64 v[12:13], v[3:4], -v[10:11]
	v_add_f64 v[10:11], v[10:11], -v[14:15]
	v_add_f64 v[3:4], v[12:13], v[5:6]
	v_fma_f64 v[5:6], v[8:9], s[10:11], v[5:6]
	v_add_f64 v[3:4], v[10:11], v[3:4]
	v_add_f64 v[3:4], v[3:4], -v[5:6]
	v_fma_f64 v[5:6], v[8:9], s[8:9], v[3:4]
	v_cvt_i32_f64_e32 v8, v[8:9]
	v_add_f64 v[3:4], v[14:15], v[5:6]
	v_add_f64 v[10:11], v[3:4], -v[14:15]
	v_add_f64 v[5:6], v[5:6], -v[10:11]
.LBB27_611:
	s_or_b64 exec, exec, s[0:1]
	v_mul_f64 v[9:10], v[3:4], v[3:4]
	v_add_f64 v[11:12], v[5:6], v[5:6]
	s_mov_b32 s0, 0xc751c08c
	s_mov_b32 s1, 0x3ef5e089
	v_and_b32_e32 v8, 1, v8
	v_cmp_eq_u32_e32 vcc, 0, v8
	s_mov_b32 s10, 0x54442d18
	s_mov_b32 s11, 0xc00921fb
	v_fma_f64 v[13:14], v[3:4], v[3:4], -v[9:10]
	s_mov_b64 s[8:9], exec
	v_sub_f32_e32 v7, 1.0, v7
	v_fma_f64 v[11:12], v[3:4], v[11:12], v[13:14]
	v_add_f64 v[9:10], v[9:10], v[11:12]
	v_mov_b32_e32 v11, 0xa9a29f71
	v_mov_b32_e32 v12, 0xbf078809
	v_fma_f64 v[11:12], v[9:10], s[0:1], v[11:12]
	s_mov_b32 s0, 0x90a8aae0
	s_mov_b32 s1, 0x3f17746f
	v_fma_f64 v[11:12], v[9:10], v[11:12], s[0:1]
	s_mov_b32 s0, 0xa6fbf144
	s_mov_b32 s1, 0xbefbb44d
	;; [unrolled: 3-line block ×12, first 2 shown]
	v_fma_f64 v[11:12], v[9:10], v[11:12], s[0:1]
	s_movk_i32 s0, 0x1f8
	v_cmp_class_f64_e64 s[0:1], v[1:2], s0
	v_mul_f64 v[9:10], v[9:10], v[11:12]
	v_mul_f64 v[11:12], v[3:4], v[9:10]
	v_add_f64 v[13:14], v[3:4], v[11:12]
	v_fma_f64 v[9:10], v[3:4], v[9:10], -v[11:12]
	v_add_f64 v[3:4], v[13:14], -v[3:4]
	v_add_f64 v[5:6], v[5:6], v[9:10]
	v_add_f64 v[3:4], v[11:12], -v[3:4]
	v_add_f64 v[3:4], v[5:6], v[3:4]
	v_add_f64 v[5:6], v[13:14], v[3:4]
	v_rcp_f64_e32 v[9:10], v[5:6]
	v_fma_f64 v[11:12], -v[5:6], v[9:10], 1.0
	v_fma_f64 v[9:10], v[11:12], v[9:10], v[9:10]
	v_fma_f64 v[11:12], -v[5:6], v[9:10], 1.0
	v_fma_f64 v[9:10], v[11:12], v[9:10], v[9:10]
	v_add_f64 v[11:12], v[5:6], -v[13:14]
	v_mul_f64 v[13:14], v[5:6], v[9:10]
	v_add_f64 v[3:4], v[3:4], -v[11:12]
	v_fma_f64 v[11:12], v[9:10], v[5:6], -v[13:14]
	v_fma_f64 v[3:4], v[9:10], v[3:4], v[11:12]
	v_add_f64 v[11:12], v[13:14], v[3:4]
	v_add_f64 v[15:16], -v[11:12], 1.0
	v_add_f64 v[13:14], v[11:12], -v[13:14]
	v_add_f64 v[17:18], -v[15:16], 1.0
	v_add_f64 v[3:4], v[13:14], -v[3:4]
	v_add_f64 v[11:12], v[17:18], -v[11:12]
	v_add_f64 v[3:4], v[3:4], v[11:12]
	v_add_f64 v[3:4], v[15:16], v[3:4]
	v_mul_f64 v[3:4], v[9:10], v[3:4]
	v_add_f64 v[3:4], v[9:10], v[3:4]
	v_and_b32_e32 v9, 0x80000000, v2
	v_mov_b32_e32 v2, 0x7ff80000
	v_xor_b32_e32 v1, 0x80000000, v4
	v_cndmask_b32_e32 v3, v3, v5, vcc
	v_cndmask_b32_e32 v4, v1, v6, vcc
	v_cndmask_b32_e64 v1, 0, v3, s[0:1]
	v_xor_b32_e32 v3, v4, v9
	v_cndmask_b32_e64 v2, v2, v3, s[0:1]
	v_div_scale_f64 v[3:4], s[0:1], v[1:2], v[1:2], s[10:11]
	v_div_scale_f64 v[10:11], vcc, s[10:11], v[1:2], s[10:11]
	v_rcp_f64_e32 v[5:6], v[3:4]
	v_fma_f64 v[8:9], -v[3:4], v[5:6], 1.0
	v_fma_f64 v[5:6], v[5:6], v[8:9], v[5:6]
	v_fma_f64 v[8:9], -v[3:4], v[5:6], 1.0
	v_fma_f64 v[5:6], v[5:6], v[8:9], v[5:6]
	v_mul_f64 v[8:9], v[10:11], v[5:6]
	v_fma_f64 v[3:4], -v[3:4], v[8:9], v[10:11]
	v_div_fmas_f64 v[3:4], v[3:4], v[5:6], v[8:9]
	v_div_fixup_f64 v[1:2], v[3:4], v[1:2], s[10:11]
	v_cvt_f32_f64_e32 v1, v[1:2]
.LBB27_612:
	s_or_b64 exec, exec, s[6:7]
	s_orn2_b64 s[0:1], s[8:9], exec
.LBB27_613:
	s_or_b64 exec, exec, s[4:5]
	v_mov_b32_e32 v2, 0x7e00
	s_and_saveexec_b64 s[4:5], s[0:1]
	s_cbranch_execz .LBB27_625
; %bb.614:
	s_mov_b32 s8, 0x41200000
	v_cmp_gt_f32_e32 vcc, s8, v7
	s_and_saveexec_b64 s[0:1], vcc
	s_cbranch_execz .LBB27_618
; %bb.615:
	s_mov_b64 s[6:7], 0
.LBB27_616:                             ; =>This Inner Loop Header: Depth=1
	v_div_scale_f32 v2, s[10:11], v7, v7, 1.0
	v_div_scale_f32 v3, vcc, 1.0, v7, 1.0
	v_rcp_f32_e32 v4, v2
	v_fma_f32 v5, -v2, v4, 1.0
	v_fmac_f32_e32 v4, v5, v4
	v_mul_f32_e32 v5, v3, v4
	v_fma_f32 v6, -v2, v5, v3
	v_fmac_f32_e32 v5, v6, v4
	v_fma_f32 v2, -v2, v5, v3
	v_div_fmas_f32 v2, v2, v4, v5
	v_div_fixup_f32 v2, v2, v7, 1.0
	v_add_f32_e32 v7, 1.0, v7
	v_cmp_ngt_f32_e32 vcc, s8, v7
	s_or_b64 s[6:7], vcc, s[6:7]
	v_sub_f32_e32 v1, v1, v2
	s_andn2_b64 exec, exec, s[6:7]
	s_cbranch_execnz .LBB27_616
; %bb.617:
	s_or_b64 exec, exec, s[6:7]
.LBB27_618:
	s_or_b64 exec, exec, s[0:1]
	s_mov_b32 s0, 0x41200000
	v_cmp_neq_f32_e32 vcc, s0, v7
                                        ; implicit-def: $vgpr2
	s_and_saveexec_b64 s[0:1], vcc
	s_xor_b64 s[6:7], exec, s[0:1]
	s_cbranch_execz .LBB27_622
; %bb.619:
	v_cvt_f64_f32_e32 v[2:3], v7
	s_mov_b32 s0, 0x85d8a000
	s_mov_b32 s1, 0x43763457
	v_cmp_gt_f64_e32 vcc, s[0:1], v[2:3]
	v_mov_b32_e32 v2, 0
	s_and_saveexec_b64 s[0:1], vcc
	s_cbranch_execz .LBB27_621
; %bb.620:
	v_mul_f32_e32 v2, v7, v7
	v_div_scale_f32 v3, s[8:9], v2, v2, 1.0
	v_div_scale_f32 v4, vcc, 1.0, v2, 1.0
	v_mov_b32_e32 v9, 0x3b820821
	v_rcp_f32_e32 v5, v3
	v_fma_f32 v6, -v3, v5, 1.0
	v_fmac_f32_e32 v5, v6, v5
	v_mul_f32_e32 v6, v4, v5
	v_fma_f32 v8, -v3, v6, v4
	v_fmac_f32_e32 v6, v8, v5
	v_fma_f32 v3, -v3, v6, v4
	v_div_fmas_f32 v3, v3, v5, v6
	v_mov_b32_e32 v4, 0x3daaaaab
	v_mov_b32_e32 v5, 0xbcaccacd
	;; [unrolled: 1-line block ×4, first 2 shown]
	v_div_fixup_f32 v2, v3, v2, 1.0
	v_fma_f32 v3, 0, v2, v4
	v_fmac_f32_e32 v5, v2, v3
	v_fmac_f32_e32 v6, v2, v5
	v_fmac_f32_e32 v8, v2, v6
	v_fmac_f32_e32 v9, v2, v8
	v_mov_b32_e32 v3, 0xbc088889
	v_fmac_f32_e32 v3, v2, v9
	v_fmac_f32_e32 v4, v2, v3
	v_mul_f32_e32 v2, v2, v4
.LBB27_621:
	s_or_b64 exec, exec, s[0:1]
	v_div_scale_f32 v3, s[0:1], v7, v7, -0.5
	v_div_scale_f32 v4, vcc, -0.5, v7, -0.5
	s_mov_b32 s0, 0x800000
	v_cmp_gt_f32_e64 s[0:1], s0, v7
	v_cndmask_b32_e64 v6, 0, 32, s[0:1]
	s_mov_b32 s8, 0x3f317217
	v_rcp_f32_e32 v5, v3
	v_fma_f32 v8, -v3, v5, 1.0
	v_fmac_f32_e32 v5, v8, v5
	v_mul_f32_e32 v8, v4, v5
	v_fma_f32 v9, -v3, v8, v4
	v_fmac_f32_e32 v8, v9, v5
	v_fma_f32 v3, -v3, v8, v4
	v_div_fmas_f32 v3, v3, v5, v8
	v_ldexp_f32 v4, v7, v6
	v_log_f32_e32 v4, v4
	v_mul_f32_e32 v5, 0x3f317217, v4
	v_fma_f32 v5, v4, s8, -v5
	v_fmac_f32_e32 v5, 0x3377d1cf, v4
	s_mov_b32 s8, 0x7f800000
	v_fmac_f32_e32 v5, 0x3f317217, v4
	v_cmp_lt_f32_e64 vcc, |v4|, s8
	v_cndmask_b32_e32 v4, v4, v5, vcc
	v_mov_b32_e32 v5, 0x41b17218
	v_cndmask_b32_e64 v5, 0, v5, s[0:1]
	v_sub_f32_e32 v4, v4, v5
	v_div_fixup_f32 v3, v3, v7, -0.5
	v_add_f32_e32 v3, v4, v3
	v_sub_f32_e32 v2, v3, v2
	v_add_f32_e32 v1, v1, v2
	v_cvt_f16_f32_e32 v2, v1
                                        ; implicit-def: $vgpr1
.LBB27_622:
	s_andn2_saveexec_b64 s[0:1], s[6:7]
; %bb.623:
	v_add_f32_e32 v1, 0x40101cb7, v1
	v_cvt_f16_f32_e32 v2, v1
; %bb.624:
	s_or_b64 exec, exec, s[0:1]
.LBB27_625:
	s_or_b64 exec, exec, s[4:5]
                                        ; implicit-def: $vgpr7
.LBB27_626:
	s_andn2_saveexec_b64 s[0:1], s[2:3]
; %bb.627:
	v_xor_b32_e32 v1, 0x80000000, v7
	v_lshrrev_b32_e32 v1, 16, v1
	s_movk_i32 s2, 0x7fff
	v_mov_b32_e32 v2, 0x7c00
	v_bfi_b32 v2, s2, v2, v1
; %bb.628:
	s_or_b64 exec, exec, s[0:1]
	global_store_short v0, v2, s[16:17]
	s_or_b64 exec, exec, s[48:49]
                                        ; implicit-def: $vgpr25
                                        ; implicit-def: $vgpr7
	s_andn2_saveexec_b64 s[0:1], s[38:39]
	s_cbranch_execz .LBB27_557
	s_branch .LBB27_8
	.section	.rodata,"a",@progbits
	.p2align	6, 0x0
	.amdhsa_kernel _ZN2at6native32elementwise_kernel_manual_unrollILi128ELi8EZNS0_22gpu_kernel_impl_nocastIZZZNS0_19digamma_kernel_cudaERNS_18TensorIteratorBaseEENKUlvE_clEvENKUlvE1_clEvEUlN3c104HalfEE_EEvS4_RKT_EUlibE_EEviT1_
		.amdhsa_group_segment_fixed_size 0
		.amdhsa_private_segment_fixed_size 0
		.amdhsa_kernarg_size 360
		.amdhsa_user_sgpr_count 6
		.amdhsa_user_sgpr_private_segment_buffer 1
		.amdhsa_user_sgpr_dispatch_ptr 0
		.amdhsa_user_sgpr_queue_ptr 0
		.amdhsa_user_sgpr_kernarg_segment_ptr 1
		.amdhsa_user_sgpr_dispatch_id 0
		.amdhsa_user_sgpr_flat_scratch_init 0
		.amdhsa_user_sgpr_private_segment_size 0
		.amdhsa_uses_dynamic_stack 0
		.amdhsa_system_sgpr_private_segment_wavefront_offset 0
		.amdhsa_system_sgpr_workgroup_id_x 1
		.amdhsa_system_sgpr_workgroup_id_y 0
		.amdhsa_system_sgpr_workgroup_id_z 0
		.amdhsa_system_sgpr_workgroup_info 0
		.amdhsa_system_vgpr_workitem_id 0
		.amdhsa_next_free_vgpr 56
		.amdhsa_next_free_sgpr 60
		.amdhsa_reserve_vcc 1
		.amdhsa_reserve_flat_scratch 0
		.amdhsa_float_round_mode_32 0
		.amdhsa_float_round_mode_16_64 0
		.amdhsa_float_denorm_mode_32 3
		.amdhsa_float_denorm_mode_16_64 3
		.amdhsa_dx10_clamp 1
		.amdhsa_ieee_mode 1
		.amdhsa_fp16_overflow 0
		.amdhsa_exception_fp_ieee_invalid_op 0
		.amdhsa_exception_fp_denorm_src 0
		.amdhsa_exception_fp_ieee_div_zero 0
		.amdhsa_exception_fp_ieee_overflow 0
		.amdhsa_exception_fp_ieee_underflow 0
		.amdhsa_exception_fp_ieee_inexact 0
		.amdhsa_exception_int_div_zero 0
	.end_amdhsa_kernel
	.section	.text._ZN2at6native32elementwise_kernel_manual_unrollILi128ELi8EZNS0_22gpu_kernel_impl_nocastIZZZNS0_19digamma_kernel_cudaERNS_18TensorIteratorBaseEENKUlvE_clEvENKUlvE1_clEvEUlN3c104HalfEE_EEvS4_RKT_EUlibE_EEviT1_,"axG",@progbits,_ZN2at6native32elementwise_kernel_manual_unrollILi128ELi8EZNS0_22gpu_kernel_impl_nocastIZZZNS0_19digamma_kernel_cudaERNS_18TensorIteratorBaseEENKUlvE_clEvENKUlvE1_clEvEUlN3c104HalfEE_EEvS4_RKT_EUlibE_EEviT1_,comdat
.Lfunc_end27:
	.size	_ZN2at6native32elementwise_kernel_manual_unrollILi128ELi8EZNS0_22gpu_kernel_impl_nocastIZZZNS0_19digamma_kernel_cudaERNS_18TensorIteratorBaseEENKUlvE_clEvENKUlvE1_clEvEUlN3c104HalfEE_EEvS4_RKT_EUlibE_EEviT1_, .Lfunc_end27-_ZN2at6native32elementwise_kernel_manual_unrollILi128ELi8EZNS0_22gpu_kernel_impl_nocastIZZZNS0_19digamma_kernel_cudaERNS_18TensorIteratorBaseEENKUlvE_clEvENKUlvE1_clEvEUlN3c104HalfEE_EEvS4_RKT_EUlibE_EEviT1_
                                        ; -- End function
	.set _ZN2at6native32elementwise_kernel_manual_unrollILi128ELi8EZNS0_22gpu_kernel_impl_nocastIZZZNS0_19digamma_kernel_cudaERNS_18TensorIteratorBaseEENKUlvE_clEvENKUlvE1_clEvEUlN3c104HalfEE_EEvS4_RKT_EUlibE_EEviT1_.num_vgpr, 56
	.set _ZN2at6native32elementwise_kernel_manual_unrollILi128ELi8EZNS0_22gpu_kernel_impl_nocastIZZZNS0_19digamma_kernel_cudaERNS_18TensorIteratorBaseEENKUlvE_clEvENKUlvE1_clEvEUlN3c104HalfEE_EEvS4_RKT_EUlibE_EEviT1_.num_agpr, 0
	.set _ZN2at6native32elementwise_kernel_manual_unrollILi128ELi8EZNS0_22gpu_kernel_impl_nocastIZZZNS0_19digamma_kernel_cudaERNS_18TensorIteratorBaseEENKUlvE_clEvENKUlvE1_clEvEUlN3c104HalfEE_EEvS4_RKT_EUlibE_EEviT1_.numbered_sgpr, 60
	.set _ZN2at6native32elementwise_kernel_manual_unrollILi128ELi8EZNS0_22gpu_kernel_impl_nocastIZZZNS0_19digamma_kernel_cudaERNS_18TensorIteratorBaseEENKUlvE_clEvENKUlvE1_clEvEUlN3c104HalfEE_EEvS4_RKT_EUlibE_EEviT1_.num_named_barrier, 0
	.set _ZN2at6native32elementwise_kernel_manual_unrollILi128ELi8EZNS0_22gpu_kernel_impl_nocastIZZZNS0_19digamma_kernel_cudaERNS_18TensorIteratorBaseEENKUlvE_clEvENKUlvE1_clEvEUlN3c104HalfEE_EEvS4_RKT_EUlibE_EEviT1_.private_seg_size, 0
	.set _ZN2at6native32elementwise_kernel_manual_unrollILi128ELi8EZNS0_22gpu_kernel_impl_nocastIZZZNS0_19digamma_kernel_cudaERNS_18TensorIteratorBaseEENKUlvE_clEvENKUlvE1_clEvEUlN3c104HalfEE_EEvS4_RKT_EUlibE_EEviT1_.uses_vcc, 1
	.set _ZN2at6native32elementwise_kernel_manual_unrollILi128ELi8EZNS0_22gpu_kernel_impl_nocastIZZZNS0_19digamma_kernel_cudaERNS_18TensorIteratorBaseEENKUlvE_clEvENKUlvE1_clEvEUlN3c104HalfEE_EEvS4_RKT_EUlibE_EEviT1_.uses_flat_scratch, 0
	.set _ZN2at6native32elementwise_kernel_manual_unrollILi128ELi8EZNS0_22gpu_kernel_impl_nocastIZZZNS0_19digamma_kernel_cudaERNS_18TensorIteratorBaseEENKUlvE_clEvENKUlvE1_clEvEUlN3c104HalfEE_EEvS4_RKT_EUlibE_EEviT1_.has_dyn_sized_stack, 0
	.set _ZN2at6native32elementwise_kernel_manual_unrollILi128ELi8EZNS0_22gpu_kernel_impl_nocastIZZZNS0_19digamma_kernel_cudaERNS_18TensorIteratorBaseEENKUlvE_clEvENKUlvE1_clEvEUlN3c104HalfEE_EEvS4_RKT_EUlibE_EEviT1_.has_recursion, 0
	.set _ZN2at6native32elementwise_kernel_manual_unrollILi128ELi8EZNS0_22gpu_kernel_impl_nocastIZZZNS0_19digamma_kernel_cudaERNS_18TensorIteratorBaseEENKUlvE_clEvENKUlvE1_clEvEUlN3c104HalfEE_EEvS4_RKT_EUlibE_EEviT1_.has_indirect_call, 0
	.section	.AMDGPU.csdata,"",@progbits
; Kernel info:
; codeLenInByte = 49788
; TotalNumSgprs: 64
; NumVgprs: 56
; ScratchSize: 0
; MemoryBound: 0
; FloatMode: 240
; IeeeMode: 1
; LDSByteSize: 0 bytes/workgroup (compile time only)
; SGPRBlocks: 7
; VGPRBlocks: 13
; NumSGPRsForWavesPerEU: 64
; NumVGPRsForWavesPerEU: 56
; Occupancy: 4
; WaveLimiterHint : 1
; COMPUTE_PGM_RSRC2:SCRATCH_EN: 0
; COMPUTE_PGM_RSRC2:USER_SGPR: 6
; COMPUTE_PGM_RSRC2:TRAP_HANDLER: 0
; COMPUTE_PGM_RSRC2:TGID_X_EN: 1
; COMPUTE_PGM_RSRC2:TGID_Y_EN: 0
; COMPUTE_PGM_RSRC2:TGID_Z_EN: 0
; COMPUTE_PGM_RSRC2:TIDIG_COMP_CNT: 0
	.section	.text._ZN2at6native32elementwise_kernel_manual_unrollILi128ELi4EZNS0_15gpu_kernel_implIZZZNS0_19digamma_kernel_cudaERNS_18TensorIteratorBaseEENKUlvE_clEvENKUlvE1_clEvEUlN3c104HalfEE_EEvS4_RKT_EUlibE_EEviT1_,"axG",@progbits,_ZN2at6native32elementwise_kernel_manual_unrollILi128ELi4EZNS0_15gpu_kernel_implIZZZNS0_19digamma_kernel_cudaERNS_18TensorIteratorBaseEENKUlvE_clEvENKUlvE1_clEvEUlN3c104HalfEE_EEvS4_RKT_EUlibE_EEviT1_,comdat
	.globl	_ZN2at6native32elementwise_kernel_manual_unrollILi128ELi4EZNS0_15gpu_kernel_implIZZZNS0_19digamma_kernel_cudaERNS_18TensorIteratorBaseEENKUlvE_clEvENKUlvE1_clEvEUlN3c104HalfEE_EEvS4_RKT_EUlibE_EEviT1_ ; -- Begin function _ZN2at6native32elementwise_kernel_manual_unrollILi128ELi4EZNS0_15gpu_kernel_implIZZZNS0_19digamma_kernel_cudaERNS_18TensorIteratorBaseEENKUlvE_clEvENKUlvE1_clEvEUlN3c104HalfEE_EEvS4_RKT_EUlibE_EEviT1_
	.p2align	8
	.type	_ZN2at6native32elementwise_kernel_manual_unrollILi128ELi4EZNS0_15gpu_kernel_implIZZZNS0_19digamma_kernel_cudaERNS_18TensorIteratorBaseEENKUlvE_clEvENKUlvE1_clEvEUlN3c104HalfEE_EEvS4_RKT_EUlibE_EEviT1_,@function
_ZN2at6native32elementwise_kernel_manual_unrollILi128ELi4EZNS0_15gpu_kernel_implIZZZNS0_19digamma_kernel_cudaERNS_18TensorIteratorBaseEENKUlvE_clEvENKUlvE1_clEvEUlN3c104HalfEE_EEvS4_RKT_EUlibE_EEviT1_: ; @_ZN2at6native32elementwise_kernel_manual_unrollILi128ELi4EZNS0_15gpu_kernel_implIZZZNS0_19digamma_kernel_cudaERNS_18TensorIteratorBaseEENKUlvE_clEvENKUlvE1_clEvEUlN3c104HalfEE_EEvS4_RKT_EUlibE_EEviT1_
; %bb.0:
	v_mov_b32_e32 v1, 0
	global_load_ushort v1, v1, s[4:5] offset:33
	s_load_dwordx4 s[8:11], s[4:5], 0x8
	s_load_dwordx2 s[2:3], s[4:5], 0x18
	s_load_dword s40, s[4:5], 0x0
	v_lshl_or_b32 v6, s6, 9, v0
	v_or_b32_e32 v0, 0x180, v6
	s_mov_b64 s[12:13], 0
	s_mov_b64 s[6:7], 0
	s_waitcnt lgkmcnt(0)
	v_cmp_le_i32_e32 vcc, s40, v0
	s_waitcnt vmcnt(0)
	v_readfirstlane_b32 s33, v1
	s_and_b32 s0, 0xffff, s33
	s_lshr_b32 s42, s0, 8
	s_and_saveexec_b64 s[0:1], vcc
	s_xor_b64 s[4:5], exec, s[0:1]
	s_cbranch_execz .LBB28_1123
; %bb.1:
	v_cmp_gt_i32_e32 vcc, s40, v6
	s_mov_b64 s[18:19], -1
	s_mov_b64 s[20:21], 0
	s_mov_b64 s[14:15], 0
	s_and_saveexec_b64 s[16:17], vcc
	s_cbranch_execz .LBB28_276
; %bb.2:
	v_mul_lo_u32 v0, v6, s3
	v_mov_b32_e32 v1, s11
	s_and_b32 s22, 0xffff, s42
	s_cmp_lt_i32 s22, 11
	v_ashrrev_i32_e32 v2, 31, v0
	v_add_co_u32_e32 v0, vcc, s10, v0
	v_addc_co_u32_e32 v1, vcc, v1, v2, vcc
	s_cbranch_scc1 .LBB28_9
; %bb.3:
	s_cmp_gt_i32 s22, 25
	s_cbranch_scc0 .LBB28_42
; %bb.4:
	s_cmp_gt_i32 s22, 28
	s_cbranch_scc0 .LBB28_46
	;; [unrolled: 3-line block ×4, first 2 shown]
; %bb.7:
	s_cmp_eq_u32 s22, 46
	s_cbranch_scc0 .LBB28_52
; %bb.8:
	global_load_dword v2, v[0:1], off
	s_mov_b64 s[0:1], -1
	s_waitcnt vmcnt(0)
	v_lshlrev_b32_e32 v2, 16, v2
	v_cvt_f16_f32_e32 v3, v2
	s_branch .LBB28_54
.LBB28_9:
                                        ; implicit-def: $vgpr3
	s_mov_b64 s[0:1], 0
	s_cbranch_execnz .LBB28_227
.LBB28_10:
	s_andn2_b64 vcc, exec, s[0:1]
	s_cbranch_vccnz .LBB28_274
.LBB28_11:
	s_waitcnt vmcnt(0)
	v_cvt_f32_f16_e32 v7, v3
	v_cmp_neq_f16_e32 vcc, 0, v3
                                        ; implicit-def: $vgpr2
	s_and_saveexec_b64 s[0:1], vcc
	s_xor_b64 s[6:7], exec, s[0:1]
	s_cbranch_execz .LBB28_33
; %bb.12:
	v_cmp_gt_f16_e32 vcc, 0, v3
	s_mov_b64 s[0:1], -1
	v_mov_b32_e32 v0, 0
	s_and_saveexec_b64 s[18:19], vcc
	s_cbranch_execz .LBB28_20
; %bb.13:
	v_trunc_f32_e32 v0, v7
	v_cmp_neq_f32_e32 vcc, v0, v7
	s_mov_b64 s[24:25], 0
	v_mov_b32_e32 v0, 0
	s_and_saveexec_b64 s[22:23], vcc
	s_cbranch_execz .LBB28_19
; %bb.14:
	v_cvt_f32_f16_e32 v0, v3
	s_mov_b32 s26, 0
	s_mov_b32 s1, 0xc00921fb
	s_mov_b32 s0, 0x54442d18
	v_cvt_f64_f32_e32 v[0:1], v0
	s_mov_b32 s27, 0x7ff00000
	v_bfrev_b32_e32 v4, 1
	s_mov_b32 s24, 0
	v_trunc_f64_e32 v[2:3], v[0:1]
	v_cmp_neq_f64_e64 vcc, |v[0:1]|, s[26:27]
	s_mov_b32 s25, 0x41d00000
                                        ; implicit-def: $vgpr8
	v_add_f64 v[2:3], v[0:1], -v[2:3]
	v_mul_f64 v[2:3], |v[2:3]|, s[0:1]
	v_cndmask_b32_e32 v1, v4, v3, vcc
	v_cndmask_b32_e32 v0, 0, v2, vcc
	v_cmp_nlt_f64_e64 s[24:25], |v[0:1]|, s[24:25]
                                        ; implicit-def: $vgpr2_vgpr3
                                        ; implicit-def: $vgpr4_vgpr5
	s_and_saveexec_b64 s[28:29], s[24:25]
	s_xor_b64 s[24:25], exec, s[28:29]
	s_cbranch_execz .LBB28_16
; %bb.15:
	v_trig_preop_f64 v[4:5], |v[0:1]|, 0
	s_mov_b32 s28, 0
	s_mov_b32 s29, 0x7b000000
	s_movk_i32 s1, 0xff80
	v_ldexp_f64 v[2:3], |v[0:1]|, s1
	v_cmp_ge_f64_e64 vcc, |v[0:1]|, s[28:29]
	v_trig_preop_f64 v[8:9], |v[0:1]|, 1
	v_and_b32_e32 v10, 0x7fffffff, v1
	v_trig_preop_f64 v[16:17], |v[0:1]|, 2
	v_mov_b32_e32 v28, 0x40100000
	s_mov_b32 s1, 0x3ff921fb
	v_cndmask_b32_e32 v3, v10, v3, vcc
	v_cndmask_b32_e32 v2, v0, v2, vcc
	v_mul_f64 v[10:11], v[4:5], v[2:3]
	v_mul_f64 v[12:13], v[8:9], v[2:3]
	;; [unrolled: 1-line block ×3, first 2 shown]
	v_fma_f64 v[4:5], v[4:5], v[2:3], -v[10:11]
	v_fma_f64 v[8:9], v[8:9], v[2:3], -v[12:13]
	;; [unrolled: 1-line block ×3, first 2 shown]
	v_add_f64 v[14:15], v[12:13], v[4:5]
	v_add_f64 v[18:19], v[14:15], -v[12:13]
	v_add_f64 v[24:25], v[10:11], v[14:15]
	v_add_f64 v[20:21], v[14:15], -v[18:19]
	v_add_f64 v[4:5], v[4:5], -v[18:19]
	v_add_f64 v[18:19], v[22:23], v[8:9]
	v_add_f64 v[10:11], v[24:25], -v[10:11]
	v_add_f64 v[12:13], v[12:13], -v[20:21]
	v_ldexp_f64 v[20:21], v[24:25], -2
	v_add_f64 v[10:11], v[14:15], -v[10:11]
	v_add_f64 v[4:5], v[4:5], v[12:13]
	v_fract_f64_e32 v[12:13], v[20:21]
	v_cmp_neq_f64_e64 vcc, |v[20:21]|, s[26:27]
	s_mov_b32 s26, 0x33145c07
	s_mov_b32 s27, 0x3c91a626
	v_add_f64 v[14:15], v[18:19], v[4:5]
	v_ldexp_f64 v[12:13], v[12:13], 2
	v_add_f64 v[20:21], v[10:11], v[14:15]
	v_cndmask_b32_e32 v13, 0, v13, vcc
	v_cndmask_b32_e32 v12, 0, v12, vcc
	v_add_f64 v[26:27], v[14:15], -v[18:19]
	v_add_f64 v[24:25], v[20:21], v[12:13]
	v_add_f64 v[10:11], v[20:21], -v[10:11]
	v_add_f64 v[4:5], v[4:5], -v[26:27]
	;; [unrolled: 1-line block ×3, first 2 shown]
	v_cmp_gt_f64_e32 vcc, 0, v[24:25]
	v_add_f64 v[24:25], v[18:19], -v[22:23]
	v_add_f64 v[10:11], v[14:15], -v[10:11]
	v_cndmask_b32_e32 v29, 0, v28, vcc
	v_mov_b32_e32 v28, 0
	v_add_f64 v[12:13], v[12:13], v[28:29]
	v_add_f64 v[8:9], v[8:9], -v[24:25]
	v_add_f64 v[24:25], v[18:19], -v[24:25]
	;; [unrolled: 1-line block ×3, first 2 shown]
	v_add_f64 v[26:27], v[20:21], v[12:13]
	v_add_f64 v[24:25], v[22:23], -v[24:25]
	v_add_f64 v[4:5], v[4:5], v[18:19]
	v_cvt_i32_f64_e32 v26, v[26:27]
	v_add_f64 v[8:9], v[8:9], v[24:25]
	v_cvt_f64_i32_e32 v[24:25], v26
	v_add_f64 v[12:13], v[12:13], -v[24:25]
	v_add_f64 v[4:5], v[8:9], v[4:5]
	v_add_f64 v[8:9], v[20:21], v[12:13]
	;; [unrolled: 1-line block ×3, first 2 shown]
	v_add_f64 v[4:5], v[8:9], -v[12:13]
	v_cmp_le_f64_e32 vcc, 0.5, v[8:9]
	v_add_f64 v[2:3], v[10:11], v[2:3]
	v_mov_b32_e32 v10, 0x3ff00000
	v_add_f64 v[4:5], v[20:21], -v[4:5]
	v_cndmask_b32_e32 v29, 0, v10, vcc
	v_add_f64 v[2:3], v[2:3], v[4:5]
	v_add_f64 v[4:5], v[8:9], -v[28:29]
	v_add_f64 v[8:9], v[4:5], v[2:3]
	v_mul_f64 v[10:11], v[8:9], s[0:1]
	v_add_f64 v[4:5], v[8:9], -v[4:5]
	v_fma_f64 v[12:13], v[8:9], s[0:1], -v[10:11]
	v_add_f64 v[2:3], v[2:3], -v[4:5]
	v_fma_f64 v[4:5], v[8:9], s[26:27], v[12:13]
	v_fma_f64 v[4:5], v[2:3], s[0:1], v[4:5]
	v_add_f64 v[2:3], v[10:11], v[4:5]
	v_add_f64 v[8:9], v[2:3], -v[10:11]
	v_add_f64 v[4:5], v[4:5], -v[8:9]
	v_addc_co_u32_e32 v8, vcc, 0, v26, vcc
.LBB28_16:
	s_andn2_saveexec_b64 s[0:1], s[24:25]
	s_cbranch_execz .LBB28_18
; %bb.17:
	s_mov_b32 s24, 0x6dc9c883
	s_mov_b32 s25, 0x3fe45f30
	v_mul_f64 v[2:3], |v[0:1]|, s[24:25]
	s_mov_b32 s24, 0x54442d18
	s_mov_b32 s25, 0xbff921fb
	;; [unrolled: 1-line block ×4, first 2 shown]
	v_rndne_f64_e32 v[8:9], v[2:3]
	v_fma_f64 v[2:3], v[8:9], s[24:25], |v[0:1]|
	v_mul_f64 v[4:5], v[8:9], s[26:27]
	s_mov_b32 s24, 0x252049c0
	s_mov_b32 s25, 0xb97b839a
	v_fma_f64 v[14:15], v[8:9], s[26:27], v[2:3]
	v_add_f64 v[10:11], v[2:3], v[4:5]
	s_mov_b32 s27, 0x3c91a626
	v_add_f64 v[12:13], v[2:3], -v[10:11]
	v_add_f64 v[10:11], v[10:11], -v[14:15]
	v_add_f64 v[2:3], v[12:13], v[4:5]
	v_fma_f64 v[4:5], v[8:9], s[26:27], v[4:5]
	v_add_f64 v[2:3], v[10:11], v[2:3]
	v_add_f64 v[2:3], v[2:3], -v[4:5]
	v_fma_f64 v[4:5], v[8:9], s[24:25], v[2:3]
	v_cvt_i32_f64_e32 v8, v[8:9]
	v_add_f64 v[2:3], v[14:15], v[4:5]
	v_add_f64 v[10:11], v[2:3], -v[14:15]
	v_add_f64 v[4:5], v[4:5], -v[10:11]
.LBB28_18:
	s_or_b64 exec, exec, s[0:1]
	v_mul_f64 v[9:10], v[2:3], v[2:3]
	v_add_f64 v[11:12], v[4:5], v[4:5]
	s_mov_b32 s0, 0xc751c08c
	s_mov_b32 s1, 0x3ef5e089
	v_and_b32_e32 v8, 1, v8
	v_cmp_eq_u32_e32 vcc, 0, v8
	s_mov_b32 s26, 0x54442d18
	s_mov_b32 s27, 0xc00921fb
	v_fma_f64 v[13:14], v[2:3], v[2:3], -v[9:10]
	s_mov_b64 s[24:25], exec
	v_sub_f32_e32 v7, 1.0, v7
	v_fma_f64 v[11:12], v[2:3], v[11:12], v[13:14]
	v_add_f64 v[9:10], v[9:10], v[11:12]
	v_mov_b32_e32 v11, 0xa9a29f71
	v_mov_b32_e32 v12, 0xbf078809
	v_fma_f64 v[11:12], v[9:10], s[0:1], v[11:12]
	s_mov_b32 s0, 0x90a8aae0
	s_mov_b32 s1, 0x3f17746f
	v_fma_f64 v[11:12], v[9:10], v[11:12], s[0:1]
	s_mov_b32 s0, 0xa6fbf144
	s_mov_b32 s1, 0xbefbb44d
	;; [unrolled: 3-line block ×12, first 2 shown]
	v_fma_f64 v[11:12], v[9:10], v[11:12], s[0:1]
	s_movk_i32 s0, 0x1f8
	v_cmp_class_f64_e64 s[0:1], v[0:1], s0
	v_mul_f64 v[9:10], v[9:10], v[11:12]
	v_mul_f64 v[11:12], v[2:3], v[9:10]
	v_add_f64 v[13:14], v[2:3], v[11:12]
	v_fma_f64 v[9:10], v[2:3], v[9:10], -v[11:12]
	v_add_f64 v[2:3], v[13:14], -v[2:3]
	v_add_f64 v[4:5], v[4:5], v[9:10]
	v_add_f64 v[2:3], v[11:12], -v[2:3]
	v_add_f64 v[2:3], v[4:5], v[2:3]
	v_add_f64 v[4:5], v[13:14], v[2:3]
	v_rcp_f64_e32 v[9:10], v[4:5]
	v_fma_f64 v[11:12], -v[4:5], v[9:10], 1.0
	v_fma_f64 v[9:10], v[11:12], v[9:10], v[9:10]
	v_fma_f64 v[11:12], -v[4:5], v[9:10], 1.0
	v_fma_f64 v[9:10], v[11:12], v[9:10], v[9:10]
	v_add_f64 v[11:12], v[4:5], -v[13:14]
	v_mul_f64 v[13:14], v[4:5], v[9:10]
	v_add_f64 v[2:3], v[2:3], -v[11:12]
	v_fma_f64 v[11:12], v[9:10], v[4:5], -v[13:14]
	v_fma_f64 v[2:3], v[9:10], v[2:3], v[11:12]
	v_add_f64 v[11:12], v[13:14], v[2:3]
	v_add_f64 v[15:16], -v[11:12], 1.0
	v_add_f64 v[13:14], v[11:12], -v[13:14]
	v_add_f64 v[17:18], -v[15:16], 1.0
	v_add_f64 v[2:3], v[13:14], -v[2:3]
	v_add_f64 v[11:12], v[17:18], -v[11:12]
	v_add_f64 v[2:3], v[2:3], v[11:12]
	v_add_f64 v[2:3], v[15:16], v[2:3]
	v_mul_f64 v[2:3], v[9:10], v[2:3]
	v_add_f64 v[2:3], v[9:10], v[2:3]
	v_and_b32_e32 v9, 0x80000000, v1
	v_mov_b32_e32 v1, 0x7ff80000
	v_xor_b32_e32 v0, 0x80000000, v3
	v_cndmask_b32_e32 v2, v2, v4, vcc
	v_cndmask_b32_e32 v3, v0, v5, vcc
	v_cndmask_b32_e64 v0, 0, v2, s[0:1]
	v_xor_b32_e32 v2, v3, v9
	v_cndmask_b32_e64 v1, v1, v2, s[0:1]
	v_div_scale_f64 v[2:3], s[0:1], v[0:1], v[0:1], s[26:27]
	v_div_scale_f64 v[10:11], vcc, s[26:27], v[0:1], s[26:27]
	v_rcp_f64_e32 v[4:5], v[2:3]
	v_fma_f64 v[8:9], -v[2:3], v[4:5], 1.0
	v_fma_f64 v[4:5], v[4:5], v[8:9], v[4:5]
	v_fma_f64 v[8:9], -v[2:3], v[4:5], 1.0
	v_fma_f64 v[4:5], v[4:5], v[8:9], v[4:5]
	v_mul_f64 v[8:9], v[10:11], v[4:5]
	v_fma_f64 v[2:3], -v[2:3], v[8:9], v[10:11]
	v_div_fmas_f64 v[2:3], v[2:3], v[4:5], v[8:9]
	v_div_fixup_f64 v[0:1], v[2:3], v[0:1], s[26:27]
	v_cvt_f32_f64_e32 v0, v[0:1]
.LBB28_19:
	s_or_b64 exec, exec, s[22:23]
	s_orn2_b64 s[0:1], s[24:25], exec
.LBB28_20:
	s_or_b64 exec, exec, s[18:19]
	v_mov_b32_e32 v2, 0x7e00
	s_and_saveexec_b64 s[18:19], s[0:1]
	s_cbranch_execz .LBB28_32
; %bb.21:
	s_mov_b32 s24, 0x41200000
	v_cmp_gt_f32_e32 vcc, s24, v7
	s_and_saveexec_b64 s[0:1], vcc
	s_cbranch_execz .LBB28_25
; %bb.22:
	s_mov_b64 s[22:23], 0
.LBB28_23:                              ; =>This Inner Loop Header: Depth=1
	v_div_scale_f32 v1, s[26:27], v7, v7, 1.0
	v_div_scale_f32 v2, vcc, 1.0, v7, 1.0
	v_rcp_f32_e32 v3, v1
	v_fma_f32 v4, -v1, v3, 1.0
	v_fmac_f32_e32 v3, v4, v3
	v_mul_f32_e32 v4, v2, v3
	v_fma_f32 v5, -v1, v4, v2
	v_fmac_f32_e32 v4, v5, v3
	v_fma_f32 v1, -v1, v4, v2
	v_div_fmas_f32 v1, v1, v3, v4
	v_div_fixup_f32 v1, v1, v7, 1.0
	v_add_f32_e32 v7, 1.0, v7
	v_cmp_ngt_f32_e32 vcc, s24, v7
	s_or_b64 s[22:23], vcc, s[22:23]
	v_sub_f32_e32 v0, v0, v1
	s_andn2_b64 exec, exec, s[22:23]
	s_cbranch_execnz .LBB28_23
; %bb.24:
	s_or_b64 exec, exec, s[22:23]
.LBB28_25:
	s_or_b64 exec, exec, s[0:1]
	s_mov_b32 s0, 0x41200000
	v_cmp_neq_f32_e32 vcc, s0, v7
                                        ; implicit-def: $vgpr2
	s_and_saveexec_b64 s[0:1], vcc
	s_xor_b64 s[22:23], exec, s[0:1]
	s_cbranch_execz .LBB28_29
; %bb.26:
	v_cvt_f64_f32_e32 v[1:2], v7
	s_mov_b32 s0, 0x85d8a000
	s_mov_b32 s1, 0x43763457
	v_cmp_gt_f64_e32 vcc, s[0:1], v[1:2]
	v_mov_b32_e32 v1, 0
	s_and_saveexec_b64 s[0:1], vcc
	s_cbranch_execz .LBB28_28
; %bb.27:
	v_mul_f32_e32 v1, v7, v7
	v_div_scale_f32 v2, s[24:25], v1, v1, 1.0
	v_div_scale_f32 v3, vcc, 1.0, v1, 1.0
	v_mov_b32_e32 v9, 0x3b820821
	v_rcp_f32_e32 v4, v2
	v_fma_f32 v5, -v2, v4, 1.0
	v_fmac_f32_e32 v4, v5, v4
	v_mul_f32_e32 v5, v3, v4
	v_fma_f32 v8, -v2, v5, v3
	v_fmac_f32_e32 v5, v8, v4
	v_fma_f32 v2, -v2, v5, v3
	v_div_fmas_f32 v2, v2, v4, v5
	v_mov_b32_e32 v3, 0x3daaaaab
	v_mov_b32_e32 v4, 0xbcaccacd
	;; [unrolled: 1-line block ×4, first 2 shown]
	v_div_fixup_f32 v1, v2, v1, 1.0
	v_fma_f32 v2, 0, v1, v3
	v_fmac_f32_e32 v4, v1, v2
	v_fmac_f32_e32 v5, v1, v4
	;; [unrolled: 1-line block ×4, first 2 shown]
	v_mov_b32_e32 v2, 0xbc088889
	v_fmac_f32_e32 v2, v1, v9
	v_fmac_f32_e32 v3, v1, v2
	v_mul_f32_e32 v1, v1, v3
.LBB28_28:
	s_or_b64 exec, exec, s[0:1]
	v_div_scale_f32 v2, s[0:1], v7, v7, -0.5
	v_div_scale_f32 v3, vcc, -0.5, v7, -0.5
	s_mov_b32 s0, 0x800000
	v_cmp_gt_f32_e64 s[0:1], s0, v7
	v_cndmask_b32_e64 v5, 0, 32, s[0:1]
	s_mov_b32 s24, 0x3f317217
	v_rcp_f32_e32 v4, v2
	v_fma_f32 v8, -v2, v4, 1.0
	v_fmac_f32_e32 v4, v8, v4
	v_mul_f32_e32 v8, v3, v4
	v_fma_f32 v9, -v2, v8, v3
	v_fmac_f32_e32 v8, v9, v4
	v_fma_f32 v2, -v2, v8, v3
	v_div_fmas_f32 v2, v2, v4, v8
	v_ldexp_f32 v3, v7, v5
	v_log_f32_e32 v3, v3
	v_mul_f32_e32 v4, 0x3f317217, v3
	v_fma_f32 v4, v3, s24, -v4
	v_fmac_f32_e32 v4, 0x3377d1cf, v3
	s_mov_b32 s24, 0x7f800000
	v_fmac_f32_e32 v4, 0x3f317217, v3
	v_cmp_lt_f32_e64 vcc, |v3|, s24
	v_cndmask_b32_e32 v3, v3, v4, vcc
	v_mov_b32_e32 v4, 0x41b17218
	v_cndmask_b32_e64 v4, 0, v4, s[0:1]
	v_sub_f32_e32 v3, v3, v4
	v_div_fixup_f32 v2, v2, v7, -0.5
	v_add_f32_e32 v2, v3, v2
	v_sub_f32_e32 v1, v2, v1
	v_add_f32_e32 v0, v0, v1
	v_cvt_f16_f32_e32 v2, v0
                                        ; implicit-def: $vgpr0
.LBB28_29:
	s_andn2_saveexec_b64 s[0:1], s[22:23]
; %bb.30:
	v_add_f32_e32 v0, 0x40101cb7, v0
	v_cvt_f16_f32_e32 v2, v0
; %bb.31:
	s_or_b64 exec, exec, s[0:1]
.LBB28_32:
	s_or_b64 exec, exec, s[18:19]
                                        ; implicit-def: $vgpr7
.LBB28_33:
	s_andn2_saveexec_b64 s[0:1], s[6:7]
; %bb.34:
	v_xor_b32_e32 v0, 0x80000000, v7
	s_movk_i32 s6, 0x8000
	v_and_b32_sdwa v0, v0, s6 dst_sel:DWORD dst_unused:UNUSED_PAD src0_sel:WORD_1 src1_sel:DWORD
	v_or_b32_e32 v2, 0x7c00, v0
; %bb.35:
	s_or_b64 exec, exec, s[0:1]
	v_mul_lo_u32 v0, v6, s2
	v_mov_b32_e32 v1, s9
	s_and_b32 s24, s33, 0xff
	s_cmp_lt_i32 s24, 11
	v_ashrrev_i32_e32 v3, 31, v0
	v_add_co_u32_e32 v0, vcc, s8, v0
	v_addc_co_u32_e32 v1, vcc, v1, v3, vcc
	s_cbranch_scc1 .LBB28_43
; %bb.36:
	s_and_b32 s25, 0xffff, s24
	s_cmp_gt_i32 s25, 25
	s_cbranch_scc0 .LBB28_47
; %bb.37:
	s_cmp_gt_i32 s25, 28
	s_cbranch_scc0 .LBB28_49
; %bb.38:
	s_cmp_gt_i32 s25, 43
	s_cbranch_scc0 .LBB28_51
; %bb.39:
	s_cmp_gt_i32 s25, 45
	s_cbranch_scc0 .LBB28_57
; %bb.40:
	s_mov_b64 s[18:19], 0
	s_mov_b64 s[0:1], -1
	s_cmp_eq_u32 s25, 46
	s_mov_b64 s[6:7], 0
	s_cbranch_scc0 .LBB28_58
; %bb.41:
	v_cvt_f32_f16_e32 v3, v2
	s_movk_i32 s0, 0x7fff
	v_cmp_o_f16_e32 vcc, v2, v2
	v_mov_b32_e32 v4, 0x7fc0
	v_bfe_u32 v5, v3, 16, 1
	v_add3_u32 v3, v3, v5, s0
	v_cndmask_b32_sdwa v3, v4, v3, vcc dst_sel:DWORD dst_unused:UNUSED_PAD src0_sel:DWORD src1_sel:WORD_1
	global_store_dword v[0:1], v3, off
	s_mov_b64 s[6:7], -1
	s_mov_b64 s[0:1], 0
	s_branch .LBB28_58
.LBB28_42:
	s_mov_b64 s[0:1], 0
                                        ; implicit-def: $vgpr3
	s_cbranch_execnz .LBB28_192
	s_branch .LBB28_226
.LBB28_43:
	s_mov_b64 s[0:1], 0
	s_mov_b64 s[6:7], 0
	s_cbranch_execnz .LBB28_127
.LBB28_44:
	s_andn2_b64 vcc, exec, s[6:7]
	s_cbranch_vccnz .LBB28_165
.LBB28_45:
	v_add_u32_e32 v6, 0x80, v6
	s_mov_b64 s[18:19], -1
	s_branch .LBB28_275
.LBB28_46:
	s_mov_b64 s[6:7], -1
	s_mov_b64 s[0:1], 0
                                        ; implicit-def: $vgpr3
	s_branch .LBB28_173
.LBB28_47:
	s_mov_b64 s[18:19], -1
	s_mov_b64 s[0:1], 0
	s_mov_b64 s[6:7], 0
	s_branch .LBB28_85
.LBB28_48:
	s_mov_b64 s[6:7], -1
	s_mov_b64 s[0:1], 0
                                        ; implicit-def: $vgpr3
	s_branch .LBB28_168
.LBB28_49:
	s_mov_b64 s[18:19], -1
	s_mov_b64 s[0:1], 0
	s_mov_b64 s[6:7], 0
	s_branch .LBB28_68
.LBB28_50:
	s_mov_b64 s[6:7], -1
	s_branch .LBB28_53
.LBB28_51:
	s_mov_b64 s[18:19], -1
	s_mov_b64 s[0:1], 0
	s_mov_b64 s[6:7], 0
	s_branch .LBB28_64
.LBB28_52:
	s_mov_b64 s[14:15], -1
.LBB28_53:
	s_mov_b64 s[0:1], 0
                                        ; implicit-def: $vgpr3
.LBB28_54:
	s_and_b64 vcc, exec, s[6:7]
	s_cbranch_vccz .LBB28_167
; %bb.55:
	s_cmp_eq_u32 s22, 44
	s_cbranch_scc0 .LBB28_166
; %bb.56:
	global_load_ubyte v2, v[0:1], off
	s_movk_i32 s6, 0xff
	v_mov_b32_e32 v4, 0x7e00
	s_mov_b64 s[0:1], -1
	s_mov_b64 s[14:15], 0
	s_waitcnt vmcnt(0)
	v_lshlrev_b32_e32 v3, 23, v2
	v_cvt_f16_f32_e32 v3, v3
	v_cmp_ne_u32_e32 vcc, s6, v2
	v_cndmask_b32_e32 v3, v4, v3, vcc
	v_cmp_ne_u32_e32 vcc, 0, v2
	v_cndmask_b32_e32 v3, 0, v3, vcc
	s_branch .LBB28_167
.LBB28_57:
	s_mov_b64 s[18:19], -1
	s_mov_b64 s[0:1], 0
	s_mov_b64 s[6:7], 0
.LBB28_58:
	s_and_b64 vcc, exec, s[18:19]
	s_cbranch_vccz .LBB28_63
; %bb.59:
	s_cmp_eq_u32 s25, 44
	s_mov_b64 s[0:1], -1
	s_cbranch_scc0 .LBB28_63
; %bb.60:
	v_cvt_f32_f16_e32 v3, v2
	s_movk_i32 s0, 0xff
	v_mov_b32_e32 v5, 0xff
	v_bfe_u32 v4, v3, 23, 8
	v_cmp_ne_u32_e32 vcc, s0, v4
	s_and_saveexec_b64 s[6:7], vcc
; %bb.61:
	s_mov_b32 s0, 0x3fffff
	v_lshrrev_b32_e32 v5, 23, v3
	v_and_b32_e32 v7, 0x400000, v3
	v_and_or_b32 v3, v3, s0, v4
	v_cmp_ne_u32_e32 vcc, 0, v7
	v_cmp_ne_u32_e64 s[0:1], 0, v3
	s_and_b64 s[0:1], vcc, s[0:1]
	v_cndmask_b32_e64 v3, 0, 1, s[0:1]
	v_add_u32_e32 v5, v5, v3
; %bb.62:
	s_or_b64 exec, exec, s[6:7]
	s_mov_b64 s[6:7], -1
	s_mov_b64 s[0:1], 0
	global_store_byte v[0:1], v5, off
.LBB28_63:
	s_mov_b64 s[18:19], 0
.LBB28_64:
	s_and_b64 vcc, exec, s[18:19]
	s_cbranch_vccz .LBB28_67
; %bb.65:
	s_cmp_eq_u32 s25, 29
	s_mov_b64 s[0:1], -1
	s_cbranch_scc0 .LBB28_67
; %bb.66:
	v_cvt_f32_f16_e32 v3, v2
	v_mov_b32_e32 v4, 0
	s_mov_b64 s[6:7], -1
	s_mov_b64 s[0:1], 0
	v_cvt_u32_f32_e32 v3, v3
	s_mov_b64 s[18:19], 0
	global_store_dwordx2 v[0:1], v[3:4], off
	s_branch .LBB28_68
.LBB28_67:
	s_mov_b64 s[18:19], 0
.LBB28_68:
	s_and_b64 vcc, exec, s[18:19]
	s_cbranch_vccz .LBB28_84
; %bb.69:
	s_cmp_lt_i32 s25, 27
	s_mov_b64 s[6:7], -1
	s_cbranch_scc1 .LBB28_75
; %bb.70:
	s_cmp_gt_i32 s25, 27
	s_cbranch_scc0 .LBB28_72
; %bb.71:
	v_cvt_f32_f16_e32 v3, v2
	s_mov_b64 s[6:7], 0
	v_cvt_u32_f32_e32 v3, v3
	global_store_dword v[0:1], v3, off
.LBB28_72:
	s_andn2_b64 vcc, exec, s[6:7]
	s_cbranch_vccnz .LBB28_74
; %bb.73:
	v_cvt_u16_f16_e32 v3, v2
	global_store_short v[0:1], v3, off
.LBB28_74:
	s_mov_b64 s[6:7], 0
.LBB28_75:
	s_andn2_b64 vcc, exec, s[6:7]
	s_cbranch_vccnz .LBB28_83
; %bb.76:
	v_cvt_f32_f16_e32 v3, v2
	s_mov_b32 s6, 0x43800000
	v_mov_b32_e32 v5, 0x80
	v_and_b32_e32 v4, 0x7fffffff, v3
	v_cmp_gt_u32_e32 vcc, s6, v4
	s_and_saveexec_b64 s[6:7], vcc
	s_cbranch_execz .LBB28_82
; %bb.77:
	s_mov_b32 s18, 0x3bffffff
	v_cmp_lt_u32_e32 vcc, s18, v4
	s_mov_b64 s[18:19], 0
                                        ; implicit-def: $vgpr4
	s_and_saveexec_b64 s[22:23], vcc
	s_xor_b64 s[22:23], exec, s[22:23]
	s_cbranch_execz .LBB28_327
; %bb.78:
	v_bfe_u32 v4, v3, 20, 1
	s_mov_b32 s26, 0x487ffff
	v_add3_u32 v4, v3, v4, s26
	s_mov_b64 s[18:19], exec
	v_lshrrev_b32_e32 v4, 20, v4
	s_andn2_saveexec_b64 s[22:23], s[22:23]
	s_cbranch_execnz .LBB28_328
.LBB28_79:
	s_or_b64 exec, exec, s[22:23]
	v_mov_b32_e32 v5, 0
	s_and_saveexec_b64 s[22:23], s[18:19]
.LBB28_80:
	v_lshrrev_b32_e32 v3, 24, v3
	s_movk_i32 s18, 0x80
	v_and_or_b32 v5, v3, s18, v4
.LBB28_81:
	s_or_b64 exec, exec, s[22:23]
.LBB28_82:
	s_or_b64 exec, exec, s[6:7]
	global_store_byte v[0:1], v5, off
.LBB28_83:
	s_mov_b64 s[6:7], -1
.LBB28_84:
	s_mov_b64 s[18:19], 0
.LBB28_85:
	s_and_b64 vcc, exec, s[18:19]
	s_cbranch_vccz .LBB28_126
; %bb.86:
	s_cmp_gt_i32 s25, 22
	s_mov_b64 s[18:19], -1
	s_cbranch_scc0 .LBB28_118
; %bb.87:
	s_cmp_lt_i32 s25, 24
	s_mov_b64 s[6:7], -1
	s_cbranch_scc1 .LBB28_107
; %bb.88:
	s_cmp_gt_i32 s25, 24
	s_cbranch_scc0 .LBB28_96
; %bb.89:
	v_cvt_f32_f16_e32 v3, v2
	s_mov_b32 s6, 0x47800000
	v_mov_b32_e32 v5, 0x80
	v_and_b32_e32 v4, 0x7fffffff, v3
	v_cmp_gt_u32_e32 vcc, s6, v4
	s_and_saveexec_b64 s[6:7], vcc
	s_cbranch_execz .LBB28_95
; %bb.90:
	s_mov_b32 s18, 0x37ffffff
	v_cmp_lt_u32_e32 vcc, s18, v4
	s_mov_b64 s[18:19], 0
                                        ; implicit-def: $vgpr4
	s_and_saveexec_b64 s[22:23], vcc
	s_xor_b64 s[22:23], exec, s[22:23]
	s_cbranch_execz .LBB28_331
; %bb.91:
	v_bfe_u32 v4, v3, 21, 1
	s_mov_b32 s26, 0x88fffff
	v_add3_u32 v4, v3, v4, s26
	s_mov_b64 s[18:19], exec
	v_lshrrev_b32_e32 v4, 21, v4
	s_andn2_saveexec_b64 s[22:23], s[22:23]
	s_cbranch_execnz .LBB28_332
.LBB28_92:
	s_or_b64 exec, exec, s[22:23]
	v_mov_b32_e32 v5, 0
	s_and_saveexec_b64 s[22:23], s[18:19]
.LBB28_93:
	v_lshrrev_b32_e32 v3, 24, v3
	s_movk_i32 s18, 0x80
	v_and_or_b32 v5, v3, s18, v4
.LBB28_94:
	s_or_b64 exec, exec, s[22:23]
.LBB28_95:
	s_or_b64 exec, exec, s[6:7]
	s_mov_b64 s[6:7], 0
	global_store_byte v[0:1], v5, off
.LBB28_96:
	s_and_b64 vcc, exec, s[6:7]
	s_cbranch_vccz .LBB28_106
; %bb.97:
	v_cvt_f32_f16_e32 v3, v2
	s_mov_b32 s6, 0x43f00000
                                        ; implicit-def: $vgpr4
	v_and_b32_e32 v5, 0x7fffffff, v3
	v_cmp_gt_u32_e32 vcc, s6, v5
	s_and_saveexec_b64 s[6:7], vcc
	s_xor_b64 s[6:7], exec, s[6:7]
	s_cbranch_execz .LBB28_103
; %bb.98:
	s_mov_b32 s18, 0x3c7fffff
	v_cmp_lt_u32_e32 vcc, s18, v5
                                        ; implicit-def: $vgpr4
	s_and_saveexec_b64 s[18:19], vcc
	s_xor_b64 s[18:19], exec, s[18:19]
; %bb.99:
	v_bfe_u32 v4, v3, 20, 1
	s_mov_b32 s22, 0x407ffff
	v_add3_u32 v4, v3, v4, s22
	v_lshrrev_b32_e32 v5, 20, v4
	v_and_b32_e32 v4, 0xff00000, v4
	s_mov_b32 s22, 0x7f00000
	v_mov_b32_e32 v7, 0x7e
	v_cmp_ne_u32_e32 vcc, s22, v4
	v_cndmask_b32_e32 v4, v7, v5, vcc
; %bb.100:
	s_andn2_saveexec_b64 s[18:19], s[18:19]
; %bb.101:
	s_mov_b32 s22, 0x46800000
	v_add_f32_e64 v4, |v3|, s22
; %bb.102:
	s_or_b64 exec, exec, s[18:19]
                                        ; implicit-def: $vgpr5
.LBB28_103:
	s_andn2_saveexec_b64 s[6:7], s[6:7]
; %bb.104:
	s_mov_b32 s18, 0x7f800000
	v_mov_b32_e32 v4, 0x7e
	v_mov_b32_e32 v7, 0x7f
	v_cmp_lt_u32_e32 vcc, s18, v5
	v_cndmask_b32_e32 v4, v4, v7, vcc
; %bb.105:
	s_or_b64 exec, exec, s[6:7]
	v_lshrrev_b32_e32 v3, 24, v3
	s_movk_i32 s6, 0x80
	v_and_or_b32 v3, v3, s6, v4
	global_store_byte v[0:1], v3, off
.LBB28_106:
	s_mov_b64 s[6:7], 0
.LBB28_107:
	s_andn2_b64 vcc, exec, s[6:7]
	s_cbranch_vccnz .LBB28_117
; %bb.108:
	v_cvt_f32_f16_e32 v3, v2
	s_mov_b32 s6, 0x47800000
                                        ; implicit-def: $vgpr4
	v_and_b32_e32 v5, 0x7fffffff, v3
	v_cmp_gt_u32_e32 vcc, s6, v5
	s_and_saveexec_b64 s[6:7], vcc
	s_xor_b64 s[6:7], exec, s[6:7]
	s_cbranch_execz .LBB28_114
; %bb.109:
	s_mov_b32 s18, 0x387fffff
	v_cmp_lt_u32_e32 vcc, s18, v5
                                        ; implicit-def: $vgpr4
	s_and_saveexec_b64 s[18:19], vcc
	s_xor_b64 s[18:19], exec, s[18:19]
; %bb.110:
	v_bfe_u32 v4, v3, 21, 1
	s_mov_b32 s22, 0x80fffff
	v_add3_u32 v4, v3, v4, s22
	v_lshrrev_b32_e32 v4, 21, v4
; %bb.111:
	s_andn2_saveexec_b64 s[18:19], s[18:19]
; %bb.112:
	s_mov_b32 s22, 0x43000000
	v_add_f32_e64 v4, |v3|, s22
; %bb.113:
	s_or_b64 exec, exec, s[18:19]
                                        ; implicit-def: $vgpr5
.LBB28_114:
	s_andn2_saveexec_b64 s[6:7], s[6:7]
; %bb.115:
	s_mov_b32 s18, 0x7f800000
	v_mov_b32_e32 v4, 0x7c
	v_mov_b32_e32 v7, 0x7f
	v_cmp_lt_u32_e32 vcc, s18, v5
	v_cndmask_b32_e32 v4, v4, v7, vcc
; %bb.116:
	s_or_b64 exec, exec, s[6:7]
	v_lshrrev_b32_e32 v3, 24, v3
	s_movk_i32 s6, 0x80
	v_and_or_b32 v3, v3, s6, v4
	global_store_byte v[0:1], v3, off
.LBB28_117:
	s_mov_b64 s[18:19], 0
	s_mov_b64 s[6:7], -1
.LBB28_118:
	s_andn2_b64 vcc, exec, s[18:19]
	s_cbranch_vccnz .LBB28_126
; %bb.119:
	s_cmp_gt_i32 s25, 14
	s_mov_b64 s[18:19], -1
	s_cbranch_scc0 .LBB28_123
; %bb.120:
	s_cmp_eq_u32 s25, 15
	s_mov_b64 s[0:1], -1
	s_cbranch_scc0 .LBB28_122
; %bb.121:
	v_cvt_f32_f16_e32 v3, v2
	s_movk_i32 s0, 0x7fff
	v_cmp_o_f16_e32 vcc, v2, v2
	v_mov_b32_e32 v4, 0x7fc0
	v_bfe_u32 v5, v3, 16, 1
	v_add3_u32 v3, v3, v5, s0
	v_cndmask_b32_sdwa v3, v4, v3, vcc dst_sel:DWORD dst_unused:UNUSED_PAD src0_sel:DWORD src1_sel:WORD_1
	global_store_short v[0:1], v3, off
	s_mov_b64 s[6:7], -1
	s_mov_b64 s[0:1], 0
.LBB28_122:
	s_mov_b64 s[18:19], 0
.LBB28_123:
	s_and_b64 vcc, exec, s[18:19]
	s_cbranch_vccz .LBB28_126
; %bb.124:
	s_cmp_eq_u32 s25, 11
	s_mov_b64 s[0:1], -1
	s_cbranch_scc0 .LBB28_126
; %bb.125:
	v_and_b32_e32 v3, 0x7fff, v2
	v_cmp_ne_u16_e32 vcc, 0, v3
	v_cndmask_b32_e64 v3, 0, 1, vcc
	s_mov_b64 s[6:7], -1
	s_mov_b64 s[0:1], 0
	global_store_byte v[0:1], v3, off
.LBB28_126:
	s_branch .LBB28_44
.LBB28_127:
	s_and_b32 s18, 0xffff, s24
	s_cmp_lt_i32 s18, 5
	s_mov_b64 s[6:7], -1
	s_cbranch_scc1 .LBB28_148
; %bb.128:
	s_cmp_lt_i32 s18, 8
	s_cbranch_scc1 .LBB28_138
; %bb.129:
	s_cmp_lt_i32 s18, 9
	s_cbranch_scc1 .LBB28_135
; %bb.130:
	s_cmp_gt_i32 s18, 9
	s_cbranch_scc0 .LBB28_132
; %bb.131:
	v_cvt_f32_f16_e32 v3, v2
	v_mov_b32_e32 v9, 0
	v_mov_b32_e32 v10, v9
	s_mov_b64 s[6:7], 0
	v_cvt_f64_f32_e32 v[7:8], v3
	global_store_dwordx4 v[0:1], v[7:10], off
.LBB28_132:
	s_andn2_b64 vcc, exec, s[6:7]
	s_cbranch_vccnz .LBB28_134
; %bb.133:
	v_cvt_f32_f16_e32 v3, v2
	v_mov_b32_e32 v4, 0
	global_store_dwordx2 v[0:1], v[3:4], off
.LBB28_134:
	s_mov_b64 s[6:7], 0
.LBB28_135:
	s_andn2_b64 vcc, exec, s[6:7]
	s_cbranch_vccnz .LBB28_137
; %bb.136:
	v_and_b32_e32 v3, 0xffff, v2
	global_store_dword v[0:1], v3, off
.LBB28_137:
	s_mov_b64 s[6:7], 0
.LBB28_138:
	s_andn2_b64 vcc, exec, s[6:7]
	s_cbranch_vccnz .LBB28_147
; %bb.139:
	s_cmp_lt_i32 s18, 6
	s_mov_b64 s[6:7], -1
	s_cbranch_scc1 .LBB28_145
; %bb.140:
	s_cmp_gt_i32 s18, 6
	s_cbranch_scc0 .LBB28_142
; %bb.141:
	v_cvt_f32_f16_e32 v3, v2
	s_mov_b64 s[6:7], 0
	v_cvt_f64_f32_e32 v[3:4], v3
	global_store_dwordx2 v[0:1], v[3:4], off
.LBB28_142:
	s_andn2_b64 vcc, exec, s[6:7]
	s_cbranch_vccnz .LBB28_144
; %bb.143:
	v_cvt_f32_f16_e32 v3, v2
	global_store_dword v[0:1], v3, off
.LBB28_144:
	s_mov_b64 s[6:7], 0
.LBB28_145:
	s_andn2_b64 vcc, exec, s[6:7]
	s_cbranch_vccnz .LBB28_147
; %bb.146:
	global_store_short v[0:1], v2, off
.LBB28_147:
	s_mov_b64 s[6:7], 0
.LBB28_148:
	s_andn2_b64 vcc, exec, s[6:7]
	s_cbranch_vccnz .LBB28_164
; %bb.149:
	s_cmp_lt_i32 s18, 2
	s_mov_b64 s[6:7], -1
	s_cbranch_scc1 .LBB28_159
; %bb.150:
	s_cmp_lt_i32 s18, 3
	s_cbranch_scc1 .LBB28_156
; %bb.151:
	s_cmp_gt_i32 s18, 3
	s_cbranch_scc0 .LBB28_153
; %bb.152:
	v_cvt_f32_f16_e32 v3, v2
	s_mov_b64 s[6:7], 0
	v_cvt_i32_f32_e32 v3, v3
	v_ashrrev_i32_e32 v4, 31, v3
	global_store_dwordx2 v[0:1], v[3:4], off
.LBB28_153:
	s_andn2_b64 vcc, exec, s[6:7]
	s_cbranch_vccnz .LBB28_155
; %bb.154:
	v_cvt_f32_f16_e32 v3, v2
	v_cvt_i32_f32_e32 v3, v3
	global_store_dword v[0:1], v3, off
.LBB28_155:
	s_mov_b64 s[6:7], 0
.LBB28_156:
	s_andn2_b64 vcc, exec, s[6:7]
	s_cbranch_vccnz .LBB28_158
; %bb.157:
	v_cvt_i16_f16_e32 v3, v2
	global_store_short v[0:1], v3, off
.LBB28_158:
	s_mov_b64 s[6:7], 0
.LBB28_159:
	s_andn2_b64 vcc, exec, s[6:7]
	s_cbranch_vccnz .LBB28_164
; %bb.160:
	s_cmp_gt_i32 s18, 0
	s_mov_b64 s[6:7], -1
	s_cbranch_scc0 .LBB28_162
; %bb.161:
	v_cvt_i16_f16_e32 v3, v2
	global_store_byte v[0:1], v3, off
	s_mov_b64 s[6:7], 0
.LBB28_162:
	s_andn2_b64 vcc, exec, s[6:7]
	s_cbranch_vccnz .LBB28_164
; %bb.163:
	v_cvt_f32_f16_e32 v2, v2
	v_cvt_i32_f32_e32 v2, v2
	global_store_byte v[0:1], v2, off
.LBB28_164:
	s_branch .LBB28_45
.LBB28_165:
	s_mov_b64 s[18:19], 0
                                        ; implicit-def: $vgpr6
	s_branch .LBB28_275
.LBB28_166:
	s_mov_b64 s[14:15], -1
                                        ; implicit-def: $vgpr3
.LBB28_167:
	s_mov_b64 s[6:7], 0
.LBB28_168:
	s_and_b64 vcc, exec, s[6:7]
	s_cbranch_vccz .LBB28_172
; %bb.169:
	s_cmp_eq_u32 s22, 29
	s_cbranch_scc0 .LBB28_171
; %bb.170:
	global_load_dwordx2 v[2:3], v[0:1], off
	s_mov_b64 s[0:1], -1
	s_mov_b64 s[14:15], 0
	s_mov_b64 s[6:7], 0
	s_waitcnt vmcnt(0)
	v_ffbh_u32_e32 v4, v3
	v_min_u32_e32 v4, 32, v4
	v_lshlrev_b64 v[2:3], v4, v[2:3]
	v_min_u32_e32 v2, 1, v2
	v_or_b32_e32 v2, v3, v2
	v_cvt_f32_u32_e32 v2, v2
	v_sub_u32_e32 v3, 32, v4
	v_ldexp_f32 v2, v2, v3
	v_cvt_f16_f32_e32 v3, v2
	s_branch .LBB28_173
.LBB28_171:
	s_mov_b64 s[14:15], -1
                                        ; implicit-def: $vgpr3
.LBB28_172:
	s_mov_b64 s[6:7], 0
.LBB28_173:
	s_and_b64 vcc, exec, s[6:7]
	s_cbranch_vccz .LBB28_191
; %bb.174:
	s_cmp_lt_i32 s22, 27
	s_cbranch_scc1 .LBB28_177
; %bb.175:
	s_cmp_gt_i32 s22, 27
	s_cbranch_scc0 .LBB28_178
; %bb.176:
	global_load_dword v2, v[0:1], off
	s_mov_b64 s[0:1], 0
	s_waitcnt vmcnt(0)
	v_cvt_f32_u32_e32 v2, v2
	v_cvt_f16_f32_e32 v3, v2
	s_branch .LBB28_179
.LBB28_177:
	s_mov_b64 s[0:1], -1
                                        ; implicit-def: $vgpr3
	s_branch .LBB28_182
.LBB28_178:
	s_mov_b64 s[0:1], -1
                                        ; implicit-def: $vgpr3
.LBB28_179:
	s_andn2_b64 vcc, exec, s[0:1]
	s_cbranch_vccnz .LBB28_181
; %bb.180:
	global_load_ushort v2, v[0:1], off
	s_waitcnt vmcnt(0)
	v_cvt_f16_u16_e32 v3, v2
.LBB28_181:
	s_mov_b64 s[0:1], 0
.LBB28_182:
	s_andn2_b64 vcc, exec, s[0:1]
	s_cbranch_vccnz .LBB28_190
; %bb.183:
	global_load_ubyte v2, v[0:1], off
	s_movk_i32 s0, 0x7f
	s_waitcnt vmcnt(0)
	v_cmp_lt_i16_e32 vcc, s0, v2
	s_mov_b64 s[0:1], 0
	s_and_saveexec_b64 s[6:7], vcc
	s_xor_b64 s[6:7], exec, s[6:7]
	s_cbranch_execz .LBB28_203
; %bb.184:
	s_movk_i32 s0, 0x80
	v_cmp_eq_u16_e32 vcc, s0, v2
	s_mov_b64 s[0:1], -1
	s_and_saveexec_b64 s[18:19], vcc
; %bb.185:
	s_xor_b64 s[0:1], exec, -1
; %bb.186:
	s_or_b64 exec, exec, s[18:19]
	s_and_b64 s[0:1], s[0:1], exec
	s_or_saveexec_b64 s[6:7], s[6:7]
	v_mov_b32_e32 v3, 0x7e00
	s_xor_b64 exec, exec, s[6:7]
	s_cbranch_execnz .LBB28_204
.LBB28_187:
	s_or_b64 exec, exec, s[6:7]
	s_and_saveexec_b64 s[6:7], s[0:1]
	s_cbranch_execz .LBB28_189
.LBB28_188:
	v_lshlrev_b32_e32 v3, 24, v2
	v_and_b32_e32 v2, 0xffff, v2
	v_and_b32_e32 v4, 7, v2
	v_ffbh_u32_e32 v7, v4
	v_min_u32_e32 v7, 32, v7
	v_subrev_u32_e32 v8, 28, v7
	v_bfe_u32 v5, v2, 3, 4
	v_lshlrev_b32_e32 v2, v8, v2
	v_sub_u32_e32 v7, 29, v7
	v_and_b32_e32 v2, 7, v2
	v_cmp_eq_u32_e32 vcc, 0, v5
	v_cndmask_b32_e32 v5, v5, v7, vcc
	v_cndmask_b32_e32 v2, v4, v2, vcc
	v_mov_b32_e32 v4, 0x3b800000
	v_lshlrev_b32_e32 v2, 20, v2
	v_and_b32_e32 v3, 0x80000000, v3
	v_lshl_add_u32 v4, v5, 23, v4
	v_or3_b32 v2, v3, v4, v2
	v_cvt_f16_f32_e32 v3, v2
.LBB28_189:
	s_or_b64 exec, exec, s[6:7]
.LBB28_190:
	s_mov_b64 s[0:1], -1
.LBB28_191:
	s_branch .LBB28_226
.LBB28_192:
	s_cmp_gt_i32 s22, 22
	s_cbranch_scc0 .LBB28_202
; %bb.193:
	s_cmp_lt_i32 s22, 24
	s_cbranch_scc1 .LBB28_205
; %bb.194:
	s_cmp_gt_i32 s22, 24
	s_cbranch_scc0 .LBB28_206
; %bb.195:
	global_load_ubyte v2, v[0:1], off
	s_movk_i32 s0, 0x7f
	s_waitcnt vmcnt(0)
	v_cmp_lt_i16_e32 vcc, s0, v2
	s_mov_b64 s[0:1], 0
	s_and_saveexec_b64 s[6:7], vcc
	s_xor_b64 s[6:7], exec, s[6:7]
	s_cbranch_execz .LBB28_218
; %bb.196:
	s_movk_i32 s0, 0x80
	v_cmp_eq_u16_e32 vcc, s0, v2
	s_mov_b64 s[0:1], -1
	s_and_saveexec_b64 s[18:19], vcc
; %bb.197:
	s_xor_b64 s[0:1], exec, -1
; %bb.198:
	s_or_b64 exec, exec, s[18:19]
	s_and_b64 s[0:1], s[0:1], exec
	s_or_saveexec_b64 s[6:7], s[6:7]
	v_mov_b32_e32 v3, 0x7e00
	s_xor_b64 exec, exec, s[6:7]
	s_cbranch_execnz .LBB28_219
.LBB28_199:
	s_or_b64 exec, exec, s[6:7]
	s_and_saveexec_b64 s[6:7], s[0:1]
	s_cbranch_execz .LBB28_201
.LBB28_200:
	v_lshlrev_b32_e32 v3, 24, v2
	v_and_b32_e32 v2, 0xffff, v2
	v_and_b32_e32 v4, 3, v2
	v_ffbh_u32_e32 v7, v4
	v_min_u32_e32 v7, 32, v7
	v_subrev_u32_e32 v8, 29, v7
	v_bfe_u32 v5, v2, 2, 5
	v_lshlrev_b32_e32 v2, v8, v2
	v_sub_u32_e32 v7, 30, v7
	v_and_b32_e32 v2, 3, v2
	v_cmp_eq_u32_e32 vcc, 0, v5
	v_cndmask_b32_e32 v5, v5, v7, vcc
	v_cndmask_b32_e32 v2, v4, v2, vcc
	v_mov_b32_e32 v4, 0x37800000
	v_lshlrev_b32_e32 v2, 21, v2
	v_and_b32_e32 v3, 0x80000000, v3
	v_lshl_add_u32 v4, v5, 23, v4
	v_or3_b32 v2, v3, v4, v2
	v_cvt_f16_f32_e32 v3, v2
.LBB28_201:
	s_or_b64 exec, exec, s[6:7]
	s_mov_b64 s[0:1], 0
	s_branch .LBB28_207
.LBB28_202:
	s_mov_b64 s[6:7], -1
                                        ; implicit-def: $vgpr3
	s_branch .LBB28_213
.LBB28_203:
	s_or_saveexec_b64 s[6:7], s[6:7]
	v_mov_b32_e32 v3, 0x7e00
	s_xor_b64 exec, exec, s[6:7]
	s_cbranch_execz .LBB28_187
.LBB28_204:
	v_cmp_ne_u16_e32 vcc, 0, v2
	s_andn2_b64 s[0:1], s[0:1], exec
	s_and_b64 s[18:19], vcc, exec
	s_or_b64 s[0:1], s[0:1], s[18:19]
	v_mov_b32_e32 v3, v2
	s_or_b64 exec, exec, s[6:7]
	s_and_saveexec_b64 s[6:7], s[0:1]
	s_cbranch_execnz .LBB28_188
	s_branch .LBB28_189
.LBB28_205:
	s_mov_b64 s[0:1], -1
                                        ; implicit-def: $vgpr3
	s_branch .LBB28_210
.LBB28_206:
	s_mov_b64 s[0:1], -1
                                        ; implicit-def: $vgpr3
.LBB28_207:
	s_and_b64 vcc, exec, s[0:1]
	s_cbranch_vccz .LBB28_209
; %bb.208:
	global_load_ubyte v2, v[0:1], off
	s_mov_b32 s0, 0x7f800000
	s_waitcnt vmcnt(0)
	v_lshlrev_b32_e32 v2, 24, v2
	v_and_b32_e32 v3, 0x7f000000, v2
	v_ffbh_u32_e32 v4, v3
	v_min_u32_e32 v4, 32, v4
	v_sub_u32_e64 v4, v4, 4 clamp
	v_lshlrev_b32_e32 v7, v4, v3
	v_lshlrev_b32_e32 v4, 23, v4
	v_lshrrev_b32_e32 v7, 4, v7
	v_add_u32_e32 v5, 0x1000000, v3
	v_sub_u32_e32 v4, v7, v4
	v_ashrrev_i32_e32 v5, 8, v5
	v_add_u32_e32 v4, 0x3c000000, v4
	v_and_or_b32 v4, v5, s0, v4
	v_cmp_ne_u32_e32 vcc, 0, v3
	v_cndmask_b32_e32 v3, 0, v4, vcc
	s_brev_b32 s0, 1
	v_and_or_b32 v2, v2, s0, v3
	v_cvt_f16_f32_e32 v3, v2
.LBB28_209:
	s_mov_b64 s[0:1], 0
.LBB28_210:
	s_andn2_b64 vcc, exec, s[0:1]
	s_cbranch_vccnz .LBB28_212
; %bb.211:
	global_load_ubyte v2, v[0:1], off
	s_movk_i32 s0, 0x7f00
	s_brev_b32 s1, 16
	s_waitcnt vmcnt(0)
	v_lshlrev_b16_e32 v3, 8, v2
	v_lshlrev_b32_e32 v2, 25, v2
	v_lshrrev_b32_e32 v4, 4, v2
	v_and_or_b32 v5, v3, s0, 0.5
	v_or_b32_e32 v4, 0x70000000, v4
	v_add_f32_e32 v5, -0.5, v5
	v_mul_f32_e32 v4, 0x7800000, v4
	v_cmp_gt_u32_e32 vcc, s1, v2
	v_bfe_i32 v3, v3, 0, 16
	v_cndmask_b32_e32 v2, v4, v5, vcc
	s_brev_b32 s0, 1
	v_and_or_b32 v2, v3, s0, v2
	v_cvt_f16_f32_e32 v3, v2
.LBB28_212:
	s_mov_b64 s[6:7], 0
	s_mov_b64 s[0:1], -1
.LBB28_213:
	s_andn2_b64 vcc, exec, s[6:7]
	s_cbranch_vccnz .LBB28_226
; %bb.214:
	s_cmp_gt_i32 s22, 14
	s_cbranch_scc0 .LBB28_217
; %bb.215:
	s_cmp_eq_u32 s22, 15
	s_cbranch_scc0 .LBB28_220
; %bb.216:
	global_load_ushort v2, v[0:1], off
	s_mov_b64 s[0:1], -1
	s_mov_b64 s[14:15], 0
	s_waitcnt vmcnt(0)
	v_lshlrev_b32_e32 v2, 16, v2
	v_cvt_f16_f32_e32 v3, v2
	s_branch .LBB28_221
.LBB28_217:
	s_mov_b64 s[6:7], -1
                                        ; implicit-def: $vgpr3
	s_branch .LBB28_222
.LBB28_218:
	s_or_saveexec_b64 s[6:7], s[6:7]
	v_mov_b32_e32 v3, 0x7e00
	s_xor_b64 exec, exec, s[6:7]
	s_cbranch_execz .LBB28_199
.LBB28_219:
	v_cmp_ne_u16_e32 vcc, 0, v2
	s_andn2_b64 s[0:1], s[0:1], exec
	s_and_b64 s[18:19], vcc, exec
	s_or_b64 s[0:1], s[0:1], s[18:19]
	v_mov_b32_e32 v3, v2
	s_or_b64 exec, exec, s[6:7]
	s_and_saveexec_b64 s[6:7], s[0:1]
	s_cbranch_execnz .LBB28_200
	s_branch .LBB28_201
.LBB28_220:
	s_mov_b64 s[14:15], -1
                                        ; implicit-def: $vgpr3
.LBB28_221:
	s_mov_b64 s[6:7], 0
.LBB28_222:
	s_and_b64 vcc, exec, s[6:7]
	s_cbranch_vccz .LBB28_226
; %bb.223:
	s_cmp_eq_u32 s22, 11
	s_cbranch_scc0 .LBB28_225
; %bb.224:
	global_load_ubyte v2, v[0:1], off
	v_mov_b32_e32 v3, 0x3c00
	s_mov_b64 s[0:1], -1
	s_mov_b64 s[14:15], 0
	s_waitcnt vmcnt(0)
	v_cmp_ne_u16_e32 vcc, 0, v2
	v_cndmask_b32_e32 v3, 0, v3, vcc
	s_branch .LBB28_226
.LBB28_225:
	s_mov_b64 s[14:15], -1
                                        ; implicit-def: $vgpr3
.LBB28_226:
	s_branch .LBB28_10
.LBB28_227:
	s_cmp_lt_i32 s22, 5
	s_cbranch_scc1 .LBB28_232
; %bb.228:
	s_cmp_lt_i32 s22, 8
	s_cbranch_scc1 .LBB28_233
; %bb.229:
	;; [unrolled: 3-line block ×3, first 2 shown]
	s_cmp_gt_i32 s22, 9
	s_cbranch_scc0 .LBB28_235
; %bb.231:
	global_load_dwordx2 v[2:3], v[0:1], off
	s_movk_i32 s0, 0x1ff
	s_movk_i32 s1, 0xffe
	v_mov_b32_e32 v4, 0x7c00
	v_mov_b32_e32 v5, 0x7e00
	s_movk_i32 s6, 0x40f
	s_mov_b32 s7, 0x8000
	s_waitcnt vmcnt(0)
	v_and_or_b32 v2, v3, s0, v2
	v_cmp_ne_u32_e32 vcc, 0, v2
	v_lshrrev_b32_e32 v7, 8, v3
	v_bfe_u32 v8, v3, 20, 11
	v_cndmask_b32_e64 v2, 0, 1, vcc
	v_sub_u32_e32 v9, 0x3f1, v8
	v_and_or_b32 v2, v7, s1, v2
	v_add_u32_e32 v8, 0xfffffc10, v8
	v_med3_i32 v7, v9, 0, 13
	v_or_b32_e32 v9, 0x1000, v2
	v_cmp_ne_u32_e32 vcc, 0, v2
	v_lshl_or_b32 v10, v8, 12, v2
	v_cndmask_b32_e32 v2, v4, v5, vcc
	v_lshrrev_b32_e32 v5, v7, v9
	v_lshlrev_b32_e32 v7, v7, v5
	v_cmp_ne_u32_e32 vcc, v7, v9
	v_cndmask_b32_e64 v7, 0, 1, vcc
	v_or_b32_e32 v5, v5, v7
	v_cmp_gt_i32_e32 vcc, 1, v8
	v_cndmask_b32_e32 v5, v10, v5, vcc
	v_and_b32_e32 v7, 7, v5
	v_cmp_lt_i32_e32 vcc, 5, v7
	v_cndmask_b32_e64 v9, 0, 1, vcc
	v_cmp_eq_u32_e32 vcc, 3, v7
	v_cndmask_b32_e64 v7, 0, 1, vcc
	v_lshrrev_b32_e32 v5, 2, v5
	v_or_b32_e32 v7, v7, v9
	v_add_u32_e32 v5, v5, v7
	v_cmp_gt_i32_e32 vcc, 31, v8
	v_cndmask_b32_e32 v4, v4, v5, vcc
	v_cmp_eq_u32_e32 vcc, s6, v8
	v_lshrrev_b32_e32 v3, 16, v3
	v_cndmask_b32_e32 v2, v4, v2, vcc
	v_and_or_b32 v3, v3, s7, v2
	s_mov_b64 s[0:1], 0
	s_branch .LBB28_236
.LBB28_232:
                                        ; implicit-def: $vgpr3
	s_branch .LBB28_254
.LBB28_233:
	s_mov_b64 s[0:1], -1
                                        ; implicit-def: $vgpr3
	s_branch .LBB28_242
.LBB28_234:
	s_mov_b64 s[0:1], -1
                                        ; implicit-def: $vgpr3
	s_branch .LBB28_239
.LBB28_235:
	s_mov_b64 s[0:1], -1
                                        ; implicit-def: $vgpr3
.LBB28_236:
	s_andn2_b64 vcc, exec, s[0:1]
	s_cbranch_vccnz .LBB28_238
; %bb.237:
	global_load_dword v2, v[0:1], off
	s_waitcnt vmcnt(0)
	v_cvt_f16_f32_e32 v3, v2
.LBB28_238:
	s_mov_b64 s[0:1], 0
.LBB28_239:
	s_andn2_b64 vcc, exec, s[0:1]
	s_cbranch_vccnz .LBB28_241
; %bb.240:
	global_load_dword v3, v[0:1], off
.LBB28_241:
	s_mov_b64 s[0:1], 0
.LBB28_242:
	s_andn2_b64 vcc, exec, s[0:1]
	s_cbranch_vccnz .LBB28_253
; %bb.243:
	s_cmp_lt_i32 s22, 6
	s_cbranch_scc1 .LBB28_246
; %bb.244:
	s_cmp_gt_i32 s22, 6
	s_cbranch_scc0 .LBB28_247
; %bb.245:
	global_load_dwordx2 v[2:3], v[0:1], off
	s_movk_i32 s0, 0x1ff
	s_movk_i32 s1, 0xffe
	v_mov_b32_e32 v4, 0x7c00
	v_mov_b32_e32 v5, 0x7e00
	s_movk_i32 s6, 0x40f
	s_mov_b32 s7, 0x8000
	s_waitcnt vmcnt(0)
	v_and_or_b32 v2, v3, s0, v2
	v_cmp_ne_u32_e32 vcc, 0, v2
	v_lshrrev_b32_e32 v7, 8, v3
	v_bfe_u32 v8, v3, 20, 11
	v_cndmask_b32_e64 v2, 0, 1, vcc
	v_sub_u32_e32 v9, 0x3f1, v8
	v_and_or_b32 v2, v7, s1, v2
	v_add_u32_e32 v8, 0xfffffc10, v8
	v_med3_i32 v7, v9, 0, 13
	v_or_b32_e32 v9, 0x1000, v2
	v_cmp_ne_u32_e32 vcc, 0, v2
	v_lshl_or_b32 v10, v8, 12, v2
	v_cndmask_b32_e32 v2, v4, v5, vcc
	v_lshrrev_b32_e32 v5, v7, v9
	v_lshlrev_b32_e32 v7, v7, v5
	v_cmp_ne_u32_e32 vcc, v7, v9
	v_cndmask_b32_e64 v7, 0, 1, vcc
	v_or_b32_e32 v5, v5, v7
	v_cmp_gt_i32_e32 vcc, 1, v8
	v_cndmask_b32_e32 v5, v10, v5, vcc
	v_and_b32_e32 v7, 7, v5
	v_cmp_lt_i32_e32 vcc, 5, v7
	v_cndmask_b32_e64 v9, 0, 1, vcc
	v_cmp_eq_u32_e32 vcc, 3, v7
	v_cndmask_b32_e64 v7, 0, 1, vcc
	v_lshrrev_b32_e32 v5, 2, v5
	v_or_b32_e32 v7, v7, v9
	v_add_u32_e32 v5, v5, v7
	v_cmp_gt_i32_e32 vcc, 31, v8
	v_cndmask_b32_e32 v4, v4, v5, vcc
	v_cmp_eq_u32_e32 vcc, s6, v8
	v_lshrrev_b32_e32 v3, 16, v3
	v_cndmask_b32_e32 v2, v4, v2, vcc
	v_and_or_b32 v3, v3, s7, v2
	s_mov_b64 s[0:1], 0
	s_branch .LBB28_248
.LBB28_246:
	s_mov_b64 s[0:1], -1
                                        ; implicit-def: $vgpr3
	s_branch .LBB28_251
.LBB28_247:
	s_mov_b64 s[0:1], -1
                                        ; implicit-def: $vgpr3
.LBB28_248:
	s_andn2_b64 vcc, exec, s[0:1]
	s_cbranch_vccnz .LBB28_250
; %bb.249:
	global_load_dword v2, v[0:1], off
	s_waitcnt vmcnt(0)
	v_cvt_f16_f32_e32 v3, v2
.LBB28_250:
	s_mov_b64 s[0:1], 0
.LBB28_251:
	s_andn2_b64 vcc, exec, s[0:1]
	s_cbranch_vccnz .LBB28_253
; %bb.252:
	global_load_ushort v3, v[0:1], off
.LBB28_253:
	s_cbranch_execnz .LBB28_273
.LBB28_254:
	s_cmp_lt_i32 s22, 2
	s_cbranch_scc1 .LBB28_258
; %bb.255:
	s_cmp_lt_i32 s22, 3
	s_cbranch_scc1 .LBB28_259
; %bb.256:
	s_cmp_gt_i32 s22, 3
	s_cbranch_scc0 .LBB28_260
; %bb.257:
	global_load_dwordx2 v[2:3], v[0:1], off
	s_mov_b64 s[0:1], 0
	s_waitcnt vmcnt(0)
	v_xor_b32_e32 v5, v2, v3
	v_ffbh_i32_e32 v4, v3
	v_ashrrev_i32_e32 v5, 31, v5
	v_add_u32_e32 v4, -1, v4
	v_add_u32_e32 v5, 32, v5
	v_min_u32_e32 v4, v4, v5
	v_lshlrev_b64 v[2:3], v4, v[2:3]
	v_min_u32_e32 v2, 1, v2
	v_or_b32_e32 v2, v3, v2
	v_cvt_f32_i32_e32 v2, v2
	v_sub_u32_e32 v3, 32, v4
	v_ldexp_f32 v2, v2, v3
	v_cvt_f16_f32_e32 v3, v2
	s_branch .LBB28_261
.LBB28_258:
	s_mov_b64 s[0:1], -1
                                        ; implicit-def: $vgpr3
	s_branch .LBB28_267
.LBB28_259:
	s_mov_b64 s[0:1], -1
                                        ; implicit-def: $vgpr3
	s_branch .LBB28_264
.LBB28_260:
	s_mov_b64 s[0:1], -1
                                        ; implicit-def: $vgpr3
.LBB28_261:
	s_andn2_b64 vcc, exec, s[0:1]
	s_cbranch_vccnz .LBB28_263
; %bb.262:
	global_load_dword v2, v[0:1], off
	s_waitcnt vmcnt(0)
	v_cvt_f32_i32_e32 v2, v2
	v_cvt_f16_f32_e32 v3, v2
.LBB28_263:
	s_mov_b64 s[0:1], 0
.LBB28_264:
	s_andn2_b64 vcc, exec, s[0:1]
	s_cbranch_vccnz .LBB28_266
; %bb.265:
	global_load_ushort v2, v[0:1], off
	s_waitcnt vmcnt(0)
	v_cvt_f16_i16_e32 v3, v2
.LBB28_266:
	s_mov_b64 s[0:1], 0
.LBB28_267:
	s_andn2_b64 vcc, exec, s[0:1]
	s_cbranch_vccnz .LBB28_273
; %bb.268:
	s_cmp_gt_i32 s22, 0
	s_cbranch_scc0 .LBB28_270
; %bb.269:
	global_load_sbyte v2, v[0:1], off
	s_mov_b64 s[0:1], 0
	s_waitcnt vmcnt(0)
	v_cvt_f16_i16_e32 v3, v2
	s_branch .LBB28_271
.LBB28_270:
	s_mov_b64 s[0:1], -1
                                        ; implicit-def: $vgpr3
.LBB28_271:
	s_andn2_b64 vcc, exec, s[0:1]
	s_cbranch_vccnz .LBB28_273
; %bb.272:
	global_load_ubyte v0, v[0:1], off
	s_waitcnt vmcnt(0)
	v_cvt_f16_u16_e32 v3, v0
.LBB28_273:
	s_branch .LBB28_11
.LBB28_274:
	s_mov_b64 s[0:1], 0
                                        ; implicit-def: $vgpr6
	s_mov_b64 s[18:19], 0
.LBB28_275:
	s_and_b64 s[6:7], s[0:1], exec
	s_and_b64 s[14:15], s[14:15], exec
	s_orn2_b64 s[18:19], s[18:19], exec
.LBB28_276:
	s_or_b64 exec, exec, s[16:17]
	s_mov_b64 s[22:23], 0
	s_mov_b64 s[0:1], 0
                                        ; implicit-def: $vgpr0_vgpr1
                                        ; implicit-def: $vgpr3
	s_and_saveexec_b64 s[16:17], s[18:19]
	s_cbranch_execz .LBB28_285
; %bb.277:
	v_cmp_gt_i32_e32 vcc, s40, v6
	s_mov_b64 s[0:1], -1
	s_mov_b64 s[18:19], s[14:15]
	s_mov_b64 s[20:21], s[6:7]
	s_and_saveexec_b64 s[22:23], vcc
	s_cbranch_execz .LBB28_561
; %bb.278:
	v_mul_lo_u32 v0, v6, s3
	v_mov_b32_e32 v1, s11
	s_and_b32 s26, 0xffff, s42
	s_cmp_lt_i32 s26, 11
	v_ashrrev_i32_e32 v2, 31, v0
	v_add_co_u32_e32 v0, vcc, s10, v0
	v_addc_co_u32_e32 v1, vcc, v1, v2, vcc
	s_cbranch_scc1 .LBB28_288
; %bb.279:
	s_cmp_gt_i32 s26, 25
	s_cbranch_scc0 .LBB28_321
; %bb.280:
	s_cmp_gt_i32 s26, 28
	s_cbranch_scc0 .LBB28_323
	;; [unrolled: 3-line block ×4, first 2 shown]
; %bb.283:
	s_cmp_eq_u32 s26, 46
	s_mov_b64 s[20:21], 0
	s_cbranch_scc0 .LBB28_333
; %bb.284:
	global_load_dword v2, v[0:1], off
	s_mov_b64 s[18:19], 0
	s_waitcnt vmcnt(0)
	v_lshlrev_b32_e32 v2, 16, v2
	v_cvt_f16_f32_e32 v3, v2
	s_branch .LBB28_334
.LBB28_285:
	s_or_b64 exec, exec, s[16:17]
	s_mov_b64 s[16:17], 0
	s_and_saveexec_b64 s[18:19], s[14:15]
	s_cbranch_execnz .LBB28_931
.LBB28_286:
	s_or_b64 exec, exec, s[18:19]
	s_and_saveexec_b64 s[14:15], s[20:21]
	s_xor_b64 s[14:15], exec, s[14:15]
	s_cbranch_execz .LBB28_932
.LBB28_287:
	global_load_ubyte v2, v[0:1], off
	s_waitcnt vmcnt(1)
	v_mov_b32_e32 v3, 0x3c00
	s_or_b64 s[0:1], s[0:1], exec
	s_waitcnt vmcnt(0)
	v_cmp_ne_u16_e32 vcc, 0, v2
	v_cndmask_b32_e32 v3, 0, v3, vcc
	s_or_b64 exec, exec, s[14:15]
	s_and_saveexec_b64 s[14:15], s[22:23]
	s_cbranch_execz .LBB28_978
	s_branch .LBB28_933
.LBB28_288:
	s_mov_b64 s[0:1], 0
                                        ; implicit-def: $vgpr3
	s_mov_b64 s[18:19], s[14:15]
	s_cbranch_execnz .LBB28_511
.LBB28_289:
	s_andn2_b64 vcc, exec, s[0:1]
	s_cbranch_vccnz .LBB28_559
.LBB28_290:
	s_waitcnt vmcnt(0)
	v_cvt_f32_f16_e32 v7, v3
	v_cmp_neq_f16_e32 vcc, 0, v3
                                        ; implicit-def: $vgpr2
	s_and_saveexec_b64 s[0:1], vcc
	s_xor_b64 s[20:21], exec, s[0:1]
	s_cbranch_execz .LBB28_312
; %bb.291:
	v_cmp_gt_f16_e32 vcc, 0, v3
	s_mov_b64 s[0:1], -1
	v_mov_b32_e32 v0, 0
	s_and_saveexec_b64 s[24:25], vcc
	s_cbranch_execz .LBB28_299
; %bb.292:
	v_trunc_f32_e32 v0, v7
	v_cmp_neq_f32_e32 vcc, v0, v7
	s_mov_b64 s[28:29], 0
	v_mov_b32_e32 v0, 0
	s_and_saveexec_b64 s[26:27], vcc
	s_cbranch_execz .LBB28_298
; %bb.293:
	v_cvt_f32_f16_e32 v0, v3
	s_mov_b32 s30, 0
	s_mov_b32 s1, 0xc00921fb
	;; [unrolled: 1-line block ×3, first 2 shown]
	v_cvt_f64_f32_e32 v[0:1], v0
	s_mov_b32 s31, 0x7ff00000
	v_bfrev_b32_e32 v4, 1
	s_mov_b32 s28, 0
	v_trunc_f64_e32 v[2:3], v[0:1]
	v_cmp_neq_f64_e64 vcc, |v[0:1]|, s[30:31]
	s_mov_b32 s29, 0x41d00000
                                        ; implicit-def: $vgpr8
	v_add_f64 v[2:3], v[0:1], -v[2:3]
	v_mul_f64 v[2:3], |v[2:3]|, s[0:1]
	v_cndmask_b32_e32 v1, v4, v3, vcc
	v_cndmask_b32_e32 v0, 0, v2, vcc
	v_cmp_nlt_f64_e64 s[28:29], |v[0:1]|, s[28:29]
                                        ; implicit-def: $vgpr2_vgpr3
                                        ; implicit-def: $vgpr4_vgpr5
	s_and_saveexec_b64 s[34:35], s[28:29]
	s_xor_b64 s[28:29], exec, s[34:35]
	s_cbranch_execz .LBB28_295
; %bb.294:
	v_trig_preop_f64 v[4:5], |v[0:1]|, 0
	s_mov_b32 s34, 0
	s_mov_b32 s35, 0x7b000000
	s_movk_i32 s1, 0xff80
	v_ldexp_f64 v[2:3], |v[0:1]|, s1
	v_cmp_ge_f64_e64 vcc, |v[0:1]|, s[34:35]
	v_trig_preop_f64 v[8:9], |v[0:1]|, 1
	v_and_b32_e32 v10, 0x7fffffff, v1
	v_trig_preop_f64 v[16:17], |v[0:1]|, 2
	v_mov_b32_e32 v28, 0x40100000
	s_mov_b32 s1, 0x3ff921fb
	v_cndmask_b32_e32 v3, v10, v3, vcc
	v_cndmask_b32_e32 v2, v0, v2, vcc
	v_mul_f64 v[10:11], v[4:5], v[2:3]
	v_mul_f64 v[12:13], v[8:9], v[2:3]
	;; [unrolled: 1-line block ×3, first 2 shown]
	v_fma_f64 v[4:5], v[4:5], v[2:3], -v[10:11]
	v_fma_f64 v[8:9], v[8:9], v[2:3], -v[12:13]
	;; [unrolled: 1-line block ×3, first 2 shown]
	v_add_f64 v[14:15], v[12:13], v[4:5]
	v_add_f64 v[18:19], v[14:15], -v[12:13]
	v_add_f64 v[24:25], v[10:11], v[14:15]
	v_add_f64 v[20:21], v[14:15], -v[18:19]
	v_add_f64 v[4:5], v[4:5], -v[18:19]
	v_add_f64 v[18:19], v[22:23], v[8:9]
	v_add_f64 v[10:11], v[24:25], -v[10:11]
	v_add_f64 v[12:13], v[12:13], -v[20:21]
	v_ldexp_f64 v[20:21], v[24:25], -2
	v_add_f64 v[10:11], v[14:15], -v[10:11]
	v_add_f64 v[4:5], v[4:5], v[12:13]
	v_fract_f64_e32 v[12:13], v[20:21]
	v_cmp_neq_f64_e64 vcc, |v[20:21]|, s[30:31]
	s_mov_b32 s30, 0x33145c07
	s_mov_b32 s31, 0x3c91a626
	v_add_f64 v[14:15], v[18:19], v[4:5]
	v_ldexp_f64 v[12:13], v[12:13], 2
	v_add_f64 v[20:21], v[10:11], v[14:15]
	v_cndmask_b32_e32 v13, 0, v13, vcc
	v_cndmask_b32_e32 v12, 0, v12, vcc
	v_add_f64 v[26:27], v[14:15], -v[18:19]
	v_add_f64 v[24:25], v[20:21], v[12:13]
	v_add_f64 v[10:11], v[20:21], -v[10:11]
	v_add_f64 v[4:5], v[4:5], -v[26:27]
	;; [unrolled: 1-line block ×3, first 2 shown]
	v_cmp_gt_f64_e32 vcc, 0, v[24:25]
	v_add_f64 v[24:25], v[18:19], -v[22:23]
	v_add_f64 v[10:11], v[14:15], -v[10:11]
	v_cndmask_b32_e32 v29, 0, v28, vcc
	v_mov_b32_e32 v28, 0
	v_add_f64 v[12:13], v[12:13], v[28:29]
	v_add_f64 v[8:9], v[8:9], -v[24:25]
	v_add_f64 v[24:25], v[18:19], -v[24:25]
	;; [unrolled: 1-line block ×3, first 2 shown]
	v_add_f64 v[26:27], v[20:21], v[12:13]
	v_add_f64 v[24:25], v[22:23], -v[24:25]
	v_add_f64 v[4:5], v[4:5], v[18:19]
	v_cvt_i32_f64_e32 v26, v[26:27]
	v_add_f64 v[8:9], v[8:9], v[24:25]
	v_cvt_f64_i32_e32 v[24:25], v26
	v_add_f64 v[12:13], v[12:13], -v[24:25]
	v_add_f64 v[4:5], v[8:9], v[4:5]
	v_add_f64 v[8:9], v[20:21], v[12:13]
	;; [unrolled: 1-line block ×3, first 2 shown]
	v_add_f64 v[4:5], v[8:9], -v[12:13]
	v_cmp_le_f64_e32 vcc, 0.5, v[8:9]
	v_add_f64 v[2:3], v[10:11], v[2:3]
	v_mov_b32_e32 v10, 0x3ff00000
	v_add_f64 v[4:5], v[20:21], -v[4:5]
	v_cndmask_b32_e32 v29, 0, v10, vcc
	v_add_f64 v[2:3], v[2:3], v[4:5]
	v_add_f64 v[4:5], v[8:9], -v[28:29]
	v_add_f64 v[8:9], v[4:5], v[2:3]
	v_mul_f64 v[10:11], v[8:9], s[0:1]
	v_add_f64 v[4:5], v[8:9], -v[4:5]
	v_fma_f64 v[12:13], v[8:9], s[0:1], -v[10:11]
	v_add_f64 v[2:3], v[2:3], -v[4:5]
	v_fma_f64 v[4:5], v[8:9], s[30:31], v[12:13]
	v_fma_f64 v[4:5], v[2:3], s[0:1], v[4:5]
	v_add_f64 v[2:3], v[10:11], v[4:5]
	v_add_f64 v[8:9], v[2:3], -v[10:11]
	v_add_f64 v[4:5], v[4:5], -v[8:9]
	v_addc_co_u32_e32 v8, vcc, 0, v26, vcc
.LBB28_295:
	s_andn2_saveexec_b64 s[0:1], s[28:29]
	s_cbranch_execz .LBB28_297
; %bb.296:
	s_mov_b32 s28, 0x6dc9c883
	s_mov_b32 s29, 0x3fe45f30
	v_mul_f64 v[2:3], |v[0:1]|, s[28:29]
	s_mov_b32 s28, 0x54442d18
	s_mov_b32 s29, 0xbff921fb
	;; [unrolled: 1-line block ×4, first 2 shown]
	v_rndne_f64_e32 v[8:9], v[2:3]
	v_fma_f64 v[2:3], v[8:9], s[28:29], |v[0:1]|
	v_mul_f64 v[4:5], v[8:9], s[30:31]
	s_mov_b32 s28, 0x252049c0
	s_mov_b32 s29, 0xb97b839a
	v_fma_f64 v[14:15], v[8:9], s[30:31], v[2:3]
	v_add_f64 v[10:11], v[2:3], v[4:5]
	s_mov_b32 s31, 0x3c91a626
	v_add_f64 v[12:13], v[2:3], -v[10:11]
	v_add_f64 v[10:11], v[10:11], -v[14:15]
	v_add_f64 v[2:3], v[12:13], v[4:5]
	v_fma_f64 v[4:5], v[8:9], s[30:31], v[4:5]
	v_add_f64 v[2:3], v[10:11], v[2:3]
	v_add_f64 v[2:3], v[2:3], -v[4:5]
	v_fma_f64 v[4:5], v[8:9], s[28:29], v[2:3]
	v_cvt_i32_f64_e32 v8, v[8:9]
	v_add_f64 v[2:3], v[14:15], v[4:5]
	v_add_f64 v[10:11], v[2:3], -v[14:15]
	v_add_f64 v[4:5], v[4:5], -v[10:11]
.LBB28_297:
	s_or_b64 exec, exec, s[0:1]
	v_mul_f64 v[9:10], v[2:3], v[2:3]
	v_add_f64 v[11:12], v[4:5], v[4:5]
	s_mov_b32 s0, 0xc751c08c
	s_mov_b32 s1, 0x3ef5e089
	v_and_b32_e32 v8, 1, v8
	v_cmp_eq_u32_e32 vcc, 0, v8
	s_mov_b32 s30, 0x54442d18
	s_mov_b32 s31, 0xc00921fb
	v_fma_f64 v[13:14], v[2:3], v[2:3], -v[9:10]
	s_mov_b64 s[28:29], exec
	v_sub_f32_e32 v7, 1.0, v7
	v_fma_f64 v[11:12], v[2:3], v[11:12], v[13:14]
	v_add_f64 v[9:10], v[9:10], v[11:12]
	v_mov_b32_e32 v11, 0xa9a29f71
	v_mov_b32_e32 v12, 0xbf078809
	v_fma_f64 v[11:12], v[9:10], s[0:1], v[11:12]
	s_mov_b32 s0, 0x90a8aae0
	s_mov_b32 s1, 0x3f17746f
	v_fma_f64 v[11:12], v[9:10], v[11:12], s[0:1]
	s_mov_b32 s0, 0xa6fbf144
	s_mov_b32 s1, 0xbefbb44d
	;; [unrolled: 3-line block ×12, first 2 shown]
	v_fma_f64 v[11:12], v[9:10], v[11:12], s[0:1]
	s_movk_i32 s0, 0x1f8
	v_cmp_class_f64_e64 s[0:1], v[0:1], s0
	v_mul_f64 v[9:10], v[9:10], v[11:12]
	v_mul_f64 v[11:12], v[2:3], v[9:10]
	v_add_f64 v[13:14], v[2:3], v[11:12]
	v_fma_f64 v[9:10], v[2:3], v[9:10], -v[11:12]
	v_add_f64 v[2:3], v[13:14], -v[2:3]
	v_add_f64 v[4:5], v[4:5], v[9:10]
	v_add_f64 v[2:3], v[11:12], -v[2:3]
	v_add_f64 v[2:3], v[4:5], v[2:3]
	v_add_f64 v[4:5], v[13:14], v[2:3]
	v_rcp_f64_e32 v[9:10], v[4:5]
	v_fma_f64 v[11:12], -v[4:5], v[9:10], 1.0
	v_fma_f64 v[9:10], v[11:12], v[9:10], v[9:10]
	v_fma_f64 v[11:12], -v[4:5], v[9:10], 1.0
	v_fma_f64 v[9:10], v[11:12], v[9:10], v[9:10]
	v_add_f64 v[11:12], v[4:5], -v[13:14]
	v_mul_f64 v[13:14], v[4:5], v[9:10]
	v_add_f64 v[2:3], v[2:3], -v[11:12]
	v_fma_f64 v[11:12], v[9:10], v[4:5], -v[13:14]
	v_fma_f64 v[2:3], v[9:10], v[2:3], v[11:12]
	v_add_f64 v[11:12], v[13:14], v[2:3]
	v_add_f64 v[15:16], -v[11:12], 1.0
	v_add_f64 v[13:14], v[11:12], -v[13:14]
	v_add_f64 v[17:18], -v[15:16], 1.0
	v_add_f64 v[2:3], v[13:14], -v[2:3]
	v_add_f64 v[11:12], v[17:18], -v[11:12]
	v_add_f64 v[2:3], v[2:3], v[11:12]
	v_add_f64 v[2:3], v[15:16], v[2:3]
	v_mul_f64 v[2:3], v[9:10], v[2:3]
	v_add_f64 v[2:3], v[9:10], v[2:3]
	v_and_b32_e32 v9, 0x80000000, v1
	v_mov_b32_e32 v1, 0x7ff80000
	v_xor_b32_e32 v0, 0x80000000, v3
	v_cndmask_b32_e32 v2, v2, v4, vcc
	v_cndmask_b32_e32 v3, v0, v5, vcc
	v_cndmask_b32_e64 v0, 0, v2, s[0:1]
	v_xor_b32_e32 v2, v3, v9
	v_cndmask_b32_e64 v1, v1, v2, s[0:1]
	v_div_scale_f64 v[2:3], s[0:1], v[0:1], v[0:1], s[30:31]
	v_div_scale_f64 v[10:11], vcc, s[30:31], v[0:1], s[30:31]
	v_rcp_f64_e32 v[4:5], v[2:3]
	v_fma_f64 v[8:9], -v[2:3], v[4:5], 1.0
	v_fma_f64 v[4:5], v[4:5], v[8:9], v[4:5]
	v_fma_f64 v[8:9], -v[2:3], v[4:5], 1.0
	v_fma_f64 v[4:5], v[4:5], v[8:9], v[4:5]
	v_mul_f64 v[8:9], v[10:11], v[4:5]
	v_fma_f64 v[2:3], -v[2:3], v[8:9], v[10:11]
	v_div_fmas_f64 v[2:3], v[2:3], v[4:5], v[8:9]
	v_div_fixup_f64 v[0:1], v[2:3], v[0:1], s[30:31]
	v_cvt_f32_f64_e32 v0, v[0:1]
.LBB28_298:
	s_or_b64 exec, exec, s[26:27]
	s_orn2_b64 s[0:1], s[28:29], exec
.LBB28_299:
	s_or_b64 exec, exec, s[24:25]
	v_mov_b32_e32 v2, 0x7e00
	s_and_saveexec_b64 s[24:25], s[0:1]
	s_cbranch_execz .LBB28_311
; %bb.300:
	s_mov_b32 s28, 0x41200000
	v_cmp_gt_f32_e32 vcc, s28, v7
	s_and_saveexec_b64 s[0:1], vcc
	s_cbranch_execz .LBB28_304
; %bb.301:
	s_mov_b64 s[26:27], 0
.LBB28_302:                             ; =>This Inner Loop Header: Depth=1
	v_div_scale_f32 v1, s[30:31], v7, v7, 1.0
	v_div_scale_f32 v2, vcc, 1.0, v7, 1.0
	v_rcp_f32_e32 v3, v1
	v_fma_f32 v4, -v1, v3, 1.0
	v_fmac_f32_e32 v3, v4, v3
	v_mul_f32_e32 v4, v2, v3
	v_fma_f32 v5, -v1, v4, v2
	v_fmac_f32_e32 v4, v5, v3
	v_fma_f32 v1, -v1, v4, v2
	v_div_fmas_f32 v1, v1, v3, v4
	v_div_fixup_f32 v1, v1, v7, 1.0
	v_add_f32_e32 v7, 1.0, v7
	v_cmp_ngt_f32_e32 vcc, s28, v7
	s_or_b64 s[26:27], vcc, s[26:27]
	v_sub_f32_e32 v0, v0, v1
	s_andn2_b64 exec, exec, s[26:27]
	s_cbranch_execnz .LBB28_302
; %bb.303:
	s_or_b64 exec, exec, s[26:27]
.LBB28_304:
	s_or_b64 exec, exec, s[0:1]
	s_mov_b32 s0, 0x41200000
	v_cmp_neq_f32_e32 vcc, s0, v7
                                        ; implicit-def: $vgpr2
	s_and_saveexec_b64 s[0:1], vcc
	s_xor_b64 s[26:27], exec, s[0:1]
	s_cbranch_execz .LBB28_308
; %bb.305:
	v_cvt_f64_f32_e32 v[1:2], v7
	s_mov_b32 s0, 0x85d8a000
	s_mov_b32 s1, 0x43763457
	v_cmp_gt_f64_e32 vcc, s[0:1], v[1:2]
	v_mov_b32_e32 v1, 0
	s_and_saveexec_b64 s[0:1], vcc
	s_cbranch_execz .LBB28_307
; %bb.306:
	v_mul_f32_e32 v1, v7, v7
	v_div_scale_f32 v2, s[28:29], v1, v1, 1.0
	v_div_scale_f32 v3, vcc, 1.0, v1, 1.0
	v_mov_b32_e32 v9, 0x3b820821
	v_rcp_f32_e32 v4, v2
	v_fma_f32 v5, -v2, v4, 1.0
	v_fmac_f32_e32 v4, v5, v4
	v_mul_f32_e32 v5, v3, v4
	v_fma_f32 v8, -v2, v5, v3
	v_fmac_f32_e32 v5, v8, v4
	v_fma_f32 v2, -v2, v5, v3
	v_div_fmas_f32 v2, v2, v4, v5
	v_mov_b32_e32 v3, 0x3daaaaab
	v_mov_b32_e32 v4, 0xbcaccacd
	;; [unrolled: 1-line block ×4, first 2 shown]
	v_div_fixup_f32 v1, v2, v1, 1.0
	v_fma_f32 v2, 0, v1, v3
	v_fmac_f32_e32 v4, v1, v2
	v_fmac_f32_e32 v5, v1, v4
	;; [unrolled: 1-line block ×4, first 2 shown]
	v_mov_b32_e32 v2, 0xbc088889
	v_fmac_f32_e32 v2, v1, v9
	v_fmac_f32_e32 v3, v1, v2
	v_mul_f32_e32 v1, v1, v3
.LBB28_307:
	s_or_b64 exec, exec, s[0:1]
	v_div_scale_f32 v2, s[0:1], v7, v7, -0.5
	v_div_scale_f32 v3, vcc, -0.5, v7, -0.5
	s_mov_b32 s0, 0x800000
	v_cmp_gt_f32_e64 s[0:1], s0, v7
	v_cndmask_b32_e64 v5, 0, 32, s[0:1]
	s_mov_b32 s28, 0x3f317217
	v_rcp_f32_e32 v4, v2
	v_fma_f32 v8, -v2, v4, 1.0
	v_fmac_f32_e32 v4, v8, v4
	v_mul_f32_e32 v8, v3, v4
	v_fma_f32 v9, -v2, v8, v3
	v_fmac_f32_e32 v8, v9, v4
	v_fma_f32 v2, -v2, v8, v3
	v_div_fmas_f32 v2, v2, v4, v8
	v_ldexp_f32 v3, v7, v5
	v_log_f32_e32 v3, v3
	v_mul_f32_e32 v4, 0x3f317217, v3
	v_fma_f32 v4, v3, s28, -v4
	v_fmac_f32_e32 v4, 0x3377d1cf, v3
	s_mov_b32 s28, 0x7f800000
	v_fmac_f32_e32 v4, 0x3f317217, v3
	v_cmp_lt_f32_e64 vcc, |v3|, s28
	v_cndmask_b32_e32 v3, v3, v4, vcc
	v_mov_b32_e32 v4, 0x41b17218
	v_cndmask_b32_e64 v4, 0, v4, s[0:1]
	v_sub_f32_e32 v3, v3, v4
	v_div_fixup_f32 v2, v2, v7, -0.5
	v_add_f32_e32 v2, v3, v2
	v_sub_f32_e32 v1, v2, v1
	v_add_f32_e32 v0, v0, v1
	v_cvt_f16_f32_e32 v2, v0
                                        ; implicit-def: $vgpr0
.LBB28_308:
	s_andn2_saveexec_b64 s[0:1], s[26:27]
; %bb.309:
	v_add_f32_e32 v0, 0x40101cb7, v0
	v_cvt_f16_f32_e32 v2, v0
; %bb.310:
	s_or_b64 exec, exec, s[0:1]
.LBB28_311:
	s_or_b64 exec, exec, s[24:25]
                                        ; implicit-def: $vgpr7
.LBB28_312:
	s_andn2_saveexec_b64 s[0:1], s[20:21]
; %bb.313:
	v_xor_b32_e32 v0, 0x80000000, v7
	s_movk_i32 s20, 0x8000
	v_and_b32_sdwa v0, v0, s20 dst_sel:DWORD dst_unused:UNUSED_PAD src0_sel:WORD_1 src1_sel:DWORD
	v_or_b32_e32 v2, 0x7c00, v0
; %bb.314:
	s_or_b64 exec, exec, s[0:1]
	v_mul_lo_u32 v0, v6, s2
	v_mov_b32_e32 v1, s9
	s_and_b32 s28, s33, 0xff
	s_cmp_lt_i32 s28, 11
	v_ashrrev_i32_e32 v3, 31, v0
	v_add_co_u32_e32 v0, vcc, s8, v0
	v_addc_co_u32_e32 v1, vcc, v1, v3, vcc
	s_cbranch_scc1 .LBB28_322
; %bb.315:
	s_and_b32 s29, 0xffff, s28
	s_cmp_gt_i32 s29, 25
	s_cbranch_scc0 .LBB28_324
; %bb.316:
	s_cmp_gt_i32 s29, 28
	s_cbranch_scc0 .LBB28_326
; %bb.317:
	;; [unrolled: 3-line block ×4, first 2 shown]
	s_mov_b64 s[24:25], 0
	s_mov_b64 s[0:1], -1
	s_cmp_eq_u32 s29, 46
	s_mov_b64 s[20:21], 0
	s_cbranch_scc0 .LBB28_338
; %bb.320:
	v_cvt_f32_f16_e32 v3, v2
	s_movk_i32 s0, 0x7fff
	v_cmp_o_f16_e32 vcc, v2, v2
	v_mov_b32_e32 v4, 0x7fc0
	v_bfe_u32 v5, v3, 16, 1
	v_add3_u32 v3, v3, v5, s0
	v_cndmask_b32_sdwa v3, v4, v3, vcc dst_sel:DWORD dst_unused:UNUSED_PAD src0_sel:DWORD src1_sel:WORD_1
	global_store_dword v[0:1], v3, off
	s_mov_b64 s[20:21], -1
	s_mov_b64 s[0:1], 0
	s_branch .LBB28_338
.LBB28_321:
	s_mov_b64 s[20:21], -1
	s_mov_b64 s[0:1], 0
	s_mov_b64 s[18:19], s[14:15]
                                        ; implicit-def: $vgpr3
	s_branch .LBB28_475
.LBB28_322:
	s_mov_b64 s[24:25], -1
	s_mov_b64 s[20:21], 0
	s_mov_b64 s[0:1], s[6:7]
	s_branch .LBB28_407
.LBB28_323:
	s_mov_b64 s[20:21], -1
	s_mov_b64 s[0:1], 0
	s_mov_b64 s[18:19], s[14:15]
                                        ; implicit-def: $vgpr3
	s_branch .LBB28_456
.LBB28_324:
	s_mov_b64 s[24:25], -1
	s_mov_b64 s[20:21], 0
	s_mov_b64 s[0:1], s[6:7]
	s_branch .LBB28_365
.LBB28_325:
	s_mov_b64 s[20:21], -1
	s_mov_b64 s[0:1], 0
	s_mov_b64 s[18:19], s[14:15]
                                        ; implicit-def: $vgpr3
	s_branch .LBB28_451
.LBB28_326:
	s_mov_b64 s[24:25], -1
	s_mov_b64 s[20:21], 0
	s_mov_b64 s[0:1], s[6:7]
	s_branch .LBB28_348
.LBB28_327:
	s_andn2_saveexec_b64 s[22:23], s[22:23]
	s_cbranch_execz .LBB28_79
.LBB28_328:
	s_mov_b32 s26, 0x46000000
	v_add_f32_e64 v4, |v3|, s26
	v_and_b32_e32 v4, 0xff, v4
	v_cmp_ne_u32_e32 vcc, 0, v4
	s_andn2_b64 s[18:19], s[18:19], exec
	s_and_b64 s[26:27], vcc, exec
	s_or_b64 s[18:19], s[18:19], s[26:27]
	s_or_b64 exec, exec, s[22:23]
	v_mov_b32_e32 v5, 0
	s_and_saveexec_b64 s[22:23], s[18:19]
	s_cbranch_execnz .LBB28_80
	s_branch .LBB28_81
.LBB28_329:
	s_mov_b64 s[20:21], -1
	s_mov_b64 s[0:1], 0
	s_mov_b64 s[18:19], s[14:15]
                                        ; implicit-def: $vgpr3
	s_branch .LBB28_334
.LBB28_330:
	s_mov_b64 s[24:25], -1
	s_mov_b64 s[20:21], 0
	s_mov_b64 s[0:1], s[6:7]
	s_branch .LBB28_344
.LBB28_331:
	s_andn2_saveexec_b64 s[22:23], s[22:23]
	s_cbranch_execz .LBB28_92
.LBB28_332:
	s_mov_b32 s26, 0x42800000
	v_add_f32_e64 v4, |v3|, s26
	v_and_b32_e32 v4, 0xff, v4
	v_cmp_ne_u32_e32 vcc, 0, v4
	s_andn2_b64 s[18:19], s[18:19], exec
	s_and_b64 s[26:27], vcc, exec
	s_or_b64 s[18:19], s[18:19], s[26:27]
	s_or_b64 exec, exec, s[22:23]
	v_mov_b32_e32 v5, 0
	s_and_saveexec_b64 s[22:23], s[18:19]
	s_cbranch_execnz .LBB28_93
	s_branch .LBB28_94
.LBB28_333:
	s_mov_b64 s[18:19], -1
                                        ; implicit-def: $vgpr3
	s_mov_b64 s[0:1], 0
.LBB28_334:
	s_and_b64 vcc, exec, s[20:21]
	s_cbranch_vccz .LBB28_450
; %bb.335:
	s_cmp_eq_u32 s26, 44
	s_cbranch_scc0 .LBB28_449
; %bb.336:
	global_load_ubyte v2, v[0:1], off
	s_movk_i32 s18, 0xff
	v_mov_b32_e32 v4, 0x7e00
	s_mov_b64 s[0:1], -1
	s_waitcnt vmcnt(0)
	v_lshlrev_b32_e32 v3, 23, v2
	v_cvt_f16_f32_e32 v3, v3
	v_cmp_ne_u32_e32 vcc, s18, v2
	s_mov_b64 s[18:19], 0
	v_cndmask_b32_e32 v3, v4, v3, vcc
	v_cmp_ne_u32_e32 vcc, 0, v2
	v_cndmask_b32_e32 v3, 0, v3, vcc
	s_branch .LBB28_450
.LBB28_337:
	s_mov_b64 s[24:25], -1
	s_mov_b64 s[20:21], 0
	s_mov_b64 s[0:1], s[6:7]
.LBB28_338:
	s_and_b64 vcc, exec, s[24:25]
	s_cbranch_vccz .LBB28_343
; %bb.339:
	s_cmp_eq_u32 s29, 44
	s_mov_b64 s[0:1], -1
	s_cbranch_scc0 .LBB28_343
; %bb.340:
	v_cvt_f32_f16_e32 v3, v2
	s_movk_i32 s0, 0xff
	v_mov_b32_e32 v5, 0xff
	v_bfe_u32 v4, v3, 23, 8
	v_cmp_ne_u32_e32 vcc, s0, v4
	s_and_saveexec_b64 s[20:21], vcc
; %bb.341:
	s_mov_b32 s0, 0x3fffff
	v_lshrrev_b32_e32 v5, 23, v3
	v_and_b32_e32 v7, 0x400000, v3
	v_and_or_b32 v3, v3, s0, v4
	v_cmp_ne_u32_e32 vcc, 0, v7
	v_cmp_ne_u32_e64 s[0:1], 0, v3
	s_and_b64 s[0:1], vcc, s[0:1]
	v_cndmask_b32_e64 v3, 0, 1, s[0:1]
	v_add_u32_e32 v5, v5, v3
; %bb.342:
	s_or_b64 exec, exec, s[20:21]
	s_mov_b64 s[20:21], -1
	s_mov_b64 s[0:1], 0
	global_store_byte v[0:1], v5, off
.LBB28_343:
	s_mov_b64 s[24:25], 0
.LBB28_344:
	s_and_b64 vcc, exec, s[24:25]
	s_cbranch_vccz .LBB28_347
; %bb.345:
	s_cmp_eq_u32 s29, 29
	s_mov_b64 s[0:1], -1
	s_cbranch_scc0 .LBB28_347
; %bb.346:
	v_cvt_f32_f16_e32 v3, v2
	v_mov_b32_e32 v4, 0
	s_mov_b64 s[20:21], -1
	s_mov_b64 s[0:1], 0
	v_cvt_u32_f32_e32 v3, v3
	s_mov_b64 s[24:25], 0
	global_store_dwordx2 v[0:1], v[3:4], off
	s_branch .LBB28_348
.LBB28_347:
	s_mov_b64 s[24:25], 0
.LBB28_348:
	s_and_b64 vcc, exec, s[24:25]
	s_cbranch_vccz .LBB28_364
; %bb.349:
	s_cmp_lt_i32 s29, 27
	s_mov_b64 s[20:21], -1
	s_cbranch_scc1 .LBB28_355
; %bb.350:
	s_cmp_gt_i32 s29, 27
	s_cbranch_scc0 .LBB28_352
; %bb.351:
	v_cvt_f32_f16_e32 v3, v2
	s_mov_b64 s[20:21], 0
	v_cvt_u32_f32_e32 v3, v3
	global_store_dword v[0:1], v3, off
.LBB28_352:
	s_andn2_b64 vcc, exec, s[20:21]
	s_cbranch_vccnz .LBB28_354
; %bb.353:
	v_cvt_u16_f16_e32 v3, v2
	global_store_short v[0:1], v3, off
.LBB28_354:
	s_mov_b64 s[20:21], 0
.LBB28_355:
	s_andn2_b64 vcc, exec, s[20:21]
	s_cbranch_vccnz .LBB28_363
; %bb.356:
	v_cvt_f32_f16_e32 v3, v2
	s_mov_b32 s20, 0x43800000
	v_mov_b32_e32 v5, 0x80
	v_and_b32_e32 v4, 0x7fffffff, v3
	v_cmp_gt_u32_e32 vcc, s20, v4
	s_and_saveexec_b64 s[20:21], vcc
	s_cbranch_execz .LBB28_362
; %bb.357:
	s_mov_b32 s24, 0x3bffffff
	v_cmp_lt_u32_e32 vcc, s24, v4
	s_mov_b64 s[24:25], 0
                                        ; implicit-def: $vgpr4
	s_and_saveexec_b64 s[26:27], vcc
	s_xor_b64 s[26:27], exec, s[26:27]
	s_cbranch_execz .LBB28_574
; %bb.358:
	v_bfe_u32 v4, v3, 20, 1
	s_mov_b32 s30, 0x487ffff
	v_add3_u32 v4, v3, v4, s30
	s_mov_b64 s[24:25], exec
	v_lshrrev_b32_e32 v4, 20, v4
	s_andn2_saveexec_b64 s[26:27], s[26:27]
	s_cbranch_execnz .LBB28_575
.LBB28_359:
	s_or_b64 exec, exec, s[26:27]
	v_mov_b32_e32 v5, 0
	s_and_saveexec_b64 s[26:27], s[24:25]
.LBB28_360:
	v_lshrrev_b32_e32 v3, 24, v3
	s_movk_i32 s24, 0x80
	v_and_or_b32 v5, v3, s24, v4
.LBB28_361:
	s_or_b64 exec, exec, s[26:27]
.LBB28_362:
	s_or_b64 exec, exec, s[20:21]
	global_store_byte v[0:1], v5, off
.LBB28_363:
	s_mov_b64 s[20:21], -1
.LBB28_364:
	s_mov_b64 s[24:25], 0
.LBB28_365:
	s_and_b64 vcc, exec, s[24:25]
	s_cbranch_vccz .LBB28_406
; %bb.366:
	s_cmp_gt_i32 s29, 22
	s_mov_b64 s[24:25], -1
	s_cbranch_scc0 .LBB28_398
; %bb.367:
	s_cmp_lt_i32 s29, 24
	s_mov_b64 s[20:21], -1
	s_cbranch_scc1 .LBB28_387
; %bb.368:
	s_cmp_gt_i32 s29, 24
	s_cbranch_scc0 .LBB28_376
; %bb.369:
	v_cvt_f32_f16_e32 v3, v2
	s_mov_b32 s20, 0x47800000
	v_mov_b32_e32 v5, 0x80
	v_and_b32_e32 v4, 0x7fffffff, v3
	v_cmp_gt_u32_e32 vcc, s20, v4
	s_and_saveexec_b64 s[20:21], vcc
	s_cbranch_execz .LBB28_375
; %bb.370:
	s_mov_b32 s24, 0x37ffffff
	v_cmp_lt_u32_e32 vcc, s24, v4
	s_mov_b64 s[24:25], 0
                                        ; implicit-def: $vgpr4
	s_and_saveexec_b64 s[26:27], vcc
	s_xor_b64 s[26:27], exec, s[26:27]
	s_cbranch_execz .LBB28_577
; %bb.371:
	v_bfe_u32 v4, v3, 21, 1
	s_mov_b32 s30, 0x88fffff
	v_add3_u32 v4, v3, v4, s30
	s_mov_b64 s[24:25], exec
	v_lshrrev_b32_e32 v4, 21, v4
	s_andn2_saveexec_b64 s[26:27], s[26:27]
	s_cbranch_execnz .LBB28_578
.LBB28_372:
	s_or_b64 exec, exec, s[26:27]
	v_mov_b32_e32 v5, 0
	s_and_saveexec_b64 s[26:27], s[24:25]
.LBB28_373:
	v_lshrrev_b32_e32 v3, 24, v3
	s_movk_i32 s24, 0x80
	v_and_or_b32 v5, v3, s24, v4
.LBB28_374:
	s_or_b64 exec, exec, s[26:27]
.LBB28_375:
	s_or_b64 exec, exec, s[20:21]
	s_mov_b64 s[20:21], 0
	global_store_byte v[0:1], v5, off
.LBB28_376:
	s_and_b64 vcc, exec, s[20:21]
	s_cbranch_vccz .LBB28_386
; %bb.377:
	v_cvt_f32_f16_e32 v3, v2
	s_mov_b32 s20, 0x43f00000
                                        ; implicit-def: $vgpr4
	v_and_b32_e32 v5, 0x7fffffff, v3
	v_cmp_gt_u32_e32 vcc, s20, v5
	s_and_saveexec_b64 s[20:21], vcc
	s_xor_b64 s[20:21], exec, s[20:21]
	s_cbranch_execz .LBB28_383
; %bb.378:
	s_mov_b32 s24, 0x3c7fffff
	v_cmp_lt_u32_e32 vcc, s24, v5
                                        ; implicit-def: $vgpr4
	s_and_saveexec_b64 s[24:25], vcc
	s_xor_b64 s[24:25], exec, s[24:25]
; %bb.379:
	v_bfe_u32 v4, v3, 20, 1
	s_mov_b32 s26, 0x407ffff
	v_add3_u32 v4, v3, v4, s26
	v_lshrrev_b32_e32 v5, 20, v4
	v_and_b32_e32 v4, 0xff00000, v4
	s_mov_b32 s26, 0x7f00000
	v_mov_b32_e32 v7, 0x7e
	v_cmp_ne_u32_e32 vcc, s26, v4
	v_cndmask_b32_e32 v4, v7, v5, vcc
; %bb.380:
	s_andn2_saveexec_b64 s[24:25], s[24:25]
; %bb.381:
	s_mov_b32 s26, 0x46800000
	v_add_f32_e64 v4, |v3|, s26
; %bb.382:
	s_or_b64 exec, exec, s[24:25]
                                        ; implicit-def: $vgpr5
.LBB28_383:
	s_andn2_saveexec_b64 s[20:21], s[20:21]
; %bb.384:
	s_mov_b32 s24, 0x7f800000
	v_mov_b32_e32 v4, 0x7e
	v_mov_b32_e32 v7, 0x7f
	v_cmp_lt_u32_e32 vcc, s24, v5
	v_cndmask_b32_e32 v4, v4, v7, vcc
; %bb.385:
	s_or_b64 exec, exec, s[20:21]
	v_lshrrev_b32_e32 v3, 24, v3
	s_movk_i32 s20, 0x80
	v_and_or_b32 v3, v3, s20, v4
	global_store_byte v[0:1], v3, off
.LBB28_386:
	s_mov_b64 s[20:21], 0
.LBB28_387:
	s_andn2_b64 vcc, exec, s[20:21]
	s_cbranch_vccnz .LBB28_397
; %bb.388:
	v_cvt_f32_f16_e32 v3, v2
	s_mov_b32 s20, 0x47800000
                                        ; implicit-def: $vgpr4
	v_and_b32_e32 v5, 0x7fffffff, v3
	v_cmp_gt_u32_e32 vcc, s20, v5
	s_and_saveexec_b64 s[20:21], vcc
	s_xor_b64 s[20:21], exec, s[20:21]
	s_cbranch_execz .LBB28_394
; %bb.389:
	s_mov_b32 s24, 0x387fffff
	v_cmp_lt_u32_e32 vcc, s24, v5
                                        ; implicit-def: $vgpr4
	s_and_saveexec_b64 s[24:25], vcc
	s_xor_b64 s[24:25], exec, s[24:25]
; %bb.390:
	v_bfe_u32 v4, v3, 21, 1
	s_mov_b32 s26, 0x80fffff
	v_add3_u32 v4, v3, v4, s26
	v_lshrrev_b32_e32 v4, 21, v4
; %bb.391:
	s_andn2_saveexec_b64 s[24:25], s[24:25]
; %bb.392:
	s_mov_b32 s26, 0x43000000
	v_add_f32_e64 v4, |v3|, s26
; %bb.393:
	s_or_b64 exec, exec, s[24:25]
                                        ; implicit-def: $vgpr5
.LBB28_394:
	s_andn2_saveexec_b64 s[20:21], s[20:21]
; %bb.395:
	s_mov_b32 s24, 0x7f800000
	v_mov_b32_e32 v4, 0x7c
	v_mov_b32_e32 v7, 0x7f
	v_cmp_lt_u32_e32 vcc, s24, v5
	v_cndmask_b32_e32 v4, v4, v7, vcc
; %bb.396:
	s_or_b64 exec, exec, s[20:21]
	v_lshrrev_b32_e32 v3, 24, v3
	s_movk_i32 s20, 0x80
	v_and_or_b32 v3, v3, s20, v4
	global_store_byte v[0:1], v3, off
.LBB28_397:
	s_mov_b64 s[24:25], 0
	s_mov_b64 s[20:21], -1
.LBB28_398:
	s_andn2_b64 vcc, exec, s[24:25]
	s_cbranch_vccnz .LBB28_406
; %bb.399:
	s_cmp_gt_i32 s29, 14
	s_mov_b64 s[24:25], -1
	s_cbranch_scc0 .LBB28_403
; %bb.400:
	s_cmp_eq_u32 s29, 15
	s_mov_b64 s[0:1], -1
	s_cbranch_scc0 .LBB28_402
; %bb.401:
	v_cvt_f32_f16_e32 v3, v2
	s_movk_i32 s0, 0x7fff
	v_cmp_o_f16_e32 vcc, v2, v2
	v_mov_b32_e32 v4, 0x7fc0
	v_bfe_u32 v5, v3, 16, 1
	v_add3_u32 v3, v3, v5, s0
	v_cndmask_b32_sdwa v3, v4, v3, vcc dst_sel:DWORD dst_unused:UNUSED_PAD src0_sel:DWORD src1_sel:WORD_1
	global_store_short v[0:1], v3, off
	s_mov_b64 s[20:21], -1
	s_mov_b64 s[0:1], 0
.LBB28_402:
	s_mov_b64 s[24:25], 0
.LBB28_403:
	s_and_b64 vcc, exec, s[24:25]
	s_cbranch_vccz .LBB28_406
; %bb.404:
	s_cmp_eq_u32 s29, 11
	s_mov_b64 s[0:1], -1
	s_cbranch_scc0 .LBB28_406
; %bb.405:
	v_and_b32_e32 v3, 0x7fff, v2
	v_cmp_ne_u16_e32 vcc, 0, v3
	v_cndmask_b32_e64 v3, 0, 1, vcc
	s_mov_b64 s[20:21], -1
	s_mov_b64 s[0:1], 0
	global_store_byte v[0:1], v3, off
.LBB28_406:
	s_mov_b64 s[24:25], 0
.LBB28_407:
	s_and_b64 vcc, exec, s[24:25]
	s_cbranch_vccz .LBB28_446
; %bb.408:
	s_and_b32 s24, 0xffff, s28
	s_cmp_lt_i32 s24, 5
	s_mov_b64 s[20:21], -1
	s_cbranch_scc1 .LBB28_429
; %bb.409:
	s_cmp_lt_i32 s24, 8
	s_cbranch_scc1 .LBB28_419
; %bb.410:
	s_cmp_lt_i32 s24, 9
	s_cbranch_scc1 .LBB28_416
; %bb.411:
	s_cmp_gt_i32 s24, 9
	s_cbranch_scc0 .LBB28_413
; %bb.412:
	v_cvt_f32_f16_e32 v3, v2
	v_mov_b32_e32 v9, 0
	v_mov_b32_e32 v10, v9
	s_mov_b64 s[20:21], 0
	v_cvt_f64_f32_e32 v[7:8], v3
	global_store_dwordx4 v[0:1], v[7:10], off
.LBB28_413:
	s_andn2_b64 vcc, exec, s[20:21]
	s_cbranch_vccnz .LBB28_415
; %bb.414:
	v_cvt_f32_f16_e32 v3, v2
	v_mov_b32_e32 v4, 0
	global_store_dwordx2 v[0:1], v[3:4], off
.LBB28_415:
	s_mov_b64 s[20:21], 0
.LBB28_416:
	s_andn2_b64 vcc, exec, s[20:21]
	s_cbranch_vccnz .LBB28_418
; %bb.417:
	v_and_b32_e32 v3, 0xffff, v2
	global_store_dword v[0:1], v3, off
.LBB28_418:
	s_mov_b64 s[20:21], 0
.LBB28_419:
	s_andn2_b64 vcc, exec, s[20:21]
	s_cbranch_vccnz .LBB28_428
; %bb.420:
	s_cmp_lt_i32 s24, 6
	s_mov_b64 s[20:21], -1
	s_cbranch_scc1 .LBB28_426
; %bb.421:
	s_cmp_gt_i32 s24, 6
	s_cbranch_scc0 .LBB28_423
; %bb.422:
	v_cvt_f32_f16_e32 v3, v2
	s_mov_b64 s[20:21], 0
	v_cvt_f64_f32_e32 v[3:4], v3
	global_store_dwordx2 v[0:1], v[3:4], off
.LBB28_423:
	s_andn2_b64 vcc, exec, s[20:21]
	s_cbranch_vccnz .LBB28_425
; %bb.424:
	v_cvt_f32_f16_e32 v3, v2
	global_store_dword v[0:1], v3, off
.LBB28_425:
	s_mov_b64 s[20:21], 0
.LBB28_426:
	s_andn2_b64 vcc, exec, s[20:21]
	s_cbranch_vccnz .LBB28_428
; %bb.427:
	global_store_short v[0:1], v2, off
.LBB28_428:
	s_mov_b64 s[20:21], 0
.LBB28_429:
	s_andn2_b64 vcc, exec, s[20:21]
	s_cbranch_vccnz .LBB28_445
; %bb.430:
	s_cmp_lt_i32 s24, 2
	s_mov_b64 s[20:21], -1
	s_cbranch_scc1 .LBB28_440
; %bb.431:
	s_cmp_lt_i32 s24, 3
	s_cbranch_scc1 .LBB28_437
; %bb.432:
	s_cmp_gt_i32 s24, 3
	s_cbranch_scc0 .LBB28_434
; %bb.433:
	v_cvt_f32_f16_e32 v3, v2
	s_mov_b64 s[20:21], 0
	v_cvt_i32_f32_e32 v3, v3
	v_ashrrev_i32_e32 v4, 31, v3
	global_store_dwordx2 v[0:1], v[3:4], off
.LBB28_434:
	s_andn2_b64 vcc, exec, s[20:21]
	s_cbranch_vccnz .LBB28_436
; %bb.435:
	v_cvt_f32_f16_e32 v3, v2
	v_cvt_i32_f32_e32 v3, v3
	global_store_dword v[0:1], v3, off
.LBB28_436:
	s_mov_b64 s[20:21], 0
.LBB28_437:
	s_andn2_b64 vcc, exec, s[20:21]
	s_cbranch_vccnz .LBB28_439
; %bb.438:
	v_cvt_i16_f16_e32 v3, v2
	global_store_short v[0:1], v3, off
.LBB28_439:
	s_mov_b64 s[20:21], 0
.LBB28_440:
	s_andn2_b64 vcc, exec, s[20:21]
	s_cbranch_vccnz .LBB28_445
; %bb.441:
	s_cmp_gt_i32 s24, 0
	s_mov_b64 s[20:21], -1
	s_cbranch_scc0 .LBB28_443
; %bb.442:
	v_cvt_i16_f16_e32 v3, v2
	s_mov_b64 s[20:21], 0
	global_store_byte v[0:1], v3, off
.LBB28_443:
	s_andn2_b64 vcc, exec, s[20:21]
	s_cbranch_vccnz .LBB28_445
; %bb.444:
	v_cvt_f32_f16_e32 v2, v2
	v_cvt_i32_f32_e32 v2, v2
	global_store_byte v[0:1], v2, off
.LBB28_445:
	s_mov_b64 s[20:21], -1
.LBB28_446:
	s_andn2_b64 vcc, exec, s[20:21]
	s_cbranch_vccnz .LBB28_448
; %bb.447:
	v_add_u32_e32 v6, 0x80, v6
	s_mov_b64 s[24:25], -1
	s_branch .LBB28_560
.LBB28_448:
	s_mov_b64 s[24:25], 0
                                        ; implicit-def: $vgpr6
	s_branch .LBB28_560
.LBB28_449:
	s_mov_b64 s[18:19], -1
                                        ; implicit-def: $vgpr3
.LBB28_450:
	s_mov_b64 s[20:21], 0
.LBB28_451:
	s_and_b64 vcc, exec, s[20:21]
	s_cbranch_vccz .LBB28_455
; %bb.452:
	s_cmp_eq_u32 s26, 29
	s_cbranch_scc0 .LBB28_454
; %bb.453:
	global_load_dwordx2 v[2:3], v[0:1], off
	s_mov_b64 s[0:1], -1
	s_mov_b64 s[18:19], 0
	s_mov_b64 s[20:21], 0
	s_waitcnt vmcnt(0)
	v_ffbh_u32_e32 v4, v3
	v_min_u32_e32 v4, 32, v4
	v_lshlrev_b64 v[2:3], v4, v[2:3]
	v_min_u32_e32 v2, 1, v2
	v_or_b32_e32 v2, v3, v2
	v_cvt_f32_u32_e32 v2, v2
	v_sub_u32_e32 v3, 32, v4
	v_ldexp_f32 v2, v2, v3
	v_cvt_f16_f32_e32 v3, v2
	s_branch .LBB28_456
.LBB28_454:
	s_mov_b64 s[18:19], -1
                                        ; implicit-def: $vgpr3
.LBB28_455:
	s_mov_b64 s[20:21], 0
.LBB28_456:
	s_and_b64 vcc, exec, s[20:21]
	s_cbranch_vccz .LBB28_474
; %bb.457:
	s_cmp_lt_i32 s26, 27
	s_cbranch_scc1 .LBB28_460
; %bb.458:
	s_cmp_gt_i32 s26, 27
	s_cbranch_scc0 .LBB28_461
; %bb.459:
	global_load_dword v2, v[0:1], off
	s_mov_b64 s[0:1], 0
	s_waitcnt vmcnt(0)
	v_cvt_f32_u32_e32 v2, v2
	v_cvt_f16_f32_e32 v3, v2
	s_branch .LBB28_462
.LBB28_460:
	s_mov_b64 s[0:1], -1
                                        ; implicit-def: $vgpr3
	s_branch .LBB28_465
.LBB28_461:
	s_mov_b64 s[0:1], -1
                                        ; implicit-def: $vgpr3
.LBB28_462:
	s_andn2_b64 vcc, exec, s[0:1]
	s_cbranch_vccnz .LBB28_464
; %bb.463:
	global_load_ushort v2, v[0:1], off
	s_waitcnt vmcnt(0)
	v_cvt_f16_u16_e32 v3, v2
.LBB28_464:
	s_mov_b64 s[0:1], 0
.LBB28_465:
	s_andn2_b64 vcc, exec, s[0:1]
	s_cbranch_vccnz .LBB28_473
; %bb.466:
	global_load_ubyte v2, v[0:1], off
	s_movk_i32 s0, 0x7f
	s_waitcnt vmcnt(0)
	v_cmp_lt_i16_e32 vcc, s0, v2
	s_mov_b64 s[0:1], 0
	s_and_saveexec_b64 s[20:21], vcc
	s_xor_b64 s[20:21], exec, s[20:21]
	s_cbranch_execz .LBB28_487
; %bb.467:
	s_movk_i32 s0, 0x80
	v_cmp_eq_u16_e32 vcc, s0, v2
	s_mov_b64 s[0:1], -1
	s_and_saveexec_b64 s[24:25], vcc
; %bb.468:
	s_xor_b64 s[0:1], exec, -1
; %bb.469:
	s_or_b64 exec, exec, s[24:25]
	s_and_b64 s[0:1], s[0:1], exec
	s_or_saveexec_b64 s[20:21], s[20:21]
	v_mov_b32_e32 v3, 0x7e00
	s_xor_b64 exec, exec, s[20:21]
	s_cbranch_execnz .LBB28_488
.LBB28_470:
	s_or_b64 exec, exec, s[20:21]
	s_and_saveexec_b64 s[20:21], s[0:1]
	s_cbranch_execz .LBB28_472
.LBB28_471:
	v_lshlrev_b32_e32 v3, 24, v2
	v_and_b32_e32 v2, 0xffff, v2
	v_and_b32_e32 v4, 7, v2
	v_ffbh_u32_e32 v7, v4
	v_min_u32_e32 v7, 32, v7
	v_subrev_u32_e32 v8, 28, v7
	v_bfe_u32 v5, v2, 3, 4
	v_lshlrev_b32_e32 v2, v8, v2
	v_sub_u32_e32 v7, 29, v7
	v_and_b32_e32 v2, 7, v2
	v_cmp_eq_u32_e32 vcc, 0, v5
	v_cndmask_b32_e32 v5, v5, v7, vcc
	v_cndmask_b32_e32 v2, v4, v2, vcc
	v_mov_b32_e32 v4, 0x3b800000
	v_lshlrev_b32_e32 v2, 20, v2
	v_and_b32_e32 v3, 0x80000000, v3
	v_lshl_add_u32 v4, v5, 23, v4
	v_or3_b32 v2, v3, v4, v2
	v_cvt_f16_f32_e32 v3, v2
.LBB28_472:
	s_or_b64 exec, exec, s[20:21]
.LBB28_473:
	s_mov_b64 s[0:1], -1
.LBB28_474:
	s_mov_b64 s[20:21], 0
.LBB28_475:
	s_and_b64 vcc, exec, s[20:21]
	s_cbranch_vccz .LBB28_510
; %bb.476:
	s_cmp_gt_i32 s26, 22
	s_cbranch_scc0 .LBB28_486
; %bb.477:
	s_cmp_lt_i32 s26, 24
	s_cbranch_scc1 .LBB28_489
; %bb.478:
	s_cmp_gt_i32 s26, 24
	s_cbranch_scc0 .LBB28_490
; %bb.479:
	global_load_ubyte v2, v[0:1], off
	s_movk_i32 s0, 0x7f
	s_waitcnt vmcnt(0)
	v_cmp_lt_i16_e32 vcc, s0, v2
	s_mov_b64 s[0:1], 0
	s_and_saveexec_b64 s[20:21], vcc
	s_xor_b64 s[20:21], exec, s[20:21]
	s_cbranch_execz .LBB28_502
; %bb.480:
	s_movk_i32 s0, 0x80
	v_cmp_eq_u16_e32 vcc, s0, v2
	s_mov_b64 s[0:1], -1
	s_and_saveexec_b64 s[24:25], vcc
; %bb.481:
	s_xor_b64 s[0:1], exec, -1
; %bb.482:
	s_or_b64 exec, exec, s[24:25]
	s_and_b64 s[0:1], s[0:1], exec
	s_or_saveexec_b64 s[20:21], s[20:21]
	v_mov_b32_e32 v3, 0x7e00
	s_xor_b64 exec, exec, s[20:21]
	s_cbranch_execnz .LBB28_503
.LBB28_483:
	s_or_b64 exec, exec, s[20:21]
	s_and_saveexec_b64 s[20:21], s[0:1]
	s_cbranch_execz .LBB28_485
.LBB28_484:
	v_lshlrev_b32_e32 v3, 24, v2
	v_and_b32_e32 v2, 0xffff, v2
	v_and_b32_e32 v4, 3, v2
	v_ffbh_u32_e32 v7, v4
	v_min_u32_e32 v7, 32, v7
	v_subrev_u32_e32 v8, 29, v7
	v_bfe_u32 v5, v2, 2, 5
	v_lshlrev_b32_e32 v2, v8, v2
	v_sub_u32_e32 v7, 30, v7
	v_and_b32_e32 v2, 3, v2
	v_cmp_eq_u32_e32 vcc, 0, v5
	v_cndmask_b32_e32 v5, v5, v7, vcc
	v_cndmask_b32_e32 v2, v4, v2, vcc
	v_mov_b32_e32 v4, 0x37800000
	v_lshlrev_b32_e32 v2, 21, v2
	v_and_b32_e32 v3, 0x80000000, v3
	v_lshl_add_u32 v4, v5, 23, v4
	v_or3_b32 v2, v3, v4, v2
	v_cvt_f16_f32_e32 v3, v2
.LBB28_485:
	s_or_b64 exec, exec, s[20:21]
	s_mov_b64 s[0:1], 0
	s_branch .LBB28_491
.LBB28_486:
	s_mov_b64 s[20:21], -1
                                        ; implicit-def: $vgpr3
	s_branch .LBB28_497
.LBB28_487:
	s_or_saveexec_b64 s[20:21], s[20:21]
	v_mov_b32_e32 v3, 0x7e00
	s_xor_b64 exec, exec, s[20:21]
	s_cbranch_execz .LBB28_470
.LBB28_488:
	v_cmp_ne_u16_e32 vcc, 0, v2
	s_andn2_b64 s[0:1], s[0:1], exec
	s_and_b64 s[24:25], vcc, exec
	s_or_b64 s[0:1], s[0:1], s[24:25]
	v_mov_b32_e32 v3, v2
	s_or_b64 exec, exec, s[20:21]
	s_and_saveexec_b64 s[20:21], s[0:1]
	s_cbranch_execnz .LBB28_471
	s_branch .LBB28_472
.LBB28_489:
	s_mov_b64 s[0:1], -1
                                        ; implicit-def: $vgpr3
	s_branch .LBB28_494
.LBB28_490:
	s_mov_b64 s[0:1], -1
                                        ; implicit-def: $vgpr3
.LBB28_491:
	s_and_b64 vcc, exec, s[0:1]
	s_cbranch_vccz .LBB28_493
; %bb.492:
	global_load_ubyte v2, v[0:1], off
	s_mov_b32 s0, 0x7f800000
	s_waitcnt vmcnt(0)
	v_lshlrev_b32_e32 v2, 24, v2
	v_and_b32_e32 v3, 0x7f000000, v2
	v_ffbh_u32_e32 v4, v3
	v_min_u32_e32 v4, 32, v4
	v_sub_u32_e64 v4, v4, 4 clamp
	v_lshlrev_b32_e32 v7, v4, v3
	v_lshlrev_b32_e32 v4, 23, v4
	v_lshrrev_b32_e32 v7, 4, v7
	v_add_u32_e32 v5, 0x1000000, v3
	v_sub_u32_e32 v4, v7, v4
	v_ashrrev_i32_e32 v5, 8, v5
	v_add_u32_e32 v4, 0x3c000000, v4
	v_and_or_b32 v4, v5, s0, v4
	v_cmp_ne_u32_e32 vcc, 0, v3
	v_cndmask_b32_e32 v3, 0, v4, vcc
	s_brev_b32 s0, 1
	v_and_or_b32 v2, v2, s0, v3
	v_cvt_f16_f32_e32 v3, v2
.LBB28_493:
	s_mov_b64 s[0:1], 0
.LBB28_494:
	s_andn2_b64 vcc, exec, s[0:1]
	s_cbranch_vccnz .LBB28_496
; %bb.495:
	global_load_ubyte v2, v[0:1], off
	s_movk_i32 s0, 0x7f00
	s_brev_b32 s1, 16
	s_waitcnt vmcnt(0)
	v_lshlrev_b16_e32 v3, 8, v2
	v_lshlrev_b32_e32 v2, 25, v2
	v_lshrrev_b32_e32 v4, 4, v2
	v_and_or_b32 v5, v3, s0, 0.5
	v_or_b32_e32 v4, 0x70000000, v4
	v_add_f32_e32 v5, -0.5, v5
	v_mul_f32_e32 v4, 0x7800000, v4
	v_cmp_gt_u32_e32 vcc, s1, v2
	v_bfe_i32 v3, v3, 0, 16
	v_cndmask_b32_e32 v2, v4, v5, vcc
	s_brev_b32 s0, 1
	v_and_or_b32 v2, v3, s0, v2
	v_cvt_f16_f32_e32 v3, v2
.LBB28_496:
	s_mov_b64 s[20:21], 0
	s_mov_b64 s[0:1], -1
.LBB28_497:
	s_andn2_b64 vcc, exec, s[20:21]
	s_cbranch_vccnz .LBB28_510
; %bb.498:
	s_cmp_gt_i32 s26, 14
	s_cbranch_scc0 .LBB28_501
; %bb.499:
	s_cmp_eq_u32 s26, 15
	s_cbranch_scc0 .LBB28_504
; %bb.500:
	global_load_ushort v2, v[0:1], off
	s_mov_b64 s[0:1], -1
	s_mov_b64 s[18:19], 0
	s_waitcnt vmcnt(0)
	v_lshlrev_b32_e32 v2, 16, v2
	v_cvt_f16_f32_e32 v3, v2
	s_branch .LBB28_505
.LBB28_501:
	s_mov_b64 s[20:21], -1
                                        ; implicit-def: $vgpr3
	s_branch .LBB28_506
.LBB28_502:
	s_or_saveexec_b64 s[20:21], s[20:21]
	v_mov_b32_e32 v3, 0x7e00
	s_xor_b64 exec, exec, s[20:21]
	s_cbranch_execz .LBB28_483
.LBB28_503:
	v_cmp_ne_u16_e32 vcc, 0, v2
	s_andn2_b64 s[0:1], s[0:1], exec
	s_and_b64 s[24:25], vcc, exec
	s_or_b64 s[0:1], s[0:1], s[24:25]
	v_mov_b32_e32 v3, v2
	s_or_b64 exec, exec, s[20:21]
	s_and_saveexec_b64 s[20:21], s[0:1]
	s_cbranch_execnz .LBB28_484
	s_branch .LBB28_485
.LBB28_504:
	s_mov_b64 s[18:19], -1
                                        ; implicit-def: $vgpr3
.LBB28_505:
	s_mov_b64 s[20:21], 0
.LBB28_506:
	s_and_b64 vcc, exec, s[20:21]
	s_cbranch_vccz .LBB28_510
; %bb.507:
	s_cmp_eq_u32 s26, 11
	s_cbranch_scc0 .LBB28_509
; %bb.508:
	global_load_ubyte v2, v[0:1], off
	s_waitcnt vmcnt(1)
	v_mov_b32_e32 v3, 0x3c00
	s_mov_b64 s[0:1], -1
	s_mov_b64 s[18:19], 0
	s_waitcnt vmcnt(0)
	v_cmp_ne_u16_e32 vcc, 0, v2
	v_cndmask_b32_e32 v3, 0, v3, vcc
	s_branch .LBB28_510
.LBB28_509:
	s_mov_b64 s[18:19], -1
                                        ; implicit-def: $vgpr3
.LBB28_510:
	s_branch .LBB28_289
.LBB28_511:
	s_cmp_lt_i32 s26, 5
	s_cbranch_scc1 .LBB28_516
; %bb.512:
	s_cmp_lt_i32 s26, 8
	s_cbranch_scc1 .LBB28_517
; %bb.513:
	;; [unrolled: 3-line block ×3, first 2 shown]
	s_cmp_gt_i32 s26, 9
	s_cbranch_scc0 .LBB28_519
; %bb.515:
	global_load_dwordx2 v[2:3], v[0:1], off
	s_movk_i32 s0, 0x1ff
	s_movk_i32 s1, 0xffe
	v_mov_b32_e32 v4, 0x7c00
	v_mov_b32_e32 v5, 0x7e00
	s_movk_i32 s20, 0x40f
	s_mov_b32 s21, 0x8000
	s_waitcnt vmcnt(0)
	v_and_or_b32 v2, v3, s0, v2
	v_cmp_ne_u32_e32 vcc, 0, v2
	v_lshrrev_b32_e32 v7, 8, v3
	v_bfe_u32 v8, v3, 20, 11
	v_cndmask_b32_e64 v2, 0, 1, vcc
	v_sub_u32_e32 v9, 0x3f1, v8
	v_and_or_b32 v2, v7, s1, v2
	v_add_u32_e32 v8, 0xfffffc10, v8
	v_med3_i32 v7, v9, 0, 13
	v_or_b32_e32 v9, 0x1000, v2
	v_cmp_ne_u32_e32 vcc, 0, v2
	v_lshl_or_b32 v10, v8, 12, v2
	v_cndmask_b32_e32 v2, v4, v5, vcc
	v_lshrrev_b32_e32 v5, v7, v9
	v_lshlrev_b32_e32 v7, v7, v5
	v_cmp_ne_u32_e32 vcc, v7, v9
	v_cndmask_b32_e64 v7, 0, 1, vcc
	v_or_b32_e32 v5, v5, v7
	v_cmp_gt_i32_e32 vcc, 1, v8
	v_cndmask_b32_e32 v5, v10, v5, vcc
	v_and_b32_e32 v7, 7, v5
	v_cmp_lt_i32_e32 vcc, 5, v7
	v_cndmask_b32_e64 v9, 0, 1, vcc
	v_cmp_eq_u32_e32 vcc, 3, v7
	v_cndmask_b32_e64 v7, 0, 1, vcc
	v_lshrrev_b32_e32 v5, 2, v5
	v_or_b32_e32 v7, v7, v9
	v_add_u32_e32 v5, v5, v7
	v_cmp_gt_i32_e32 vcc, 31, v8
	v_cndmask_b32_e32 v4, v4, v5, vcc
	v_cmp_eq_u32_e32 vcc, s20, v8
	v_lshrrev_b32_e32 v3, 16, v3
	v_cndmask_b32_e32 v2, v4, v2, vcc
	v_and_or_b32 v3, v3, s21, v2
	s_mov_b64 s[0:1], 0
	s_branch .LBB28_520
.LBB28_516:
	s_mov_b64 s[0:1], -1
                                        ; implicit-def: $vgpr3
	s_branch .LBB28_538
.LBB28_517:
	s_mov_b64 s[0:1], -1
                                        ; implicit-def: $vgpr3
	s_branch .LBB28_526
.LBB28_518:
	s_mov_b64 s[0:1], -1
                                        ; implicit-def: $vgpr3
	s_branch .LBB28_523
.LBB28_519:
	s_mov_b64 s[0:1], -1
                                        ; implicit-def: $vgpr3
.LBB28_520:
	s_andn2_b64 vcc, exec, s[0:1]
	s_cbranch_vccnz .LBB28_522
; %bb.521:
	global_load_dword v2, v[0:1], off
	s_waitcnt vmcnt(0)
	v_cvt_f16_f32_e32 v3, v2
.LBB28_522:
	s_mov_b64 s[0:1], 0
.LBB28_523:
	s_andn2_b64 vcc, exec, s[0:1]
	s_cbranch_vccnz .LBB28_525
; %bb.524:
	global_load_dword v3, v[0:1], off
.LBB28_525:
	s_mov_b64 s[0:1], 0
.LBB28_526:
	s_andn2_b64 vcc, exec, s[0:1]
	s_cbranch_vccnz .LBB28_537
; %bb.527:
	s_cmp_lt_i32 s26, 6
	s_cbranch_scc1 .LBB28_530
; %bb.528:
	s_cmp_gt_i32 s26, 6
	s_cbranch_scc0 .LBB28_531
; %bb.529:
	global_load_dwordx2 v[2:3], v[0:1], off
	s_movk_i32 s0, 0x1ff
	s_movk_i32 s1, 0xffe
	v_mov_b32_e32 v4, 0x7c00
	v_mov_b32_e32 v5, 0x7e00
	s_movk_i32 s20, 0x40f
	s_mov_b32 s21, 0x8000
	s_waitcnt vmcnt(0)
	v_and_or_b32 v2, v3, s0, v2
	v_cmp_ne_u32_e32 vcc, 0, v2
	v_lshrrev_b32_e32 v7, 8, v3
	v_bfe_u32 v8, v3, 20, 11
	v_cndmask_b32_e64 v2, 0, 1, vcc
	v_sub_u32_e32 v9, 0x3f1, v8
	v_and_or_b32 v2, v7, s1, v2
	v_add_u32_e32 v8, 0xfffffc10, v8
	v_med3_i32 v7, v9, 0, 13
	v_or_b32_e32 v9, 0x1000, v2
	v_cmp_ne_u32_e32 vcc, 0, v2
	v_lshl_or_b32 v10, v8, 12, v2
	v_cndmask_b32_e32 v2, v4, v5, vcc
	v_lshrrev_b32_e32 v5, v7, v9
	v_lshlrev_b32_e32 v7, v7, v5
	v_cmp_ne_u32_e32 vcc, v7, v9
	v_cndmask_b32_e64 v7, 0, 1, vcc
	v_or_b32_e32 v5, v5, v7
	v_cmp_gt_i32_e32 vcc, 1, v8
	v_cndmask_b32_e32 v5, v10, v5, vcc
	v_and_b32_e32 v7, 7, v5
	v_cmp_lt_i32_e32 vcc, 5, v7
	v_cndmask_b32_e64 v9, 0, 1, vcc
	v_cmp_eq_u32_e32 vcc, 3, v7
	v_cndmask_b32_e64 v7, 0, 1, vcc
	v_lshrrev_b32_e32 v5, 2, v5
	v_or_b32_e32 v7, v7, v9
	v_add_u32_e32 v5, v5, v7
	v_cmp_gt_i32_e32 vcc, 31, v8
	v_cndmask_b32_e32 v4, v4, v5, vcc
	v_cmp_eq_u32_e32 vcc, s20, v8
	v_lshrrev_b32_e32 v3, 16, v3
	v_cndmask_b32_e32 v2, v4, v2, vcc
	v_and_or_b32 v3, v3, s21, v2
	s_mov_b64 s[0:1], 0
	s_branch .LBB28_532
.LBB28_530:
	s_mov_b64 s[0:1], -1
                                        ; implicit-def: $vgpr3
	s_branch .LBB28_535
.LBB28_531:
	s_mov_b64 s[0:1], -1
                                        ; implicit-def: $vgpr3
.LBB28_532:
	s_andn2_b64 vcc, exec, s[0:1]
	s_cbranch_vccnz .LBB28_534
; %bb.533:
	global_load_dword v2, v[0:1], off
	s_waitcnt vmcnt(0)
	v_cvt_f16_f32_e32 v3, v2
.LBB28_534:
	s_mov_b64 s[0:1], 0
.LBB28_535:
	s_andn2_b64 vcc, exec, s[0:1]
	s_cbranch_vccnz .LBB28_537
; %bb.536:
	global_load_ushort v3, v[0:1], off
.LBB28_537:
	s_mov_b64 s[0:1], 0
.LBB28_538:
	s_andn2_b64 vcc, exec, s[0:1]
	s_cbranch_vccnz .LBB28_558
; %bb.539:
	s_cmp_lt_i32 s26, 2
	s_cbranch_scc1 .LBB28_543
; %bb.540:
	s_cmp_lt_i32 s26, 3
	s_cbranch_scc1 .LBB28_544
; %bb.541:
	s_cmp_gt_i32 s26, 3
	s_cbranch_scc0 .LBB28_545
; %bb.542:
	global_load_dwordx2 v[2:3], v[0:1], off
	s_mov_b64 s[0:1], 0
	s_waitcnt vmcnt(0)
	v_xor_b32_e32 v5, v2, v3
	v_ffbh_i32_e32 v4, v3
	v_ashrrev_i32_e32 v5, 31, v5
	v_add_u32_e32 v4, -1, v4
	v_add_u32_e32 v5, 32, v5
	v_min_u32_e32 v4, v4, v5
	v_lshlrev_b64 v[2:3], v4, v[2:3]
	v_min_u32_e32 v2, 1, v2
	v_or_b32_e32 v2, v3, v2
	v_cvt_f32_i32_e32 v2, v2
	v_sub_u32_e32 v3, 32, v4
	v_ldexp_f32 v2, v2, v3
	v_cvt_f16_f32_e32 v3, v2
	s_branch .LBB28_546
.LBB28_543:
	s_mov_b64 s[0:1], -1
                                        ; implicit-def: $vgpr3
	s_branch .LBB28_552
.LBB28_544:
	s_mov_b64 s[0:1], -1
                                        ; implicit-def: $vgpr3
	s_branch .LBB28_549
.LBB28_545:
	s_mov_b64 s[0:1], -1
                                        ; implicit-def: $vgpr3
.LBB28_546:
	s_andn2_b64 vcc, exec, s[0:1]
	s_cbranch_vccnz .LBB28_548
; %bb.547:
	global_load_dword v2, v[0:1], off
	s_waitcnt vmcnt(0)
	v_cvt_f32_i32_e32 v2, v2
	v_cvt_f16_f32_e32 v3, v2
.LBB28_548:
	s_mov_b64 s[0:1], 0
.LBB28_549:
	s_andn2_b64 vcc, exec, s[0:1]
	s_cbranch_vccnz .LBB28_551
; %bb.550:
	global_load_ushort v2, v[0:1], off
	s_waitcnt vmcnt(0)
	v_cvt_f16_i16_e32 v3, v2
.LBB28_551:
	s_mov_b64 s[0:1], 0
.LBB28_552:
	s_andn2_b64 vcc, exec, s[0:1]
	s_cbranch_vccnz .LBB28_558
; %bb.553:
	s_cmp_gt_i32 s26, 0
	s_cbranch_scc0 .LBB28_555
; %bb.554:
	global_load_sbyte v2, v[0:1], off
	s_mov_b64 s[0:1], 0
	s_waitcnt vmcnt(0)
	v_cvt_f16_i16_e32 v3, v2
	s_branch .LBB28_556
.LBB28_555:
	s_mov_b64 s[0:1], -1
                                        ; implicit-def: $vgpr3
.LBB28_556:
	s_andn2_b64 vcc, exec, s[0:1]
	s_cbranch_vccnz .LBB28_558
; %bb.557:
	global_load_ubyte v0, v[0:1], off
	s_waitcnt vmcnt(0)
	v_cvt_f16_u16_e32 v3, v0
.LBB28_558:
	s_branch .LBB28_290
.LBB28_559:
	s_mov_b64 s[24:25], 0
                                        ; implicit-def: $vgpr6
	s_mov_b64 s[0:1], s[6:7]
.LBB28_560:
	s_andn2_b64 s[20:21], s[6:7], exec
	s_and_b64 s[0:1], s[0:1], exec
	s_or_b64 s[20:21], s[20:21], s[0:1]
	s_andn2_b64 s[0:1], s[14:15], exec
	s_and_b64 s[18:19], s[18:19], exec
	s_or_b64 s[18:19], s[0:1], s[18:19]
	s_orn2_b64 s[0:1], s[24:25], exec
.LBB28_561:
	s_or_b64 exec, exec, s[22:23]
	s_mov_b64 s[24:25], 0
	s_mov_b64 s[26:27], 0
	;; [unrolled: 1-line block ×3, first 2 shown]
                                        ; implicit-def: $vgpr0_vgpr1
                                        ; implicit-def: $vgpr3
	s_and_saveexec_b64 s[22:23], s[0:1]
	s_cbranch_execz .LBB28_930
; %bb.562:
	v_cmp_gt_i32_e32 vcc, s40, v6
	s_mov_b64 s[34:35], -1
	s_mov_b64 s[0:1], s[18:19]
	s_mov_b64 s[28:29], s[20:21]
	s_and_saveexec_b64 s[24:25], vcc
	s_cbranch_execz .LBB28_844
; %bb.563:
	v_mul_lo_u32 v0, v6, s3
	v_mov_b32_e32 v1, s11
	s_and_b32 s34, 0xffff, s42
	s_cmp_lt_i32 s34, 11
	v_ashrrev_i32_e32 v2, 31, v0
	v_add_co_u32_e32 v0, vcc, s10, v0
	v_addc_co_u32_e32 v1, vcc, v1, v2, vcc
	s_cbranch_scc1 .LBB28_570
; %bb.564:
	s_cmp_gt_i32 s34, 25
	s_cbranch_scc0 .LBB28_571
; %bb.565:
	s_cmp_gt_i32 s34, 28
	s_cbranch_scc0 .LBB28_572
	;; [unrolled: 3-line block ×4, first 2 shown]
; %bb.568:
	s_cmp_eq_u32 s34, 46
	s_mov_b64 s[28:29], 0
	s_cbranch_scc0 .LBB28_579
; %bb.569:
	global_load_dword v2, v[0:1], off
	s_mov_b64 s[0:1], -1
	s_waitcnt vmcnt(0)
	v_lshlrev_b32_e32 v2, 16, v2
	v_cvt_f16_f32_e32 v3, v2
	s_branch .LBB28_580
.LBB28_570:
	s_mov_b64 s[28:29], -1
	s_mov_b64 s[0:1], 0
                                        ; implicit-def: $vgpr3
	s_mov_b64 s[26:27], s[18:19]
	s_branch .LBB28_645
.LBB28_571:
	s_mov_b64 s[28:29], -1
	s_mov_b64 s[0:1], 0
	s_mov_b64 s[26:27], s[18:19]
                                        ; implicit-def: $vgpr3
	s_branch .LBB28_609
.LBB28_572:
	s_mov_b64 s[28:29], -1
	s_mov_b64 s[0:1], 0
	s_mov_b64 s[26:27], s[18:19]
                                        ; implicit-def: $vgpr3
	s_branch .LBB28_590
.LBB28_573:
	s_mov_b64 s[28:29], -1
	s_mov_b64 s[0:1], 0
	s_mov_b64 s[26:27], s[18:19]
                                        ; implicit-def: $vgpr3
	s_branch .LBB28_585
.LBB28_574:
	s_andn2_saveexec_b64 s[26:27], s[26:27]
	s_cbranch_execz .LBB28_359
.LBB28_575:
	s_mov_b32 s30, 0x46000000
	v_add_f32_e64 v4, |v3|, s30
	v_and_b32_e32 v4, 0xff, v4
	v_cmp_ne_u32_e32 vcc, 0, v4
	s_andn2_b64 s[24:25], s[24:25], exec
	s_and_b64 s[30:31], vcc, exec
	s_or_b64 s[24:25], s[24:25], s[30:31]
	s_or_b64 exec, exec, s[26:27]
	v_mov_b32_e32 v5, 0
	s_and_saveexec_b64 s[26:27], s[24:25]
	s_cbranch_execnz .LBB28_360
	s_branch .LBB28_361
.LBB28_576:
	s_mov_b64 s[28:29], -1
	s_mov_b64 s[0:1], 0
	s_mov_b64 s[26:27], s[18:19]
                                        ; implicit-def: $vgpr3
	s_branch .LBB28_580
.LBB28_577:
	s_andn2_saveexec_b64 s[26:27], s[26:27]
	s_cbranch_execz .LBB28_372
.LBB28_578:
	s_mov_b32 s30, 0x42800000
	v_add_f32_e64 v4, |v3|, s30
	v_and_b32_e32 v4, 0xff, v4
	v_cmp_ne_u32_e32 vcc, 0, v4
	s_andn2_b64 s[24:25], s[24:25], exec
	s_and_b64 s[30:31], vcc, exec
	s_or_b64 s[24:25], s[24:25], s[30:31]
	s_or_b64 exec, exec, s[26:27]
	v_mov_b32_e32 v5, 0
	s_and_saveexec_b64 s[26:27], s[24:25]
	s_cbranch_execnz .LBB28_373
	s_branch .LBB28_374
.LBB28_579:
	s_mov_b64 s[26:27], -1
                                        ; implicit-def: $vgpr3
	s_mov_b64 s[0:1], 0
.LBB28_580:
	s_and_b64 vcc, exec, s[28:29]
	s_cbranch_vccz .LBB28_584
; %bb.581:
	s_cmp_eq_u32 s34, 44
	s_cbranch_scc0 .LBB28_583
; %bb.582:
	global_load_ubyte v2, v[0:1], off
	s_movk_i32 s26, 0xff
	v_mov_b32_e32 v4, 0x7e00
	s_mov_b64 s[0:1], -1
	s_waitcnt vmcnt(0)
	v_lshlrev_b32_e32 v3, 23, v2
	v_cvt_f16_f32_e32 v3, v3
	v_cmp_ne_u32_e32 vcc, s26, v2
	s_mov_b64 s[26:27], 0
	v_cndmask_b32_e32 v3, v4, v3, vcc
	v_cmp_ne_u32_e32 vcc, 0, v2
	v_cndmask_b32_e32 v3, 0, v3, vcc
	s_branch .LBB28_584
.LBB28_583:
	s_mov_b64 s[26:27], -1
                                        ; implicit-def: $vgpr3
.LBB28_584:
	s_mov_b64 s[28:29], 0
.LBB28_585:
	s_and_b64 vcc, exec, s[28:29]
	s_cbranch_vccz .LBB28_589
; %bb.586:
	s_cmp_eq_u32 s34, 29
	s_cbranch_scc0 .LBB28_588
; %bb.587:
	global_load_dwordx2 v[2:3], v[0:1], off
	s_mov_b64 s[0:1], -1
	s_mov_b64 s[26:27], 0
	s_mov_b64 s[28:29], 0
	s_waitcnt vmcnt(0)
	v_ffbh_u32_e32 v4, v3
	v_min_u32_e32 v4, 32, v4
	v_lshlrev_b64 v[2:3], v4, v[2:3]
	v_min_u32_e32 v2, 1, v2
	v_or_b32_e32 v2, v3, v2
	v_cvt_f32_u32_e32 v2, v2
	v_sub_u32_e32 v3, 32, v4
	v_ldexp_f32 v2, v2, v3
	v_cvt_f16_f32_e32 v3, v2
	s_branch .LBB28_590
.LBB28_588:
	s_mov_b64 s[26:27], -1
                                        ; implicit-def: $vgpr3
.LBB28_589:
	s_mov_b64 s[28:29], 0
.LBB28_590:
	s_and_b64 vcc, exec, s[28:29]
	s_cbranch_vccz .LBB28_608
; %bb.591:
	s_cmp_lt_i32 s34, 27
	s_cbranch_scc1 .LBB28_594
; %bb.592:
	s_cmp_gt_i32 s34, 27
	s_cbranch_scc0 .LBB28_595
; %bb.593:
	global_load_dword v2, v[0:1], off
	s_mov_b64 s[0:1], 0
	s_waitcnt vmcnt(0)
	v_cvt_f32_u32_e32 v2, v2
	v_cvt_f16_f32_e32 v3, v2
	s_branch .LBB28_596
.LBB28_594:
	s_mov_b64 s[0:1], -1
                                        ; implicit-def: $vgpr3
	s_branch .LBB28_599
.LBB28_595:
	s_mov_b64 s[0:1], -1
                                        ; implicit-def: $vgpr3
.LBB28_596:
	s_andn2_b64 vcc, exec, s[0:1]
	s_cbranch_vccnz .LBB28_598
; %bb.597:
	global_load_ushort v2, v[0:1], off
	s_waitcnt vmcnt(0)
	v_cvt_f16_u16_e32 v3, v2
.LBB28_598:
	s_mov_b64 s[0:1], 0
.LBB28_599:
	s_andn2_b64 vcc, exec, s[0:1]
	s_cbranch_vccnz .LBB28_607
; %bb.600:
	global_load_ubyte v2, v[0:1], off
	s_movk_i32 s0, 0x7f
	s_waitcnt vmcnt(0)
	v_cmp_lt_i16_e32 vcc, s0, v2
	s_mov_b64 s[0:1], 0
	s_and_saveexec_b64 s[28:29], vcc
	s_xor_b64 s[28:29], exec, s[28:29]
	s_cbranch_execz .LBB28_621
; %bb.601:
	s_movk_i32 s0, 0x80
	v_cmp_eq_u16_e32 vcc, s0, v2
	s_mov_b64 s[0:1], -1
	s_and_saveexec_b64 s[30:31], vcc
; %bb.602:
	s_xor_b64 s[0:1], exec, -1
; %bb.603:
	s_or_b64 exec, exec, s[30:31]
	s_and_b64 s[0:1], s[0:1], exec
	s_or_saveexec_b64 s[28:29], s[28:29]
	v_mov_b32_e32 v3, 0x7e00
	s_xor_b64 exec, exec, s[28:29]
	s_cbranch_execnz .LBB28_622
.LBB28_604:
	s_or_b64 exec, exec, s[28:29]
	s_and_saveexec_b64 s[28:29], s[0:1]
	s_cbranch_execz .LBB28_606
.LBB28_605:
	v_lshlrev_b32_e32 v3, 24, v2
	v_and_b32_e32 v2, 0xffff, v2
	v_and_b32_e32 v4, 7, v2
	v_ffbh_u32_e32 v7, v4
	v_min_u32_e32 v7, 32, v7
	v_subrev_u32_e32 v8, 28, v7
	v_bfe_u32 v5, v2, 3, 4
	v_lshlrev_b32_e32 v2, v8, v2
	v_sub_u32_e32 v7, 29, v7
	v_and_b32_e32 v2, 7, v2
	v_cmp_eq_u32_e32 vcc, 0, v5
	v_cndmask_b32_e32 v5, v5, v7, vcc
	v_cndmask_b32_e32 v2, v4, v2, vcc
	v_mov_b32_e32 v4, 0x3b800000
	v_lshlrev_b32_e32 v2, 20, v2
	v_and_b32_e32 v3, 0x80000000, v3
	v_lshl_add_u32 v4, v5, 23, v4
	v_or3_b32 v2, v3, v4, v2
	v_cvt_f16_f32_e32 v3, v2
.LBB28_606:
	s_or_b64 exec, exec, s[28:29]
.LBB28_607:
	s_mov_b64 s[0:1], -1
.LBB28_608:
	s_mov_b64 s[28:29], 0
.LBB28_609:
	s_and_b64 vcc, exec, s[28:29]
	s_cbranch_vccz .LBB28_644
; %bb.610:
	s_cmp_gt_i32 s34, 22
	s_cbranch_scc0 .LBB28_620
; %bb.611:
	s_cmp_lt_i32 s34, 24
	s_cbranch_scc1 .LBB28_623
; %bb.612:
	s_cmp_gt_i32 s34, 24
	s_cbranch_scc0 .LBB28_624
; %bb.613:
	global_load_ubyte v2, v[0:1], off
	s_movk_i32 s0, 0x7f
	s_waitcnt vmcnt(0)
	v_cmp_lt_i16_e32 vcc, s0, v2
	s_mov_b64 s[0:1], 0
	s_and_saveexec_b64 s[28:29], vcc
	s_xor_b64 s[28:29], exec, s[28:29]
	s_cbranch_execz .LBB28_636
; %bb.614:
	s_movk_i32 s0, 0x80
	v_cmp_eq_u16_e32 vcc, s0, v2
	s_mov_b64 s[0:1], -1
	s_and_saveexec_b64 s[30:31], vcc
; %bb.615:
	s_xor_b64 s[0:1], exec, -1
; %bb.616:
	s_or_b64 exec, exec, s[30:31]
	s_and_b64 s[0:1], s[0:1], exec
	s_or_saveexec_b64 s[28:29], s[28:29]
	v_mov_b32_e32 v3, 0x7e00
	s_xor_b64 exec, exec, s[28:29]
	s_cbranch_execnz .LBB28_637
.LBB28_617:
	s_or_b64 exec, exec, s[28:29]
	s_and_saveexec_b64 s[28:29], s[0:1]
	s_cbranch_execz .LBB28_619
.LBB28_618:
	v_lshlrev_b32_e32 v3, 24, v2
	v_and_b32_e32 v2, 0xffff, v2
	v_and_b32_e32 v4, 3, v2
	v_ffbh_u32_e32 v7, v4
	v_min_u32_e32 v7, 32, v7
	v_subrev_u32_e32 v8, 29, v7
	v_bfe_u32 v5, v2, 2, 5
	v_lshlrev_b32_e32 v2, v8, v2
	v_sub_u32_e32 v7, 30, v7
	v_and_b32_e32 v2, 3, v2
	v_cmp_eq_u32_e32 vcc, 0, v5
	v_cndmask_b32_e32 v5, v5, v7, vcc
	v_cndmask_b32_e32 v2, v4, v2, vcc
	v_mov_b32_e32 v4, 0x37800000
	v_lshlrev_b32_e32 v2, 21, v2
	v_and_b32_e32 v3, 0x80000000, v3
	v_lshl_add_u32 v4, v5, 23, v4
	v_or3_b32 v2, v3, v4, v2
	v_cvt_f16_f32_e32 v3, v2
.LBB28_619:
	s_or_b64 exec, exec, s[28:29]
	s_mov_b64 s[0:1], 0
	s_branch .LBB28_625
.LBB28_620:
	s_mov_b64 s[28:29], -1
                                        ; implicit-def: $vgpr3
	s_branch .LBB28_631
.LBB28_621:
	s_or_saveexec_b64 s[28:29], s[28:29]
	v_mov_b32_e32 v3, 0x7e00
	s_xor_b64 exec, exec, s[28:29]
	s_cbranch_execz .LBB28_604
.LBB28_622:
	v_cmp_ne_u16_e32 vcc, 0, v2
	s_andn2_b64 s[0:1], s[0:1], exec
	s_and_b64 s[30:31], vcc, exec
	s_or_b64 s[0:1], s[0:1], s[30:31]
	v_mov_b32_e32 v3, v2
	s_or_b64 exec, exec, s[28:29]
	s_and_saveexec_b64 s[28:29], s[0:1]
	s_cbranch_execnz .LBB28_605
	s_branch .LBB28_606
.LBB28_623:
	s_mov_b64 s[0:1], -1
                                        ; implicit-def: $vgpr3
	s_branch .LBB28_628
.LBB28_624:
	s_mov_b64 s[0:1], -1
                                        ; implicit-def: $vgpr3
.LBB28_625:
	s_and_b64 vcc, exec, s[0:1]
	s_cbranch_vccz .LBB28_627
; %bb.626:
	global_load_ubyte v2, v[0:1], off
	s_mov_b32 s0, 0x7f800000
	s_waitcnt vmcnt(0)
	v_lshlrev_b32_e32 v2, 24, v2
	v_and_b32_e32 v3, 0x7f000000, v2
	v_ffbh_u32_e32 v4, v3
	v_min_u32_e32 v4, 32, v4
	v_sub_u32_e64 v4, v4, 4 clamp
	v_lshlrev_b32_e32 v7, v4, v3
	v_lshlrev_b32_e32 v4, 23, v4
	v_lshrrev_b32_e32 v7, 4, v7
	v_add_u32_e32 v5, 0x1000000, v3
	v_sub_u32_e32 v4, v7, v4
	v_ashrrev_i32_e32 v5, 8, v5
	v_add_u32_e32 v4, 0x3c000000, v4
	v_and_or_b32 v4, v5, s0, v4
	v_cmp_ne_u32_e32 vcc, 0, v3
	v_cndmask_b32_e32 v3, 0, v4, vcc
	s_brev_b32 s0, 1
	v_and_or_b32 v2, v2, s0, v3
	v_cvt_f16_f32_e32 v3, v2
.LBB28_627:
	s_mov_b64 s[0:1], 0
.LBB28_628:
	s_andn2_b64 vcc, exec, s[0:1]
	s_cbranch_vccnz .LBB28_630
; %bb.629:
	global_load_ubyte v2, v[0:1], off
	s_movk_i32 s0, 0x7f00
	s_brev_b32 s1, 16
	s_waitcnt vmcnt(0)
	v_lshlrev_b16_e32 v3, 8, v2
	v_lshlrev_b32_e32 v2, 25, v2
	v_lshrrev_b32_e32 v4, 4, v2
	v_and_or_b32 v5, v3, s0, 0.5
	v_or_b32_e32 v4, 0x70000000, v4
	v_add_f32_e32 v5, -0.5, v5
	v_mul_f32_e32 v4, 0x7800000, v4
	v_cmp_gt_u32_e32 vcc, s1, v2
	v_bfe_i32 v3, v3, 0, 16
	v_cndmask_b32_e32 v2, v4, v5, vcc
	s_brev_b32 s0, 1
	v_and_or_b32 v2, v3, s0, v2
	v_cvt_f16_f32_e32 v3, v2
.LBB28_630:
	s_mov_b64 s[28:29], 0
	s_mov_b64 s[0:1], -1
.LBB28_631:
	s_andn2_b64 vcc, exec, s[28:29]
	s_cbranch_vccnz .LBB28_644
; %bb.632:
	s_cmp_gt_i32 s34, 14
	s_cbranch_scc0 .LBB28_635
; %bb.633:
	s_cmp_eq_u32 s34, 15
	s_cbranch_scc0 .LBB28_638
; %bb.634:
	global_load_ushort v2, v[0:1], off
	s_mov_b64 s[0:1], -1
	s_mov_b64 s[26:27], 0
	s_waitcnt vmcnt(0)
	v_lshlrev_b32_e32 v2, 16, v2
	v_cvt_f16_f32_e32 v3, v2
	s_branch .LBB28_639
.LBB28_635:
	s_mov_b64 s[28:29], -1
                                        ; implicit-def: $vgpr3
	s_branch .LBB28_640
.LBB28_636:
	s_or_saveexec_b64 s[28:29], s[28:29]
	v_mov_b32_e32 v3, 0x7e00
	s_xor_b64 exec, exec, s[28:29]
	s_cbranch_execz .LBB28_617
.LBB28_637:
	v_cmp_ne_u16_e32 vcc, 0, v2
	s_andn2_b64 s[0:1], s[0:1], exec
	s_and_b64 s[30:31], vcc, exec
	s_or_b64 s[0:1], s[0:1], s[30:31]
	v_mov_b32_e32 v3, v2
	s_or_b64 exec, exec, s[28:29]
	s_and_saveexec_b64 s[28:29], s[0:1]
	s_cbranch_execnz .LBB28_618
	s_branch .LBB28_619
.LBB28_638:
	s_mov_b64 s[26:27], -1
                                        ; implicit-def: $vgpr3
.LBB28_639:
	s_mov_b64 s[28:29], 0
.LBB28_640:
	s_and_b64 vcc, exec, s[28:29]
	s_cbranch_vccz .LBB28_644
; %bb.641:
	s_cmp_eq_u32 s34, 11
	s_cbranch_scc0 .LBB28_643
; %bb.642:
	global_load_ubyte v2, v[0:1], off
	s_waitcnt vmcnt(1)
	v_mov_b32_e32 v3, 0x3c00
	s_mov_b64 s[0:1], -1
	s_mov_b64 s[26:27], 0
	s_waitcnt vmcnt(0)
	v_cmp_ne_u16_e32 vcc, 0, v2
	v_cndmask_b32_e32 v3, 0, v3, vcc
	s_branch .LBB28_644
.LBB28_643:
	s_mov_b64 s[26:27], -1
                                        ; implicit-def: $vgpr3
.LBB28_644:
	s_mov_b64 s[28:29], 0
.LBB28_645:
	s_and_b64 vcc, exec, s[28:29]
	s_cbranch_vccz .LBB28_694
; %bb.646:
	s_cmp_lt_i32 s34, 5
	s_cbranch_scc1 .LBB28_651
; %bb.647:
	s_cmp_lt_i32 s34, 8
	s_cbranch_scc1 .LBB28_652
	;; [unrolled: 3-line block ×3, first 2 shown]
; %bb.649:
	s_cmp_gt_i32 s34, 9
	s_cbranch_scc0 .LBB28_654
; %bb.650:
	global_load_dwordx2 v[2:3], v[0:1], off
	s_movk_i32 s0, 0x1ff
	s_movk_i32 s1, 0xffe
	v_mov_b32_e32 v4, 0x7c00
	v_mov_b32_e32 v5, 0x7e00
	s_movk_i32 s28, 0x40f
	s_mov_b32 s29, 0x8000
	s_waitcnt vmcnt(0)
	v_and_or_b32 v2, v3, s0, v2
	v_cmp_ne_u32_e32 vcc, 0, v2
	v_lshrrev_b32_e32 v7, 8, v3
	v_bfe_u32 v8, v3, 20, 11
	v_cndmask_b32_e64 v2, 0, 1, vcc
	v_sub_u32_e32 v9, 0x3f1, v8
	v_and_or_b32 v2, v7, s1, v2
	v_add_u32_e32 v8, 0xfffffc10, v8
	v_med3_i32 v7, v9, 0, 13
	v_or_b32_e32 v9, 0x1000, v2
	v_cmp_ne_u32_e32 vcc, 0, v2
	v_lshl_or_b32 v10, v8, 12, v2
	v_cndmask_b32_e32 v2, v4, v5, vcc
	v_lshrrev_b32_e32 v5, v7, v9
	v_lshlrev_b32_e32 v7, v7, v5
	v_cmp_ne_u32_e32 vcc, v7, v9
	v_cndmask_b32_e64 v7, 0, 1, vcc
	v_or_b32_e32 v5, v5, v7
	v_cmp_gt_i32_e32 vcc, 1, v8
	v_cndmask_b32_e32 v5, v10, v5, vcc
	v_and_b32_e32 v7, 7, v5
	v_cmp_lt_i32_e32 vcc, 5, v7
	v_cndmask_b32_e64 v9, 0, 1, vcc
	v_cmp_eq_u32_e32 vcc, 3, v7
	v_cndmask_b32_e64 v7, 0, 1, vcc
	v_lshrrev_b32_e32 v5, 2, v5
	v_or_b32_e32 v7, v7, v9
	v_add_u32_e32 v5, v5, v7
	v_cmp_gt_i32_e32 vcc, 31, v8
	v_cndmask_b32_e32 v4, v4, v5, vcc
	v_cmp_eq_u32_e32 vcc, s28, v8
	v_lshrrev_b32_e32 v3, 16, v3
	v_cndmask_b32_e32 v2, v4, v2, vcc
	v_and_or_b32 v3, v3, s29, v2
	s_mov_b64 s[0:1], 0
	s_branch .LBB28_655
.LBB28_651:
	s_mov_b64 s[0:1], -1
                                        ; implicit-def: $vgpr3
	s_branch .LBB28_673
.LBB28_652:
	s_mov_b64 s[0:1], -1
                                        ; implicit-def: $vgpr3
	s_branch .LBB28_661
.LBB28_653:
	s_mov_b64 s[0:1], -1
                                        ; implicit-def: $vgpr3
	s_branch .LBB28_658
.LBB28_654:
	s_mov_b64 s[0:1], -1
                                        ; implicit-def: $vgpr3
.LBB28_655:
	s_andn2_b64 vcc, exec, s[0:1]
	s_cbranch_vccnz .LBB28_657
; %bb.656:
	global_load_dword v2, v[0:1], off
	s_waitcnt vmcnt(0)
	v_cvt_f16_f32_e32 v3, v2
.LBB28_657:
	s_mov_b64 s[0:1], 0
.LBB28_658:
	s_andn2_b64 vcc, exec, s[0:1]
	s_cbranch_vccnz .LBB28_660
; %bb.659:
	global_load_dword v3, v[0:1], off
.LBB28_660:
	s_mov_b64 s[0:1], 0
.LBB28_661:
	s_andn2_b64 vcc, exec, s[0:1]
	s_cbranch_vccnz .LBB28_672
; %bb.662:
	s_cmp_lt_i32 s34, 6
	s_cbranch_scc1 .LBB28_665
; %bb.663:
	s_cmp_gt_i32 s34, 6
	s_cbranch_scc0 .LBB28_666
; %bb.664:
	global_load_dwordx2 v[2:3], v[0:1], off
	s_movk_i32 s0, 0x1ff
	s_movk_i32 s1, 0xffe
	v_mov_b32_e32 v4, 0x7c00
	v_mov_b32_e32 v5, 0x7e00
	s_movk_i32 s28, 0x40f
	s_mov_b32 s29, 0x8000
	s_waitcnt vmcnt(0)
	v_and_or_b32 v2, v3, s0, v2
	v_cmp_ne_u32_e32 vcc, 0, v2
	v_lshrrev_b32_e32 v7, 8, v3
	v_bfe_u32 v8, v3, 20, 11
	v_cndmask_b32_e64 v2, 0, 1, vcc
	v_sub_u32_e32 v9, 0x3f1, v8
	v_and_or_b32 v2, v7, s1, v2
	v_add_u32_e32 v8, 0xfffffc10, v8
	v_med3_i32 v7, v9, 0, 13
	v_or_b32_e32 v9, 0x1000, v2
	v_cmp_ne_u32_e32 vcc, 0, v2
	v_lshl_or_b32 v10, v8, 12, v2
	v_cndmask_b32_e32 v2, v4, v5, vcc
	v_lshrrev_b32_e32 v5, v7, v9
	v_lshlrev_b32_e32 v7, v7, v5
	v_cmp_ne_u32_e32 vcc, v7, v9
	v_cndmask_b32_e64 v7, 0, 1, vcc
	v_or_b32_e32 v5, v5, v7
	v_cmp_gt_i32_e32 vcc, 1, v8
	v_cndmask_b32_e32 v5, v10, v5, vcc
	v_and_b32_e32 v7, 7, v5
	v_cmp_lt_i32_e32 vcc, 5, v7
	v_cndmask_b32_e64 v9, 0, 1, vcc
	v_cmp_eq_u32_e32 vcc, 3, v7
	v_cndmask_b32_e64 v7, 0, 1, vcc
	v_lshrrev_b32_e32 v5, 2, v5
	v_or_b32_e32 v7, v7, v9
	v_add_u32_e32 v5, v5, v7
	v_cmp_gt_i32_e32 vcc, 31, v8
	v_cndmask_b32_e32 v4, v4, v5, vcc
	v_cmp_eq_u32_e32 vcc, s28, v8
	v_lshrrev_b32_e32 v3, 16, v3
	v_cndmask_b32_e32 v2, v4, v2, vcc
	v_and_or_b32 v3, v3, s29, v2
	s_mov_b64 s[0:1], 0
	s_branch .LBB28_667
.LBB28_665:
	s_mov_b64 s[0:1], -1
                                        ; implicit-def: $vgpr3
	s_branch .LBB28_670
.LBB28_666:
	s_mov_b64 s[0:1], -1
                                        ; implicit-def: $vgpr3
.LBB28_667:
	s_andn2_b64 vcc, exec, s[0:1]
	s_cbranch_vccnz .LBB28_669
; %bb.668:
	global_load_dword v2, v[0:1], off
	s_waitcnt vmcnt(0)
	v_cvt_f16_f32_e32 v3, v2
.LBB28_669:
	s_mov_b64 s[0:1], 0
.LBB28_670:
	s_andn2_b64 vcc, exec, s[0:1]
	s_cbranch_vccnz .LBB28_672
; %bb.671:
	global_load_ushort v3, v[0:1], off
.LBB28_672:
	s_mov_b64 s[0:1], 0
.LBB28_673:
	s_andn2_b64 vcc, exec, s[0:1]
	s_cbranch_vccnz .LBB28_693
; %bb.674:
	s_cmp_lt_i32 s34, 2
	s_cbranch_scc1 .LBB28_678
; %bb.675:
	s_cmp_lt_i32 s34, 3
	s_cbranch_scc1 .LBB28_679
; %bb.676:
	s_cmp_gt_i32 s34, 3
	s_cbranch_scc0 .LBB28_680
; %bb.677:
	global_load_dwordx2 v[2:3], v[0:1], off
	s_mov_b64 s[0:1], 0
	s_waitcnt vmcnt(0)
	v_xor_b32_e32 v5, v2, v3
	v_ffbh_i32_e32 v4, v3
	v_ashrrev_i32_e32 v5, 31, v5
	v_add_u32_e32 v4, -1, v4
	v_add_u32_e32 v5, 32, v5
	v_min_u32_e32 v4, v4, v5
	v_lshlrev_b64 v[2:3], v4, v[2:3]
	v_min_u32_e32 v2, 1, v2
	v_or_b32_e32 v2, v3, v2
	v_cvt_f32_i32_e32 v2, v2
	v_sub_u32_e32 v3, 32, v4
	v_ldexp_f32 v2, v2, v3
	v_cvt_f16_f32_e32 v3, v2
	s_branch .LBB28_681
.LBB28_678:
	s_mov_b64 s[0:1], -1
                                        ; implicit-def: $vgpr3
	s_branch .LBB28_687
.LBB28_679:
	s_mov_b64 s[0:1], -1
                                        ; implicit-def: $vgpr3
	s_branch .LBB28_684
.LBB28_680:
	s_mov_b64 s[0:1], -1
                                        ; implicit-def: $vgpr3
.LBB28_681:
	s_andn2_b64 vcc, exec, s[0:1]
	s_cbranch_vccnz .LBB28_683
; %bb.682:
	global_load_dword v2, v[0:1], off
	s_waitcnt vmcnt(0)
	v_cvt_f32_i32_e32 v2, v2
	v_cvt_f16_f32_e32 v3, v2
.LBB28_683:
	s_mov_b64 s[0:1], 0
.LBB28_684:
	s_andn2_b64 vcc, exec, s[0:1]
	s_cbranch_vccnz .LBB28_686
; %bb.685:
	global_load_ushort v2, v[0:1], off
	s_waitcnt vmcnt(0)
	v_cvt_f16_i16_e32 v3, v2
.LBB28_686:
	s_mov_b64 s[0:1], 0
.LBB28_687:
	s_andn2_b64 vcc, exec, s[0:1]
	s_cbranch_vccnz .LBB28_693
; %bb.688:
	s_cmp_gt_i32 s34, 0
	s_cbranch_scc0 .LBB28_690
; %bb.689:
	global_load_sbyte v2, v[0:1], off
	s_mov_b64 s[0:1], 0
	s_waitcnt vmcnt(0)
	v_cvt_f16_i16_e32 v3, v2
	s_branch .LBB28_691
.LBB28_690:
	s_mov_b64 s[0:1], -1
                                        ; implicit-def: $vgpr3
.LBB28_691:
	s_andn2_b64 vcc, exec, s[0:1]
	s_cbranch_vccnz .LBB28_693
; %bb.692:
	global_load_ubyte v0, v[0:1], off
	s_waitcnt vmcnt(0)
	v_cvt_f16_u16_e32 v3, v0
.LBB28_693:
	s_mov_b64 s[0:1], -1
.LBB28_694:
	s_andn2_b64 vcc, exec, s[0:1]
	s_cbranch_vccnz .LBB28_726
; %bb.695:
	s_waitcnt vmcnt(0)
	v_cvt_f32_f16_e32 v7, v3
	v_cmp_neq_f16_e32 vcc, 0, v3
                                        ; implicit-def: $vgpr2
	s_and_saveexec_b64 s[0:1], vcc
	s_xor_b64 s[28:29], exec, s[0:1]
	s_cbranch_execz .LBB28_717
; %bb.696:
	v_cmp_gt_f16_e32 vcc, 0, v3
	s_mov_b64 s[0:1], -1
	v_mov_b32_e32 v0, 0
	s_and_saveexec_b64 s[30:31], vcc
	s_cbranch_execz .LBB28_704
; %bb.697:
	v_trunc_f32_e32 v0, v7
	v_cmp_neq_f32_e32 vcc, v0, v7
	s_mov_b64 s[36:37], 0
	v_mov_b32_e32 v0, 0
	s_and_saveexec_b64 s[34:35], vcc
	s_cbranch_execz .LBB28_703
; %bb.698:
	v_cvt_f32_f16_e32 v0, v3
	s_mov_b32 s38, 0
	s_mov_b32 s1, 0xc00921fb
	;; [unrolled: 1-line block ×3, first 2 shown]
	v_cvt_f64_f32_e32 v[0:1], v0
	s_mov_b32 s39, 0x7ff00000
	v_bfrev_b32_e32 v4, 1
	s_mov_b32 s36, 0
	v_trunc_f64_e32 v[2:3], v[0:1]
	v_cmp_neq_f64_e64 vcc, |v[0:1]|, s[38:39]
	s_mov_b32 s37, 0x41d00000
                                        ; implicit-def: $vgpr8
	v_add_f64 v[2:3], v[0:1], -v[2:3]
	v_mul_f64 v[2:3], |v[2:3]|, s[0:1]
	v_cndmask_b32_e32 v1, v4, v3, vcc
	v_cndmask_b32_e32 v0, 0, v2, vcc
	v_cmp_nlt_f64_e64 s[36:37], |v[0:1]|, s[36:37]
                                        ; implicit-def: $vgpr2_vgpr3
                                        ; implicit-def: $vgpr4_vgpr5
	s_and_saveexec_b64 s[44:45], s[36:37]
	s_xor_b64 s[36:37], exec, s[44:45]
	s_cbranch_execz .LBB28_700
; %bb.699:
	v_trig_preop_f64 v[4:5], |v[0:1]|, 0
	s_mov_b32 s44, 0
	s_mov_b32 s45, 0x7b000000
	s_movk_i32 s1, 0xff80
	v_ldexp_f64 v[2:3], |v[0:1]|, s1
	v_cmp_ge_f64_e64 vcc, |v[0:1]|, s[44:45]
	v_trig_preop_f64 v[8:9], |v[0:1]|, 1
	v_and_b32_e32 v10, 0x7fffffff, v1
	v_trig_preop_f64 v[16:17], |v[0:1]|, 2
	v_mov_b32_e32 v28, 0x40100000
	s_mov_b32 s1, 0x3ff921fb
	v_cndmask_b32_e32 v3, v10, v3, vcc
	v_cndmask_b32_e32 v2, v0, v2, vcc
	v_mul_f64 v[10:11], v[4:5], v[2:3]
	v_mul_f64 v[12:13], v[8:9], v[2:3]
	;; [unrolled: 1-line block ×3, first 2 shown]
	v_fma_f64 v[4:5], v[4:5], v[2:3], -v[10:11]
	v_fma_f64 v[8:9], v[8:9], v[2:3], -v[12:13]
	;; [unrolled: 1-line block ×3, first 2 shown]
	v_add_f64 v[14:15], v[12:13], v[4:5]
	v_add_f64 v[18:19], v[14:15], -v[12:13]
	v_add_f64 v[24:25], v[10:11], v[14:15]
	v_add_f64 v[20:21], v[14:15], -v[18:19]
	v_add_f64 v[4:5], v[4:5], -v[18:19]
	v_add_f64 v[18:19], v[22:23], v[8:9]
	v_add_f64 v[10:11], v[24:25], -v[10:11]
	v_add_f64 v[12:13], v[12:13], -v[20:21]
	v_ldexp_f64 v[20:21], v[24:25], -2
	v_add_f64 v[10:11], v[14:15], -v[10:11]
	v_add_f64 v[4:5], v[4:5], v[12:13]
	v_fract_f64_e32 v[12:13], v[20:21]
	v_cmp_neq_f64_e64 vcc, |v[20:21]|, s[38:39]
	s_mov_b32 s38, 0x33145c07
	s_mov_b32 s39, 0x3c91a626
	v_add_f64 v[14:15], v[18:19], v[4:5]
	v_ldexp_f64 v[12:13], v[12:13], 2
	v_add_f64 v[20:21], v[10:11], v[14:15]
	v_cndmask_b32_e32 v13, 0, v13, vcc
	v_cndmask_b32_e32 v12, 0, v12, vcc
	v_add_f64 v[26:27], v[14:15], -v[18:19]
	v_add_f64 v[24:25], v[20:21], v[12:13]
	v_add_f64 v[10:11], v[20:21], -v[10:11]
	v_add_f64 v[4:5], v[4:5], -v[26:27]
	;; [unrolled: 1-line block ×3, first 2 shown]
	v_cmp_gt_f64_e32 vcc, 0, v[24:25]
	v_add_f64 v[24:25], v[18:19], -v[22:23]
	v_add_f64 v[10:11], v[14:15], -v[10:11]
	v_cndmask_b32_e32 v29, 0, v28, vcc
	v_mov_b32_e32 v28, 0
	v_add_f64 v[12:13], v[12:13], v[28:29]
	v_add_f64 v[8:9], v[8:9], -v[24:25]
	v_add_f64 v[24:25], v[18:19], -v[24:25]
	;; [unrolled: 1-line block ×3, first 2 shown]
	v_add_f64 v[26:27], v[20:21], v[12:13]
	v_add_f64 v[24:25], v[22:23], -v[24:25]
	v_add_f64 v[4:5], v[4:5], v[18:19]
	v_cvt_i32_f64_e32 v26, v[26:27]
	v_add_f64 v[8:9], v[8:9], v[24:25]
	v_cvt_f64_i32_e32 v[24:25], v26
	v_add_f64 v[12:13], v[12:13], -v[24:25]
	v_add_f64 v[4:5], v[8:9], v[4:5]
	v_add_f64 v[8:9], v[20:21], v[12:13]
	;; [unrolled: 1-line block ×3, first 2 shown]
	v_add_f64 v[4:5], v[8:9], -v[12:13]
	v_cmp_le_f64_e32 vcc, 0.5, v[8:9]
	v_add_f64 v[2:3], v[10:11], v[2:3]
	v_mov_b32_e32 v10, 0x3ff00000
	v_add_f64 v[4:5], v[20:21], -v[4:5]
	v_cndmask_b32_e32 v29, 0, v10, vcc
	v_add_f64 v[2:3], v[2:3], v[4:5]
	v_add_f64 v[4:5], v[8:9], -v[28:29]
	v_add_f64 v[8:9], v[4:5], v[2:3]
	v_mul_f64 v[10:11], v[8:9], s[0:1]
	v_add_f64 v[4:5], v[8:9], -v[4:5]
	v_fma_f64 v[12:13], v[8:9], s[0:1], -v[10:11]
	v_add_f64 v[2:3], v[2:3], -v[4:5]
	v_fma_f64 v[4:5], v[8:9], s[38:39], v[12:13]
	v_fma_f64 v[4:5], v[2:3], s[0:1], v[4:5]
	v_add_f64 v[2:3], v[10:11], v[4:5]
	v_add_f64 v[8:9], v[2:3], -v[10:11]
	v_add_f64 v[4:5], v[4:5], -v[8:9]
	v_addc_co_u32_e32 v8, vcc, 0, v26, vcc
.LBB28_700:
	s_andn2_saveexec_b64 s[0:1], s[36:37]
	s_cbranch_execz .LBB28_702
; %bb.701:
	s_mov_b32 s36, 0x6dc9c883
	s_mov_b32 s37, 0x3fe45f30
	v_mul_f64 v[2:3], |v[0:1]|, s[36:37]
	s_mov_b32 s36, 0x54442d18
	s_mov_b32 s37, 0xbff921fb
	;; [unrolled: 1-line block ×4, first 2 shown]
	v_rndne_f64_e32 v[8:9], v[2:3]
	v_fma_f64 v[2:3], v[8:9], s[36:37], |v[0:1]|
	v_mul_f64 v[4:5], v[8:9], s[38:39]
	s_mov_b32 s36, 0x252049c0
	s_mov_b32 s37, 0xb97b839a
	v_fma_f64 v[14:15], v[8:9], s[38:39], v[2:3]
	v_add_f64 v[10:11], v[2:3], v[4:5]
	s_mov_b32 s39, 0x3c91a626
	v_add_f64 v[12:13], v[2:3], -v[10:11]
	v_add_f64 v[10:11], v[10:11], -v[14:15]
	v_add_f64 v[2:3], v[12:13], v[4:5]
	v_fma_f64 v[4:5], v[8:9], s[38:39], v[4:5]
	v_add_f64 v[2:3], v[10:11], v[2:3]
	v_add_f64 v[2:3], v[2:3], -v[4:5]
	v_fma_f64 v[4:5], v[8:9], s[36:37], v[2:3]
	v_cvt_i32_f64_e32 v8, v[8:9]
	v_add_f64 v[2:3], v[14:15], v[4:5]
	v_add_f64 v[10:11], v[2:3], -v[14:15]
	v_add_f64 v[4:5], v[4:5], -v[10:11]
.LBB28_702:
	s_or_b64 exec, exec, s[0:1]
	v_mul_f64 v[9:10], v[2:3], v[2:3]
	v_add_f64 v[11:12], v[4:5], v[4:5]
	s_mov_b32 s0, 0xc751c08c
	s_mov_b32 s1, 0x3ef5e089
	v_and_b32_e32 v8, 1, v8
	v_cmp_eq_u32_e32 vcc, 0, v8
	s_mov_b32 s38, 0x54442d18
	s_mov_b32 s39, 0xc00921fb
	v_fma_f64 v[13:14], v[2:3], v[2:3], -v[9:10]
	s_mov_b64 s[36:37], exec
	v_sub_f32_e32 v7, 1.0, v7
	v_fma_f64 v[11:12], v[2:3], v[11:12], v[13:14]
	v_add_f64 v[9:10], v[9:10], v[11:12]
	v_mov_b32_e32 v11, 0xa9a29f71
	v_mov_b32_e32 v12, 0xbf078809
	v_fma_f64 v[11:12], v[9:10], s[0:1], v[11:12]
	s_mov_b32 s0, 0x90a8aae0
	s_mov_b32 s1, 0x3f17746f
	v_fma_f64 v[11:12], v[9:10], v[11:12], s[0:1]
	s_mov_b32 s0, 0xa6fbf144
	s_mov_b32 s1, 0xbefbb44d
	;; [unrolled: 3-line block ×12, first 2 shown]
	v_fma_f64 v[11:12], v[9:10], v[11:12], s[0:1]
	s_movk_i32 s0, 0x1f8
	v_cmp_class_f64_e64 s[0:1], v[0:1], s0
	v_mul_f64 v[9:10], v[9:10], v[11:12]
	v_mul_f64 v[11:12], v[2:3], v[9:10]
	v_add_f64 v[13:14], v[2:3], v[11:12]
	v_fma_f64 v[9:10], v[2:3], v[9:10], -v[11:12]
	v_add_f64 v[2:3], v[13:14], -v[2:3]
	v_add_f64 v[4:5], v[4:5], v[9:10]
	v_add_f64 v[2:3], v[11:12], -v[2:3]
	v_add_f64 v[2:3], v[4:5], v[2:3]
	v_add_f64 v[4:5], v[13:14], v[2:3]
	v_rcp_f64_e32 v[9:10], v[4:5]
	v_fma_f64 v[11:12], -v[4:5], v[9:10], 1.0
	v_fma_f64 v[9:10], v[11:12], v[9:10], v[9:10]
	v_fma_f64 v[11:12], -v[4:5], v[9:10], 1.0
	v_fma_f64 v[9:10], v[11:12], v[9:10], v[9:10]
	v_add_f64 v[11:12], v[4:5], -v[13:14]
	v_mul_f64 v[13:14], v[4:5], v[9:10]
	v_add_f64 v[2:3], v[2:3], -v[11:12]
	v_fma_f64 v[11:12], v[9:10], v[4:5], -v[13:14]
	v_fma_f64 v[2:3], v[9:10], v[2:3], v[11:12]
	v_add_f64 v[11:12], v[13:14], v[2:3]
	v_add_f64 v[15:16], -v[11:12], 1.0
	v_add_f64 v[13:14], v[11:12], -v[13:14]
	v_add_f64 v[17:18], -v[15:16], 1.0
	v_add_f64 v[2:3], v[13:14], -v[2:3]
	v_add_f64 v[11:12], v[17:18], -v[11:12]
	v_add_f64 v[2:3], v[2:3], v[11:12]
	v_add_f64 v[2:3], v[15:16], v[2:3]
	v_mul_f64 v[2:3], v[9:10], v[2:3]
	v_add_f64 v[2:3], v[9:10], v[2:3]
	v_and_b32_e32 v9, 0x80000000, v1
	v_mov_b32_e32 v1, 0x7ff80000
	v_xor_b32_e32 v0, 0x80000000, v3
	v_cndmask_b32_e32 v2, v2, v4, vcc
	v_cndmask_b32_e32 v3, v0, v5, vcc
	v_cndmask_b32_e64 v0, 0, v2, s[0:1]
	v_xor_b32_e32 v2, v3, v9
	v_cndmask_b32_e64 v1, v1, v2, s[0:1]
	v_div_scale_f64 v[2:3], s[0:1], v[0:1], v[0:1], s[38:39]
	v_div_scale_f64 v[10:11], vcc, s[38:39], v[0:1], s[38:39]
	v_rcp_f64_e32 v[4:5], v[2:3]
	v_fma_f64 v[8:9], -v[2:3], v[4:5], 1.0
	v_fma_f64 v[4:5], v[4:5], v[8:9], v[4:5]
	v_fma_f64 v[8:9], -v[2:3], v[4:5], 1.0
	v_fma_f64 v[4:5], v[4:5], v[8:9], v[4:5]
	v_mul_f64 v[8:9], v[10:11], v[4:5]
	v_fma_f64 v[2:3], -v[2:3], v[8:9], v[10:11]
	v_div_fmas_f64 v[2:3], v[2:3], v[4:5], v[8:9]
	v_div_fixup_f64 v[0:1], v[2:3], v[0:1], s[38:39]
	v_cvt_f32_f64_e32 v0, v[0:1]
.LBB28_703:
	s_or_b64 exec, exec, s[34:35]
	s_orn2_b64 s[0:1], s[36:37], exec
.LBB28_704:
	s_or_b64 exec, exec, s[30:31]
	v_mov_b32_e32 v2, 0x7e00
	s_and_saveexec_b64 s[30:31], s[0:1]
	s_cbranch_execz .LBB28_716
; %bb.705:
	s_mov_b32 s36, 0x41200000
	v_cmp_gt_f32_e32 vcc, s36, v7
	s_and_saveexec_b64 s[0:1], vcc
	s_cbranch_execz .LBB28_709
; %bb.706:
	s_mov_b64 s[34:35], 0
.LBB28_707:                             ; =>This Inner Loop Header: Depth=1
	v_div_scale_f32 v1, s[38:39], v7, v7, 1.0
	v_div_scale_f32 v2, vcc, 1.0, v7, 1.0
	v_rcp_f32_e32 v3, v1
	v_fma_f32 v4, -v1, v3, 1.0
	v_fmac_f32_e32 v3, v4, v3
	v_mul_f32_e32 v4, v2, v3
	v_fma_f32 v5, -v1, v4, v2
	v_fmac_f32_e32 v4, v5, v3
	v_fma_f32 v1, -v1, v4, v2
	v_div_fmas_f32 v1, v1, v3, v4
	v_div_fixup_f32 v1, v1, v7, 1.0
	v_add_f32_e32 v7, 1.0, v7
	v_cmp_ngt_f32_e32 vcc, s36, v7
	s_or_b64 s[34:35], vcc, s[34:35]
	v_sub_f32_e32 v0, v0, v1
	s_andn2_b64 exec, exec, s[34:35]
	s_cbranch_execnz .LBB28_707
; %bb.708:
	s_or_b64 exec, exec, s[34:35]
.LBB28_709:
	s_or_b64 exec, exec, s[0:1]
	s_mov_b32 s0, 0x41200000
	v_cmp_neq_f32_e32 vcc, s0, v7
                                        ; implicit-def: $vgpr2
	s_and_saveexec_b64 s[0:1], vcc
	s_xor_b64 s[34:35], exec, s[0:1]
	s_cbranch_execz .LBB28_713
; %bb.710:
	v_cvt_f64_f32_e32 v[1:2], v7
	s_mov_b32 s0, 0x85d8a000
	s_mov_b32 s1, 0x43763457
	v_cmp_gt_f64_e32 vcc, s[0:1], v[1:2]
	v_mov_b32_e32 v1, 0
	s_and_saveexec_b64 s[0:1], vcc
	s_cbranch_execz .LBB28_712
; %bb.711:
	v_mul_f32_e32 v1, v7, v7
	v_div_scale_f32 v2, s[36:37], v1, v1, 1.0
	v_div_scale_f32 v3, vcc, 1.0, v1, 1.0
	v_mov_b32_e32 v9, 0x3b820821
	v_rcp_f32_e32 v4, v2
	v_fma_f32 v5, -v2, v4, 1.0
	v_fmac_f32_e32 v4, v5, v4
	v_mul_f32_e32 v5, v3, v4
	v_fma_f32 v8, -v2, v5, v3
	v_fmac_f32_e32 v5, v8, v4
	v_fma_f32 v2, -v2, v5, v3
	v_div_fmas_f32 v2, v2, v4, v5
	v_mov_b32_e32 v3, 0x3daaaaab
	v_mov_b32_e32 v4, 0xbcaccacd
	;; [unrolled: 1-line block ×4, first 2 shown]
	v_div_fixup_f32 v1, v2, v1, 1.0
	v_fma_f32 v2, 0, v1, v3
	v_fmac_f32_e32 v4, v1, v2
	v_fmac_f32_e32 v5, v1, v4
	;; [unrolled: 1-line block ×4, first 2 shown]
	v_mov_b32_e32 v2, 0xbc088889
	v_fmac_f32_e32 v2, v1, v9
	v_fmac_f32_e32 v3, v1, v2
	v_mul_f32_e32 v1, v1, v3
.LBB28_712:
	s_or_b64 exec, exec, s[0:1]
	v_div_scale_f32 v2, s[0:1], v7, v7, -0.5
	v_div_scale_f32 v3, vcc, -0.5, v7, -0.5
	s_mov_b32 s0, 0x800000
	v_cmp_gt_f32_e64 s[0:1], s0, v7
	v_cndmask_b32_e64 v5, 0, 32, s[0:1]
	s_mov_b32 s36, 0x3f317217
	v_rcp_f32_e32 v4, v2
	v_fma_f32 v8, -v2, v4, 1.0
	v_fmac_f32_e32 v4, v8, v4
	v_mul_f32_e32 v8, v3, v4
	v_fma_f32 v9, -v2, v8, v3
	v_fmac_f32_e32 v8, v9, v4
	v_fma_f32 v2, -v2, v8, v3
	v_div_fmas_f32 v2, v2, v4, v8
	v_ldexp_f32 v3, v7, v5
	v_log_f32_e32 v3, v3
	v_mul_f32_e32 v4, 0x3f317217, v3
	v_fma_f32 v4, v3, s36, -v4
	v_fmac_f32_e32 v4, 0x3377d1cf, v3
	s_mov_b32 s36, 0x7f800000
	v_fmac_f32_e32 v4, 0x3f317217, v3
	v_cmp_lt_f32_e64 vcc, |v3|, s36
	v_cndmask_b32_e32 v3, v3, v4, vcc
	v_mov_b32_e32 v4, 0x41b17218
	v_cndmask_b32_e64 v4, 0, v4, s[0:1]
	v_sub_f32_e32 v3, v3, v4
	v_div_fixup_f32 v2, v2, v7, -0.5
	v_add_f32_e32 v2, v3, v2
	v_sub_f32_e32 v1, v2, v1
	v_add_f32_e32 v0, v0, v1
	v_cvt_f16_f32_e32 v2, v0
                                        ; implicit-def: $vgpr0
.LBB28_713:
	s_andn2_saveexec_b64 s[0:1], s[34:35]
; %bb.714:
	v_add_f32_e32 v0, 0x40101cb7, v0
	v_cvt_f16_f32_e32 v2, v0
; %bb.715:
	s_or_b64 exec, exec, s[0:1]
.LBB28_716:
	s_or_b64 exec, exec, s[30:31]
                                        ; implicit-def: $vgpr7
.LBB28_717:
	s_andn2_saveexec_b64 s[0:1], s[28:29]
; %bb.718:
	v_xor_b32_e32 v0, 0x80000000, v7
	s_movk_i32 s28, 0x8000
	v_and_b32_sdwa v0, v0, s28 dst_sel:DWORD dst_unused:UNUSED_PAD src0_sel:WORD_1 src1_sel:DWORD
	v_or_b32_e32 v2, 0x7c00, v0
; %bb.719:
	s_or_b64 exec, exec, s[0:1]
	v_mul_lo_u32 v0, v6, s2
	v_mov_b32_e32 v1, s9
	s_and_b32 s36, s33, 0xff
	s_cmp_lt_i32 s36, 11
	v_ashrrev_i32_e32 v3, 31, v0
	v_add_co_u32_e32 v0, vcc, s8, v0
	v_addc_co_u32_e32 v1, vcc, v1, v3, vcc
	s_cbranch_scc1 .LBB28_727
; %bb.720:
	s_and_b32 s37, 0xffff, s36
	s_cmp_gt_i32 s37, 25
	s_cbranch_scc0 .LBB28_728
; %bb.721:
	s_cmp_gt_i32 s37, 28
	s_cbranch_scc0 .LBB28_729
; %bb.722:
	;; [unrolled: 3-line block ×4, first 2 shown]
	s_mov_b64 s[30:31], 0
	s_mov_b64 s[0:1], -1
	s_cmp_eq_u32 s37, 46
	s_mov_b64 s[28:29], 0
	s_cbranch_scc0 .LBB28_732
; %bb.725:
	v_cvt_f32_f16_e32 v3, v2
	s_movk_i32 s0, 0x7fff
	v_cmp_o_f16_e32 vcc, v2, v2
	v_mov_b32_e32 v4, 0x7fc0
	v_bfe_u32 v5, v3, 16, 1
	v_add3_u32 v3, v3, v5, s0
	v_cndmask_b32_sdwa v3, v4, v3, vcc dst_sel:DWORD dst_unused:UNUSED_PAD src0_sel:DWORD src1_sel:WORD_1
	global_store_dword v[0:1], v3, off
	s_mov_b64 s[28:29], -1
	s_mov_b64 s[0:1], 0
	s_branch .LBB28_732
.LBB28_726:
	s_mov_b64 s[30:31], 0
                                        ; implicit-def: $vgpr6
	s_mov_b64 s[0:1], s[20:21]
	s_branch .LBB28_843
.LBB28_727:
	s_mov_b64 s[30:31], -1
	s_mov_b64 s[28:29], 0
	s_mov_b64 s[0:1], s[20:21]
	s_branch .LBB28_801
.LBB28_728:
	s_mov_b64 s[30:31], -1
	s_mov_b64 s[28:29], 0
	s_mov_b64 s[0:1], s[20:21]
	s_branch .LBB28_759
.LBB28_729:
	s_mov_b64 s[30:31], -1
	s_mov_b64 s[28:29], 0
	s_mov_b64 s[0:1], s[20:21]
	s_branch .LBB28_742
.LBB28_730:
	s_mov_b64 s[30:31], -1
	s_mov_b64 s[28:29], 0
	s_mov_b64 s[0:1], s[20:21]
	s_branch .LBB28_738
.LBB28_731:
	s_mov_b64 s[30:31], -1
	s_mov_b64 s[28:29], 0
	s_mov_b64 s[0:1], s[20:21]
.LBB28_732:
	s_and_b64 vcc, exec, s[30:31]
	s_cbranch_vccz .LBB28_737
; %bb.733:
	s_cmp_eq_u32 s37, 44
	s_mov_b64 s[0:1], -1
	s_cbranch_scc0 .LBB28_737
; %bb.734:
	v_cvt_f32_f16_e32 v3, v2
	s_movk_i32 s0, 0xff
	v_mov_b32_e32 v5, 0xff
	v_bfe_u32 v4, v3, 23, 8
	v_cmp_ne_u32_e32 vcc, s0, v4
	s_and_saveexec_b64 s[28:29], vcc
; %bb.735:
	s_mov_b32 s0, 0x3fffff
	v_lshrrev_b32_e32 v5, 23, v3
	v_and_b32_e32 v7, 0x400000, v3
	v_and_or_b32 v3, v3, s0, v4
	v_cmp_ne_u32_e32 vcc, 0, v7
	v_cmp_ne_u32_e64 s[0:1], 0, v3
	s_and_b64 s[0:1], vcc, s[0:1]
	v_cndmask_b32_e64 v3, 0, 1, s[0:1]
	v_add_u32_e32 v5, v5, v3
; %bb.736:
	s_or_b64 exec, exec, s[28:29]
	s_mov_b64 s[28:29], -1
	s_mov_b64 s[0:1], 0
	global_store_byte v[0:1], v5, off
.LBB28_737:
	s_mov_b64 s[30:31], 0
.LBB28_738:
	s_and_b64 vcc, exec, s[30:31]
	s_cbranch_vccz .LBB28_741
; %bb.739:
	s_cmp_eq_u32 s37, 29
	s_mov_b64 s[0:1], -1
	s_cbranch_scc0 .LBB28_741
; %bb.740:
	v_cvt_f32_f16_e32 v3, v2
	v_mov_b32_e32 v4, 0
	s_mov_b64 s[28:29], -1
	s_mov_b64 s[0:1], 0
	v_cvt_u32_f32_e32 v3, v3
	s_mov_b64 s[30:31], 0
	global_store_dwordx2 v[0:1], v[3:4], off
	s_branch .LBB28_742
.LBB28_741:
	s_mov_b64 s[30:31], 0
.LBB28_742:
	s_and_b64 vcc, exec, s[30:31]
	s_cbranch_vccz .LBB28_758
; %bb.743:
	s_cmp_lt_i32 s37, 27
	s_mov_b64 s[28:29], -1
	s_cbranch_scc1 .LBB28_749
; %bb.744:
	s_cmp_gt_i32 s37, 27
	s_cbranch_scc0 .LBB28_746
; %bb.745:
	v_cvt_f32_f16_e32 v3, v2
	s_mov_b64 s[28:29], 0
	v_cvt_u32_f32_e32 v3, v3
	global_store_dword v[0:1], v3, off
.LBB28_746:
	s_andn2_b64 vcc, exec, s[28:29]
	s_cbranch_vccnz .LBB28_748
; %bb.747:
	v_cvt_u16_f16_e32 v3, v2
	global_store_short v[0:1], v3, off
.LBB28_748:
	s_mov_b64 s[28:29], 0
.LBB28_749:
	s_andn2_b64 vcc, exec, s[28:29]
	s_cbranch_vccnz .LBB28_757
; %bb.750:
	v_cvt_f32_f16_e32 v3, v2
	s_mov_b32 s28, 0x43800000
	v_mov_b32_e32 v5, 0x80
	v_and_b32_e32 v4, 0x7fffffff, v3
	v_cmp_gt_u32_e32 vcc, s28, v4
	s_and_saveexec_b64 s[28:29], vcc
	s_cbranch_execz .LBB28_756
; %bb.751:
	s_mov_b32 s30, 0x3bffffff
	v_cmp_lt_u32_e32 vcc, s30, v4
	s_mov_b64 s[30:31], 0
                                        ; implicit-def: $vgpr4
	s_and_saveexec_b64 s[34:35], vcc
	s_xor_b64 s[34:35], exec, s[34:35]
	s_cbranch_execz .LBB28_857
; %bb.752:
	v_bfe_u32 v4, v3, 20, 1
	s_mov_b32 s38, 0x487ffff
	v_add3_u32 v4, v3, v4, s38
	s_mov_b64 s[30:31], exec
	v_lshrrev_b32_e32 v4, 20, v4
	s_andn2_saveexec_b64 s[34:35], s[34:35]
	s_cbranch_execnz .LBB28_858
.LBB28_753:
	s_or_b64 exec, exec, s[34:35]
	v_mov_b32_e32 v5, 0
	s_and_saveexec_b64 s[34:35], s[30:31]
.LBB28_754:
	v_lshrrev_b32_e32 v3, 24, v3
	s_movk_i32 s30, 0x80
	v_and_or_b32 v5, v3, s30, v4
.LBB28_755:
	s_or_b64 exec, exec, s[34:35]
.LBB28_756:
	s_or_b64 exec, exec, s[28:29]
	global_store_byte v[0:1], v5, off
.LBB28_757:
	s_mov_b64 s[28:29], -1
.LBB28_758:
	s_mov_b64 s[30:31], 0
.LBB28_759:
	s_and_b64 vcc, exec, s[30:31]
	s_cbranch_vccz .LBB28_800
; %bb.760:
	s_cmp_gt_i32 s37, 22
	s_mov_b64 s[30:31], -1
	s_cbranch_scc0 .LBB28_792
; %bb.761:
	s_cmp_lt_i32 s37, 24
	s_mov_b64 s[28:29], -1
	s_cbranch_scc1 .LBB28_781
; %bb.762:
	s_cmp_gt_i32 s37, 24
	s_cbranch_scc0 .LBB28_770
; %bb.763:
	v_cvt_f32_f16_e32 v3, v2
	s_mov_b32 s28, 0x47800000
	v_mov_b32_e32 v5, 0x80
	v_and_b32_e32 v4, 0x7fffffff, v3
	v_cmp_gt_u32_e32 vcc, s28, v4
	s_and_saveexec_b64 s[28:29], vcc
	s_cbranch_execz .LBB28_769
; %bb.764:
	s_mov_b32 s30, 0x37ffffff
	v_cmp_lt_u32_e32 vcc, s30, v4
	s_mov_b64 s[30:31], 0
                                        ; implicit-def: $vgpr4
	s_and_saveexec_b64 s[34:35], vcc
	s_xor_b64 s[34:35], exec, s[34:35]
	s_cbranch_execz .LBB28_860
; %bb.765:
	v_bfe_u32 v4, v3, 21, 1
	s_mov_b32 s38, 0x88fffff
	v_add3_u32 v4, v3, v4, s38
	s_mov_b64 s[30:31], exec
	v_lshrrev_b32_e32 v4, 21, v4
	s_andn2_saveexec_b64 s[34:35], s[34:35]
	s_cbranch_execnz .LBB28_861
.LBB28_766:
	s_or_b64 exec, exec, s[34:35]
	v_mov_b32_e32 v5, 0
	s_and_saveexec_b64 s[34:35], s[30:31]
.LBB28_767:
	v_lshrrev_b32_e32 v3, 24, v3
	s_movk_i32 s30, 0x80
	v_and_or_b32 v5, v3, s30, v4
.LBB28_768:
	s_or_b64 exec, exec, s[34:35]
.LBB28_769:
	s_or_b64 exec, exec, s[28:29]
	s_mov_b64 s[28:29], 0
	global_store_byte v[0:1], v5, off
.LBB28_770:
	s_and_b64 vcc, exec, s[28:29]
	s_cbranch_vccz .LBB28_780
; %bb.771:
	v_cvt_f32_f16_e32 v3, v2
	s_mov_b32 s28, 0x43f00000
                                        ; implicit-def: $vgpr4
	v_and_b32_e32 v5, 0x7fffffff, v3
	v_cmp_gt_u32_e32 vcc, s28, v5
	s_and_saveexec_b64 s[28:29], vcc
	s_xor_b64 s[28:29], exec, s[28:29]
	s_cbranch_execz .LBB28_777
; %bb.772:
	s_mov_b32 s30, 0x3c7fffff
	v_cmp_lt_u32_e32 vcc, s30, v5
                                        ; implicit-def: $vgpr4
	s_and_saveexec_b64 s[30:31], vcc
	s_xor_b64 s[30:31], exec, s[30:31]
; %bb.773:
	v_bfe_u32 v4, v3, 20, 1
	s_mov_b32 s34, 0x407ffff
	v_add3_u32 v4, v3, v4, s34
	v_lshrrev_b32_e32 v5, 20, v4
	v_and_b32_e32 v4, 0xff00000, v4
	s_mov_b32 s34, 0x7f00000
	v_mov_b32_e32 v7, 0x7e
	v_cmp_ne_u32_e32 vcc, s34, v4
	v_cndmask_b32_e32 v4, v7, v5, vcc
; %bb.774:
	s_andn2_saveexec_b64 s[30:31], s[30:31]
; %bb.775:
	s_mov_b32 s34, 0x46800000
	v_add_f32_e64 v4, |v3|, s34
; %bb.776:
	s_or_b64 exec, exec, s[30:31]
                                        ; implicit-def: $vgpr5
.LBB28_777:
	s_andn2_saveexec_b64 s[28:29], s[28:29]
; %bb.778:
	s_mov_b32 s30, 0x7f800000
	v_mov_b32_e32 v4, 0x7e
	v_mov_b32_e32 v7, 0x7f
	v_cmp_lt_u32_e32 vcc, s30, v5
	v_cndmask_b32_e32 v4, v4, v7, vcc
; %bb.779:
	s_or_b64 exec, exec, s[28:29]
	v_lshrrev_b32_e32 v3, 24, v3
	s_movk_i32 s28, 0x80
	v_and_or_b32 v3, v3, s28, v4
	global_store_byte v[0:1], v3, off
.LBB28_780:
	s_mov_b64 s[28:29], 0
.LBB28_781:
	s_andn2_b64 vcc, exec, s[28:29]
	s_cbranch_vccnz .LBB28_791
; %bb.782:
	v_cvt_f32_f16_e32 v3, v2
	s_mov_b32 s28, 0x47800000
                                        ; implicit-def: $vgpr4
	v_and_b32_e32 v5, 0x7fffffff, v3
	v_cmp_gt_u32_e32 vcc, s28, v5
	s_and_saveexec_b64 s[28:29], vcc
	s_xor_b64 s[28:29], exec, s[28:29]
	s_cbranch_execz .LBB28_788
; %bb.783:
	s_mov_b32 s30, 0x387fffff
	v_cmp_lt_u32_e32 vcc, s30, v5
                                        ; implicit-def: $vgpr4
	s_and_saveexec_b64 s[30:31], vcc
	s_xor_b64 s[30:31], exec, s[30:31]
; %bb.784:
	v_bfe_u32 v4, v3, 21, 1
	s_mov_b32 s34, 0x80fffff
	v_add3_u32 v4, v3, v4, s34
	v_lshrrev_b32_e32 v4, 21, v4
; %bb.785:
	s_andn2_saveexec_b64 s[30:31], s[30:31]
; %bb.786:
	s_mov_b32 s34, 0x43000000
	v_add_f32_e64 v4, |v3|, s34
; %bb.787:
	s_or_b64 exec, exec, s[30:31]
                                        ; implicit-def: $vgpr5
.LBB28_788:
	s_andn2_saveexec_b64 s[28:29], s[28:29]
; %bb.789:
	s_mov_b32 s30, 0x7f800000
	v_mov_b32_e32 v4, 0x7c
	v_mov_b32_e32 v7, 0x7f
	v_cmp_lt_u32_e32 vcc, s30, v5
	v_cndmask_b32_e32 v4, v4, v7, vcc
; %bb.790:
	s_or_b64 exec, exec, s[28:29]
	v_lshrrev_b32_e32 v3, 24, v3
	s_movk_i32 s28, 0x80
	v_and_or_b32 v3, v3, s28, v4
	global_store_byte v[0:1], v3, off
.LBB28_791:
	s_mov_b64 s[30:31], 0
	s_mov_b64 s[28:29], -1
.LBB28_792:
	s_andn2_b64 vcc, exec, s[30:31]
	s_cbranch_vccnz .LBB28_800
; %bb.793:
	s_cmp_gt_i32 s37, 14
	s_mov_b64 s[30:31], -1
	s_cbranch_scc0 .LBB28_797
; %bb.794:
	s_cmp_eq_u32 s37, 15
	s_mov_b64 s[0:1], -1
	s_cbranch_scc0 .LBB28_796
; %bb.795:
	v_cvt_f32_f16_e32 v3, v2
	s_movk_i32 s0, 0x7fff
	v_cmp_o_f16_e32 vcc, v2, v2
	v_mov_b32_e32 v4, 0x7fc0
	v_bfe_u32 v5, v3, 16, 1
	v_add3_u32 v3, v3, v5, s0
	v_cndmask_b32_sdwa v3, v4, v3, vcc dst_sel:DWORD dst_unused:UNUSED_PAD src0_sel:DWORD src1_sel:WORD_1
	global_store_short v[0:1], v3, off
	s_mov_b64 s[28:29], -1
	s_mov_b64 s[0:1], 0
.LBB28_796:
	s_mov_b64 s[30:31], 0
.LBB28_797:
	s_and_b64 vcc, exec, s[30:31]
	s_cbranch_vccz .LBB28_800
; %bb.798:
	s_cmp_eq_u32 s37, 11
	s_mov_b64 s[0:1], -1
	s_cbranch_scc0 .LBB28_800
; %bb.799:
	v_and_b32_e32 v3, 0x7fff, v2
	v_cmp_ne_u16_e32 vcc, 0, v3
	v_cndmask_b32_e64 v3, 0, 1, vcc
	s_mov_b64 s[28:29], -1
	s_mov_b64 s[0:1], 0
	global_store_byte v[0:1], v3, off
.LBB28_800:
	s_mov_b64 s[30:31], 0
.LBB28_801:
	s_and_b64 vcc, exec, s[30:31]
	s_cbranch_vccz .LBB28_840
; %bb.802:
	s_and_b32 s30, 0xffff, s36
	s_cmp_lt_i32 s30, 5
	s_mov_b64 s[28:29], -1
	s_cbranch_scc1 .LBB28_823
; %bb.803:
	s_cmp_lt_i32 s30, 8
	s_cbranch_scc1 .LBB28_813
; %bb.804:
	s_cmp_lt_i32 s30, 9
	s_cbranch_scc1 .LBB28_810
; %bb.805:
	s_cmp_gt_i32 s30, 9
	s_cbranch_scc0 .LBB28_807
; %bb.806:
	v_cvt_f32_f16_e32 v3, v2
	v_mov_b32_e32 v9, 0
	v_mov_b32_e32 v10, v9
	s_mov_b64 s[28:29], 0
	v_cvt_f64_f32_e32 v[7:8], v3
	global_store_dwordx4 v[0:1], v[7:10], off
.LBB28_807:
	s_andn2_b64 vcc, exec, s[28:29]
	s_cbranch_vccnz .LBB28_809
; %bb.808:
	v_cvt_f32_f16_e32 v3, v2
	v_mov_b32_e32 v4, 0
	global_store_dwordx2 v[0:1], v[3:4], off
.LBB28_809:
	s_mov_b64 s[28:29], 0
.LBB28_810:
	s_andn2_b64 vcc, exec, s[28:29]
	s_cbranch_vccnz .LBB28_812
; %bb.811:
	v_and_b32_e32 v3, 0xffff, v2
	global_store_dword v[0:1], v3, off
.LBB28_812:
	s_mov_b64 s[28:29], 0
.LBB28_813:
	s_andn2_b64 vcc, exec, s[28:29]
	s_cbranch_vccnz .LBB28_822
; %bb.814:
	s_cmp_lt_i32 s30, 6
	s_mov_b64 s[28:29], -1
	s_cbranch_scc1 .LBB28_820
; %bb.815:
	s_cmp_gt_i32 s30, 6
	s_cbranch_scc0 .LBB28_817
; %bb.816:
	v_cvt_f32_f16_e32 v3, v2
	s_mov_b64 s[28:29], 0
	v_cvt_f64_f32_e32 v[3:4], v3
	global_store_dwordx2 v[0:1], v[3:4], off
.LBB28_817:
	s_andn2_b64 vcc, exec, s[28:29]
	s_cbranch_vccnz .LBB28_819
; %bb.818:
	v_cvt_f32_f16_e32 v3, v2
	global_store_dword v[0:1], v3, off
.LBB28_819:
	s_mov_b64 s[28:29], 0
.LBB28_820:
	s_andn2_b64 vcc, exec, s[28:29]
	s_cbranch_vccnz .LBB28_822
; %bb.821:
	global_store_short v[0:1], v2, off
.LBB28_822:
	s_mov_b64 s[28:29], 0
.LBB28_823:
	s_andn2_b64 vcc, exec, s[28:29]
	s_cbranch_vccnz .LBB28_839
; %bb.824:
	s_cmp_lt_i32 s30, 2
	s_mov_b64 s[28:29], -1
	s_cbranch_scc1 .LBB28_834
; %bb.825:
	s_cmp_lt_i32 s30, 3
	s_cbranch_scc1 .LBB28_831
; %bb.826:
	s_cmp_gt_i32 s30, 3
	s_cbranch_scc0 .LBB28_828
; %bb.827:
	v_cvt_f32_f16_e32 v3, v2
	s_mov_b64 s[28:29], 0
	v_cvt_i32_f32_e32 v3, v3
	v_ashrrev_i32_e32 v4, 31, v3
	global_store_dwordx2 v[0:1], v[3:4], off
.LBB28_828:
	s_andn2_b64 vcc, exec, s[28:29]
	s_cbranch_vccnz .LBB28_830
; %bb.829:
	v_cvt_f32_f16_e32 v3, v2
	v_cvt_i32_f32_e32 v3, v3
	global_store_dword v[0:1], v3, off
.LBB28_830:
	s_mov_b64 s[28:29], 0
.LBB28_831:
	s_andn2_b64 vcc, exec, s[28:29]
	s_cbranch_vccnz .LBB28_833
; %bb.832:
	v_cvt_i16_f16_e32 v3, v2
	global_store_short v[0:1], v3, off
.LBB28_833:
	s_mov_b64 s[28:29], 0
.LBB28_834:
	s_andn2_b64 vcc, exec, s[28:29]
	s_cbranch_vccnz .LBB28_839
; %bb.835:
	s_cmp_gt_i32 s30, 0
	s_mov_b64 s[28:29], -1
	s_cbranch_scc0 .LBB28_837
; %bb.836:
	v_cvt_i16_f16_e32 v3, v2
	s_mov_b64 s[28:29], 0
	global_store_byte v[0:1], v3, off
.LBB28_837:
	s_andn2_b64 vcc, exec, s[28:29]
	s_cbranch_vccnz .LBB28_839
; %bb.838:
	v_cvt_f32_f16_e32 v2, v2
	v_cvt_i32_f32_e32 v2, v2
	global_store_byte v[0:1], v2, off
.LBB28_839:
	s_mov_b64 s[28:29], -1
.LBB28_840:
	s_andn2_b64 vcc, exec, s[28:29]
	s_cbranch_vccnz .LBB28_842
; %bb.841:
	v_add_u32_e32 v6, 0x80, v6
	s_mov_b64 s[30:31], -1
	s_branch .LBB28_843
.LBB28_842:
	s_mov_b64 s[30:31], 0
                                        ; implicit-def: $vgpr6
.LBB28_843:
	s_andn2_b64 s[28:29], s[20:21], exec
	s_and_b64 s[0:1], s[0:1], exec
	s_or_b64 s[28:29], s[28:29], s[0:1]
	s_andn2_b64 s[0:1], s[18:19], exec
	s_and_b64 s[26:27], s[26:27], exec
	s_or_b64 s[0:1], s[0:1], s[26:27]
	s_orn2_b64 s[34:35], s[30:31], exec
.LBB28_844:
	s_or_b64 exec, exec, s[24:25]
	s_mov_b64 s[30:31], 0
	s_mov_b64 s[26:27], 0
	;; [unrolled: 1-line block ×3, first 2 shown]
                                        ; implicit-def: $vgpr0_vgpr1
                                        ; implicit-def: $vgpr3
	s_and_saveexec_b64 s[24:25], s[34:35]
	s_cbranch_execz .LBB28_929
; %bb.845:
	v_cmp_gt_i32_e32 vcc, s40, v6
	s_mov_b64 s[34:35], 0
	s_mov_b64 s[38:39], s[0:1]
	s_mov_b64 s[40:41], 0
                                        ; implicit-def: $vgpr0_vgpr1
                                        ; implicit-def: $vgpr3
	s_and_saveexec_b64 s[26:27], vcc
	s_cbranch_execz .LBB28_928
; %bb.846:
	v_mul_lo_u32 v0, v6, s3
	v_mov_b32_e32 v1, s11
	s_and_b32 s43, 0xffff, s42
	s_cmp_lt_i32 s43, 11
	v_ashrrev_i32_e32 v2, 31, v0
	v_add_co_u32_e32 v0, vcc, s10, v0
	v_addc_co_u32_e32 v1, vcc, v1, v2, vcc
	s_cbranch_scc1 .LBB28_853
; %bb.847:
	s_cmp_gt_i32 s43, 25
	s_cbranch_scc0 .LBB28_854
; %bb.848:
	s_cmp_gt_i32 s43, 28
	s_cbranch_scc0 .LBB28_855
	;; [unrolled: 3-line block ×4, first 2 shown]
; %bb.851:
	s_cmp_eq_u32 s43, 46
	s_mov_b64 s[38:39], 0
	s_cbranch_scc0 .LBB28_862
; %bb.852:
	global_load_dword v2, v[0:1], off
	s_mov_b64 s[36:37], -1
	s_waitcnt vmcnt(0)
	v_lshlrev_b32_e32 v2, 16, v2
	v_cvt_f16_f32_e32 v3, v2
	s_branch .LBB28_864
.LBB28_853:
	s_mov_b64 s[38:39], -1
                                        ; implicit-def: $vgpr3
	s_mov_b64 s[30:31], s[0:1]
	s_branch .LBB28_927
.LBB28_854:
	s_mov_b64 s[38:39], -1
	s_mov_b64 s[30:31], s[0:1]
                                        ; implicit-def: $vgpr3
	s_branch .LBB28_893
.LBB28_855:
	s_mov_b64 s[38:39], -1
	s_mov_b64 s[30:31], s[0:1]
                                        ; implicit-def: $vgpr3
	s_branch .LBB28_874
.LBB28_856:
	s_mov_b64 s[38:39], -1
	s_mov_b64 s[30:31], s[0:1]
                                        ; implicit-def: $vgpr3
	s_branch .LBB28_869
.LBB28_857:
	s_andn2_saveexec_b64 s[34:35], s[34:35]
	s_cbranch_execz .LBB28_753
.LBB28_858:
	s_mov_b32 s38, 0x46000000
	v_add_f32_e64 v4, |v3|, s38
	v_and_b32_e32 v4, 0xff, v4
	v_cmp_ne_u32_e32 vcc, 0, v4
	s_andn2_b64 s[30:31], s[30:31], exec
	s_and_b64 s[38:39], vcc, exec
	s_or_b64 s[30:31], s[30:31], s[38:39]
	s_or_b64 exec, exec, s[34:35]
	v_mov_b32_e32 v5, 0
	s_and_saveexec_b64 s[34:35], s[30:31]
	s_cbranch_execnz .LBB28_754
	s_branch .LBB28_755
.LBB28_859:
	s_mov_b64 s[38:39], -1
	s_mov_b64 s[30:31], s[0:1]
	s_branch .LBB28_863
.LBB28_860:
	s_andn2_saveexec_b64 s[34:35], s[34:35]
	s_cbranch_execz .LBB28_766
.LBB28_861:
	s_mov_b32 s38, 0x42800000
	v_add_f32_e64 v4, |v3|, s38
	v_and_b32_e32 v4, 0xff, v4
	v_cmp_ne_u32_e32 vcc, 0, v4
	s_andn2_b64 s[30:31], s[30:31], exec
	s_and_b64 s[38:39], vcc, exec
	s_or_b64 s[30:31], s[30:31], s[38:39]
	s_or_b64 exec, exec, s[34:35]
	v_mov_b32_e32 v5, 0
	s_and_saveexec_b64 s[34:35], s[30:31]
	s_cbranch_execnz .LBB28_767
	s_branch .LBB28_768
.LBB28_862:
	s_mov_b64 s[30:31], -1
.LBB28_863:
                                        ; implicit-def: $vgpr3
.LBB28_864:
	s_and_b64 vcc, exec, s[38:39]
	s_cbranch_vccz .LBB28_868
; %bb.865:
	s_cmp_eq_u32 s43, 44
	s_cbranch_scc0 .LBB28_867
; %bb.866:
	global_load_ubyte v2, v[0:1], off
	s_movk_i32 s36, 0xff
	v_mov_b32_e32 v4, 0x7e00
	s_mov_b64 s[30:31], 0
	s_waitcnt vmcnt(0)
	v_lshlrev_b32_e32 v3, 23, v2
	v_cvt_f16_f32_e32 v3, v3
	v_cmp_ne_u32_e32 vcc, s36, v2
	s_mov_b64 s[36:37], -1
	v_cndmask_b32_e32 v3, v4, v3, vcc
	v_cmp_ne_u32_e32 vcc, 0, v2
	v_cndmask_b32_e32 v3, 0, v3, vcc
	s_branch .LBB28_868
.LBB28_867:
	s_mov_b64 s[30:31], -1
                                        ; implicit-def: $vgpr3
.LBB28_868:
	s_mov_b64 s[38:39], 0
.LBB28_869:
	s_and_b64 vcc, exec, s[38:39]
	s_cbranch_vccz .LBB28_873
; %bb.870:
	s_cmp_eq_u32 s43, 29
	s_cbranch_scc0 .LBB28_872
; %bb.871:
	global_load_dwordx2 v[2:3], v[0:1], off
	s_mov_b64 s[30:31], 0
	s_mov_b64 s[36:37], -1
	s_mov_b64 s[38:39], 0
	s_waitcnt vmcnt(0)
	v_ffbh_u32_e32 v4, v3
	v_min_u32_e32 v4, 32, v4
	v_lshlrev_b64 v[2:3], v4, v[2:3]
	v_min_u32_e32 v2, 1, v2
	v_or_b32_e32 v2, v3, v2
	v_cvt_f32_u32_e32 v2, v2
	v_sub_u32_e32 v3, 32, v4
	v_ldexp_f32 v2, v2, v3
	v_cvt_f16_f32_e32 v3, v2
	s_branch .LBB28_874
.LBB28_872:
	s_mov_b64 s[30:31], -1
                                        ; implicit-def: $vgpr3
.LBB28_873:
	s_mov_b64 s[38:39], 0
.LBB28_874:
	s_and_b64 vcc, exec, s[38:39]
	s_cbranch_vccz .LBB28_892
; %bb.875:
	s_cmp_lt_i32 s43, 27
	s_cbranch_scc1 .LBB28_878
; %bb.876:
	s_cmp_gt_i32 s43, 27
	s_cbranch_scc0 .LBB28_879
; %bb.877:
	global_load_dword v2, v[0:1], off
	s_mov_b64 s[36:37], 0
	s_waitcnt vmcnt(0)
	v_cvt_f32_u32_e32 v2, v2
	v_cvt_f16_f32_e32 v3, v2
	s_branch .LBB28_880
.LBB28_878:
	s_mov_b64 s[36:37], -1
                                        ; implicit-def: $vgpr3
	s_branch .LBB28_883
.LBB28_879:
	s_mov_b64 s[36:37], -1
                                        ; implicit-def: $vgpr3
.LBB28_880:
	s_andn2_b64 vcc, exec, s[36:37]
	s_cbranch_vccnz .LBB28_882
; %bb.881:
	global_load_ushort v2, v[0:1], off
	s_waitcnt vmcnt(0)
	v_cvt_f16_u16_e32 v3, v2
.LBB28_882:
	s_mov_b64 s[36:37], 0
.LBB28_883:
	s_andn2_b64 vcc, exec, s[36:37]
	s_cbranch_vccnz .LBB28_891
; %bb.884:
	global_load_ubyte v2, v[0:1], off
	s_movk_i32 s36, 0x7f
	s_waitcnt vmcnt(0)
	v_cmp_lt_i16_e32 vcc, s36, v2
	s_mov_b64 s[36:37], 0
	s_and_saveexec_b64 s[38:39], vcc
	s_xor_b64 s[38:39], exec, s[38:39]
	s_cbranch_execz .LBB28_905
; %bb.885:
	s_movk_i32 s36, 0x80
	v_cmp_eq_u16_e32 vcc, s36, v2
	s_mov_b64 s[36:37], -1
	s_and_saveexec_b64 s[40:41], vcc
; %bb.886:
	s_xor_b64 s[36:37], exec, -1
; %bb.887:
	s_or_b64 exec, exec, s[40:41]
	s_and_b64 s[36:37], s[36:37], exec
	s_or_saveexec_b64 s[38:39], s[38:39]
	v_mov_b32_e32 v3, 0x7e00
	s_xor_b64 exec, exec, s[38:39]
	s_cbranch_execnz .LBB28_906
.LBB28_888:
	s_or_b64 exec, exec, s[38:39]
	s_and_saveexec_b64 s[38:39], s[36:37]
	s_cbranch_execz .LBB28_890
.LBB28_889:
	v_lshlrev_b32_e32 v3, 24, v2
	v_and_b32_e32 v2, 0xffff, v2
	v_and_b32_e32 v4, 7, v2
	v_ffbh_u32_e32 v7, v4
	v_min_u32_e32 v7, 32, v7
	v_subrev_u32_e32 v8, 28, v7
	v_bfe_u32 v5, v2, 3, 4
	v_lshlrev_b32_e32 v2, v8, v2
	v_sub_u32_e32 v7, 29, v7
	v_and_b32_e32 v2, 7, v2
	v_cmp_eq_u32_e32 vcc, 0, v5
	v_cndmask_b32_e32 v5, v5, v7, vcc
	v_cndmask_b32_e32 v2, v4, v2, vcc
	v_mov_b32_e32 v4, 0x3b800000
	v_lshlrev_b32_e32 v2, 20, v2
	v_and_b32_e32 v3, 0x80000000, v3
	v_lshl_add_u32 v4, v5, 23, v4
	v_or3_b32 v2, v3, v4, v2
	v_cvt_f16_f32_e32 v3, v2
.LBB28_890:
	s_or_b64 exec, exec, s[38:39]
.LBB28_891:
	s_mov_b64 s[36:37], -1
.LBB28_892:
	s_mov_b64 s[38:39], 0
.LBB28_893:
	s_and_b64 vcc, exec, s[38:39]
	s_cbranch_vccz .LBB28_926
; %bb.894:
	s_cmp_gt_i32 s43, 22
	s_cbranch_scc0 .LBB28_904
; %bb.895:
	s_cmp_lt_i32 s43, 24
	s_cbranch_scc1 .LBB28_907
; %bb.896:
	s_cmp_gt_i32 s43, 24
	s_cbranch_scc0 .LBB28_908
; %bb.897:
	global_load_ubyte v2, v[0:1], off
	s_movk_i32 s34, 0x7f
	s_waitcnt vmcnt(0)
	v_cmp_lt_i16_e32 vcc, s34, v2
	s_mov_b64 s[34:35], 0
	s_and_saveexec_b64 s[36:37], vcc
	s_xor_b64 s[36:37], exec, s[36:37]
	s_cbranch_execz .LBB28_920
; %bb.898:
	s_movk_i32 s34, 0x80
	v_cmp_eq_u16_e32 vcc, s34, v2
	s_mov_b64 s[34:35], -1
	s_and_saveexec_b64 s[38:39], vcc
; %bb.899:
	s_xor_b64 s[34:35], exec, -1
; %bb.900:
	s_or_b64 exec, exec, s[38:39]
	s_and_b64 s[34:35], s[34:35], exec
	s_or_saveexec_b64 s[36:37], s[36:37]
	v_mov_b32_e32 v3, 0x7e00
	s_xor_b64 exec, exec, s[36:37]
	s_cbranch_execnz .LBB28_921
.LBB28_901:
	s_or_b64 exec, exec, s[36:37]
	s_and_saveexec_b64 s[36:37], s[34:35]
	s_cbranch_execz .LBB28_903
.LBB28_902:
	v_lshlrev_b32_e32 v3, 24, v2
	v_and_b32_e32 v2, 0xffff, v2
	v_and_b32_e32 v4, 3, v2
	v_ffbh_u32_e32 v7, v4
	v_min_u32_e32 v7, 32, v7
	v_subrev_u32_e32 v8, 29, v7
	v_bfe_u32 v5, v2, 2, 5
	v_lshlrev_b32_e32 v2, v8, v2
	v_sub_u32_e32 v7, 30, v7
	v_and_b32_e32 v2, 3, v2
	v_cmp_eq_u32_e32 vcc, 0, v5
	v_cndmask_b32_e32 v5, v5, v7, vcc
	v_cndmask_b32_e32 v2, v4, v2, vcc
	v_mov_b32_e32 v4, 0x37800000
	v_lshlrev_b32_e32 v2, 21, v2
	v_and_b32_e32 v3, 0x80000000, v3
	v_lshl_add_u32 v4, v5, 23, v4
	v_or3_b32 v2, v3, v4, v2
	v_cvt_f16_f32_e32 v3, v2
.LBB28_903:
	s_or_b64 exec, exec, s[36:37]
	s_mov_b64 s[34:35], 0
	s_branch .LBB28_909
.LBB28_904:
	s_mov_b64 s[34:35], -1
                                        ; implicit-def: $vgpr3
	s_branch .LBB28_915
.LBB28_905:
	s_or_saveexec_b64 s[38:39], s[38:39]
	v_mov_b32_e32 v3, 0x7e00
	s_xor_b64 exec, exec, s[38:39]
	s_cbranch_execz .LBB28_888
.LBB28_906:
	v_cmp_ne_u16_e32 vcc, 0, v2
	s_andn2_b64 s[36:37], s[36:37], exec
	s_and_b64 s[40:41], vcc, exec
	s_or_b64 s[36:37], s[36:37], s[40:41]
	v_mov_b32_e32 v3, v2
	s_or_b64 exec, exec, s[38:39]
	s_and_saveexec_b64 s[38:39], s[36:37]
	s_cbranch_execnz .LBB28_889
	s_branch .LBB28_890
.LBB28_907:
	s_mov_b64 s[34:35], -1
                                        ; implicit-def: $vgpr3
	s_branch .LBB28_912
.LBB28_908:
	s_mov_b64 s[34:35], -1
                                        ; implicit-def: $vgpr3
.LBB28_909:
	s_and_b64 vcc, exec, s[34:35]
	s_cbranch_vccz .LBB28_911
; %bb.910:
	global_load_ubyte v2, v[0:1], off
	s_mov_b32 s34, 0x7f800000
	s_waitcnt vmcnt(0)
	v_lshlrev_b32_e32 v2, 24, v2
	v_and_b32_e32 v3, 0x7f000000, v2
	v_ffbh_u32_e32 v4, v3
	v_min_u32_e32 v4, 32, v4
	v_sub_u32_e64 v4, v4, 4 clamp
	v_lshlrev_b32_e32 v7, v4, v3
	v_lshlrev_b32_e32 v4, 23, v4
	v_lshrrev_b32_e32 v7, 4, v7
	v_add_u32_e32 v5, 0x1000000, v3
	v_sub_u32_e32 v4, v7, v4
	v_ashrrev_i32_e32 v5, 8, v5
	v_add_u32_e32 v4, 0x3c000000, v4
	v_and_or_b32 v4, v5, s34, v4
	v_cmp_ne_u32_e32 vcc, 0, v3
	v_cndmask_b32_e32 v3, 0, v4, vcc
	s_brev_b32 s34, 1
	v_and_or_b32 v2, v2, s34, v3
	v_cvt_f16_f32_e32 v3, v2
.LBB28_911:
	s_mov_b64 s[34:35], 0
.LBB28_912:
	s_andn2_b64 vcc, exec, s[34:35]
	s_cbranch_vccnz .LBB28_914
; %bb.913:
	global_load_ubyte v2, v[0:1], off
	s_movk_i32 s34, 0x7f00
	s_brev_b32 s35, 16
	s_waitcnt vmcnt(0)
	v_lshlrev_b16_e32 v3, 8, v2
	v_lshlrev_b32_e32 v2, 25, v2
	v_lshrrev_b32_e32 v4, 4, v2
	v_and_or_b32 v5, v3, s34, 0.5
	v_or_b32_e32 v4, 0x70000000, v4
	v_add_f32_e32 v5, -0.5, v5
	v_mul_f32_e32 v4, 0x7800000, v4
	v_cmp_gt_u32_e32 vcc, s35, v2
	v_bfe_i32 v3, v3, 0, 16
	v_cndmask_b32_e32 v2, v4, v5, vcc
	s_brev_b32 s34, 1
	v_and_or_b32 v2, v3, s34, v2
	v_cvt_f16_f32_e32 v3, v2
.LBB28_914:
	s_mov_b64 s[34:35], 0
	s_mov_b64 s[36:37], -1
.LBB28_915:
	s_andn2_b64 vcc, exec, s[34:35]
	s_mov_b64 s[34:35], 0
	s_cbranch_vccnz .LBB28_926
; %bb.916:
	s_cmp_gt_i32 s43, 14
	s_cbranch_scc0 .LBB28_919
; %bb.917:
	s_cmp_eq_u32 s43, 15
	s_cbranch_scc0 .LBB28_922
; %bb.918:
	global_load_ushort v2, v[0:1], off
	s_mov_b64 s[30:31], 0
	s_mov_b64 s[36:37], -1
	s_waitcnt vmcnt(0)
	v_lshlrev_b32_e32 v2, 16, v2
	v_cvt_f16_f32_e32 v3, v2
	s_branch .LBB28_923
.LBB28_919:
	s_mov_b64 s[38:39], -1
                                        ; implicit-def: $vgpr3
	s_branch .LBB28_924
.LBB28_920:
	s_or_saveexec_b64 s[36:37], s[36:37]
	v_mov_b32_e32 v3, 0x7e00
	s_xor_b64 exec, exec, s[36:37]
	s_cbranch_execz .LBB28_901
.LBB28_921:
	v_cmp_ne_u16_e32 vcc, 0, v2
	s_andn2_b64 s[34:35], s[34:35], exec
	s_and_b64 s[38:39], vcc, exec
	s_or_b64 s[34:35], s[34:35], s[38:39]
	v_mov_b32_e32 v3, v2
	s_or_b64 exec, exec, s[36:37]
	s_and_saveexec_b64 s[36:37], s[34:35]
	s_cbranch_execnz .LBB28_902
	s_branch .LBB28_903
.LBB28_922:
	s_mov_b64 s[30:31], -1
                                        ; implicit-def: $vgpr3
.LBB28_923:
	s_mov_b64 s[38:39], 0
.LBB28_924:
	s_and_b64 vcc, exec, s[38:39]
	s_cbranch_vccz .LBB28_926
; %bb.925:
	s_cmp_lg_u32 s43, 11
	s_cselect_b64 s[38:39], -1, 0
	s_andn2_b64 s[30:31], s[30:31], exec
	s_and_b64 s[38:39], s[38:39], exec
	s_mov_b64 s[34:35], -1
	s_or_b64 s[30:31], s[30:31], s[38:39]
.LBB28_926:
	s_mov_b64 s[38:39], 0
.LBB28_927:
	s_and_b64 s[40:41], s[38:39], exec
	s_andn2_b64 s[38:39], s[0:1], exec
	s_and_b64 s[30:31], s[30:31], exec
	s_and_b64 s[36:37], s[36:37], exec
	;; [unrolled: 1-line block ×3, first 2 shown]
	s_or_b64 s[38:39], s[38:39], s[30:31]
.LBB28_928:
	s_or_b64 exec, exec, s[26:27]
	s_and_b64 s[30:31], s[34:35], exec
	s_andn2_b64 s[0:1], s[0:1], exec
	s_and_b64 s[34:35], s[38:39], exec
	s_and_b64 s[36:37], s[36:37], exec
	s_and_b64 s[26:27], s[40:41], exec
	s_or_b64 s[0:1], s[0:1], s[34:35]
.LBB28_929:
	s_or_b64 exec, exec, s[24:25]
	s_andn2_b64 s[20:21], s[20:21], exec
	s_and_b64 s[24:25], s[28:29], exec
	s_andn2_b64 s[18:19], s[18:19], exec
	s_and_b64 s[0:1], s[0:1], exec
	s_or_b64 s[20:21], s[20:21], s[24:25]
	s_and_b64 s[28:29], s[36:37], exec
	s_and_b64 s[26:27], s[26:27], exec
	;; [unrolled: 1-line block ×3, first 2 shown]
	s_or_b64 s[18:19], s[18:19], s[0:1]
.LBB28_930:
	s_or_b64 exec, exec, s[22:23]
	s_andn2_b64 s[0:1], s[6:7], exec
	s_and_b64 s[6:7], s[20:21], exec
	s_andn2_b64 s[14:15], s[14:15], exec
	s_and_b64 s[18:19], s[18:19], exec
	s_or_b64 s[6:7], s[0:1], s[6:7]
	s_and_b64 s[0:1], s[28:29], exec
	s_and_b64 s[22:23], s[26:27], exec
	;; [unrolled: 1-line block ×3, first 2 shown]
	s_or_b64 s[14:15], s[14:15], s[18:19]
	s_or_b64 exec, exec, s[16:17]
	s_mov_b64 s[16:17], 0
	s_and_saveexec_b64 s[18:19], s[14:15]
	s_cbranch_execz .LBB28_286
.LBB28_931:
	s_mov_b64 s[16:17], exec
	s_andn2_b64 s[20:21], s[20:21], exec
	s_trap 2
	s_or_b64 exec, exec, s[18:19]
	s_and_saveexec_b64 s[14:15], s[20:21]
	s_xor_b64 s[14:15], exec, s[14:15]
	s_cbranch_execnz .LBB28_287
.LBB28_932:
	s_or_b64 exec, exec, s[14:15]
	s_and_saveexec_b64 s[14:15], s[22:23]
	s_cbranch_execz .LBB28_978
.LBB28_933:
	s_sext_i32_i16 s18, s42
	s_cmp_lt_i32 s18, 5
	s_cbranch_scc1 .LBB28_938
; %bb.934:
	s_cmp_lt_i32 s18, 8
	s_cbranch_scc1 .LBB28_939
; %bb.935:
	;; [unrolled: 3-line block ×3, first 2 shown]
	s_cmp_gt_i32 s18, 9
	s_cbranch_scc0 .LBB28_941
; %bb.937:
	global_load_dwordx2 v[2:3], v[0:1], off
	s_movk_i32 s18, 0x1ff
	s_movk_i32 s19, 0xffe
	v_mov_b32_e32 v4, 0x7c00
	v_mov_b32_e32 v5, 0x7e00
	s_movk_i32 s20, 0x40f
	s_mov_b32 s21, 0x8000
	s_waitcnt vmcnt(0)
	v_and_or_b32 v2, v3, s18, v2
	v_cmp_ne_u32_e32 vcc, 0, v2
	v_lshrrev_b32_e32 v7, 8, v3
	v_bfe_u32 v8, v3, 20, 11
	v_cndmask_b32_e64 v2, 0, 1, vcc
	v_sub_u32_e32 v9, 0x3f1, v8
	v_and_or_b32 v2, v7, s19, v2
	v_add_u32_e32 v8, 0xfffffc10, v8
	v_med3_i32 v7, v9, 0, 13
	v_or_b32_e32 v9, 0x1000, v2
	v_cmp_ne_u32_e32 vcc, 0, v2
	v_lshl_or_b32 v10, v8, 12, v2
	v_cndmask_b32_e32 v2, v4, v5, vcc
	v_lshrrev_b32_e32 v5, v7, v9
	v_lshlrev_b32_e32 v7, v7, v5
	v_cmp_ne_u32_e32 vcc, v7, v9
	v_cndmask_b32_e64 v7, 0, 1, vcc
	v_or_b32_e32 v5, v5, v7
	v_cmp_gt_i32_e32 vcc, 1, v8
	v_cndmask_b32_e32 v5, v10, v5, vcc
	v_and_b32_e32 v7, 7, v5
	v_cmp_lt_i32_e32 vcc, 5, v7
	v_cndmask_b32_e64 v9, 0, 1, vcc
	v_cmp_eq_u32_e32 vcc, 3, v7
	v_cndmask_b32_e64 v7, 0, 1, vcc
	v_lshrrev_b32_e32 v5, 2, v5
	v_or_b32_e32 v7, v7, v9
	v_add_u32_e32 v5, v5, v7
	v_cmp_gt_i32_e32 vcc, 31, v8
	v_cndmask_b32_e32 v4, v4, v5, vcc
	v_cmp_eq_u32_e32 vcc, s20, v8
	v_lshrrev_b32_e32 v3, 16, v3
	v_cndmask_b32_e32 v2, v4, v2, vcc
	v_and_or_b32 v3, v3, s21, v2
	s_mov_b64 s[18:19], 0
	s_branch .LBB28_942
.LBB28_938:
                                        ; implicit-def: $vgpr3
	s_branch .LBB28_959
.LBB28_939:
                                        ; implicit-def: $vgpr3
	s_branch .LBB28_948
.LBB28_940:
	s_mov_b64 s[18:19], -1
                                        ; implicit-def: $vgpr3
	s_branch .LBB28_945
.LBB28_941:
	s_mov_b64 s[18:19], -1
                                        ; implicit-def: $vgpr3
.LBB28_942:
	s_andn2_b64 vcc, exec, s[18:19]
	s_cbranch_vccnz .LBB28_944
; %bb.943:
	global_load_dword v2, v[0:1], off
	s_waitcnt vmcnt(0)
	v_cvt_f16_f32_e32 v3, v2
.LBB28_944:
	s_mov_b64 s[18:19], 0
.LBB28_945:
	s_andn2_b64 vcc, exec, s[18:19]
	s_cbranch_vccnz .LBB28_947
; %bb.946:
	global_load_dword v3, v[0:1], off
.LBB28_947:
	s_cbranch_execnz .LBB28_958
.LBB28_948:
	s_sext_i32_i16 s18, s42
	s_cmp_lt_i32 s18, 6
	s_cbranch_scc1 .LBB28_951
; %bb.949:
	s_cmp_gt_i32 s18, 6
	s_cbranch_scc0 .LBB28_952
; %bb.950:
	global_load_dwordx2 v[2:3], v[0:1], off
	s_movk_i32 s18, 0x1ff
	s_movk_i32 s19, 0xffe
	v_mov_b32_e32 v4, 0x7c00
	v_mov_b32_e32 v5, 0x7e00
	s_movk_i32 s20, 0x40f
	s_mov_b32 s21, 0x8000
	s_waitcnt vmcnt(0)
	v_and_or_b32 v2, v3, s18, v2
	v_cmp_ne_u32_e32 vcc, 0, v2
	v_lshrrev_b32_e32 v7, 8, v3
	v_bfe_u32 v8, v3, 20, 11
	v_cndmask_b32_e64 v2, 0, 1, vcc
	v_sub_u32_e32 v9, 0x3f1, v8
	v_and_or_b32 v2, v7, s19, v2
	v_add_u32_e32 v8, 0xfffffc10, v8
	v_med3_i32 v7, v9, 0, 13
	v_or_b32_e32 v9, 0x1000, v2
	v_cmp_ne_u32_e32 vcc, 0, v2
	v_lshl_or_b32 v10, v8, 12, v2
	v_cndmask_b32_e32 v2, v4, v5, vcc
	v_lshrrev_b32_e32 v5, v7, v9
	v_lshlrev_b32_e32 v7, v7, v5
	v_cmp_ne_u32_e32 vcc, v7, v9
	v_cndmask_b32_e64 v7, 0, 1, vcc
	v_or_b32_e32 v5, v5, v7
	v_cmp_gt_i32_e32 vcc, 1, v8
	v_cndmask_b32_e32 v5, v10, v5, vcc
	v_and_b32_e32 v7, 7, v5
	v_cmp_lt_i32_e32 vcc, 5, v7
	v_cndmask_b32_e64 v9, 0, 1, vcc
	v_cmp_eq_u32_e32 vcc, 3, v7
	v_cndmask_b32_e64 v7, 0, 1, vcc
	v_lshrrev_b32_e32 v5, 2, v5
	v_or_b32_e32 v7, v7, v9
	v_add_u32_e32 v5, v5, v7
	v_cmp_gt_i32_e32 vcc, 31, v8
	v_cndmask_b32_e32 v4, v4, v5, vcc
	v_cmp_eq_u32_e32 vcc, s20, v8
	v_lshrrev_b32_e32 v3, 16, v3
	v_cndmask_b32_e32 v2, v4, v2, vcc
	v_and_or_b32 v3, v3, s21, v2
	s_mov_b64 s[18:19], 0
	s_branch .LBB28_953
.LBB28_951:
	s_mov_b64 s[18:19], -1
                                        ; implicit-def: $vgpr3
	s_branch .LBB28_956
.LBB28_952:
	s_mov_b64 s[18:19], -1
                                        ; implicit-def: $vgpr3
.LBB28_953:
	s_andn2_b64 vcc, exec, s[18:19]
	s_cbranch_vccnz .LBB28_955
; %bb.954:
	global_load_dword v2, v[0:1], off
	s_waitcnt vmcnt(0)
	v_cvt_f16_f32_e32 v3, v2
.LBB28_955:
	s_mov_b64 s[18:19], 0
.LBB28_956:
	s_andn2_b64 vcc, exec, s[18:19]
	s_cbranch_vccnz .LBB28_958
; %bb.957:
	global_load_ushort v3, v[0:1], off
.LBB28_958:
	s_cbranch_execnz .LBB28_977
.LBB28_959:
	s_sext_i32_i16 s18, s42
	s_cmp_lt_i32 s18, 2
	s_cbranch_scc1 .LBB28_963
; %bb.960:
	s_cmp_lt_i32 s18, 3
	s_cbranch_scc1 .LBB28_964
; %bb.961:
	s_cmp_gt_i32 s18, 3
	s_cbranch_scc0 .LBB28_965
; %bb.962:
	global_load_dwordx2 v[2:3], v[0:1], off
	s_mov_b64 s[18:19], 0
	s_waitcnt vmcnt(0)
	v_xor_b32_e32 v5, v2, v3
	v_ffbh_i32_e32 v4, v3
	v_ashrrev_i32_e32 v5, 31, v5
	v_add_u32_e32 v4, -1, v4
	v_add_u32_e32 v5, 32, v5
	v_min_u32_e32 v4, v4, v5
	v_lshlrev_b64 v[2:3], v4, v[2:3]
	v_min_u32_e32 v2, 1, v2
	v_or_b32_e32 v2, v3, v2
	v_cvt_f32_i32_e32 v2, v2
	v_sub_u32_e32 v3, 32, v4
	v_ldexp_f32 v2, v2, v3
	v_cvt_f16_f32_e32 v3, v2
	s_branch .LBB28_966
.LBB28_963:
                                        ; implicit-def: $vgpr3
	s_branch .LBB28_972
.LBB28_964:
	s_mov_b64 s[18:19], -1
                                        ; implicit-def: $vgpr3
	s_branch .LBB28_969
.LBB28_965:
	s_mov_b64 s[18:19], -1
                                        ; implicit-def: $vgpr3
.LBB28_966:
	s_andn2_b64 vcc, exec, s[18:19]
	s_cbranch_vccnz .LBB28_968
; %bb.967:
	global_load_dword v2, v[0:1], off
	s_waitcnt vmcnt(0)
	v_cvt_f32_i32_e32 v2, v2
	v_cvt_f16_f32_e32 v3, v2
.LBB28_968:
	s_mov_b64 s[18:19], 0
.LBB28_969:
	s_andn2_b64 vcc, exec, s[18:19]
	s_cbranch_vccnz .LBB28_971
; %bb.970:
	global_load_ushort v2, v[0:1], off
	s_waitcnt vmcnt(0)
	v_cvt_f16_i16_e32 v3, v2
.LBB28_971:
	s_cbranch_execnz .LBB28_977
.LBB28_972:
	s_sext_i32_i16 s18, s42
	s_cmp_gt_i32 s18, 0
	s_cbranch_scc0 .LBB28_974
; %bb.973:
	global_load_sbyte v2, v[0:1], off
	s_mov_b64 s[18:19], 0
	s_waitcnt vmcnt(0)
	v_cvt_f16_i16_e32 v3, v2
	s_branch .LBB28_975
.LBB28_974:
	s_mov_b64 s[18:19], -1
                                        ; implicit-def: $vgpr3
.LBB28_975:
	s_andn2_b64 vcc, exec, s[18:19]
	s_cbranch_vccnz .LBB28_977
; %bb.976:
	global_load_ubyte v0, v[0:1], off
	s_waitcnt vmcnt(0)
	v_cvt_f16_u16_e32 v3, v0
.LBB28_977:
	s_or_b64 s[0:1], s[0:1], exec
.LBB28_978:
	s_or_b64 exec, exec, s[14:15]
	s_mov_b64 s[20:21], 0
	s_mov_b64 s[18:19], 0
                                        ; implicit-def: $sgpr26
                                        ; implicit-def: $vgpr0_vgpr1
                                        ; implicit-def: $vgpr2
	s_and_saveexec_b64 s[14:15], s[0:1]
	s_cbranch_execz .LBB28_1020
; %bb.979:
	s_waitcnt vmcnt(0)
	v_cvt_f32_f16_e32 v7, v3
	v_cmp_neq_f16_e32 vcc, 0, v3
                                        ; implicit-def: $vgpr2
	s_and_saveexec_b64 s[0:1], vcc
	s_xor_b64 s[18:19], exec, s[0:1]
	s_cbranch_execz .LBB28_1001
; %bb.980:
	v_cmp_gt_f16_e32 vcc, 0, v3
	s_mov_b64 s[0:1], -1
	v_mov_b32_e32 v0, 0
	s_and_saveexec_b64 s[20:21], vcc
	s_cbranch_execz .LBB28_988
; %bb.981:
	v_trunc_f32_e32 v0, v7
	v_cmp_neq_f32_e32 vcc, v0, v7
	s_mov_b64 s[24:25], 0
	v_mov_b32_e32 v0, 0
	s_and_saveexec_b64 s[22:23], vcc
	s_cbranch_execz .LBB28_987
; %bb.982:
	v_cvt_f32_f16_e32 v0, v3
	s_mov_b32 s26, 0
	s_mov_b32 s1, 0xc00921fb
	;; [unrolled: 1-line block ×3, first 2 shown]
	v_cvt_f64_f32_e32 v[0:1], v0
	s_mov_b32 s27, 0x7ff00000
	v_bfrev_b32_e32 v4, 1
	s_mov_b32 s24, 0
	v_trunc_f64_e32 v[2:3], v[0:1]
	v_cmp_neq_f64_e64 vcc, |v[0:1]|, s[26:27]
	s_mov_b32 s25, 0x41d00000
                                        ; implicit-def: $vgpr8
	v_add_f64 v[2:3], v[0:1], -v[2:3]
	v_mul_f64 v[2:3], |v[2:3]|, s[0:1]
	v_cndmask_b32_e32 v1, v4, v3, vcc
	v_cndmask_b32_e32 v0, 0, v2, vcc
	v_cmp_nlt_f64_e64 s[24:25], |v[0:1]|, s[24:25]
                                        ; implicit-def: $vgpr2_vgpr3
                                        ; implicit-def: $vgpr4_vgpr5
	s_and_saveexec_b64 s[28:29], s[24:25]
	s_xor_b64 s[24:25], exec, s[28:29]
	s_cbranch_execz .LBB28_984
; %bb.983:
	v_trig_preop_f64 v[4:5], |v[0:1]|, 0
	s_mov_b32 s28, 0
	s_mov_b32 s29, 0x7b000000
	s_movk_i32 s1, 0xff80
	v_ldexp_f64 v[2:3], |v[0:1]|, s1
	v_cmp_ge_f64_e64 vcc, |v[0:1]|, s[28:29]
	v_trig_preop_f64 v[8:9], |v[0:1]|, 1
	v_and_b32_e32 v10, 0x7fffffff, v1
	v_trig_preop_f64 v[16:17], |v[0:1]|, 2
	v_mov_b32_e32 v28, 0x40100000
	s_mov_b32 s1, 0x3ff921fb
	v_cndmask_b32_e32 v3, v10, v3, vcc
	v_cndmask_b32_e32 v2, v0, v2, vcc
	v_mul_f64 v[10:11], v[4:5], v[2:3]
	v_mul_f64 v[12:13], v[8:9], v[2:3]
	;; [unrolled: 1-line block ×3, first 2 shown]
	v_fma_f64 v[4:5], v[4:5], v[2:3], -v[10:11]
	v_fma_f64 v[8:9], v[8:9], v[2:3], -v[12:13]
	;; [unrolled: 1-line block ×3, first 2 shown]
	v_add_f64 v[14:15], v[12:13], v[4:5]
	v_add_f64 v[18:19], v[14:15], -v[12:13]
	v_add_f64 v[24:25], v[10:11], v[14:15]
	v_add_f64 v[20:21], v[14:15], -v[18:19]
	v_add_f64 v[4:5], v[4:5], -v[18:19]
	v_add_f64 v[18:19], v[22:23], v[8:9]
	v_add_f64 v[10:11], v[24:25], -v[10:11]
	v_add_f64 v[12:13], v[12:13], -v[20:21]
	v_ldexp_f64 v[20:21], v[24:25], -2
	v_add_f64 v[10:11], v[14:15], -v[10:11]
	v_add_f64 v[4:5], v[4:5], v[12:13]
	v_fract_f64_e32 v[12:13], v[20:21]
	v_cmp_neq_f64_e64 vcc, |v[20:21]|, s[26:27]
	s_mov_b32 s26, 0x33145c07
	s_mov_b32 s27, 0x3c91a626
	v_add_f64 v[14:15], v[18:19], v[4:5]
	v_ldexp_f64 v[12:13], v[12:13], 2
	v_add_f64 v[20:21], v[10:11], v[14:15]
	v_cndmask_b32_e32 v13, 0, v13, vcc
	v_cndmask_b32_e32 v12, 0, v12, vcc
	v_add_f64 v[26:27], v[14:15], -v[18:19]
	v_add_f64 v[24:25], v[20:21], v[12:13]
	v_add_f64 v[10:11], v[20:21], -v[10:11]
	v_add_f64 v[4:5], v[4:5], -v[26:27]
	;; [unrolled: 1-line block ×3, first 2 shown]
	v_cmp_gt_f64_e32 vcc, 0, v[24:25]
	v_add_f64 v[24:25], v[18:19], -v[22:23]
	v_add_f64 v[10:11], v[14:15], -v[10:11]
	v_cndmask_b32_e32 v29, 0, v28, vcc
	v_mov_b32_e32 v28, 0
	v_add_f64 v[12:13], v[12:13], v[28:29]
	v_add_f64 v[8:9], v[8:9], -v[24:25]
	v_add_f64 v[24:25], v[18:19], -v[24:25]
	;; [unrolled: 1-line block ×3, first 2 shown]
	v_add_f64 v[26:27], v[20:21], v[12:13]
	v_add_f64 v[24:25], v[22:23], -v[24:25]
	v_add_f64 v[4:5], v[4:5], v[18:19]
	v_cvt_i32_f64_e32 v26, v[26:27]
	v_add_f64 v[8:9], v[8:9], v[24:25]
	v_cvt_f64_i32_e32 v[24:25], v26
	v_add_f64 v[12:13], v[12:13], -v[24:25]
	v_add_f64 v[4:5], v[8:9], v[4:5]
	v_add_f64 v[8:9], v[20:21], v[12:13]
	;; [unrolled: 1-line block ×3, first 2 shown]
	v_add_f64 v[4:5], v[8:9], -v[12:13]
	v_cmp_le_f64_e32 vcc, 0.5, v[8:9]
	v_add_f64 v[2:3], v[10:11], v[2:3]
	v_mov_b32_e32 v10, 0x3ff00000
	v_add_f64 v[4:5], v[20:21], -v[4:5]
	v_cndmask_b32_e32 v29, 0, v10, vcc
	v_add_f64 v[2:3], v[2:3], v[4:5]
	v_add_f64 v[4:5], v[8:9], -v[28:29]
	v_add_f64 v[8:9], v[4:5], v[2:3]
	v_mul_f64 v[10:11], v[8:9], s[0:1]
	v_add_f64 v[4:5], v[8:9], -v[4:5]
	v_fma_f64 v[12:13], v[8:9], s[0:1], -v[10:11]
	v_add_f64 v[2:3], v[2:3], -v[4:5]
	v_fma_f64 v[4:5], v[8:9], s[26:27], v[12:13]
	v_fma_f64 v[4:5], v[2:3], s[0:1], v[4:5]
	v_add_f64 v[2:3], v[10:11], v[4:5]
	v_add_f64 v[8:9], v[2:3], -v[10:11]
	v_add_f64 v[4:5], v[4:5], -v[8:9]
	v_addc_co_u32_e32 v8, vcc, 0, v26, vcc
.LBB28_984:
	s_andn2_saveexec_b64 s[0:1], s[24:25]
	s_cbranch_execz .LBB28_986
; %bb.985:
	s_mov_b32 s24, 0x6dc9c883
	s_mov_b32 s25, 0x3fe45f30
	v_mul_f64 v[2:3], |v[0:1]|, s[24:25]
	s_mov_b32 s24, 0x54442d18
	s_mov_b32 s25, 0xbff921fb
	s_mov_b32 s27, 0xbc91a626
	s_mov_b32 s26, 0x33145c00
	v_rndne_f64_e32 v[8:9], v[2:3]
	v_fma_f64 v[2:3], v[8:9], s[24:25], |v[0:1]|
	v_mul_f64 v[4:5], v[8:9], s[26:27]
	s_mov_b32 s24, 0x252049c0
	s_mov_b32 s25, 0xb97b839a
	v_fma_f64 v[14:15], v[8:9], s[26:27], v[2:3]
	v_add_f64 v[10:11], v[2:3], v[4:5]
	s_mov_b32 s27, 0x3c91a626
	v_add_f64 v[12:13], v[2:3], -v[10:11]
	v_add_f64 v[10:11], v[10:11], -v[14:15]
	v_add_f64 v[2:3], v[12:13], v[4:5]
	v_fma_f64 v[4:5], v[8:9], s[26:27], v[4:5]
	v_add_f64 v[2:3], v[10:11], v[2:3]
	v_add_f64 v[2:3], v[2:3], -v[4:5]
	v_fma_f64 v[4:5], v[8:9], s[24:25], v[2:3]
	v_cvt_i32_f64_e32 v8, v[8:9]
	v_add_f64 v[2:3], v[14:15], v[4:5]
	v_add_f64 v[10:11], v[2:3], -v[14:15]
	v_add_f64 v[4:5], v[4:5], -v[10:11]
.LBB28_986:
	s_or_b64 exec, exec, s[0:1]
	v_mul_f64 v[9:10], v[2:3], v[2:3]
	v_add_f64 v[11:12], v[4:5], v[4:5]
	s_mov_b32 s0, 0xc751c08c
	s_mov_b32 s1, 0x3ef5e089
	v_and_b32_e32 v8, 1, v8
	v_cmp_eq_u32_e32 vcc, 0, v8
	s_mov_b32 s26, 0x54442d18
	s_mov_b32 s27, 0xc00921fb
	v_fma_f64 v[13:14], v[2:3], v[2:3], -v[9:10]
	s_mov_b64 s[24:25], exec
	v_sub_f32_e32 v7, 1.0, v7
	v_fma_f64 v[11:12], v[2:3], v[11:12], v[13:14]
	v_add_f64 v[9:10], v[9:10], v[11:12]
	v_mov_b32_e32 v11, 0xa9a29f71
	v_mov_b32_e32 v12, 0xbf078809
	v_fma_f64 v[11:12], v[9:10], s[0:1], v[11:12]
	s_mov_b32 s0, 0x90a8aae0
	s_mov_b32 s1, 0x3f17746f
	v_fma_f64 v[11:12], v[9:10], v[11:12], s[0:1]
	s_mov_b32 s0, 0xa6fbf144
	s_mov_b32 s1, 0xbefbb44d
	;; [unrolled: 3-line block ×12, first 2 shown]
	v_fma_f64 v[11:12], v[9:10], v[11:12], s[0:1]
	s_movk_i32 s0, 0x1f8
	v_cmp_class_f64_e64 s[0:1], v[0:1], s0
	v_mul_f64 v[9:10], v[9:10], v[11:12]
	v_mul_f64 v[11:12], v[2:3], v[9:10]
	v_add_f64 v[13:14], v[2:3], v[11:12]
	v_fma_f64 v[9:10], v[2:3], v[9:10], -v[11:12]
	v_add_f64 v[2:3], v[13:14], -v[2:3]
	v_add_f64 v[4:5], v[4:5], v[9:10]
	v_add_f64 v[2:3], v[11:12], -v[2:3]
	v_add_f64 v[2:3], v[4:5], v[2:3]
	v_add_f64 v[4:5], v[13:14], v[2:3]
	v_rcp_f64_e32 v[9:10], v[4:5]
	v_fma_f64 v[11:12], -v[4:5], v[9:10], 1.0
	v_fma_f64 v[9:10], v[11:12], v[9:10], v[9:10]
	v_fma_f64 v[11:12], -v[4:5], v[9:10], 1.0
	v_fma_f64 v[9:10], v[11:12], v[9:10], v[9:10]
	v_add_f64 v[11:12], v[4:5], -v[13:14]
	v_mul_f64 v[13:14], v[4:5], v[9:10]
	v_add_f64 v[2:3], v[2:3], -v[11:12]
	v_fma_f64 v[11:12], v[9:10], v[4:5], -v[13:14]
	v_fma_f64 v[2:3], v[9:10], v[2:3], v[11:12]
	v_add_f64 v[11:12], v[13:14], v[2:3]
	v_add_f64 v[15:16], -v[11:12], 1.0
	v_add_f64 v[13:14], v[11:12], -v[13:14]
	v_add_f64 v[17:18], -v[15:16], 1.0
	v_add_f64 v[2:3], v[13:14], -v[2:3]
	v_add_f64 v[11:12], v[17:18], -v[11:12]
	v_add_f64 v[2:3], v[2:3], v[11:12]
	v_add_f64 v[2:3], v[15:16], v[2:3]
	v_mul_f64 v[2:3], v[9:10], v[2:3]
	v_add_f64 v[2:3], v[9:10], v[2:3]
	v_and_b32_e32 v9, 0x80000000, v1
	v_mov_b32_e32 v1, 0x7ff80000
	v_xor_b32_e32 v0, 0x80000000, v3
	v_cndmask_b32_e32 v2, v2, v4, vcc
	v_cndmask_b32_e32 v3, v0, v5, vcc
	v_cndmask_b32_e64 v0, 0, v2, s[0:1]
	v_xor_b32_e32 v2, v3, v9
	v_cndmask_b32_e64 v1, v1, v2, s[0:1]
	v_div_scale_f64 v[2:3], s[0:1], v[0:1], v[0:1], s[26:27]
	v_div_scale_f64 v[10:11], vcc, s[26:27], v[0:1], s[26:27]
	v_rcp_f64_e32 v[4:5], v[2:3]
	v_fma_f64 v[8:9], -v[2:3], v[4:5], 1.0
	v_fma_f64 v[4:5], v[4:5], v[8:9], v[4:5]
	v_fma_f64 v[8:9], -v[2:3], v[4:5], 1.0
	v_fma_f64 v[4:5], v[4:5], v[8:9], v[4:5]
	v_mul_f64 v[8:9], v[10:11], v[4:5]
	v_fma_f64 v[2:3], -v[2:3], v[8:9], v[10:11]
	v_div_fmas_f64 v[2:3], v[2:3], v[4:5], v[8:9]
	v_div_fixup_f64 v[0:1], v[2:3], v[0:1], s[26:27]
	v_cvt_f32_f64_e32 v0, v[0:1]
.LBB28_987:
	s_or_b64 exec, exec, s[22:23]
	s_orn2_b64 s[0:1], s[24:25], exec
.LBB28_988:
	s_or_b64 exec, exec, s[20:21]
	v_mov_b32_e32 v2, 0x7e00
	s_and_saveexec_b64 s[20:21], s[0:1]
	s_cbranch_execz .LBB28_1000
; %bb.989:
	s_mov_b32 s24, 0x41200000
	v_cmp_gt_f32_e32 vcc, s24, v7
	s_and_saveexec_b64 s[0:1], vcc
	s_cbranch_execz .LBB28_993
; %bb.990:
	s_mov_b64 s[22:23], 0
.LBB28_991:                             ; =>This Inner Loop Header: Depth=1
	v_div_scale_f32 v1, s[26:27], v7, v7, 1.0
	v_div_scale_f32 v2, vcc, 1.0, v7, 1.0
	v_rcp_f32_e32 v3, v1
	v_fma_f32 v4, -v1, v3, 1.0
	v_fmac_f32_e32 v3, v4, v3
	v_mul_f32_e32 v4, v2, v3
	v_fma_f32 v5, -v1, v4, v2
	v_fmac_f32_e32 v4, v5, v3
	v_fma_f32 v1, -v1, v4, v2
	v_div_fmas_f32 v1, v1, v3, v4
	v_div_fixup_f32 v1, v1, v7, 1.0
	v_add_f32_e32 v7, 1.0, v7
	v_cmp_ngt_f32_e32 vcc, s24, v7
	s_or_b64 s[22:23], vcc, s[22:23]
	v_sub_f32_e32 v0, v0, v1
	s_andn2_b64 exec, exec, s[22:23]
	s_cbranch_execnz .LBB28_991
; %bb.992:
	s_or_b64 exec, exec, s[22:23]
.LBB28_993:
	s_or_b64 exec, exec, s[0:1]
	s_mov_b32 s0, 0x41200000
	v_cmp_neq_f32_e32 vcc, s0, v7
                                        ; implicit-def: $vgpr2
	s_and_saveexec_b64 s[0:1], vcc
	s_xor_b64 s[22:23], exec, s[0:1]
	s_cbranch_execz .LBB28_997
; %bb.994:
	v_cvt_f64_f32_e32 v[1:2], v7
	s_mov_b32 s0, 0x85d8a000
	s_mov_b32 s1, 0x43763457
	v_cmp_gt_f64_e32 vcc, s[0:1], v[1:2]
	v_mov_b32_e32 v1, 0
	s_and_saveexec_b64 s[0:1], vcc
	s_cbranch_execz .LBB28_996
; %bb.995:
	v_mul_f32_e32 v1, v7, v7
	v_div_scale_f32 v2, s[24:25], v1, v1, 1.0
	v_div_scale_f32 v3, vcc, 1.0, v1, 1.0
	v_mov_b32_e32 v9, 0x3b820821
	v_rcp_f32_e32 v4, v2
	v_fma_f32 v5, -v2, v4, 1.0
	v_fmac_f32_e32 v4, v5, v4
	v_mul_f32_e32 v5, v3, v4
	v_fma_f32 v8, -v2, v5, v3
	v_fmac_f32_e32 v5, v8, v4
	v_fma_f32 v2, -v2, v5, v3
	v_div_fmas_f32 v2, v2, v4, v5
	v_mov_b32_e32 v3, 0x3daaaaab
	v_mov_b32_e32 v4, 0xbcaccacd
	;; [unrolled: 1-line block ×4, first 2 shown]
	v_div_fixup_f32 v1, v2, v1, 1.0
	v_fma_f32 v2, 0, v1, v3
	v_fmac_f32_e32 v4, v1, v2
	v_fmac_f32_e32 v5, v1, v4
	;; [unrolled: 1-line block ×4, first 2 shown]
	v_mov_b32_e32 v2, 0xbc088889
	v_fmac_f32_e32 v2, v1, v9
	v_fmac_f32_e32 v3, v1, v2
	v_mul_f32_e32 v1, v1, v3
.LBB28_996:
	s_or_b64 exec, exec, s[0:1]
	v_div_scale_f32 v2, s[0:1], v7, v7, -0.5
	v_div_scale_f32 v3, vcc, -0.5, v7, -0.5
	s_mov_b32 s0, 0x800000
	v_cmp_gt_f32_e64 s[0:1], s0, v7
	v_cndmask_b32_e64 v5, 0, 32, s[0:1]
	s_mov_b32 s24, 0x3f317217
	v_rcp_f32_e32 v4, v2
	v_fma_f32 v8, -v2, v4, 1.0
	v_fmac_f32_e32 v4, v8, v4
	v_mul_f32_e32 v8, v3, v4
	v_fma_f32 v9, -v2, v8, v3
	v_fmac_f32_e32 v8, v9, v4
	v_fma_f32 v2, -v2, v8, v3
	v_div_fmas_f32 v2, v2, v4, v8
	v_ldexp_f32 v3, v7, v5
	v_log_f32_e32 v3, v3
	v_mul_f32_e32 v4, 0x3f317217, v3
	v_fma_f32 v4, v3, s24, -v4
	v_fmac_f32_e32 v4, 0x3377d1cf, v3
	s_mov_b32 s24, 0x7f800000
	v_fmac_f32_e32 v4, 0x3f317217, v3
	v_cmp_lt_f32_e64 vcc, |v3|, s24
	v_cndmask_b32_e32 v3, v3, v4, vcc
	v_mov_b32_e32 v4, 0x41b17218
	v_cndmask_b32_e64 v4, 0, v4, s[0:1]
	v_sub_f32_e32 v3, v3, v4
	v_div_fixup_f32 v2, v2, v7, -0.5
	v_add_f32_e32 v2, v3, v2
	v_sub_f32_e32 v1, v2, v1
	v_add_f32_e32 v0, v0, v1
	v_cvt_f16_f32_e32 v2, v0
                                        ; implicit-def: $vgpr0
.LBB28_997:
	s_andn2_saveexec_b64 s[0:1], s[22:23]
; %bb.998:
	v_add_f32_e32 v0, 0x40101cb7, v0
	v_cvt_f16_f32_e32 v2, v0
; %bb.999:
	s_or_b64 exec, exec, s[0:1]
.LBB28_1000:
	s_or_b64 exec, exec, s[20:21]
                                        ; implicit-def: $vgpr7
.LBB28_1001:
	s_andn2_saveexec_b64 s[0:1], s[18:19]
; %bb.1002:
	v_xor_b32_e32 v0, 0x80000000, v7
	s_movk_i32 s18, 0x8000
	v_and_b32_sdwa v0, v0, s18 dst_sel:DWORD dst_unused:UNUSED_PAD src0_sel:WORD_1 src1_sel:DWORD
	v_or_b32_e32 v2, 0x7c00, v0
; %bb.1003:
	s_or_b64 exec, exec, s[0:1]
	v_mul_lo_u32 v0, v6, s2
	v_mov_b32_e32 v1, s9
	s_and_b32 s26, s33, 0xff
	s_cmp_lt_i32 s26, 11
	v_ashrrev_i32_e32 v3, 31, v0
	v_add_co_u32_e32 v0, vcc, s8, v0
	v_addc_co_u32_e32 v1, vcc, v1, v3, vcc
	s_cbranch_scc1 .LBB28_1023
; %bb.1004:
	s_and_b32 s27, 0xffff, s26
	s_mov_b64 s[20:21], -1
	s_cmp_gt_i32 s27, 25
	s_mov_b64 s[0:1], s[6:7]
	s_cbranch_scc0 .LBB28_1041
; %bb.1005:
	s_mov_b64 s[18:19], -1
	s_cmp_gt_i32 s27, 28
	s_mov_b64 s[0:1], s[6:7]
	s_cbranch_scc0 .LBB28_1025
; %bb.1006:
	s_cmp_gt_i32 s27, 43
	s_mov_b64 s[0:1], s[6:7]
	s_cbranch_scc0 .LBB28_1017
; %bb.1007:
	;; [unrolled: 4-line block ×3, first 2 shown]
	s_cmp_eq_u32 s27, 46
	s_mov_b64 s[0:1], -1
	s_cbranch_scc0 .LBB28_1010
; %bb.1009:
	v_cvt_f32_f16_e32 v3, v2
	s_movk_i32 s0, 0x7fff
	v_cmp_o_f16_e32 vcc, v2, v2
	v_mov_b32_e32 v4, 0x7fc0
	v_bfe_u32 v5, v3, 16, 1
	v_add3_u32 v3, v3, v5, s0
	v_cndmask_b32_sdwa v3, v4, v3, vcc dst_sel:DWORD dst_unused:UNUSED_PAD src0_sel:DWORD src1_sel:WORD_1
	global_store_dword v[0:1], v3, off
	s_mov_b64 s[0:1], 0
.LBB28_1010:
	s_mov_b64 s[18:19], 0
.LBB28_1011:
	s_and_b64 vcc, exec, s[18:19]
	s_cbranch_vccz .LBB28_1016
; %bb.1012:
	s_cmp_eq_u32 s27, 44
	s_mov_b64 s[0:1], -1
	s_cbranch_scc0 .LBB28_1016
; %bb.1013:
	v_cvt_f32_f16_e32 v3, v2
	s_movk_i32 s0, 0xff
	v_mov_b32_e32 v5, 0xff
	v_bfe_u32 v4, v3, 23, 8
	v_cmp_ne_u32_e32 vcc, s0, v4
	s_and_saveexec_b64 s[18:19], vcc
; %bb.1014:
	s_mov_b32 s0, 0x3fffff
	v_lshrrev_b32_e32 v5, 23, v3
	v_and_b32_e32 v6, 0x400000, v3
	v_and_or_b32 v3, v3, s0, v4
	v_cmp_ne_u32_e32 vcc, 0, v6
	v_cmp_ne_u32_e64 s[0:1], 0, v3
	s_and_b64 s[0:1], vcc, s[0:1]
	v_cndmask_b32_e64 v3, 0, 1, s[0:1]
	v_add_u32_e32 v5, v5, v3
; %bb.1015:
	s_or_b64 exec, exec, s[18:19]
	s_mov_b64 s[0:1], 0
	global_store_byte v[0:1], v5, off
.LBB28_1016:
	s_mov_b64 s[18:19], 0
.LBB28_1017:
	s_and_b64 vcc, exec, s[18:19]
	s_cbranch_vccz .LBB28_1024
; %bb.1018:
	s_cmp_eq_u32 s27, 29
	s_mov_b64 s[0:1], -1
	s_cbranch_scc0 .LBB28_1024
; %bb.1019:
	v_cvt_f32_f16_e32 v3, v2
	v_mov_b32_e32 v4, 0
	s_mov_b64 s[0:1], 0
	s_mov_b64 s[18:19], 0
	v_cvt_u32_f32_e32 v3, v3
	global_store_dwordx2 v[0:1], v[3:4], off
	s_branch .LBB28_1025
.LBB28_1020:
	s_or_b64 exec, exec, s[14:15]
	s_and_saveexec_b64 s[0:1], s[6:7]
	s_cbranch_execnz .LBB28_1083
.LBB28_1021:
	s_or_b64 exec, exec, s[0:1]
	s_and_saveexec_b64 s[0:1], s[20:21]
	s_xor_b64 s[0:1], exec, s[0:1]
	s_cbranch_execz .LBB28_1084
.LBB28_1022:
	s_waitcnt vmcnt(0)
	v_and_b32_e32 v3, 0x7fff, v2
	v_cmp_ne_u16_e32 vcc, 0, v3
	v_cndmask_b32_e64 v3, 0, 1, vcc
	global_store_byte v[0:1], v3, off
	s_or_b64 exec, exec, s[0:1]
	s_and_saveexec_b64 s[0:1], s[18:19]
	s_xor_b64 s[0:1], exec, s[0:1]
	s_cbranch_execz .LBB28_1122
	s_branch .LBB28_1085
.LBB28_1023:
	s_mov_b64 s[20:21], 0
	s_mov_b64 s[18:19], -1
	s_mov_b64 s[0:1], s[6:7]
	s_branch .LBB28_1082
.LBB28_1024:
	s_mov_b64 s[18:19], 0
.LBB28_1025:
	s_and_b64 vcc, exec, s[18:19]
	s_cbranch_vccz .LBB28_1040
; %bb.1026:
	s_cmp_lt_i32 s27, 27
	s_mov_b64 s[18:19], -1
	s_cbranch_scc1 .LBB28_1032
; %bb.1027:
	s_cmp_gt_i32 s27, 27
	s_cbranch_scc0 .LBB28_1029
; %bb.1028:
	v_cvt_f32_f16_e32 v3, v2
	s_mov_b64 s[18:19], 0
	v_cvt_u32_f32_e32 v3, v3
	global_store_dword v[0:1], v3, off
.LBB28_1029:
	s_andn2_b64 vcc, exec, s[18:19]
	s_cbranch_vccnz .LBB28_1031
; %bb.1030:
	v_cvt_u16_f16_e32 v3, v2
	global_store_short v[0:1], v3, off
.LBB28_1031:
	s_mov_b64 s[18:19], 0
.LBB28_1032:
	s_andn2_b64 vcc, exec, s[18:19]
	s_cbranch_vccnz .LBB28_1040
; %bb.1033:
	v_cvt_f32_f16_e32 v3, v2
	s_mov_b32 s18, 0x43800000
	v_mov_b32_e32 v5, 0x80
	v_and_b32_e32 v4, 0x7fffffff, v3
	v_cmp_gt_u32_e32 vcc, s18, v4
	s_and_saveexec_b64 s[18:19], vcc
	s_cbranch_execz .LBB28_1039
; %bb.1034:
	s_mov_b32 s20, 0x3bffffff
	v_cmp_lt_u32_e32 vcc, s20, v4
	s_mov_b64 s[20:21], 0
                                        ; implicit-def: $vgpr4
	s_and_saveexec_b64 s[22:23], vcc
	s_xor_b64 s[22:23], exec, s[22:23]
	s_cbranch_execz .LBB28_1137
; %bb.1035:
	v_bfe_u32 v4, v3, 20, 1
	s_mov_b32 s24, 0x487ffff
	v_add3_u32 v4, v3, v4, s24
	s_mov_b64 s[20:21], exec
	v_lshrrev_b32_e32 v4, 20, v4
	s_andn2_saveexec_b64 s[22:23], s[22:23]
	s_cbranch_execnz .LBB28_1138
.LBB28_1036:
	s_or_b64 exec, exec, s[22:23]
	v_mov_b32_e32 v5, 0
	s_and_saveexec_b64 s[22:23], s[20:21]
.LBB28_1037:
	v_lshrrev_b32_e32 v3, 24, v3
	s_movk_i32 s20, 0x80
	v_and_or_b32 v5, v3, s20, v4
.LBB28_1038:
	s_or_b64 exec, exec, s[22:23]
.LBB28_1039:
	s_or_b64 exec, exec, s[18:19]
	global_store_byte v[0:1], v5, off
.LBB28_1040:
	s_mov_b64 s[20:21], 0
.LBB28_1041:
	s_mov_b64 s[18:19], 0
	s_and_b64 vcc, exec, s[20:21]
	s_cbranch_vccz .LBB28_1081
; %bb.1042:
	s_cmp_gt_i32 s27, 22
	s_mov_b64 s[20:21], -1
	s_cbranch_scc0 .LBB28_1074
; %bb.1043:
	s_cmp_lt_i32 s27, 24
	s_cbranch_scc1 .LBB28_1063
; %bb.1044:
	s_cmp_gt_i32 s27, 24
	s_cbranch_scc0 .LBB28_1052
; %bb.1045:
	v_cvt_f32_f16_e32 v3, v2
	s_mov_b32 s20, 0x47800000
	v_mov_b32_e32 v5, 0x80
	v_and_b32_e32 v4, 0x7fffffff, v3
	v_cmp_gt_u32_e32 vcc, s20, v4
	s_and_saveexec_b64 s[20:21], vcc
	s_cbranch_execz .LBB28_1051
; %bb.1046:
	s_mov_b32 s22, 0x37ffffff
	v_cmp_lt_u32_e32 vcc, s22, v4
	s_mov_b64 s[22:23], 0
                                        ; implicit-def: $vgpr4
	s_and_saveexec_b64 s[24:25], vcc
	s_xor_b64 s[24:25], exec, s[24:25]
	s_cbranch_execz .LBB28_1286
; %bb.1047:
	v_bfe_u32 v4, v3, 21, 1
	s_mov_b32 s28, 0x88fffff
	v_add3_u32 v4, v3, v4, s28
	s_mov_b64 s[22:23], exec
	v_lshrrev_b32_e32 v4, 21, v4
	s_andn2_saveexec_b64 s[24:25], s[24:25]
	s_cbranch_execnz .LBB28_1287
.LBB28_1048:
	s_or_b64 exec, exec, s[24:25]
	v_mov_b32_e32 v5, 0
	s_and_saveexec_b64 s[24:25], s[22:23]
.LBB28_1049:
	v_lshrrev_b32_e32 v3, 24, v3
	s_movk_i32 s22, 0x80
	v_and_or_b32 v5, v3, s22, v4
.LBB28_1050:
	s_or_b64 exec, exec, s[24:25]
.LBB28_1051:
	s_or_b64 exec, exec, s[20:21]
	s_mov_b64 s[20:21], 0
	global_store_byte v[0:1], v5, off
.LBB28_1052:
	s_and_b64 vcc, exec, s[20:21]
	s_cbranch_vccz .LBB28_1062
; %bb.1053:
	v_cvt_f32_f16_e32 v3, v2
	s_mov_b32 s20, 0x43f00000
                                        ; implicit-def: $vgpr4
	v_and_b32_e32 v5, 0x7fffffff, v3
	v_cmp_gt_u32_e32 vcc, s20, v5
	s_and_saveexec_b64 s[20:21], vcc
	s_xor_b64 s[20:21], exec, s[20:21]
	s_cbranch_execz .LBB28_1059
; %bb.1054:
	s_mov_b32 s22, 0x3c7fffff
	v_cmp_lt_u32_e32 vcc, s22, v5
                                        ; implicit-def: $vgpr4
	s_and_saveexec_b64 s[22:23], vcc
	s_xor_b64 s[22:23], exec, s[22:23]
; %bb.1055:
	v_bfe_u32 v4, v3, 20, 1
	s_mov_b32 s24, 0x407ffff
	v_add3_u32 v4, v3, v4, s24
	v_lshrrev_b32_e32 v5, 20, v4
	v_and_b32_e32 v4, 0xff00000, v4
	s_mov_b32 s24, 0x7f00000
	v_mov_b32_e32 v6, 0x7e
	v_cmp_ne_u32_e32 vcc, s24, v4
	v_cndmask_b32_e32 v4, v6, v5, vcc
; %bb.1056:
	s_andn2_saveexec_b64 s[22:23], s[22:23]
; %bb.1057:
	s_mov_b32 s24, 0x46800000
	v_add_f32_e64 v4, |v3|, s24
; %bb.1058:
	s_or_b64 exec, exec, s[22:23]
                                        ; implicit-def: $vgpr5
.LBB28_1059:
	s_andn2_saveexec_b64 s[20:21], s[20:21]
; %bb.1060:
	s_mov_b32 s22, 0x7f800000
	v_mov_b32_e32 v4, 0x7e
	v_mov_b32_e32 v6, 0x7f
	v_cmp_lt_u32_e32 vcc, s22, v5
	v_cndmask_b32_e32 v4, v4, v6, vcc
; %bb.1061:
	s_or_b64 exec, exec, s[20:21]
	v_lshrrev_b32_e32 v3, 24, v3
	s_movk_i32 s20, 0x80
	v_and_or_b32 v3, v3, s20, v4
	global_store_byte v[0:1], v3, off
.LBB28_1062:
	s_mov_b64 s[20:21], 0
.LBB28_1063:
	s_andn2_b64 vcc, exec, s[20:21]
	s_cbranch_vccnz .LBB28_1073
; %bb.1064:
	v_cvt_f32_f16_e32 v3, v2
	s_mov_b32 s20, 0x47800000
                                        ; implicit-def: $vgpr4
	v_and_b32_e32 v5, 0x7fffffff, v3
	v_cmp_gt_u32_e32 vcc, s20, v5
	s_and_saveexec_b64 s[20:21], vcc
	s_xor_b64 s[20:21], exec, s[20:21]
	s_cbranch_execz .LBB28_1070
; %bb.1065:
	s_mov_b32 s22, 0x387fffff
	v_cmp_lt_u32_e32 vcc, s22, v5
                                        ; implicit-def: $vgpr4
	s_and_saveexec_b64 s[22:23], vcc
	s_xor_b64 s[22:23], exec, s[22:23]
; %bb.1066:
	v_bfe_u32 v4, v3, 21, 1
	s_mov_b32 s24, 0x80fffff
	v_add3_u32 v4, v3, v4, s24
	v_lshrrev_b32_e32 v4, 21, v4
; %bb.1067:
	s_andn2_saveexec_b64 s[22:23], s[22:23]
; %bb.1068:
	s_mov_b32 s24, 0x43000000
	v_add_f32_e64 v4, |v3|, s24
; %bb.1069:
	s_or_b64 exec, exec, s[22:23]
                                        ; implicit-def: $vgpr5
.LBB28_1070:
	s_andn2_saveexec_b64 s[20:21], s[20:21]
; %bb.1071:
	s_mov_b32 s22, 0x7f800000
	v_mov_b32_e32 v4, 0x7c
	v_mov_b32_e32 v6, 0x7f
	v_cmp_lt_u32_e32 vcc, s22, v5
	v_cndmask_b32_e32 v4, v4, v6, vcc
; %bb.1072:
	s_or_b64 exec, exec, s[20:21]
	v_lshrrev_b32_e32 v3, 24, v3
	s_movk_i32 s20, 0x80
	v_and_or_b32 v3, v3, s20, v4
	global_store_byte v[0:1], v3, off
.LBB28_1073:
	s_mov_b64 s[20:21], 0
.LBB28_1074:
	s_andn2_b64 vcc, exec, s[20:21]
	s_mov_b64 s[20:21], 0
	s_cbranch_vccnz .LBB28_1082
; %bb.1075:
	s_cmp_gt_i32 s27, 14
	s_mov_b64 s[22:23], -1
	s_cbranch_scc0 .LBB28_1079
; %bb.1076:
	s_cmp_eq_u32 s27, 15
	s_mov_b64 s[0:1], -1
	s_cbranch_scc0 .LBB28_1078
; %bb.1077:
	v_cvt_f32_f16_e32 v3, v2
	s_movk_i32 s0, 0x7fff
	v_cmp_o_f16_e32 vcc, v2, v2
	v_mov_b32_e32 v4, 0x7fc0
	v_bfe_u32 v5, v3, 16, 1
	v_add3_u32 v3, v3, v5, s0
	v_cndmask_b32_sdwa v3, v4, v3, vcc dst_sel:DWORD dst_unused:UNUSED_PAD src0_sel:DWORD src1_sel:WORD_1
	global_store_short v[0:1], v3, off
	s_mov_b64 s[0:1], 0
.LBB28_1078:
	s_mov_b64 s[22:23], 0
.LBB28_1079:
	s_and_b64 vcc, exec, s[22:23]
	s_cbranch_vccz .LBB28_1082
; %bb.1080:
	s_cmp_lg_u32 s27, 11
	s_cselect_b64 s[22:23], -1, 0
	s_andn2_b64 s[0:1], s[0:1], exec
	s_and_b64 s[22:23], s[22:23], exec
	s_mov_b64 s[20:21], -1
	s_or_b64 s[0:1], s[0:1], s[22:23]
	s_branch .LBB28_1082
.LBB28_1081:
	s_mov_b64 s[20:21], 0
.LBB28_1082:
	s_andn2_b64 s[6:7], s[6:7], exec
	s_and_b64 s[0:1], s[0:1], exec
	s_and_b64 s[18:19], s[18:19], exec
	;; [unrolled: 1-line block ×3, first 2 shown]
	s_or_b64 s[6:7], s[6:7], s[0:1]
	s_or_b64 exec, exec, s[14:15]
	s_and_saveexec_b64 s[0:1], s[6:7]
	s_cbranch_execz .LBB28_1021
.LBB28_1083:
	s_or_b64 s[16:17], s[16:17], exec
	s_andn2_b64 s[20:21], s[20:21], exec
	s_trap 2
	s_or_b64 exec, exec, s[0:1]
	s_and_saveexec_b64 s[0:1], s[20:21]
	s_xor_b64 s[0:1], exec, s[0:1]
	s_cbranch_execnz .LBB28_1022
.LBB28_1084:
	s_or_b64 exec, exec, s[0:1]
	s_and_saveexec_b64 s[0:1], s[18:19]
	s_xor_b64 s[0:1], exec, s[0:1]
	s_cbranch_execz .LBB28_1122
.LBB28_1085:
	s_sext_i32_i16 s14, s26
	s_cmp_lt_i32 s14, 5
	s_mov_b64 s[6:7], -1
	s_cbranch_scc1 .LBB28_1106
; %bb.1086:
	s_cmp_lt_i32 s14, 8
	s_cbranch_scc1 .LBB28_1096
; %bb.1087:
	s_cmp_lt_i32 s14, 9
	s_cbranch_scc1 .LBB28_1093
; %bb.1088:
	s_cmp_gt_i32 s14, 9
	s_cbranch_scc0 .LBB28_1090
; %bb.1089:
	s_waitcnt vmcnt(0)
	v_cvt_f32_f16_e32 v3, v2
	v_mov_b32_e32 v5, 0
	v_mov_b32_e32 v6, v5
	s_mov_b64 s[6:7], 0
	v_cvt_f64_f32_e32 v[3:4], v3
	global_store_dwordx4 v[0:1], v[3:6], off
.LBB28_1090:
	s_andn2_b64 vcc, exec, s[6:7]
	s_cbranch_vccnz .LBB28_1092
; %bb.1091:
	s_waitcnt vmcnt(0)
	v_cvt_f32_f16_e32 v3, v2
	v_mov_b32_e32 v4, 0
	global_store_dwordx2 v[0:1], v[3:4], off
.LBB28_1092:
	s_mov_b64 s[6:7], 0
.LBB28_1093:
	s_andn2_b64 vcc, exec, s[6:7]
	s_cbranch_vccnz .LBB28_1095
; %bb.1094:
	s_waitcnt vmcnt(0)
	v_and_b32_e32 v3, 0xffff, v2
	global_store_dword v[0:1], v3, off
.LBB28_1095:
	s_mov_b64 s[6:7], 0
.LBB28_1096:
	s_andn2_b64 vcc, exec, s[6:7]
	s_cbranch_vccnz .LBB28_1105
; %bb.1097:
	s_sext_i32_i16 s14, s26
	s_cmp_lt_i32 s14, 6
	s_mov_b64 s[6:7], -1
	s_cbranch_scc1 .LBB28_1103
; %bb.1098:
	s_cmp_gt_i32 s14, 6
	s_cbranch_scc0 .LBB28_1100
; %bb.1099:
	s_waitcnt vmcnt(0)
	v_cvt_f32_f16_e32 v3, v2
	s_mov_b64 s[6:7], 0
	v_cvt_f64_f32_e32 v[3:4], v3
	global_store_dwordx2 v[0:1], v[3:4], off
.LBB28_1100:
	s_andn2_b64 vcc, exec, s[6:7]
	s_cbranch_vccnz .LBB28_1102
; %bb.1101:
	s_waitcnt vmcnt(0)
	v_cvt_f32_f16_e32 v3, v2
	global_store_dword v[0:1], v3, off
.LBB28_1102:
	s_mov_b64 s[6:7], 0
.LBB28_1103:
	s_andn2_b64 vcc, exec, s[6:7]
	s_cbranch_vccnz .LBB28_1105
; %bb.1104:
	global_store_short v[0:1], v2, off
.LBB28_1105:
	s_mov_b64 s[6:7], 0
.LBB28_1106:
	s_andn2_b64 vcc, exec, s[6:7]
	s_cbranch_vccnz .LBB28_1122
; %bb.1107:
	s_sext_i32_i16 s14, s26
	s_cmp_lt_i32 s14, 2
	s_mov_b64 s[6:7], -1
	s_cbranch_scc1 .LBB28_1117
; %bb.1108:
	s_cmp_lt_i32 s14, 3
	s_cbranch_scc1 .LBB28_1114
; %bb.1109:
	s_cmp_gt_i32 s14, 3
	s_cbranch_scc0 .LBB28_1111
; %bb.1110:
	s_waitcnt vmcnt(0)
	v_cvt_f32_f16_e32 v3, v2
	s_mov_b64 s[6:7], 0
	v_cvt_i32_f32_e32 v3, v3
	v_ashrrev_i32_e32 v4, 31, v3
	global_store_dwordx2 v[0:1], v[3:4], off
.LBB28_1111:
	s_andn2_b64 vcc, exec, s[6:7]
	s_cbranch_vccnz .LBB28_1113
; %bb.1112:
	s_waitcnt vmcnt(0)
	v_cvt_f32_f16_e32 v3, v2
	v_cvt_i32_f32_e32 v3, v3
	global_store_dword v[0:1], v3, off
.LBB28_1113:
	s_mov_b64 s[6:7], 0
.LBB28_1114:
	s_andn2_b64 vcc, exec, s[6:7]
	s_cbranch_vccnz .LBB28_1116
; %bb.1115:
	s_waitcnt vmcnt(0)
	v_cvt_i16_f16_e32 v3, v2
	global_store_short v[0:1], v3, off
.LBB28_1116:
	s_mov_b64 s[6:7], 0
.LBB28_1117:
	s_andn2_b64 vcc, exec, s[6:7]
	s_cbranch_vccnz .LBB28_1122
; %bb.1118:
	s_sext_i32_i16 s6, s26
	s_cmp_gt_i32 s6, 0
	s_mov_b64 s[6:7], -1
	s_cbranch_scc0 .LBB28_1120
; %bb.1119:
	s_waitcnt vmcnt(0)
	v_cvt_i16_f16_e32 v3, v2
	s_mov_b64 s[6:7], 0
	global_store_byte v[0:1], v3, off
.LBB28_1120:
	s_andn2_b64 vcc, exec, s[6:7]
	s_cbranch_vccnz .LBB28_1122
; %bb.1121:
	v_cvt_f32_f16_e32 v2, v2
	v_cvt_i32_f32_e32 v2, v2
	global_store_byte v[0:1], v2, off
.LBB28_1122:
	s_or_b64 exec, exec, s[0:1]
	s_and_b64 s[6:7], s[16:17], exec
                                        ; implicit-def: $vgpr6
.LBB28_1123:
	s_or_saveexec_b64 s[4:5], s[4:5]
	s_mov_b64 s[0:1], 0
                                        ; implicit-def: $sgpr20
                                        ; implicit-def: $vgpr0_vgpr1
                                        ; implicit-def: $vgpr2
	s_xor_b64 exec, exec, s[4:5]
	s_cbranch_execz .LBB28_1813
; %bb.1124:
	v_mul_lo_u32 v8, s3, v6
	v_mov_b32_e32 v1, s11
	s_and_b32 s24, 0xffff, s42
	s_cmp_lt_i32 s24, 11
	v_ashrrev_i32_e32 v2, 31, v8
	v_add_co_u32_e32 v0, vcc, s10, v8
	v_addc_co_u32_e32 v1, vcc, v1, v2, vcc
	s_cbranch_scc1 .LBB28_1131
; %bb.1125:
	s_cmp_gt_i32 s24, 25
	s_mov_b64 s[12:13], 0
	s_cbranch_scc0 .LBB28_1133
; %bb.1126:
	s_cmp_gt_i32 s24, 28
	s_cbranch_scc0 .LBB28_1134
; %bb.1127:
	s_cmp_gt_i32 s24, 43
	;; [unrolled: 3-line block ×3, first 2 shown]
	s_cbranch_scc0 .LBB28_1136
; %bb.1129:
	s_cmp_eq_u32 s24, 46
	s_mov_b64 s[14:15], 0
	s_cbranch_scc0 .LBB28_1139
; %bb.1130:
	global_load_dword v2, v[0:1], off
	s_mov_b64 s[16:17], -1
	s_waitcnt vmcnt(0)
	v_lshlrev_b32_e32 v2, 16, v2
	v_cvt_f16_f32_e32 v2, v2
	s_branch .LBB28_1140
.LBB28_1131:
	s_mov_b64 s[16:17], 0
                                        ; implicit-def: $vgpr2
	s_mov_b64 s[14:15], s[6:7]
	s_cbranch_execnz .LBB28_1203
.LBB28_1132:
	s_andn2_b64 vcc, exec, s[16:17]
	s_cbranch_vccz .LBB28_1248
	s_branch .LBB28_1810
.LBB28_1133:
	s_mov_b64 s[16:17], 0
                                        ; implicit-def: $vgpr2
	s_cbranch_execnz .LBB28_1168
	s_branch .LBB28_1199
.LBB28_1134:
	s_mov_b64 s[14:15], -1
	s_mov_b64 s[16:17], 0
                                        ; implicit-def: $vgpr2
	s_branch .LBB28_1149
.LBB28_1135:
	s_mov_b64 s[16:17], 0
                                        ; implicit-def: $vgpr2
	s_cbranch_execnz .LBB28_1145
	s_branch .LBB28_1148
.LBB28_1136:
	s_mov_b64 s[14:15], -1
	s_mov_b64 s[16:17], 0
                                        ; implicit-def: $vgpr2
	s_branch .LBB28_1140
.LBB28_1137:
	s_andn2_saveexec_b64 s[22:23], s[22:23]
	s_cbranch_execz .LBB28_1036
.LBB28_1138:
	s_mov_b32 s24, 0x46000000
	v_add_f32_e64 v4, |v3|, s24
	v_and_b32_e32 v4, 0xff, v4
	v_cmp_ne_u32_e32 vcc, 0, v4
	s_andn2_b64 s[20:21], s[20:21], exec
	s_and_b64 s[24:25], vcc, exec
	s_or_b64 s[20:21], s[20:21], s[24:25]
	s_or_b64 exec, exec, s[22:23]
	v_mov_b32_e32 v5, 0
	s_and_saveexec_b64 s[22:23], s[20:21]
	s_cbranch_execnz .LBB28_1037
	s_branch .LBB28_1038
.LBB28_1139:
	s_mov_b64 s[0:1], -1
                                        ; implicit-def: $vgpr2
	s_mov_b64 s[16:17], 0
.LBB28_1140:
	s_and_b64 vcc, exec, s[14:15]
	s_cbranch_vccz .LBB28_1143
; %bb.1141:
	s_cmp_eq_u32 s24, 44
	s_cbranch_scc0 .LBB28_1144
; %bb.1142:
	global_load_ubyte v2, v[0:1], off
	s_movk_i32 s14, 0xff
	v_mov_b32_e32 v4, 0x7e00
	s_mov_b64 s[0:1], 0
	s_mov_b64 s[16:17], -1
	s_waitcnt vmcnt(0)
	v_lshlrev_b32_e32 v3, 23, v2
	v_cvt_f16_f32_e32 v3, v3
	v_cmp_ne_u32_e32 vcc, s14, v2
	v_cndmask_b32_e32 v3, v4, v3, vcc
	v_cmp_ne_u32_e32 vcc, 0, v2
	v_cndmask_b32_e32 v2, 0, v3, vcc
.LBB28_1143:
	s_branch .LBB28_1148
.LBB28_1144:
	s_mov_b64 s[0:1], -1
                                        ; implicit-def: $vgpr2
	s_branch .LBB28_1148
.LBB28_1145:
	s_cmp_eq_u32 s24, 29
	s_cbranch_scc0 .LBB28_1147
; %bb.1146:
	global_load_dwordx2 v[2:3], v[0:1], off
	s_mov_b64 s[0:1], 0
	s_mov_b64 s[16:17], -1
	s_mov_b64 s[14:15], 0
	s_waitcnt vmcnt(0)
	v_ffbh_u32_e32 v4, v3
	v_min_u32_e32 v4, 32, v4
	v_lshlrev_b64 v[2:3], v4, v[2:3]
	v_min_u32_e32 v2, 1, v2
	v_or_b32_e32 v2, v3, v2
	v_cvt_f32_u32_e32 v2, v2
	v_sub_u32_e32 v3, 32, v4
	v_ldexp_f32 v2, v2, v3
	v_cvt_f16_f32_e32 v2, v2
	s_branch .LBB28_1149
.LBB28_1147:
	s_mov_b64 s[0:1], -1
                                        ; implicit-def: $vgpr2
.LBB28_1148:
	s_mov_b64 s[14:15], 0
.LBB28_1149:
	s_and_b64 vcc, exec, s[14:15]
	s_cbranch_vccz .LBB28_1167
; %bb.1150:
	s_cmp_lt_i32 s24, 27
	s_cbranch_scc1 .LBB28_1153
; %bb.1151:
	s_cmp_gt_i32 s24, 27
	s_cbranch_scc0 .LBB28_1154
; %bb.1152:
	global_load_dword v2, v[0:1], off
	s_mov_b64 s[14:15], 0
	s_waitcnt vmcnt(0)
	v_cvt_f32_u32_e32 v2, v2
	v_cvt_f16_f32_e32 v2, v2
	s_branch .LBB28_1155
.LBB28_1153:
	s_mov_b64 s[14:15], -1
                                        ; implicit-def: $vgpr2
	s_branch .LBB28_1158
.LBB28_1154:
	s_mov_b64 s[14:15], -1
                                        ; implicit-def: $vgpr2
.LBB28_1155:
	s_andn2_b64 vcc, exec, s[14:15]
	s_cbranch_vccnz .LBB28_1157
; %bb.1156:
	global_load_ushort v2, v[0:1], off
	s_waitcnt vmcnt(0)
	v_cvt_f16_u16_e32 v2, v2
.LBB28_1157:
	s_mov_b64 s[14:15], 0
.LBB28_1158:
	s_andn2_b64 vcc, exec, s[14:15]
	s_cbranch_vccnz .LBB28_1166
; %bb.1159:
	global_load_ubyte v3, v[0:1], off
	s_movk_i32 s14, 0x7f
	s_waitcnt vmcnt(0)
	v_cmp_lt_i16_e32 vcc, s14, v3
	s_mov_b64 s[14:15], 0
	s_and_saveexec_b64 s[16:17], vcc
	s_xor_b64 s[16:17], exec, s[16:17]
	s_cbranch_execz .LBB28_1179
; %bb.1160:
	s_movk_i32 s14, 0x80
	v_cmp_eq_u16_e32 vcc, s14, v3
	s_mov_b64 s[14:15], -1
	s_and_saveexec_b64 s[18:19], vcc
; %bb.1161:
	s_xor_b64 s[14:15], exec, -1
; %bb.1162:
	s_or_b64 exec, exec, s[18:19]
	s_and_b64 s[14:15], s[14:15], exec
	s_or_saveexec_b64 s[16:17], s[16:17]
	v_mov_b32_e32 v2, 0x7e00
	s_xor_b64 exec, exec, s[16:17]
	s_cbranch_execnz .LBB28_1180
.LBB28_1163:
	s_or_b64 exec, exec, s[16:17]
	s_and_saveexec_b64 s[16:17], s[14:15]
	s_cbranch_execz .LBB28_1165
.LBB28_1164:
	v_lshlrev_b32_e32 v2, 24, v3
	v_and_b32_e32 v3, 0xffff, v3
	v_and_b32_e32 v4, 7, v3
	v_ffbh_u32_e32 v7, v4
	v_min_u32_e32 v7, 32, v7
	v_subrev_u32_e32 v9, 28, v7
	v_bfe_u32 v5, v3, 3, 4
	v_lshlrev_b32_e32 v3, v9, v3
	v_sub_u32_e32 v7, 29, v7
	v_and_b32_e32 v3, 7, v3
	v_cmp_eq_u32_e32 vcc, 0, v5
	v_cndmask_b32_e32 v5, v5, v7, vcc
	v_cndmask_b32_e32 v3, v4, v3, vcc
	v_mov_b32_e32 v4, 0x3b800000
	v_lshlrev_b32_e32 v3, 20, v3
	v_and_b32_e32 v2, 0x80000000, v2
	v_lshl_add_u32 v4, v5, 23, v4
	v_or3_b32 v2, v2, v4, v3
	v_cvt_f16_f32_e32 v2, v2
.LBB28_1165:
	s_or_b64 exec, exec, s[16:17]
.LBB28_1166:
	s_mov_b64 s[16:17], -1
.LBB28_1167:
	s_branch .LBB28_1199
.LBB28_1168:
	s_cmp_gt_i32 s24, 22
	s_cbranch_scc0 .LBB28_1178
; %bb.1169:
	s_cmp_lt_i32 s24, 24
	s_cbranch_scc1 .LBB28_1181
; %bb.1170:
	s_cmp_gt_i32 s24, 24
	s_cbranch_scc0 .LBB28_1182
; %bb.1171:
	global_load_ubyte v3, v[0:1], off
	s_movk_i32 s12, 0x7f
	s_waitcnt vmcnt(0)
	v_cmp_lt_i16_e32 vcc, s12, v3
	s_mov_b64 s[12:13], 0
	s_and_saveexec_b64 s[14:15], vcc
	s_xor_b64 s[14:15], exec, s[14:15]
	s_cbranch_execz .LBB28_1193
; %bb.1172:
	s_movk_i32 s12, 0x80
	v_cmp_eq_u16_e32 vcc, s12, v3
	s_mov_b64 s[12:13], -1
	s_and_saveexec_b64 s[16:17], vcc
; %bb.1173:
	s_xor_b64 s[12:13], exec, -1
; %bb.1174:
	s_or_b64 exec, exec, s[16:17]
	s_and_b64 s[12:13], s[12:13], exec
	s_or_saveexec_b64 s[14:15], s[14:15]
	v_mov_b32_e32 v2, 0x7e00
	s_xor_b64 exec, exec, s[14:15]
	s_cbranch_execnz .LBB28_1194
.LBB28_1175:
	s_or_b64 exec, exec, s[14:15]
	s_and_saveexec_b64 s[14:15], s[12:13]
	s_cbranch_execz .LBB28_1177
.LBB28_1176:
	v_lshlrev_b32_e32 v2, 24, v3
	v_and_b32_e32 v3, 0xffff, v3
	v_and_b32_e32 v4, 3, v3
	v_ffbh_u32_e32 v7, v4
	v_min_u32_e32 v7, 32, v7
	v_subrev_u32_e32 v9, 29, v7
	v_bfe_u32 v5, v3, 2, 5
	v_lshlrev_b32_e32 v3, v9, v3
	v_sub_u32_e32 v7, 30, v7
	v_and_b32_e32 v3, 3, v3
	v_cmp_eq_u32_e32 vcc, 0, v5
	v_cndmask_b32_e32 v5, v5, v7, vcc
	v_cndmask_b32_e32 v3, v4, v3, vcc
	v_mov_b32_e32 v4, 0x37800000
	v_lshlrev_b32_e32 v3, 21, v3
	v_and_b32_e32 v2, 0x80000000, v2
	v_lshl_add_u32 v4, v5, 23, v4
	v_or3_b32 v2, v2, v4, v3
	v_cvt_f16_f32_e32 v2, v2
.LBB28_1177:
	s_or_b64 exec, exec, s[14:15]
	s_mov_b64 s[12:13], 0
	s_branch .LBB28_1183
.LBB28_1178:
                                        ; implicit-def: $vgpr2
	s_mov_b64 s[12:13], 0
	s_branch .LBB28_1189
.LBB28_1179:
	s_or_saveexec_b64 s[16:17], s[16:17]
	v_mov_b32_e32 v2, 0x7e00
	s_xor_b64 exec, exec, s[16:17]
	s_cbranch_execz .LBB28_1163
.LBB28_1180:
	v_cmp_ne_u16_e32 vcc, 0, v3
	s_andn2_b64 s[14:15], s[14:15], exec
	s_and_b64 s[18:19], vcc, exec
	s_or_b64 s[14:15], s[14:15], s[18:19]
	v_mov_b32_e32 v2, v3
	s_or_b64 exec, exec, s[16:17]
	s_and_saveexec_b64 s[16:17], s[14:15]
	s_cbranch_execnz .LBB28_1164
	s_branch .LBB28_1165
.LBB28_1181:
	s_mov_b64 s[12:13], -1
                                        ; implicit-def: $vgpr2
	s_branch .LBB28_1186
.LBB28_1182:
	s_mov_b64 s[12:13], -1
                                        ; implicit-def: $vgpr2
.LBB28_1183:
	s_and_b64 vcc, exec, s[12:13]
	s_cbranch_vccz .LBB28_1185
; %bb.1184:
	global_load_ubyte v2, v[0:1], off
	s_mov_b32 s12, 0x7f800000
	s_waitcnt vmcnt(0)
	v_lshlrev_b32_e32 v2, 24, v2
	v_and_b32_e32 v3, 0x7f000000, v2
	v_ffbh_u32_e32 v4, v3
	v_min_u32_e32 v4, 32, v4
	v_sub_u32_e64 v4, v4, 4 clamp
	v_lshlrev_b32_e32 v7, v4, v3
	v_lshlrev_b32_e32 v4, 23, v4
	v_lshrrev_b32_e32 v7, 4, v7
	v_add_u32_e32 v5, 0x1000000, v3
	v_sub_u32_e32 v4, v7, v4
	v_ashrrev_i32_e32 v5, 8, v5
	v_add_u32_e32 v4, 0x3c000000, v4
	v_and_or_b32 v4, v5, s12, v4
	v_cmp_ne_u32_e32 vcc, 0, v3
	v_cndmask_b32_e32 v3, 0, v4, vcc
	s_brev_b32 s12, 1
	v_and_or_b32 v2, v2, s12, v3
	v_cvt_f16_f32_e32 v2, v2
.LBB28_1185:
	s_mov_b64 s[12:13], 0
.LBB28_1186:
	s_andn2_b64 vcc, exec, s[12:13]
	s_cbranch_vccnz .LBB28_1188
; %bb.1187:
	global_load_ubyte v2, v[0:1], off
	s_movk_i32 s12, 0x7f00
	s_brev_b32 s13, 16
	s_waitcnt vmcnt(0)
	v_lshlrev_b16_e32 v3, 8, v2
	v_lshlrev_b32_e32 v2, 25, v2
	v_lshrrev_b32_e32 v4, 4, v2
	v_and_or_b32 v5, v3, s12, 0.5
	v_or_b32_e32 v4, 0x70000000, v4
	v_add_f32_e32 v5, -0.5, v5
	v_mul_f32_e32 v4, 0x7800000, v4
	v_cmp_gt_u32_e32 vcc, s13, v2
	v_bfe_i32 v3, v3, 0, 16
	v_cndmask_b32_e32 v2, v4, v5, vcc
	s_brev_b32 s12, 1
	v_and_or_b32 v2, v3, s12, v2
	v_cvt_f16_f32_e32 v2, v2
.LBB28_1188:
	s_mov_b64 s[16:17], -1
	s_mov_b64 s[12:13], 0
	s_cbranch_execnz .LBB28_1199
.LBB28_1189:
	s_cmp_gt_i32 s24, 14
	s_cbranch_scc0 .LBB28_1192
; %bb.1190:
	s_cmp_eq_u32 s24, 15
	s_cbranch_scc0 .LBB28_1195
; %bb.1191:
	global_load_ushort v2, v[0:1], off
	s_mov_b64 s[0:1], 0
	s_mov_b64 s[16:17], -1
	s_waitcnt vmcnt(0)
	v_lshlrev_b32_e32 v2, 16, v2
	v_cvt_f16_f32_e32 v2, v2
	s_branch .LBB28_1196
.LBB28_1192:
	s_mov_b64 s[14:15], -1
                                        ; implicit-def: $vgpr2
	s_branch .LBB28_1197
.LBB28_1193:
	s_or_saveexec_b64 s[14:15], s[14:15]
	v_mov_b32_e32 v2, 0x7e00
	s_xor_b64 exec, exec, s[14:15]
	s_cbranch_execz .LBB28_1175
.LBB28_1194:
	v_cmp_ne_u16_e32 vcc, 0, v3
	s_andn2_b64 s[12:13], s[12:13], exec
	s_and_b64 s[16:17], vcc, exec
	s_or_b64 s[12:13], s[12:13], s[16:17]
	v_mov_b32_e32 v2, v3
	s_or_b64 exec, exec, s[14:15]
	s_and_saveexec_b64 s[14:15], s[12:13]
	s_cbranch_execnz .LBB28_1176
	s_branch .LBB28_1177
.LBB28_1195:
	s_mov_b64 s[0:1], -1
                                        ; implicit-def: $vgpr2
.LBB28_1196:
	s_mov_b64 s[14:15], 0
.LBB28_1197:
	s_and_b64 vcc, exec, s[14:15]
	s_cbranch_vccz .LBB28_1199
; %bb.1198:
	s_cmp_lg_u32 s24, 11
	s_mov_b64 s[12:13], -1
	s_cselect_b64 s[0:1], -1, 0
.LBB28_1199:
	s_and_b64 vcc, exec, s[0:1]
	s_mov_b64 s[14:15], s[6:7]
	s_cbranch_vccnz .LBB28_1284
; %bb.1200:
	s_andn2_b64 vcc, exec, s[12:13]
	s_cbranch_vccnz .LBB28_1202
.LBB28_1201:
	global_load_ubyte v2, v[0:1], off
	s_waitcnt vmcnt(1)
	v_mov_b32_e32 v3, 0x3c00
	s_mov_b64 s[16:17], -1
	s_waitcnt vmcnt(0)
	v_cmp_ne_u16_e32 vcc, 0, v2
	v_cndmask_b32_e32 v2, 0, v3, vcc
.LBB28_1202:
	s_branch .LBB28_1132
.LBB28_1203:
	s_cmp_lt_i32 s24, 5
	s_cbranch_scc1 .LBB28_1208
; %bb.1204:
	s_cmp_lt_i32 s24, 8
	s_cbranch_scc1 .LBB28_1209
; %bb.1205:
	;; [unrolled: 3-line block ×3, first 2 shown]
	s_cmp_gt_i32 s24, 9
	s_cbranch_scc0 .LBB28_1211
; %bb.1207:
	global_load_dwordx2 v[2:3], v[0:1], off
	s_movk_i32 s0, 0x1ff
	s_movk_i32 s1, 0xffe
	v_mov_b32_e32 v4, 0x7c00
	v_mov_b32_e32 v5, 0x7e00
	s_movk_i32 s12, 0x40f
	s_mov_b32 s13, 0x8000
	s_waitcnt vmcnt(0)
	v_and_or_b32 v2, v3, s0, v2
	v_cmp_ne_u32_e32 vcc, 0, v2
	v_lshrrev_b32_e32 v7, 8, v3
	v_bfe_u32 v9, v3, 20, 11
	v_cndmask_b32_e64 v2, 0, 1, vcc
	v_sub_u32_e32 v10, 0x3f1, v9
	v_and_or_b32 v2, v7, s1, v2
	v_add_u32_e32 v9, 0xfffffc10, v9
	v_med3_i32 v7, v10, 0, 13
	v_or_b32_e32 v10, 0x1000, v2
	v_cmp_ne_u32_e32 vcc, 0, v2
	v_lshl_or_b32 v11, v9, 12, v2
	v_cndmask_b32_e32 v2, v4, v5, vcc
	v_lshrrev_b32_e32 v5, v7, v10
	v_lshlrev_b32_e32 v7, v7, v5
	v_cmp_ne_u32_e32 vcc, v7, v10
	v_cndmask_b32_e64 v7, 0, 1, vcc
	v_or_b32_e32 v5, v5, v7
	v_cmp_gt_i32_e32 vcc, 1, v9
	v_cndmask_b32_e32 v5, v11, v5, vcc
	v_and_b32_e32 v7, 7, v5
	v_cmp_lt_i32_e32 vcc, 5, v7
	v_cndmask_b32_e64 v10, 0, 1, vcc
	v_cmp_eq_u32_e32 vcc, 3, v7
	v_cndmask_b32_e64 v7, 0, 1, vcc
	v_lshrrev_b32_e32 v5, 2, v5
	v_or_b32_e32 v7, v7, v10
	v_add_u32_e32 v5, v5, v7
	v_cmp_gt_i32_e32 vcc, 31, v9
	v_cndmask_b32_e32 v4, v4, v5, vcc
	v_cmp_eq_u32_e32 vcc, s12, v9
	v_lshrrev_b32_e32 v3, 16, v3
	v_cndmask_b32_e32 v2, v4, v2, vcc
	v_and_or_b32 v2, v3, s13, v2
	s_mov_b64 s[0:1], 0
	s_branch .LBB28_1212
.LBB28_1208:
                                        ; implicit-def: $vgpr2
	s_branch .LBB28_1229
.LBB28_1209:
                                        ; implicit-def: $vgpr2
	s_branch .LBB28_1218
.LBB28_1210:
	s_mov_b64 s[0:1], -1
                                        ; implicit-def: $vgpr2
	s_branch .LBB28_1215
.LBB28_1211:
	s_mov_b64 s[0:1], -1
                                        ; implicit-def: $vgpr2
.LBB28_1212:
	s_andn2_b64 vcc, exec, s[0:1]
	s_cbranch_vccnz .LBB28_1214
; %bb.1213:
	global_load_dword v2, v[0:1], off
	s_waitcnt vmcnt(0)
	v_cvt_f16_f32_e32 v2, v2
.LBB28_1214:
	s_mov_b64 s[0:1], 0
.LBB28_1215:
	s_andn2_b64 vcc, exec, s[0:1]
	s_cbranch_vccnz .LBB28_1217
; %bb.1216:
	global_load_dword v2, v[0:1], off
.LBB28_1217:
	s_cbranch_execnz .LBB28_1228
.LBB28_1218:
	s_cmp_lt_i32 s24, 6
	s_cbranch_scc1 .LBB28_1221
; %bb.1219:
	s_cmp_gt_i32 s24, 6
	s_cbranch_scc0 .LBB28_1222
; %bb.1220:
	global_load_dwordx2 v[2:3], v[0:1], off
	s_movk_i32 s0, 0x1ff
	s_movk_i32 s1, 0xffe
	v_mov_b32_e32 v4, 0x7c00
	v_mov_b32_e32 v5, 0x7e00
	s_movk_i32 s12, 0x40f
	s_mov_b32 s13, 0x8000
	s_waitcnt vmcnt(0)
	v_and_or_b32 v2, v3, s0, v2
	v_cmp_ne_u32_e32 vcc, 0, v2
	v_lshrrev_b32_e32 v7, 8, v3
	v_bfe_u32 v9, v3, 20, 11
	v_cndmask_b32_e64 v2, 0, 1, vcc
	v_sub_u32_e32 v10, 0x3f1, v9
	v_and_or_b32 v2, v7, s1, v2
	v_add_u32_e32 v9, 0xfffffc10, v9
	v_med3_i32 v7, v10, 0, 13
	v_or_b32_e32 v10, 0x1000, v2
	v_cmp_ne_u32_e32 vcc, 0, v2
	v_lshl_or_b32 v11, v9, 12, v2
	v_cndmask_b32_e32 v2, v4, v5, vcc
	v_lshrrev_b32_e32 v5, v7, v10
	v_lshlrev_b32_e32 v7, v7, v5
	v_cmp_ne_u32_e32 vcc, v7, v10
	v_cndmask_b32_e64 v7, 0, 1, vcc
	v_or_b32_e32 v5, v5, v7
	v_cmp_gt_i32_e32 vcc, 1, v9
	v_cndmask_b32_e32 v5, v11, v5, vcc
	v_and_b32_e32 v7, 7, v5
	v_cmp_lt_i32_e32 vcc, 5, v7
	v_cndmask_b32_e64 v10, 0, 1, vcc
	v_cmp_eq_u32_e32 vcc, 3, v7
	v_cndmask_b32_e64 v7, 0, 1, vcc
	v_lshrrev_b32_e32 v5, 2, v5
	v_or_b32_e32 v7, v7, v10
	v_add_u32_e32 v5, v5, v7
	v_cmp_gt_i32_e32 vcc, 31, v9
	v_cndmask_b32_e32 v4, v4, v5, vcc
	v_cmp_eq_u32_e32 vcc, s12, v9
	v_lshrrev_b32_e32 v3, 16, v3
	v_cndmask_b32_e32 v2, v4, v2, vcc
	v_and_or_b32 v2, v3, s13, v2
	s_mov_b64 s[0:1], 0
	s_branch .LBB28_1223
.LBB28_1221:
	s_mov_b64 s[0:1], -1
                                        ; implicit-def: $vgpr2
	s_branch .LBB28_1226
.LBB28_1222:
	s_mov_b64 s[0:1], -1
                                        ; implicit-def: $vgpr2
.LBB28_1223:
	s_andn2_b64 vcc, exec, s[0:1]
	s_cbranch_vccnz .LBB28_1225
; %bb.1224:
	global_load_dword v2, v[0:1], off
	s_waitcnt vmcnt(0)
	v_cvt_f16_f32_e32 v2, v2
.LBB28_1225:
	s_mov_b64 s[0:1], 0
.LBB28_1226:
	s_andn2_b64 vcc, exec, s[0:1]
	s_cbranch_vccnz .LBB28_1228
; %bb.1227:
	global_load_ushort v2, v[0:1], off
.LBB28_1228:
	s_cbranch_execnz .LBB28_1247
.LBB28_1229:
	s_cmp_lt_i32 s24, 2
	s_cbranch_scc1 .LBB28_1233
; %bb.1230:
	s_cmp_lt_i32 s24, 3
	s_cbranch_scc1 .LBB28_1234
; %bb.1231:
	s_cmp_gt_i32 s24, 3
	s_cbranch_scc0 .LBB28_1235
; %bb.1232:
	global_load_dwordx2 v[2:3], v[0:1], off
	s_mov_b64 s[0:1], 0
	s_waitcnt vmcnt(0)
	v_xor_b32_e32 v5, v2, v3
	v_ffbh_i32_e32 v4, v3
	v_ashrrev_i32_e32 v5, 31, v5
	v_add_u32_e32 v4, -1, v4
	v_add_u32_e32 v5, 32, v5
	v_min_u32_e32 v4, v4, v5
	v_lshlrev_b64 v[2:3], v4, v[2:3]
	v_min_u32_e32 v2, 1, v2
	v_or_b32_e32 v2, v3, v2
	v_cvt_f32_i32_e32 v2, v2
	v_sub_u32_e32 v3, 32, v4
	v_ldexp_f32 v2, v2, v3
	v_cvt_f16_f32_e32 v2, v2
	s_branch .LBB28_1236
.LBB28_1233:
                                        ; implicit-def: $vgpr2
	s_branch .LBB28_1242
.LBB28_1234:
	s_mov_b64 s[0:1], -1
                                        ; implicit-def: $vgpr2
	s_branch .LBB28_1239
.LBB28_1235:
	s_mov_b64 s[0:1], -1
                                        ; implicit-def: $vgpr2
.LBB28_1236:
	s_andn2_b64 vcc, exec, s[0:1]
	s_cbranch_vccnz .LBB28_1238
; %bb.1237:
	global_load_dword v2, v[0:1], off
	s_waitcnt vmcnt(0)
	v_cvt_f32_i32_e32 v2, v2
	v_cvt_f16_f32_e32 v2, v2
.LBB28_1238:
	s_mov_b64 s[0:1], 0
.LBB28_1239:
	s_andn2_b64 vcc, exec, s[0:1]
	s_cbranch_vccnz .LBB28_1241
; %bb.1240:
	global_load_ushort v2, v[0:1], off
	s_waitcnt vmcnt(0)
	v_cvt_f16_i16_e32 v2, v2
.LBB28_1241:
	s_cbranch_execnz .LBB28_1247
.LBB28_1242:
	s_cmp_gt_i32 s24, 0
	s_cbranch_scc0 .LBB28_1244
; %bb.1243:
	global_load_sbyte v2, v[0:1], off
	s_mov_b64 s[0:1], 0
	s_waitcnt vmcnt(0)
	v_cvt_f16_i16_e32 v2, v2
	s_branch .LBB28_1245
.LBB28_1244:
	s_mov_b64 s[0:1], -1
                                        ; implicit-def: $vgpr2
.LBB28_1245:
	s_andn2_b64 vcc, exec, s[0:1]
	s_cbranch_vccnz .LBB28_1247
; %bb.1246:
	global_load_ubyte v0, v[0:1], off
	s_waitcnt vmcnt(0)
	v_cvt_f16_u16_e32 v2, v0
.LBB28_1247:
.LBB28_1248:
	s_waitcnt vmcnt(0)
	v_cvt_f32_f16_e32 v9, v2
	v_cmp_neq_f16_e32 vcc, 0, v2
                                        ; implicit-def: $vgpr7
	s_and_saveexec_b64 s[0:1], vcc
	s_xor_b64 s[12:13], exec, s[0:1]
	s_cbranch_execz .LBB28_1270
; %bb.1249:
	v_cmp_gt_f16_e32 vcc, 0, v2
	s_mov_b64 s[0:1], -1
	v_mov_b32_e32 v0, 0
	s_and_saveexec_b64 s[16:17], vcc
	s_cbranch_execz .LBB28_1257
; %bb.1250:
	v_trunc_f32_e32 v0, v9
	v_cmp_neq_f32_e32 vcc, v0, v9
	s_mov_b64 s[20:21], 0
	v_mov_b32_e32 v0, 0
	s_and_saveexec_b64 s[18:19], vcc
	s_cbranch_execz .LBB28_1256
; %bb.1251:
	v_cvt_f32_f16_e32 v0, v2
	s_mov_b32 s0, 0
	s_mov_b32 s21, 0xc00921fb
	;; [unrolled: 1-line block ×3, first 2 shown]
	v_cvt_f64_f32_e32 v[0:1], v0
	s_mov_b32 s1, 0x7ff00000
	v_bfrev_b32_e32 v4, 1
	s_mov_b32 s22, 0
	v_trunc_f64_e32 v[2:3], v[0:1]
	v_cmp_neq_f64_e64 vcc, |v[0:1]|, s[0:1]
	s_mov_b32 s23, 0x41d00000
                                        ; implicit-def: $vgpr7
	v_add_f64 v[2:3], v[0:1], -v[2:3]
	v_mul_f64 v[2:3], |v[2:3]|, s[20:21]
	v_cndmask_b32_e32 v1, v4, v3, vcc
	v_cndmask_b32_e32 v0, 0, v2, vcc
	v_cmp_nlt_f64_e64 s[22:23], |v[0:1]|, s[22:23]
                                        ; implicit-def: $vgpr2_vgpr3
                                        ; implicit-def: $vgpr4_vgpr5
	s_and_saveexec_b64 s[26:27], s[22:23]
	s_xor_b64 s[22:23], exec, s[26:27]
	s_cbranch_execz .LBB28_1253
; %bb.1252:
	v_trig_preop_f64 v[2:3], |v[0:1]|, 0
	s_mov_b32 s26, 0
	s_mov_b32 s27, 0x7b000000
	s_movk_i32 s21, 0xff80
	v_ldexp_f64 v[10:11], |v[0:1]|, s21
	v_cmp_ge_f64_e64 vcc, |v[0:1]|, s[26:27]
	v_trig_preop_f64 v[4:5], |v[0:1]|, 1
	v_and_b32_e32 v7, 0x7fffffff, v1
	v_trig_preop_f64 v[16:17], |v[0:1]|, 2
	s_mov_b32 s21, 0x3ff921fb
	v_cndmask_b32_e32 v11, v7, v11, vcc
	v_cndmask_b32_e32 v10, v0, v10, vcc
	v_mov_b32_e32 v7, 0x40100000
	v_mul_f64 v[12:13], v[2:3], v[10:11]
	v_mul_f64 v[14:15], v[4:5], v[10:11]
	;; [unrolled: 1-line block ×3, first 2 shown]
	v_fma_f64 v[2:3], v[2:3], v[10:11], -v[12:13]
	v_fma_f64 v[4:5], v[4:5], v[10:11], -v[14:15]
	;; [unrolled: 1-line block ×3, first 2 shown]
	v_add_f64 v[18:19], v[14:15], v[2:3]
	v_add_f64 v[20:21], v[18:19], -v[14:15]
	v_add_f64 v[16:17], v[12:13], v[18:19]
	v_add_f64 v[2:3], v[2:3], -v[20:21]
	v_add_f64 v[20:21], v[18:19], -v[20:21]
	;; [unrolled: 1-line block ×3, first 2 shown]
	v_ldexp_f64 v[16:17], v[16:17], -2
	v_add_f64 v[14:15], v[14:15], -v[20:21]
	v_add_f64 v[20:21], v[22:23], v[4:5]
	v_add_f64 v[12:13], v[18:19], -v[12:13]
	v_fract_f64_e32 v[18:19], v[16:17]
	v_cmp_neq_f64_e64 vcc, |v[16:17]|, s[0:1]
	v_add_f64 v[2:3], v[2:3], v[14:15]
	v_add_f64 v[14:15], v[20:21], -v[22:23]
	v_ldexp_f64 v[18:19], v[18:19], 2
	v_add_f64 v[4:5], v[4:5], -v[14:15]
	v_add_f64 v[14:15], v[20:21], -v[14:15]
	;; [unrolled: 1-line block ×3, first 2 shown]
	v_add_f64 v[22:23], v[20:21], v[2:3]
	v_add_f64 v[4:5], v[4:5], v[14:15]
	v_add_f64 v[16:17], v[22:23], -v[20:21]
	v_cndmask_b32_e32 v15, 0, v19, vcc
	v_cndmask_b32_e32 v14, 0, v18, vcc
	v_add_f64 v[18:19], v[12:13], v[22:23]
	v_add_f64 v[2:3], v[2:3], -v[16:17]
	v_add_f64 v[16:17], v[22:23], -v[16:17]
	v_add_f64 v[12:13], v[18:19], -v[12:13]
	v_add_f64 v[16:17], v[20:21], -v[16:17]
	v_add_f64 v[20:21], v[18:19], v[14:15]
	v_add_f64 v[12:13], v[22:23], -v[12:13]
	v_add_f64 v[2:3], v[2:3], v[16:17]
	v_cmp_gt_f64_e32 vcc, 0, v[20:21]
	v_mov_b32_e32 v20, 0
	v_add_f64 v[2:3], v[4:5], v[2:3]
	v_cndmask_b32_e32 v21, 0, v7, vcc
	v_add_f64 v[14:15], v[14:15], v[20:21]
	v_add_f64 v[2:3], v[10:11], v[2:3]
	;; [unrolled: 1-line block ×4, first 2 shown]
	v_mov_b32_e32 v12, 0x3ff00000
	v_cvt_i32_f64_e32 v7, v[16:17]
	v_cvt_f64_i32_e32 v[16:17], v7
	v_add_f64 v[14:15], v[14:15], -v[16:17]
	v_add_f64 v[4:5], v[18:19], v[14:15]
	v_add_f64 v[10:11], v[4:5], -v[14:15]
	v_cmp_le_f64_e32 vcc, 0.5, v[4:5]
	v_add_f64 v[10:11], v[18:19], -v[10:11]
	v_cndmask_b32_e32 v21, 0, v12, vcc
	v_add_f64 v[4:5], v[4:5], -v[20:21]
	v_addc_co_u32_e64 v7, s[0:1], 0, v7, vcc
	s_mov_b32 s0, 0x33145c07
	s_mov_b32 s1, 0x3c91a626
	v_add_f64 v[2:3], v[2:3], v[10:11]
	v_add_f64 v[10:11], v[4:5], v[2:3]
	v_mul_f64 v[12:13], v[10:11], s[20:21]
	v_add_f64 v[4:5], v[10:11], -v[4:5]
	v_fma_f64 v[14:15], v[10:11], s[20:21], -v[12:13]
	v_add_f64 v[2:3], v[2:3], -v[4:5]
	v_fma_f64 v[4:5], v[10:11], s[0:1], v[14:15]
	v_fma_f64 v[4:5], v[2:3], s[20:21], v[4:5]
	v_add_f64 v[2:3], v[12:13], v[4:5]
	v_add_f64 v[10:11], v[2:3], -v[12:13]
	v_add_f64 v[4:5], v[4:5], -v[10:11]
.LBB28_1253:
	s_andn2_saveexec_b64 s[0:1], s[22:23]
	s_cbranch_execz .LBB28_1255
; %bb.1254:
	s_mov_b32 s20, 0x6dc9c883
	s_mov_b32 s21, 0x3fe45f30
	v_mul_f64 v[2:3], |v[0:1]|, s[20:21]
	s_mov_b32 s20, 0x54442d18
	s_mov_b32 s21, 0xbff921fb
	;; [unrolled: 1-line block ×4, first 2 shown]
	v_rndne_f64_e32 v[10:11], v[2:3]
	v_fma_f64 v[2:3], v[10:11], s[20:21], |v[0:1]|
	v_mul_f64 v[4:5], v[10:11], s[22:23]
	s_mov_b32 s20, 0x252049c0
	s_mov_b32 s21, 0xb97b839a
	v_cvt_i32_f64_e32 v7, v[10:11]
	v_fma_f64 v[16:17], v[10:11], s[22:23], v[2:3]
	v_add_f64 v[12:13], v[2:3], v[4:5]
	s_mov_b32 s23, 0x3c91a626
	v_add_f64 v[14:15], v[2:3], -v[12:13]
	v_add_f64 v[12:13], v[12:13], -v[16:17]
	v_add_f64 v[2:3], v[14:15], v[4:5]
	v_fma_f64 v[4:5], v[10:11], s[22:23], v[4:5]
	v_add_f64 v[2:3], v[12:13], v[2:3]
	v_add_f64 v[2:3], v[2:3], -v[4:5]
	v_fma_f64 v[4:5], v[10:11], s[20:21], v[2:3]
	v_add_f64 v[2:3], v[16:17], v[4:5]
	v_add_f64 v[12:13], v[2:3], -v[16:17]
	v_add_f64 v[4:5], v[4:5], -v[12:13]
.LBB28_1255:
	s_or_b64 exec, exec, s[0:1]
	v_mul_f64 v[10:11], v[2:3], v[2:3]
	v_add_f64 v[12:13], v[4:5], v[4:5]
	s_mov_b32 s0, 0xc751c08c
	s_mov_b32 s1, 0x3ef5e089
	v_and_b32_e32 v7, 1, v7
	v_cmp_eq_u32_e32 vcc, 0, v7
	s_mov_b32 s22, 0x54442d18
	s_mov_b32 s23, 0xc00921fb
	v_fma_f64 v[14:15], v[2:3], v[2:3], -v[10:11]
	s_mov_b64 s[20:21], exec
	v_sub_f32_e32 v9, 1.0, v9
	v_fma_f64 v[12:13], v[2:3], v[12:13], v[14:15]
	v_add_f64 v[10:11], v[10:11], v[12:13]
	v_mov_b32_e32 v12, 0xa9a29f71
	v_mov_b32_e32 v13, 0xbf078809
	v_fma_f64 v[12:13], v[10:11], s[0:1], v[12:13]
	s_mov_b32 s0, 0x90a8aae0
	s_mov_b32 s1, 0x3f17746f
	v_fma_f64 v[12:13], v[10:11], v[12:13], s[0:1]
	s_mov_b32 s0, 0xa6fbf144
	s_mov_b32 s1, 0xbefbb44d
	;; [unrolled: 3-line block ×12, first 2 shown]
	v_fma_f64 v[12:13], v[10:11], v[12:13], s[0:1]
	s_movk_i32 s0, 0x1f8
	v_cmp_class_f64_e64 s[0:1], v[0:1], s0
	v_mul_f64 v[10:11], v[10:11], v[12:13]
	v_mul_f64 v[12:13], v[2:3], v[10:11]
	v_add_f64 v[14:15], v[2:3], v[12:13]
	v_fma_f64 v[10:11], v[2:3], v[10:11], -v[12:13]
	v_add_f64 v[2:3], v[14:15], -v[2:3]
	v_add_f64 v[4:5], v[4:5], v[10:11]
	v_add_f64 v[2:3], v[12:13], -v[2:3]
	v_add_f64 v[2:3], v[4:5], v[2:3]
	v_add_f64 v[4:5], v[14:15], v[2:3]
	v_rcp_f64_e32 v[10:11], v[4:5]
	v_fma_f64 v[12:13], -v[4:5], v[10:11], 1.0
	v_fma_f64 v[10:11], v[12:13], v[10:11], v[10:11]
	v_fma_f64 v[12:13], -v[4:5], v[10:11], 1.0
	v_fma_f64 v[10:11], v[12:13], v[10:11], v[10:11]
	v_add_f64 v[12:13], v[4:5], -v[14:15]
	v_mul_f64 v[14:15], v[4:5], v[10:11]
	v_add_f64 v[2:3], v[2:3], -v[12:13]
	v_fma_f64 v[12:13], v[10:11], v[4:5], -v[14:15]
	v_fma_f64 v[2:3], v[10:11], v[2:3], v[12:13]
	v_add_f64 v[12:13], v[14:15], v[2:3]
	v_add_f64 v[16:17], -v[12:13], 1.0
	v_add_f64 v[14:15], v[12:13], -v[14:15]
	v_add_f64 v[18:19], -v[16:17], 1.0
	v_add_f64 v[2:3], v[14:15], -v[2:3]
	v_add_f64 v[12:13], v[18:19], -v[12:13]
	v_add_f64 v[2:3], v[2:3], v[12:13]
	v_add_f64 v[2:3], v[16:17], v[2:3]
	v_mul_f64 v[2:3], v[10:11], v[2:3]
	v_add_f64 v[2:3], v[10:11], v[2:3]
	v_and_b32_e32 v10, 0x80000000, v1
	v_mov_b32_e32 v1, 0x7ff80000
	v_xor_b32_e32 v0, 0x80000000, v3
	v_cndmask_b32_e32 v2, v2, v4, vcc
	v_cndmask_b32_e32 v3, v0, v5, vcc
	v_cndmask_b32_e64 v0, 0, v2, s[0:1]
	v_xor_b32_e32 v2, v3, v10
	v_cndmask_b32_e64 v1, v1, v2, s[0:1]
	v_div_scale_f64 v[2:3], s[0:1], v[0:1], v[0:1], s[22:23]
	v_div_scale_f64 v[12:13], vcc, s[22:23], v[0:1], s[22:23]
	v_rcp_f64_e32 v[4:5], v[2:3]
	v_fma_f64 v[10:11], -v[2:3], v[4:5], 1.0
	v_fma_f64 v[4:5], v[4:5], v[10:11], v[4:5]
	v_fma_f64 v[10:11], -v[2:3], v[4:5], 1.0
	v_fma_f64 v[4:5], v[4:5], v[10:11], v[4:5]
	v_mul_f64 v[10:11], v[12:13], v[4:5]
	v_fma_f64 v[2:3], -v[2:3], v[10:11], v[12:13]
	v_div_fmas_f64 v[2:3], v[2:3], v[4:5], v[10:11]
	v_div_fixup_f64 v[0:1], v[2:3], v[0:1], s[22:23]
	v_cvt_f32_f64_e32 v0, v[0:1]
.LBB28_1256:
	s_or_b64 exec, exec, s[18:19]
	s_orn2_b64 s[0:1], s[20:21], exec
.LBB28_1257:
	s_or_b64 exec, exec, s[16:17]
	v_mov_b32_e32 v7, 0x7e00
	s_and_saveexec_b64 s[16:17], s[0:1]
	s_cbranch_execz .LBB28_1269
; %bb.1258:
	s_mov_b32 s20, 0x41200000
	v_cmp_gt_f32_e32 vcc, s20, v9
	s_and_saveexec_b64 s[0:1], vcc
	s_cbranch_execz .LBB28_1262
; %bb.1259:
	s_mov_b64 s[18:19], 0
.LBB28_1260:                            ; =>This Inner Loop Header: Depth=1
	v_div_scale_f32 v1, s[22:23], v9, v9, 1.0
	v_div_scale_f32 v2, vcc, 1.0, v9, 1.0
	v_rcp_f32_e32 v3, v1
	v_fma_f32 v4, -v1, v3, 1.0
	v_fmac_f32_e32 v3, v4, v3
	v_mul_f32_e32 v4, v2, v3
	v_fma_f32 v5, -v1, v4, v2
	v_fmac_f32_e32 v4, v5, v3
	v_fma_f32 v1, -v1, v4, v2
	v_div_fmas_f32 v1, v1, v3, v4
	v_div_fixup_f32 v1, v1, v9, 1.0
	v_add_f32_e32 v9, 1.0, v9
	v_cmp_ngt_f32_e32 vcc, s20, v9
	s_or_b64 s[18:19], vcc, s[18:19]
	v_sub_f32_e32 v0, v0, v1
	s_andn2_b64 exec, exec, s[18:19]
	s_cbranch_execnz .LBB28_1260
; %bb.1261:
	s_or_b64 exec, exec, s[18:19]
.LBB28_1262:
	s_or_b64 exec, exec, s[0:1]
	s_mov_b32 s0, 0x41200000
	v_cmp_neq_f32_e32 vcc, s0, v9
                                        ; implicit-def: $vgpr7
	s_and_saveexec_b64 s[0:1], vcc
	s_xor_b64 s[18:19], exec, s[0:1]
	s_cbranch_execz .LBB28_1266
; %bb.1263:
	v_cvt_f64_f32_e32 v[1:2], v9
	s_mov_b32 s0, 0x85d8a000
	s_mov_b32 s1, 0x43763457
	v_cmp_gt_f64_e32 vcc, s[0:1], v[1:2]
	v_mov_b32_e32 v1, 0
	s_and_saveexec_b64 s[0:1], vcc
	s_cbranch_execz .LBB28_1265
; %bb.1264:
	v_mul_f32_e32 v1, v9, v9
	v_div_scale_f32 v2, s[20:21], v1, v1, 1.0
	v_div_scale_f32 v3, vcc, 1.0, v1, 1.0
	v_mov_b32_e32 v10, 0x3b820821
	v_rcp_f32_e32 v4, v2
	v_fma_f32 v5, -v2, v4, 1.0
	v_fmac_f32_e32 v4, v5, v4
	v_mul_f32_e32 v5, v3, v4
	v_fma_f32 v7, -v2, v5, v3
	v_fmac_f32_e32 v5, v7, v4
	v_fma_f32 v2, -v2, v5, v3
	v_div_fmas_f32 v2, v2, v4, v5
	v_mov_b32_e32 v3, 0x3daaaaab
	v_mov_b32_e32 v4, 0xbcaccacd
	;; [unrolled: 1-line block ×4, first 2 shown]
	v_div_fixup_f32 v1, v2, v1, 1.0
	v_fma_f32 v2, 0, v1, v3
	v_fmac_f32_e32 v4, v1, v2
	v_fmac_f32_e32 v5, v1, v4
	;; [unrolled: 1-line block ×4, first 2 shown]
	v_mov_b32_e32 v2, 0xbc088889
	v_fmac_f32_e32 v2, v1, v10
	v_fmac_f32_e32 v3, v1, v2
	v_mul_f32_e32 v1, v1, v3
.LBB28_1265:
	s_or_b64 exec, exec, s[0:1]
	v_div_scale_f32 v2, s[0:1], v9, v9, -0.5
	v_div_scale_f32 v3, vcc, -0.5, v9, -0.5
	s_mov_b32 s0, 0x800000
	v_cmp_gt_f32_e64 s[0:1], s0, v9
	v_cndmask_b32_e64 v5, 0, 32, s[0:1]
	s_mov_b32 s20, 0x3f317217
	v_rcp_f32_e32 v4, v2
	v_fma_f32 v7, -v2, v4, 1.0
	v_fmac_f32_e32 v4, v7, v4
	v_mul_f32_e32 v7, v3, v4
	v_fma_f32 v10, -v2, v7, v3
	v_fmac_f32_e32 v7, v10, v4
	v_fma_f32 v2, -v2, v7, v3
	v_div_fmas_f32 v2, v2, v4, v7
	v_ldexp_f32 v3, v9, v5
	v_log_f32_e32 v3, v3
	v_mul_f32_e32 v4, 0x3f317217, v3
	v_fma_f32 v4, v3, s20, -v4
	v_fmac_f32_e32 v4, 0x3377d1cf, v3
	s_mov_b32 s20, 0x7f800000
	v_fmac_f32_e32 v4, 0x3f317217, v3
	v_cmp_lt_f32_e64 vcc, |v3|, s20
	v_cndmask_b32_e32 v3, v3, v4, vcc
	v_mov_b32_e32 v4, 0x41b17218
	v_cndmask_b32_e64 v4, 0, v4, s[0:1]
	v_sub_f32_e32 v3, v3, v4
	v_div_fixup_f32 v2, v2, v9, -0.5
	v_add_f32_e32 v2, v3, v2
	v_sub_f32_e32 v1, v2, v1
	v_add_f32_e32 v0, v0, v1
	v_cvt_f16_f32_e32 v7, v0
                                        ; implicit-def: $vgpr0
.LBB28_1266:
	s_andn2_saveexec_b64 s[0:1], s[18:19]
; %bb.1267:
	v_add_f32_e32 v0, 0x40101cb7, v0
	v_cvt_f16_f32_e32 v7, v0
; %bb.1268:
	s_or_b64 exec, exec, s[0:1]
.LBB28_1269:
	s_or_b64 exec, exec, s[16:17]
                                        ; implicit-def: $vgpr9
.LBB28_1270:
	s_andn2_saveexec_b64 s[0:1], s[12:13]
; %bb.1271:
	v_xor_b32_e32 v0, 0x80000000, v9
	s_movk_i32 s12, 0x8000
	v_and_b32_sdwa v0, v0, s12 dst_sel:DWORD dst_unused:UNUSED_PAD src0_sel:WORD_1 src1_sel:DWORD
	v_or_b32_e32 v7, 0x7c00, v0
; %bb.1272:
	s_or_b64 exec, exec, s[0:1]
	s_lshl_b32 s3, s3, 7
	v_add_u32_e32 v9, s3, v8
	v_ashrrev_i32_e32 v1, 31, v9
	v_mov_b32_e32 v2, s11
	v_add_co_u32_e32 v0, vcc, s10, v9
	s_cmp_lt_i32 s24, 11
	v_addc_co_u32_e32 v1, vcc, v2, v1, vcc
	s_cbranch_scc1 .LBB28_1279
; %bb.1273:
	s_cmp_gt_i32 s24, 25
	s_mov_b64 s[12:13], 0
	s_cbranch_scc0 .LBB28_1281
; %bb.1274:
	s_cmp_gt_i32 s24, 28
	s_cbranch_scc0 .LBB28_1282
; %bb.1275:
	s_cmp_gt_i32 s24, 43
	;; [unrolled: 3-line block ×3, first 2 shown]
	s_cbranch_scc0 .LBB28_1285
; %bb.1277:
	s_cmp_eq_u32 s24, 46
	s_mov_b64 s[18:19], 0
	s_cbranch_scc0 .LBB28_1288
; %bb.1278:
	global_load_dword v2, v[0:1], off
	s_mov_b64 s[0:1], 0
	s_mov_b64 s[16:17], -1
	s_waitcnt vmcnt(0)
	v_lshlrev_b32_e32 v2, 16, v2
	v_cvt_f16_f32_e32 v2, v2
	s_branch .LBB28_1289
.LBB28_1279:
	s_mov_b64 s[16:17], 0
                                        ; implicit-def: $vgpr2
	s_cbranch_execnz .LBB28_1354
.LBB28_1280:
	s_andn2_b64 vcc, exec, s[16:17]
	s_cbranch_vccnz .LBB28_1810
	s_branch .LBB28_1401
.LBB28_1281:
	s_mov_b64 s[16:17], 0
	s_mov_b64 s[0:1], 0
                                        ; implicit-def: $vgpr2
	s_cbranch_execnz .LBB28_1318
	s_branch .LBB28_1350
.LBB28_1282:
	s_mov_b64 s[18:19], -1
	s_mov_b64 s[16:17], 0
	s_mov_b64 s[0:1], 0
                                        ; implicit-def: $vgpr2
	s_branch .LBB28_1299
.LBB28_1283:
	s_mov_b64 s[18:19], -1
	s_mov_b64 s[16:17], 0
	s_mov_b64 s[0:1], 0
                                        ; implicit-def: $vgpr2
	s_branch .LBB28_1294
.LBB28_1284:
	s_or_b64 s[14:15], s[6:7], exec
	s_trap 2
	s_cbranch_execz .LBB28_1201
	s_branch .LBB28_1202
.LBB28_1285:
	s_mov_b64 s[18:19], -1
	s_mov_b64 s[16:17], 0
	s_mov_b64 s[0:1], 0
                                        ; implicit-def: $vgpr2
	s_branch .LBB28_1289
.LBB28_1286:
	s_andn2_saveexec_b64 s[24:25], s[24:25]
	s_cbranch_execz .LBB28_1048
.LBB28_1287:
	s_mov_b32 s28, 0x42800000
	v_add_f32_e64 v4, |v3|, s28
	v_and_b32_e32 v4, 0xff, v4
	v_cmp_ne_u32_e32 vcc, 0, v4
	s_andn2_b64 s[22:23], s[22:23], exec
	s_and_b64 s[28:29], vcc, exec
	s_or_b64 s[22:23], s[22:23], s[28:29]
	s_or_b64 exec, exec, s[24:25]
	v_mov_b32_e32 v5, 0
	s_and_saveexec_b64 s[24:25], s[22:23]
	s_cbranch_execnz .LBB28_1049
	s_branch .LBB28_1050
.LBB28_1288:
	s_mov_b64 s[0:1], -1
                                        ; implicit-def: $vgpr2
	s_mov_b64 s[16:17], 0
.LBB28_1289:
	s_and_b64 vcc, exec, s[18:19]
	s_cbranch_vccz .LBB28_1293
; %bb.1290:
	s_cmp_eq_u32 s24, 44
	s_cbranch_scc0 .LBB28_1292
; %bb.1291:
	global_load_ubyte v2, v[0:1], off
	s_movk_i32 s16, 0xff
	v_mov_b32_e32 v4, 0x7e00
	s_mov_b64 s[0:1], 0
	s_waitcnt vmcnt(0)
	v_lshlrev_b32_e32 v3, 23, v2
	v_cvt_f16_f32_e32 v3, v3
	v_cmp_ne_u32_e32 vcc, s16, v2
	s_mov_b64 s[16:17], -1
	v_cndmask_b32_e32 v3, v4, v3, vcc
	v_cmp_ne_u32_e32 vcc, 0, v2
	v_cndmask_b32_e32 v2, 0, v3, vcc
	s_branch .LBB28_1293
.LBB28_1292:
	s_mov_b64 s[0:1], -1
                                        ; implicit-def: $vgpr2
.LBB28_1293:
	s_mov_b64 s[18:19], 0
.LBB28_1294:
	s_and_b64 vcc, exec, s[18:19]
	s_cbranch_vccz .LBB28_1298
; %bb.1295:
	s_cmp_eq_u32 s24, 29
	s_cbranch_scc0 .LBB28_1297
; %bb.1296:
	global_load_dwordx2 v[2:3], v[0:1], off
	s_mov_b64 s[0:1], 0
	s_mov_b64 s[16:17], -1
	s_mov_b64 s[18:19], 0
	s_waitcnt vmcnt(0)
	v_ffbh_u32_e32 v4, v3
	v_min_u32_e32 v4, 32, v4
	v_lshlrev_b64 v[2:3], v4, v[2:3]
	v_min_u32_e32 v2, 1, v2
	v_or_b32_e32 v2, v3, v2
	v_cvt_f32_u32_e32 v2, v2
	v_sub_u32_e32 v3, 32, v4
	v_ldexp_f32 v2, v2, v3
	v_cvt_f16_f32_e32 v2, v2
	s_branch .LBB28_1299
.LBB28_1297:
	s_mov_b64 s[0:1], -1
                                        ; implicit-def: $vgpr2
.LBB28_1298:
	s_mov_b64 s[18:19], 0
.LBB28_1299:
	s_and_b64 vcc, exec, s[18:19]
	s_cbranch_vccz .LBB28_1317
; %bb.1300:
	s_cmp_lt_i32 s24, 27
	s_cbranch_scc1 .LBB28_1303
; %bb.1301:
	s_cmp_gt_i32 s24, 27
	s_cbranch_scc0 .LBB28_1304
; %bb.1302:
	global_load_dword v2, v[0:1], off
	s_mov_b64 s[16:17], 0
	s_waitcnt vmcnt(0)
	v_cvt_f32_u32_e32 v2, v2
	v_cvt_f16_f32_e32 v2, v2
	s_branch .LBB28_1305
.LBB28_1303:
	s_mov_b64 s[16:17], -1
                                        ; implicit-def: $vgpr2
	s_branch .LBB28_1308
.LBB28_1304:
	s_mov_b64 s[16:17], -1
                                        ; implicit-def: $vgpr2
.LBB28_1305:
	s_andn2_b64 vcc, exec, s[16:17]
	s_cbranch_vccnz .LBB28_1307
; %bb.1306:
	global_load_ushort v2, v[0:1], off
	s_waitcnt vmcnt(0)
	v_cvt_f16_u16_e32 v2, v2
.LBB28_1307:
	s_mov_b64 s[16:17], 0
.LBB28_1308:
	s_andn2_b64 vcc, exec, s[16:17]
	s_cbranch_vccnz .LBB28_1316
; %bb.1309:
	global_load_ubyte v3, v[0:1], off
	s_movk_i32 s16, 0x7f
	s_waitcnt vmcnt(0)
	v_cmp_lt_i16_e32 vcc, s16, v3
	s_mov_b64 s[16:17], 0
	s_and_saveexec_b64 s[18:19], vcc
	s_xor_b64 s[18:19], exec, s[18:19]
	s_cbranch_execz .LBB28_1329
; %bb.1310:
	s_movk_i32 s16, 0x80
	v_cmp_eq_u16_e32 vcc, s16, v3
	s_mov_b64 s[16:17], -1
	s_and_saveexec_b64 s[20:21], vcc
; %bb.1311:
	s_xor_b64 s[16:17], exec, -1
; %bb.1312:
	s_or_b64 exec, exec, s[20:21]
	s_and_b64 s[16:17], s[16:17], exec
	s_or_saveexec_b64 s[18:19], s[18:19]
	v_mov_b32_e32 v2, 0x7e00
	s_xor_b64 exec, exec, s[18:19]
	s_cbranch_execnz .LBB28_1330
.LBB28_1313:
	s_or_b64 exec, exec, s[18:19]
	s_and_saveexec_b64 s[18:19], s[16:17]
	s_cbranch_execz .LBB28_1315
.LBB28_1314:
	v_lshlrev_b32_e32 v2, 24, v3
	v_and_b32_e32 v3, 0xffff, v3
	v_and_b32_e32 v4, 7, v3
	v_ffbh_u32_e32 v8, v4
	v_min_u32_e32 v8, 32, v8
	v_subrev_u32_e32 v10, 28, v8
	v_bfe_u32 v5, v3, 3, 4
	v_lshlrev_b32_e32 v3, v10, v3
	v_sub_u32_e32 v8, 29, v8
	v_and_b32_e32 v3, 7, v3
	v_cmp_eq_u32_e32 vcc, 0, v5
	v_cndmask_b32_e32 v5, v5, v8, vcc
	v_cndmask_b32_e32 v3, v4, v3, vcc
	v_mov_b32_e32 v4, 0x3b800000
	v_lshlrev_b32_e32 v3, 20, v3
	v_and_b32_e32 v2, 0x80000000, v2
	v_lshl_add_u32 v4, v5, 23, v4
	v_or3_b32 v2, v2, v4, v3
	v_cvt_f16_f32_e32 v2, v2
.LBB28_1315:
	s_or_b64 exec, exec, s[18:19]
.LBB28_1316:
	s_mov_b64 s[16:17], -1
.LBB28_1317:
	s_branch .LBB28_1350
.LBB28_1318:
	s_cmp_gt_i32 s24, 22
	s_cbranch_scc0 .LBB28_1328
; %bb.1319:
	s_cmp_lt_i32 s24, 24
	s_cbranch_scc1 .LBB28_1331
; %bb.1320:
	s_cmp_gt_i32 s24, 24
	s_cbranch_scc0 .LBB28_1332
; %bb.1321:
	global_load_ubyte v3, v[0:1], off
	s_movk_i32 s12, 0x7f
	s_waitcnt vmcnt(0)
	v_cmp_lt_i16_e32 vcc, s12, v3
	s_mov_b64 s[12:13], 0
	s_and_saveexec_b64 s[16:17], vcc
	s_xor_b64 s[16:17], exec, s[16:17]
	s_cbranch_execz .LBB28_1344
; %bb.1322:
	s_movk_i32 s12, 0x80
	v_cmp_eq_u16_e32 vcc, s12, v3
	s_mov_b64 s[12:13], -1
	s_and_saveexec_b64 s[18:19], vcc
; %bb.1323:
	s_xor_b64 s[12:13], exec, -1
; %bb.1324:
	s_or_b64 exec, exec, s[18:19]
	s_and_b64 s[12:13], s[12:13], exec
	s_or_saveexec_b64 s[16:17], s[16:17]
	v_mov_b32_e32 v2, 0x7e00
	s_xor_b64 exec, exec, s[16:17]
	s_cbranch_execnz .LBB28_1345
.LBB28_1325:
	s_or_b64 exec, exec, s[16:17]
	s_and_saveexec_b64 s[16:17], s[12:13]
	s_cbranch_execz .LBB28_1327
.LBB28_1326:
	v_lshlrev_b32_e32 v2, 24, v3
	v_and_b32_e32 v3, 0xffff, v3
	v_and_b32_e32 v4, 3, v3
	v_ffbh_u32_e32 v8, v4
	v_min_u32_e32 v8, 32, v8
	v_subrev_u32_e32 v10, 29, v8
	v_bfe_u32 v5, v3, 2, 5
	v_lshlrev_b32_e32 v3, v10, v3
	v_sub_u32_e32 v8, 30, v8
	v_and_b32_e32 v3, 3, v3
	v_cmp_eq_u32_e32 vcc, 0, v5
	v_cndmask_b32_e32 v5, v5, v8, vcc
	v_cndmask_b32_e32 v3, v4, v3, vcc
	v_mov_b32_e32 v4, 0x37800000
	v_lshlrev_b32_e32 v3, 21, v3
	v_and_b32_e32 v2, 0x80000000, v2
	v_lshl_add_u32 v4, v5, 23, v4
	v_or3_b32 v2, v2, v4, v3
	v_cvt_f16_f32_e32 v2, v2
.LBB28_1327:
	s_or_b64 exec, exec, s[16:17]
	s_mov_b64 s[12:13], 0
	s_branch .LBB28_1333
.LBB28_1328:
	s_mov_b64 s[12:13], -1
                                        ; implicit-def: $vgpr2
	s_branch .LBB28_1339
.LBB28_1329:
	s_or_saveexec_b64 s[18:19], s[18:19]
	v_mov_b32_e32 v2, 0x7e00
	s_xor_b64 exec, exec, s[18:19]
	s_cbranch_execz .LBB28_1313
.LBB28_1330:
	v_cmp_ne_u16_e32 vcc, 0, v3
	s_andn2_b64 s[16:17], s[16:17], exec
	s_and_b64 s[20:21], vcc, exec
	s_or_b64 s[16:17], s[16:17], s[20:21]
	v_mov_b32_e32 v2, v3
	s_or_b64 exec, exec, s[18:19]
	s_and_saveexec_b64 s[18:19], s[16:17]
	s_cbranch_execnz .LBB28_1314
	s_branch .LBB28_1315
.LBB28_1331:
	s_mov_b64 s[12:13], -1
                                        ; implicit-def: $vgpr2
	s_branch .LBB28_1336
.LBB28_1332:
	s_mov_b64 s[12:13], -1
                                        ; implicit-def: $vgpr2
.LBB28_1333:
	s_and_b64 vcc, exec, s[12:13]
	s_cbranch_vccz .LBB28_1335
; %bb.1334:
	global_load_ubyte v2, v[0:1], off
	s_mov_b32 s12, 0x7f800000
	s_waitcnt vmcnt(0)
	v_lshlrev_b32_e32 v2, 24, v2
	v_and_b32_e32 v3, 0x7f000000, v2
	v_ffbh_u32_e32 v4, v3
	v_min_u32_e32 v4, 32, v4
	v_sub_u32_e64 v4, v4, 4 clamp
	v_lshlrev_b32_e32 v8, v4, v3
	v_lshlrev_b32_e32 v4, 23, v4
	v_lshrrev_b32_e32 v8, 4, v8
	v_add_u32_e32 v5, 0x1000000, v3
	v_sub_u32_e32 v4, v8, v4
	v_ashrrev_i32_e32 v5, 8, v5
	v_add_u32_e32 v4, 0x3c000000, v4
	v_and_or_b32 v4, v5, s12, v4
	v_cmp_ne_u32_e32 vcc, 0, v3
	v_cndmask_b32_e32 v3, 0, v4, vcc
	s_brev_b32 s12, 1
	v_and_or_b32 v2, v2, s12, v3
	v_cvt_f16_f32_e32 v2, v2
.LBB28_1335:
	s_mov_b64 s[12:13], 0
.LBB28_1336:
	s_andn2_b64 vcc, exec, s[12:13]
	s_cbranch_vccnz .LBB28_1338
; %bb.1337:
	global_load_ubyte v2, v[0:1], off
	s_movk_i32 s12, 0x7f00
	s_brev_b32 s13, 16
	s_waitcnt vmcnt(0)
	v_lshlrev_b16_e32 v3, 8, v2
	v_lshlrev_b32_e32 v2, 25, v2
	v_lshrrev_b32_e32 v4, 4, v2
	v_and_or_b32 v5, v3, s12, 0.5
	v_or_b32_e32 v4, 0x70000000, v4
	v_add_f32_e32 v5, -0.5, v5
	v_mul_f32_e32 v4, 0x7800000, v4
	v_cmp_gt_u32_e32 vcc, s13, v2
	v_bfe_i32 v3, v3, 0, 16
	v_cndmask_b32_e32 v2, v4, v5, vcc
	s_brev_b32 s12, 1
	v_and_or_b32 v2, v3, s12, v2
	v_cvt_f16_f32_e32 v2, v2
.LBB28_1338:
	s_mov_b64 s[12:13], 0
	s_mov_b64 s[16:17], -1
.LBB28_1339:
	s_andn2_b64 vcc, exec, s[12:13]
	s_mov_b64 s[12:13], 0
	s_cbranch_vccnz .LBB28_1350
; %bb.1340:
	s_cmp_gt_i32 s24, 14
	s_cbranch_scc0 .LBB28_1343
; %bb.1341:
	s_cmp_eq_u32 s24, 15
	s_cbranch_scc0 .LBB28_1346
; %bb.1342:
	global_load_ushort v2, v[0:1], off
	s_mov_b64 s[0:1], 0
	s_mov_b64 s[16:17], -1
	s_waitcnt vmcnt(0)
	v_lshlrev_b32_e32 v2, 16, v2
	v_cvt_f16_f32_e32 v2, v2
	s_branch .LBB28_1347
.LBB28_1343:
	s_mov_b64 s[18:19], -1
                                        ; implicit-def: $vgpr2
	s_branch .LBB28_1348
.LBB28_1344:
	s_or_saveexec_b64 s[16:17], s[16:17]
	v_mov_b32_e32 v2, 0x7e00
	s_xor_b64 exec, exec, s[16:17]
	s_cbranch_execz .LBB28_1325
.LBB28_1345:
	v_cmp_ne_u16_e32 vcc, 0, v3
	s_andn2_b64 s[12:13], s[12:13], exec
	s_and_b64 s[18:19], vcc, exec
	s_or_b64 s[12:13], s[12:13], s[18:19]
	v_mov_b32_e32 v2, v3
	s_or_b64 exec, exec, s[16:17]
	s_and_saveexec_b64 s[16:17], s[12:13]
	s_cbranch_execnz .LBB28_1326
	s_branch .LBB28_1327
.LBB28_1346:
	s_mov_b64 s[0:1], -1
                                        ; implicit-def: $vgpr2
.LBB28_1347:
	s_mov_b64 s[18:19], 0
.LBB28_1348:
	s_and_b64 vcc, exec, s[18:19]
	s_cbranch_vccz .LBB28_1350
; %bb.1349:
	s_cmp_lg_u32 s24, 11
	s_mov_b64 s[12:13], -1
	s_cselect_b64 s[0:1], -1, 0
.LBB28_1350:
	s_and_b64 vcc, exec, s[0:1]
	s_cbranch_vccnz .LBB28_1437
; %bb.1351:
	s_andn2_b64 vcc, exec, s[12:13]
	s_cbranch_vccnz .LBB28_1353
.LBB28_1352:
	global_load_ubyte v2, v[0:1], off
	v_mov_b32_e32 v3, 0x3c00
	s_mov_b64 s[16:17], -1
	s_waitcnt vmcnt(0)
	v_cmp_ne_u16_e32 vcc, 0, v2
	v_cndmask_b32_e32 v2, 0, v3, vcc
.LBB28_1353:
	s_branch .LBB28_1280
.LBB28_1354:
	s_cmp_lt_i32 s24, 5
	s_cbranch_scc1 .LBB28_1359
; %bb.1355:
	s_cmp_lt_i32 s24, 8
	s_cbranch_scc1 .LBB28_1360
; %bb.1356:
	s_cmp_lt_i32 s24, 9
	s_cbranch_scc1 .LBB28_1361
; %bb.1357:
	s_cmp_gt_i32 s24, 9
	s_cbranch_scc0 .LBB28_1362
; %bb.1358:
	global_load_dwordx2 v[2:3], v[0:1], off
	s_movk_i32 s0, 0x1ff
	s_movk_i32 s1, 0xffe
	v_mov_b32_e32 v4, 0x7c00
	v_mov_b32_e32 v5, 0x7e00
	s_movk_i32 s12, 0x40f
	s_mov_b32 s13, 0x8000
	s_waitcnt vmcnt(0)
	v_and_or_b32 v2, v3, s0, v2
	v_cmp_ne_u32_e32 vcc, 0, v2
	v_lshrrev_b32_e32 v8, 8, v3
	v_bfe_u32 v10, v3, 20, 11
	v_cndmask_b32_e64 v2, 0, 1, vcc
	v_sub_u32_e32 v11, 0x3f1, v10
	v_and_or_b32 v2, v8, s1, v2
	v_add_u32_e32 v10, 0xfffffc10, v10
	v_med3_i32 v8, v11, 0, 13
	v_or_b32_e32 v11, 0x1000, v2
	v_cmp_ne_u32_e32 vcc, 0, v2
	v_lshl_or_b32 v12, v10, 12, v2
	v_cndmask_b32_e32 v2, v4, v5, vcc
	v_lshrrev_b32_e32 v5, v8, v11
	v_lshlrev_b32_e32 v8, v8, v5
	v_cmp_ne_u32_e32 vcc, v8, v11
	v_cndmask_b32_e64 v8, 0, 1, vcc
	v_or_b32_e32 v5, v5, v8
	v_cmp_gt_i32_e32 vcc, 1, v10
	v_cndmask_b32_e32 v5, v12, v5, vcc
	v_and_b32_e32 v8, 7, v5
	v_cmp_lt_i32_e32 vcc, 5, v8
	v_cndmask_b32_e64 v11, 0, 1, vcc
	v_cmp_eq_u32_e32 vcc, 3, v8
	v_cndmask_b32_e64 v8, 0, 1, vcc
	v_lshrrev_b32_e32 v5, 2, v5
	v_or_b32_e32 v8, v8, v11
	v_add_u32_e32 v5, v5, v8
	v_cmp_gt_i32_e32 vcc, 31, v10
	v_cndmask_b32_e32 v4, v4, v5, vcc
	v_cmp_eq_u32_e32 vcc, s12, v10
	v_lshrrev_b32_e32 v3, 16, v3
	v_cndmask_b32_e32 v2, v4, v2, vcc
	v_and_or_b32 v2, v3, s13, v2
	s_mov_b64 s[0:1], 0
	s_branch .LBB28_1363
.LBB28_1359:
                                        ; implicit-def: $vgpr2
	s_branch .LBB28_1381
.LBB28_1360:
	s_mov_b64 s[0:1], -1
                                        ; implicit-def: $vgpr2
	s_branch .LBB28_1369
.LBB28_1361:
	s_mov_b64 s[0:1], -1
                                        ; implicit-def: $vgpr2
	s_branch .LBB28_1366
.LBB28_1362:
	s_mov_b64 s[0:1], -1
                                        ; implicit-def: $vgpr2
.LBB28_1363:
	s_andn2_b64 vcc, exec, s[0:1]
	s_cbranch_vccnz .LBB28_1365
; %bb.1364:
	global_load_dword v2, v[0:1], off
	s_waitcnt vmcnt(0)
	v_cvt_f16_f32_e32 v2, v2
.LBB28_1365:
	s_mov_b64 s[0:1], 0
.LBB28_1366:
	s_andn2_b64 vcc, exec, s[0:1]
	s_cbranch_vccnz .LBB28_1368
; %bb.1367:
	global_load_dword v2, v[0:1], off
.LBB28_1368:
	s_mov_b64 s[0:1], 0
.LBB28_1369:
	s_andn2_b64 vcc, exec, s[0:1]
	s_cbranch_vccnz .LBB28_1380
; %bb.1370:
	s_cmp_lt_i32 s24, 6
	s_cbranch_scc1 .LBB28_1373
; %bb.1371:
	s_cmp_gt_i32 s24, 6
	s_cbranch_scc0 .LBB28_1374
; %bb.1372:
	global_load_dwordx2 v[2:3], v[0:1], off
	s_movk_i32 s0, 0x1ff
	s_movk_i32 s1, 0xffe
	v_mov_b32_e32 v4, 0x7c00
	v_mov_b32_e32 v5, 0x7e00
	s_movk_i32 s12, 0x40f
	s_mov_b32 s13, 0x8000
	s_waitcnt vmcnt(0)
	v_and_or_b32 v2, v3, s0, v2
	v_cmp_ne_u32_e32 vcc, 0, v2
	v_lshrrev_b32_e32 v8, 8, v3
	v_bfe_u32 v10, v3, 20, 11
	v_cndmask_b32_e64 v2, 0, 1, vcc
	v_sub_u32_e32 v11, 0x3f1, v10
	v_and_or_b32 v2, v8, s1, v2
	v_add_u32_e32 v10, 0xfffffc10, v10
	v_med3_i32 v8, v11, 0, 13
	v_or_b32_e32 v11, 0x1000, v2
	v_cmp_ne_u32_e32 vcc, 0, v2
	v_lshl_or_b32 v12, v10, 12, v2
	v_cndmask_b32_e32 v2, v4, v5, vcc
	v_lshrrev_b32_e32 v5, v8, v11
	v_lshlrev_b32_e32 v8, v8, v5
	v_cmp_ne_u32_e32 vcc, v8, v11
	v_cndmask_b32_e64 v8, 0, 1, vcc
	v_or_b32_e32 v5, v5, v8
	v_cmp_gt_i32_e32 vcc, 1, v10
	v_cndmask_b32_e32 v5, v12, v5, vcc
	v_and_b32_e32 v8, 7, v5
	v_cmp_lt_i32_e32 vcc, 5, v8
	v_cndmask_b32_e64 v11, 0, 1, vcc
	v_cmp_eq_u32_e32 vcc, 3, v8
	v_cndmask_b32_e64 v8, 0, 1, vcc
	v_lshrrev_b32_e32 v5, 2, v5
	v_or_b32_e32 v8, v8, v11
	v_add_u32_e32 v5, v5, v8
	v_cmp_gt_i32_e32 vcc, 31, v10
	v_cndmask_b32_e32 v4, v4, v5, vcc
	v_cmp_eq_u32_e32 vcc, s12, v10
	v_lshrrev_b32_e32 v3, 16, v3
	v_cndmask_b32_e32 v2, v4, v2, vcc
	v_and_or_b32 v2, v3, s13, v2
	s_mov_b64 s[0:1], 0
	s_branch .LBB28_1375
.LBB28_1373:
	s_mov_b64 s[0:1], -1
                                        ; implicit-def: $vgpr2
	s_branch .LBB28_1378
.LBB28_1374:
	s_mov_b64 s[0:1], -1
                                        ; implicit-def: $vgpr2
.LBB28_1375:
	s_andn2_b64 vcc, exec, s[0:1]
	s_cbranch_vccnz .LBB28_1377
; %bb.1376:
	global_load_dword v2, v[0:1], off
	s_waitcnt vmcnt(0)
	v_cvt_f16_f32_e32 v2, v2
.LBB28_1377:
	s_mov_b64 s[0:1], 0
.LBB28_1378:
	s_andn2_b64 vcc, exec, s[0:1]
	s_cbranch_vccnz .LBB28_1380
; %bb.1379:
	global_load_ushort v2, v[0:1], off
.LBB28_1380:
	s_cbranch_execnz .LBB28_1400
.LBB28_1381:
	s_cmp_lt_i32 s24, 2
	s_cbranch_scc1 .LBB28_1385
; %bb.1382:
	s_cmp_lt_i32 s24, 3
	s_cbranch_scc1 .LBB28_1386
; %bb.1383:
	s_cmp_gt_i32 s24, 3
	s_cbranch_scc0 .LBB28_1387
; %bb.1384:
	global_load_dwordx2 v[2:3], v[0:1], off
	s_mov_b64 s[0:1], 0
	s_waitcnt vmcnt(0)
	v_xor_b32_e32 v5, v2, v3
	v_ffbh_i32_e32 v4, v3
	v_ashrrev_i32_e32 v5, 31, v5
	v_add_u32_e32 v4, -1, v4
	v_add_u32_e32 v5, 32, v5
	v_min_u32_e32 v4, v4, v5
	v_lshlrev_b64 v[2:3], v4, v[2:3]
	v_min_u32_e32 v2, 1, v2
	v_or_b32_e32 v2, v3, v2
	v_cvt_f32_i32_e32 v2, v2
	v_sub_u32_e32 v3, 32, v4
	v_ldexp_f32 v2, v2, v3
	v_cvt_f16_f32_e32 v2, v2
	s_branch .LBB28_1388
.LBB28_1385:
	s_mov_b64 s[0:1], -1
                                        ; implicit-def: $vgpr2
	s_branch .LBB28_1394
.LBB28_1386:
	s_mov_b64 s[0:1], -1
                                        ; implicit-def: $vgpr2
	s_branch .LBB28_1391
.LBB28_1387:
	s_mov_b64 s[0:1], -1
                                        ; implicit-def: $vgpr2
.LBB28_1388:
	s_andn2_b64 vcc, exec, s[0:1]
	s_cbranch_vccnz .LBB28_1390
; %bb.1389:
	global_load_dword v2, v[0:1], off
	s_waitcnt vmcnt(0)
	v_cvt_f32_i32_e32 v2, v2
	v_cvt_f16_f32_e32 v2, v2
.LBB28_1390:
	s_mov_b64 s[0:1], 0
.LBB28_1391:
	s_andn2_b64 vcc, exec, s[0:1]
	s_cbranch_vccnz .LBB28_1393
; %bb.1392:
	global_load_ushort v2, v[0:1], off
	s_waitcnt vmcnt(0)
	v_cvt_f16_i16_e32 v2, v2
.LBB28_1393:
	s_mov_b64 s[0:1], 0
.LBB28_1394:
	s_andn2_b64 vcc, exec, s[0:1]
	s_cbranch_vccnz .LBB28_1400
; %bb.1395:
	s_cmp_gt_i32 s24, 0
	s_cbranch_scc0 .LBB28_1397
; %bb.1396:
	global_load_sbyte v2, v[0:1], off
	s_mov_b64 s[0:1], 0
	s_waitcnt vmcnt(0)
	v_cvt_f16_i16_e32 v2, v2
	s_branch .LBB28_1398
.LBB28_1397:
	s_mov_b64 s[0:1], -1
                                        ; implicit-def: $vgpr2
.LBB28_1398:
	s_andn2_b64 vcc, exec, s[0:1]
	s_cbranch_vccnz .LBB28_1400
; %bb.1399:
	global_load_ubyte v0, v[0:1], off
	s_waitcnt vmcnt(0)
	v_cvt_f16_u16_e32 v2, v0
.LBB28_1400:
.LBB28_1401:
	s_waitcnt vmcnt(0)
	v_cvt_f32_f16_e32 v10, v2
	v_cmp_neq_f16_e32 vcc, 0, v2
                                        ; implicit-def: $vgpr8
	s_and_saveexec_b64 s[0:1], vcc
	s_xor_b64 s[12:13], exec, s[0:1]
	s_cbranch_execz .LBB28_1423
; %bb.1402:
	v_cmp_gt_f16_e32 vcc, 0, v2
	s_mov_b64 s[0:1], -1
	v_mov_b32_e32 v0, 0
	s_and_saveexec_b64 s[16:17], vcc
	s_cbranch_execz .LBB28_1410
; %bb.1403:
	v_trunc_f32_e32 v0, v10
	v_cmp_neq_f32_e32 vcc, v0, v10
	s_mov_b64 s[20:21], 0
	v_mov_b32_e32 v0, 0
	s_and_saveexec_b64 s[18:19], vcc
	s_cbranch_execz .LBB28_1409
; %bb.1404:
	v_cvt_f32_f16_e32 v0, v2
	s_mov_b32 s0, 0
	s_mov_b32 s21, 0xc00921fb
	s_mov_b32 s20, 0x54442d18
	v_cvt_f64_f32_e32 v[0:1], v0
	s_mov_b32 s1, 0x7ff00000
	v_bfrev_b32_e32 v4, 1
	s_mov_b32 s22, 0
	v_trunc_f64_e32 v[2:3], v[0:1]
	v_cmp_neq_f64_e64 vcc, |v[0:1]|, s[0:1]
	s_mov_b32 s23, 0x41d00000
                                        ; implicit-def: $vgpr8
	v_add_f64 v[2:3], v[0:1], -v[2:3]
	v_mul_f64 v[2:3], |v[2:3]|, s[20:21]
	v_cndmask_b32_e32 v1, v4, v3, vcc
	v_cndmask_b32_e32 v0, 0, v2, vcc
	v_cmp_nlt_f64_e64 s[22:23], |v[0:1]|, s[22:23]
                                        ; implicit-def: $vgpr2_vgpr3
                                        ; implicit-def: $vgpr4_vgpr5
	s_and_saveexec_b64 s[26:27], s[22:23]
	s_xor_b64 s[22:23], exec, s[26:27]
	s_cbranch_execz .LBB28_1406
; %bb.1405:
	v_trig_preop_f64 v[2:3], |v[0:1]|, 0
	s_mov_b32 s26, 0
	s_mov_b32 s27, 0x7b000000
	s_movk_i32 s21, 0xff80
	v_ldexp_f64 v[11:12], |v[0:1]|, s21
	v_cmp_ge_f64_e64 vcc, |v[0:1]|, s[26:27]
	v_trig_preop_f64 v[4:5], |v[0:1]|, 1
	v_and_b32_e32 v8, 0x7fffffff, v1
	v_trig_preop_f64 v[17:18], |v[0:1]|, 2
	s_mov_b32 s21, 0x3ff921fb
	v_cndmask_b32_e32 v12, v8, v12, vcc
	v_cndmask_b32_e32 v11, v0, v11, vcc
	v_mov_b32_e32 v8, 0x40100000
	v_mul_f64 v[13:14], v[2:3], v[11:12]
	v_mul_f64 v[15:16], v[4:5], v[11:12]
	;; [unrolled: 1-line block ×3, first 2 shown]
	v_fma_f64 v[2:3], v[2:3], v[11:12], -v[13:14]
	v_fma_f64 v[4:5], v[4:5], v[11:12], -v[15:16]
	v_fma_f64 v[11:12], v[17:18], v[11:12], -v[23:24]
	v_add_f64 v[19:20], v[15:16], v[2:3]
	v_add_f64 v[27:28], v[23:24], v[4:5]
	v_add_f64 v[21:22], v[19:20], -v[15:16]
	v_add_f64 v[25:26], v[19:20], -v[21:22]
	;; [unrolled: 1-line block ×3, first 2 shown]
	v_add_f64 v[21:22], v[13:14], v[19:20]
	v_add_f64 v[15:16], v[15:16], -v[25:26]
	v_add_f64 v[25:26], v[27:28], -v[23:24]
	v_add_f64 v[13:14], v[21:22], -v[13:14]
	v_ldexp_f64 v[21:22], v[21:22], -2
	v_add_f64 v[2:3], v[2:3], v[15:16]
	v_add_f64 v[4:5], v[4:5], -v[25:26]
	v_add_f64 v[15:16], v[27:28], -v[25:26]
	v_fract_f64_e32 v[25:26], v[21:22]
	v_add_f64 v[13:14], v[19:20], -v[13:14]
	v_cmp_neq_f64_e64 vcc, |v[21:22]|, s[0:1]
	v_add_f64 v[19:20], v[27:28], v[2:3]
	v_add_f64 v[15:16], v[23:24], -v[15:16]
	v_ldexp_f64 v[25:26], v[25:26], 2
	v_add_f64 v[21:22], v[19:20], -v[27:28]
	v_add_f64 v[4:5], v[4:5], v[15:16]
	v_cndmask_b32_e32 v16, 0, v26, vcc
	v_cndmask_b32_e32 v15, 0, v25, vcc
	v_add_f64 v[25:26], v[13:14], v[19:20]
	v_add_f64 v[2:3], v[2:3], -v[21:22]
	v_add_f64 v[21:22], v[19:20], -v[21:22]
	;; [unrolled: 1-line block ×4, first 2 shown]
	v_add_f64 v[27:28], v[25:26], v[15:16]
	v_add_f64 v[13:14], v[19:20], -v[13:14]
	v_add_f64 v[2:3], v[2:3], v[21:22]
	v_cmp_gt_f64_e32 vcc, 0, v[27:28]
	v_mov_b32_e32 v27, 0
	v_add_f64 v[2:3], v[4:5], v[2:3]
	v_cndmask_b32_e32 v28, 0, v8, vcc
	v_add_f64 v[15:16], v[15:16], v[27:28]
	v_add_f64 v[2:3], v[11:12], v[2:3]
	;; [unrolled: 1-line block ×4, first 2 shown]
	v_mov_b32_e32 v13, 0x3ff00000
	v_cvt_i32_f64_e32 v8, v[21:22]
	v_cvt_f64_i32_e32 v[21:22], v8
	v_add_f64 v[15:16], v[15:16], -v[21:22]
	v_add_f64 v[4:5], v[25:26], v[15:16]
	v_add_f64 v[11:12], v[4:5], -v[15:16]
	v_cmp_le_f64_e32 vcc, 0.5, v[4:5]
	v_add_f64 v[11:12], v[25:26], -v[11:12]
	v_cndmask_b32_e32 v28, 0, v13, vcc
	v_add_f64 v[4:5], v[4:5], -v[27:28]
	v_addc_co_u32_e64 v8, s[0:1], 0, v8, vcc
	s_mov_b32 s0, 0x33145c07
	s_mov_b32 s1, 0x3c91a626
	v_add_f64 v[2:3], v[2:3], v[11:12]
	v_add_f64 v[11:12], v[4:5], v[2:3]
	v_mul_f64 v[13:14], v[11:12], s[20:21]
	v_add_f64 v[4:5], v[11:12], -v[4:5]
	v_fma_f64 v[15:16], v[11:12], s[20:21], -v[13:14]
	v_add_f64 v[2:3], v[2:3], -v[4:5]
	v_fma_f64 v[4:5], v[11:12], s[0:1], v[15:16]
	v_fma_f64 v[4:5], v[2:3], s[20:21], v[4:5]
	v_add_f64 v[2:3], v[13:14], v[4:5]
	v_add_f64 v[11:12], v[2:3], -v[13:14]
	v_add_f64 v[4:5], v[4:5], -v[11:12]
.LBB28_1406:
	s_andn2_saveexec_b64 s[0:1], s[22:23]
	s_cbranch_execz .LBB28_1408
; %bb.1407:
	s_mov_b32 s20, 0x6dc9c883
	s_mov_b32 s21, 0x3fe45f30
	v_mul_f64 v[2:3], |v[0:1]|, s[20:21]
	s_mov_b32 s20, 0x54442d18
	s_mov_b32 s21, 0xbff921fb
	;; [unrolled: 1-line block ×4, first 2 shown]
	v_rndne_f64_e32 v[11:12], v[2:3]
	v_fma_f64 v[2:3], v[11:12], s[20:21], |v[0:1]|
	v_mul_f64 v[4:5], v[11:12], s[22:23]
	s_mov_b32 s20, 0x252049c0
	s_mov_b32 s21, 0xb97b839a
	v_cvt_i32_f64_e32 v8, v[11:12]
	v_fma_f64 v[17:18], v[11:12], s[22:23], v[2:3]
	v_add_f64 v[13:14], v[2:3], v[4:5]
	s_mov_b32 s23, 0x3c91a626
	v_add_f64 v[15:16], v[2:3], -v[13:14]
	v_add_f64 v[13:14], v[13:14], -v[17:18]
	v_add_f64 v[2:3], v[15:16], v[4:5]
	v_fma_f64 v[4:5], v[11:12], s[22:23], v[4:5]
	v_add_f64 v[2:3], v[13:14], v[2:3]
	v_add_f64 v[2:3], v[2:3], -v[4:5]
	v_fma_f64 v[4:5], v[11:12], s[20:21], v[2:3]
	v_add_f64 v[2:3], v[17:18], v[4:5]
	v_add_f64 v[13:14], v[2:3], -v[17:18]
	v_add_f64 v[4:5], v[4:5], -v[13:14]
.LBB28_1408:
	s_or_b64 exec, exec, s[0:1]
	v_mul_f64 v[11:12], v[2:3], v[2:3]
	v_add_f64 v[13:14], v[4:5], v[4:5]
	s_mov_b32 s0, 0xc751c08c
	s_mov_b32 s1, 0x3ef5e089
	v_and_b32_e32 v8, 1, v8
	v_cmp_eq_u32_e32 vcc, 0, v8
	s_mov_b32 s22, 0x54442d18
	s_mov_b32 s23, 0xc00921fb
	v_fma_f64 v[15:16], v[2:3], v[2:3], -v[11:12]
	s_mov_b64 s[20:21], exec
	v_sub_f32_e32 v10, 1.0, v10
	v_fma_f64 v[13:14], v[2:3], v[13:14], v[15:16]
	v_add_f64 v[11:12], v[11:12], v[13:14]
	v_mov_b32_e32 v13, 0xa9a29f71
	v_mov_b32_e32 v14, 0xbf078809
	v_fma_f64 v[13:14], v[11:12], s[0:1], v[13:14]
	s_mov_b32 s0, 0x90a8aae0
	s_mov_b32 s1, 0x3f17746f
	v_fma_f64 v[13:14], v[11:12], v[13:14], s[0:1]
	s_mov_b32 s0, 0xa6fbf144
	s_mov_b32 s1, 0xbefbb44d
	;; [unrolled: 3-line block ×12, first 2 shown]
	v_fma_f64 v[13:14], v[11:12], v[13:14], s[0:1]
	s_movk_i32 s0, 0x1f8
	v_cmp_class_f64_e64 s[0:1], v[0:1], s0
	v_mul_f64 v[11:12], v[11:12], v[13:14]
	v_mul_f64 v[13:14], v[2:3], v[11:12]
	v_add_f64 v[15:16], v[2:3], v[13:14]
	v_fma_f64 v[11:12], v[2:3], v[11:12], -v[13:14]
	v_add_f64 v[2:3], v[15:16], -v[2:3]
	v_add_f64 v[4:5], v[4:5], v[11:12]
	v_add_f64 v[2:3], v[13:14], -v[2:3]
	v_add_f64 v[2:3], v[4:5], v[2:3]
	v_add_f64 v[4:5], v[15:16], v[2:3]
	v_rcp_f64_e32 v[11:12], v[4:5]
	v_fma_f64 v[13:14], -v[4:5], v[11:12], 1.0
	v_fma_f64 v[11:12], v[13:14], v[11:12], v[11:12]
	v_fma_f64 v[13:14], -v[4:5], v[11:12], 1.0
	v_fma_f64 v[11:12], v[13:14], v[11:12], v[11:12]
	v_add_f64 v[13:14], v[4:5], -v[15:16]
	v_mul_f64 v[15:16], v[4:5], v[11:12]
	v_add_f64 v[2:3], v[2:3], -v[13:14]
	v_fma_f64 v[13:14], v[11:12], v[4:5], -v[15:16]
	v_fma_f64 v[2:3], v[11:12], v[2:3], v[13:14]
	v_add_f64 v[13:14], v[15:16], v[2:3]
	v_add_f64 v[17:18], -v[13:14], 1.0
	v_add_f64 v[15:16], v[13:14], -v[15:16]
	v_add_f64 v[19:20], -v[17:18], 1.0
	v_add_f64 v[2:3], v[15:16], -v[2:3]
	v_add_f64 v[13:14], v[19:20], -v[13:14]
	v_add_f64 v[2:3], v[2:3], v[13:14]
	v_add_f64 v[2:3], v[17:18], v[2:3]
	v_mul_f64 v[2:3], v[11:12], v[2:3]
	v_add_f64 v[2:3], v[11:12], v[2:3]
	v_and_b32_e32 v11, 0x80000000, v1
	v_mov_b32_e32 v1, 0x7ff80000
	v_xor_b32_e32 v0, 0x80000000, v3
	v_cndmask_b32_e32 v2, v2, v4, vcc
	v_cndmask_b32_e32 v3, v0, v5, vcc
	v_cndmask_b32_e64 v0, 0, v2, s[0:1]
	v_xor_b32_e32 v2, v3, v11
	v_cndmask_b32_e64 v1, v1, v2, s[0:1]
	v_div_scale_f64 v[2:3], s[0:1], v[0:1], v[0:1], s[22:23]
	v_div_scale_f64 v[13:14], vcc, s[22:23], v[0:1], s[22:23]
	v_rcp_f64_e32 v[4:5], v[2:3]
	v_fma_f64 v[11:12], -v[2:3], v[4:5], 1.0
	v_fma_f64 v[4:5], v[4:5], v[11:12], v[4:5]
	v_fma_f64 v[11:12], -v[2:3], v[4:5], 1.0
	v_fma_f64 v[4:5], v[4:5], v[11:12], v[4:5]
	v_mul_f64 v[11:12], v[13:14], v[4:5]
	v_fma_f64 v[2:3], -v[2:3], v[11:12], v[13:14]
	v_div_fmas_f64 v[2:3], v[2:3], v[4:5], v[11:12]
	v_div_fixup_f64 v[0:1], v[2:3], v[0:1], s[22:23]
	v_cvt_f32_f64_e32 v0, v[0:1]
.LBB28_1409:
	s_or_b64 exec, exec, s[18:19]
	s_orn2_b64 s[0:1], s[20:21], exec
.LBB28_1410:
	s_or_b64 exec, exec, s[16:17]
	v_mov_b32_e32 v8, 0x7e00
	s_and_saveexec_b64 s[16:17], s[0:1]
	s_cbranch_execz .LBB28_1422
; %bb.1411:
	s_mov_b32 s20, 0x41200000
	v_cmp_gt_f32_e32 vcc, s20, v10
	s_and_saveexec_b64 s[0:1], vcc
	s_cbranch_execz .LBB28_1415
; %bb.1412:
	s_mov_b64 s[18:19], 0
.LBB28_1413:                            ; =>This Inner Loop Header: Depth=1
	v_div_scale_f32 v1, s[22:23], v10, v10, 1.0
	v_div_scale_f32 v2, vcc, 1.0, v10, 1.0
	v_rcp_f32_e32 v3, v1
	v_fma_f32 v4, -v1, v3, 1.0
	v_fmac_f32_e32 v3, v4, v3
	v_mul_f32_e32 v4, v2, v3
	v_fma_f32 v5, -v1, v4, v2
	v_fmac_f32_e32 v4, v5, v3
	v_fma_f32 v1, -v1, v4, v2
	v_div_fmas_f32 v1, v1, v3, v4
	v_div_fixup_f32 v1, v1, v10, 1.0
	v_add_f32_e32 v10, 1.0, v10
	v_cmp_ngt_f32_e32 vcc, s20, v10
	s_or_b64 s[18:19], vcc, s[18:19]
	v_sub_f32_e32 v0, v0, v1
	s_andn2_b64 exec, exec, s[18:19]
	s_cbranch_execnz .LBB28_1413
; %bb.1414:
	s_or_b64 exec, exec, s[18:19]
.LBB28_1415:
	s_or_b64 exec, exec, s[0:1]
	s_mov_b32 s0, 0x41200000
	v_cmp_neq_f32_e32 vcc, s0, v10
                                        ; implicit-def: $vgpr8
	s_and_saveexec_b64 s[0:1], vcc
	s_xor_b64 s[18:19], exec, s[0:1]
	s_cbranch_execz .LBB28_1419
; %bb.1416:
	v_cvt_f64_f32_e32 v[1:2], v10
	s_mov_b32 s0, 0x85d8a000
	s_mov_b32 s1, 0x43763457
	v_cmp_gt_f64_e32 vcc, s[0:1], v[1:2]
	v_mov_b32_e32 v1, 0
	s_and_saveexec_b64 s[0:1], vcc
	s_cbranch_execz .LBB28_1418
; %bb.1417:
	v_mul_f32_e32 v1, v10, v10
	v_div_scale_f32 v2, s[20:21], v1, v1, 1.0
	v_div_scale_f32 v3, vcc, 1.0, v1, 1.0
	v_mov_b32_e32 v11, 0x3b820821
	v_rcp_f32_e32 v4, v2
	v_fma_f32 v5, -v2, v4, 1.0
	v_fmac_f32_e32 v4, v5, v4
	v_mul_f32_e32 v5, v3, v4
	v_fma_f32 v8, -v2, v5, v3
	v_fmac_f32_e32 v5, v8, v4
	v_fma_f32 v2, -v2, v5, v3
	v_div_fmas_f32 v2, v2, v4, v5
	v_mov_b32_e32 v3, 0x3daaaaab
	v_mov_b32_e32 v4, 0xbcaccacd
	;; [unrolled: 1-line block ×4, first 2 shown]
	v_div_fixup_f32 v1, v2, v1, 1.0
	v_fma_f32 v2, 0, v1, v3
	v_fmac_f32_e32 v4, v1, v2
	v_fmac_f32_e32 v5, v1, v4
	;; [unrolled: 1-line block ×4, first 2 shown]
	v_mov_b32_e32 v2, 0xbc088889
	v_fmac_f32_e32 v2, v1, v11
	v_fmac_f32_e32 v3, v1, v2
	v_mul_f32_e32 v1, v1, v3
.LBB28_1418:
	s_or_b64 exec, exec, s[0:1]
	v_div_scale_f32 v2, s[0:1], v10, v10, -0.5
	v_div_scale_f32 v3, vcc, -0.5, v10, -0.5
	s_mov_b32 s0, 0x800000
	v_cmp_gt_f32_e64 s[0:1], s0, v10
	v_cndmask_b32_e64 v5, 0, 32, s[0:1]
	s_mov_b32 s20, 0x3f317217
	v_rcp_f32_e32 v4, v2
	v_fma_f32 v8, -v2, v4, 1.0
	v_fmac_f32_e32 v4, v8, v4
	v_mul_f32_e32 v8, v3, v4
	v_fma_f32 v11, -v2, v8, v3
	v_fmac_f32_e32 v8, v11, v4
	v_fma_f32 v2, -v2, v8, v3
	v_div_fmas_f32 v2, v2, v4, v8
	v_ldexp_f32 v3, v10, v5
	v_log_f32_e32 v3, v3
	v_mul_f32_e32 v4, 0x3f317217, v3
	v_fma_f32 v4, v3, s20, -v4
	v_fmac_f32_e32 v4, 0x3377d1cf, v3
	s_mov_b32 s20, 0x7f800000
	v_fmac_f32_e32 v4, 0x3f317217, v3
	v_cmp_lt_f32_e64 vcc, |v3|, s20
	v_cndmask_b32_e32 v3, v3, v4, vcc
	v_mov_b32_e32 v4, 0x41b17218
	v_cndmask_b32_e64 v4, 0, v4, s[0:1]
	v_sub_f32_e32 v3, v3, v4
	v_div_fixup_f32 v2, v2, v10, -0.5
	v_add_f32_e32 v2, v3, v2
	v_sub_f32_e32 v1, v2, v1
	v_add_f32_e32 v0, v0, v1
	v_cvt_f16_f32_e32 v8, v0
                                        ; implicit-def: $vgpr0
.LBB28_1419:
	s_andn2_saveexec_b64 s[0:1], s[18:19]
; %bb.1420:
	v_add_f32_e32 v0, 0x40101cb7, v0
	v_cvt_f16_f32_e32 v8, v0
; %bb.1421:
	s_or_b64 exec, exec, s[0:1]
.LBB28_1422:
	s_or_b64 exec, exec, s[16:17]
                                        ; implicit-def: $vgpr10
.LBB28_1423:
	s_andn2_saveexec_b64 s[0:1], s[12:13]
; %bb.1424:
	v_xor_b32_e32 v0, 0x80000000, v10
	s_movk_i32 s12, 0x8000
	v_and_b32_sdwa v0, v0, s12 dst_sel:DWORD dst_unused:UNUSED_PAD src0_sel:WORD_1 src1_sel:DWORD
	v_or_b32_e32 v8, 0x7c00, v0
; %bb.1425:
	s_or_b64 exec, exec, s[0:1]
	v_add_u32_e32 v10, s3, v9
	v_ashrrev_i32_e32 v1, 31, v10
	v_mov_b32_e32 v2, s11
	v_add_co_u32_e32 v0, vcc, s10, v10
	s_cmp_lt_i32 s24, 11
	v_addc_co_u32_e32 v1, vcc, v2, v1, vcc
	s_cbranch_scc1 .LBB28_1432
; %bb.1426:
	s_cmp_gt_i32 s24, 25
	s_mov_b64 s[12:13], 0
	s_cbranch_scc0 .LBB28_1434
; %bb.1427:
	s_cmp_gt_i32 s24, 28
	s_cbranch_scc0 .LBB28_1435
; %bb.1428:
	s_cmp_gt_i32 s24, 43
	;; [unrolled: 3-line block ×3, first 2 shown]
	s_cbranch_scc0 .LBB28_1438
; %bb.1430:
	s_cmp_eq_u32 s24, 46
	s_mov_b64 s[18:19], 0
	s_cbranch_scc0 .LBB28_1439
; %bb.1431:
	global_load_dword v2, v[0:1], off
	s_mov_b64 s[0:1], 0
	s_mov_b64 s[16:17], -1
	s_waitcnt vmcnt(0)
	v_lshlrev_b32_e32 v2, 16, v2
	v_cvt_f16_f32_e32 v2, v2
	s_branch .LBB28_1440
.LBB28_1432:
	s_mov_b64 s[16:17], 0
                                        ; implicit-def: $vgpr2
	s_cbranch_execnz .LBB28_1506
.LBB28_1433:
	s_andn2_b64 vcc, exec, s[16:17]
	s_cbranch_vccnz .LBB28_1810
	s_branch .LBB28_1554
.LBB28_1434:
	s_mov_b64 s[18:19], -1
	s_mov_b64 s[16:17], 0
	s_mov_b64 s[0:1], 0
                                        ; implicit-def: $vgpr2
	s_branch .LBB28_1469
.LBB28_1435:
	s_mov_b64 s[18:19], -1
	s_mov_b64 s[16:17], 0
	s_mov_b64 s[0:1], 0
                                        ; implicit-def: $vgpr2
	s_branch .LBB28_1450
.LBB28_1436:
	s_mov_b64 s[18:19], -1
	s_mov_b64 s[16:17], 0
	s_mov_b64 s[0:1], 0
                                        ; implicit-def: $vgpr2
	s_branch .LBB28_1445
.LBB28_1437:
	s_trap 2
	s_or_b64 s[14:15], s[14:15], exec
	s_cbranch_execz .LBB28_1352
	s_branch .LBB28_1353
.LBB28_1438:
	s_mov_b64 s[18:19], -1
	s_mov_b64 s[16:17], 0
	s_mov_b64 s[0:1], 0
                                        ; implicit-def: $vgpr2
	s_branch .LBB28_1440
.LBB28_1439:
	s_mov_b64 s[0:1], -1
                                        ; implicit-def: $vgpr2
	s_mov_b64 s[16:17], 0
.LBB28_1440:
	s_and_b64 vcc, exec, s[18:19]
	s_cbranch_vccz .LBB28_1444
; %bb.1441:
	s_cmp_eq_u32 s24, 44
	s_cbranch_scc0 .LBB28_1443
; %bb.1442:
	global_load_ubyte v2, v[0:1], off
	s_movk_i32 s16, 0xff
	v_mov_b32_e32 v4, 0x7e00
	s_mov_b64 s[0:1], 0
	s_waitcnt vmcnt(0)
	v_lshlrev_b32_e32 v3, 23, v2
	v_cvt_f16_f32_e32 v3, v3
	v_cmp_ne_u32_e32 vcc, s16, v2
	s_mov_b64 s[16:17], -1
	v_cndmask_b32_e32 v3, v4, v3, vcc
	v_cmp_ne_u32_e32 vcc, 0, v2
	v_cndmask_b32_e32 v2, 0, v3, vcc
	s_branch .LBB28_1444
.LBB28_1443:
	s_mov_b64 s[0:1], -1
                                        ; implicit-def: $vgpr2
.LBB28_1444:
	s_mov_b64 s[18:19], 0
.LBB28_1445:
	s_and_b64 vcc, exec, s[18:19]
	s_cbranch_vccz .LBB28_1449
; %bb.1446:
	s_cmp_eq_u32 s24, 29
	s_cbranch_scc0 .LBB28_1448
; %bb.1447:
	global_load_dwordx2 v[2:3], v[0:1], off
	s_mov_b64 s[0:1], 0
	s_mov_b64 s[16:17], -1
	s_mov_b64 s[18:19], 0
	s_waitcnt vmcnt(0)
	v_ffbh_u32_e32 v4, v3
	v_min_u32_e32 v4, 32, v4
	v_lshlrev_b64 v[2:3], v4, v[2:3]
	v_min_u32_e32 v2, 1, v2
	v_or_b32_e32 v2, v3, v2
	v_cvt_f32_u32_e32 v2, v2
	v_sub_u32_e32 v3, 32, v4
	v_ldexp_f32 v2, v2, v3
	v_cvt_f16_f32_e32 v2, v2
	s_branch .LBB28_1450
.LBB28_1448:
	s_mov_b64 s[0:1], -1
                                        ; implicit-def: $vgpr2
.LBB28_1449:
	s_mov_b64 s[18:19], 0
.LBB28_1450:
	s_and_b64 vcc, exec, s[18:19]
	s_cbranch_vccz .LBB28_1468
; %bb.1451:
	s_cmp_lt_i32 s24, 27
	s_cbranch_scc1 .LBB28_1454
; %bb.1452:
	s_cmp_gt_i32 s24, 27
	s_cbranch_scc0 .LBB28_1455
; %bb.1453:
	global_load_dword v2, v[0:1], off
	s_mov_b64 s[16:17], 0
	s_waitcnt vmcnt(0)
	v_cvt_f32_u32_e32 v2, v2
	v_cvt_f16_f32_e32 v2, v2
	s_branch .LBB28_1456
.LBB28_1454:
	s_mov_b64 s[16:17], -1
                                        ; implicit-def: $vgpr2
	s_branch .LBB28_1459
.LBB28_1455:
	s_mov_b64 s[16:17], -1
                                        ; implicit-def: $vgpr2
.LBB28_1456:
	s_andn2_b64 vcc, exec, s[16:17]
	s_cbranch_vccnz .LBB28_1458
; %bb.1457:
	global_load_ushort v2, v[0:1], off
	s_waitcnt vmcnt(0)
	v_cvt_f16_u16_e32 v2, v2
.LBB28_1458:
	s_mov_b64 s[16:17], 0
.LBB28_1459:
	s_andn2_b64 vcc, exec, s[16:17]
	s_cbranch_vccnz .LBB28_1467
; %bb.1460:
	global_load_ubyte v3, v[0:1], off
	s_movk_i32 s16, 0x7f
	s_waitcnt vmcnt(0)
	v_cmp_lt_i16_e32 vcc, s16, v3
	s_mov_b64 s[16:17], 0
	s_and_saveexec_b64 s[18:19], vcc
	s_xor_b64 s[18:19], exec, s[18:19]
	s_cbranch_execz .LBB28_1481
; %bb.1461:
	s_movk_i32 s16, 0x80
	v_cmp_eq_u16_e32 vcc, s16, v3
	s_mov_b64 s[16:17], -1
	s_and_saveexec_b64 s[20:21], vcc
; %bb.1462:
	s_xor_b64 s[16:17], exec, -1
; %bb.1463:
	s_or_b64 exec, exec, s[20:21]
	s_and_b64 s[16:17], s[16:17], exec
	s_or_saveexec_b64 s[18:19], s[18:19]
	v_mov_b32_e32 v2, 0x7e00
	s_xor_b64 exec, exec, s[18:19]
	s_cbranch_execnz .LBB28_1482
.LBB28_1464:
	s_or_b64 exec, exec, s[18:19]
	s_and_saveexec_b64 s[18:19], s[16:17]
	s_cbranch_execz .LBB28_1466
.LBB28_1465:
	v_lshlrev_b32_e32 v2, 24, v3
	v_and_b32_e32 v3, 0xffff, v3
	v_and_b32_e32 v4, 7, v3
	v_ffbh_u32_e32 v9, v4
	v_min_u32_e32 v9, 32, v9
	v_subrev_u32_e32 v11, 28, v9
	v_bfe_u32 v5, v3, 3, 4
	v_lshlrev_b32_e32 v3, v11, v3
	v_sub_u32_e32 v9, 29, v9
	v_and_b32_e32 v3, 7, v3
	v_cmp_eq_u32_e32 vcc, 0, v5
	v_cndmask_b32_e32 v5, v5, v9, vcc
	v_cndmask_b32_e32 v3, v4, v3, vcc
	v_mov_b32_e32 v4, 0x3b800000
	v_lshlrev_b32_e32 v3, 20, v3
	v_and_b32_e32 v2, 0x80000000, v2
	v_lshl_add_u32 v4, v5, 23, v4
	v_or3_b32 v2, v2, v4, v3
	v_cvt_f16_f32_e32 v2, v2
.LBB28_1466:
	s_or_b64 exec, exec, s[18:19]
.LBB28_1467:
	s_mov_b64 s[16:17], -1
.LBB28_1468:
	s_mov_b64 s[18:19], 0
.LBB28_1469:
	s_and_b64 vcc, exec, s[18:19]
	s_cbranch_vccz .LBB28_1502
; %bb.1470:
	s_cmp_gt_i32 s24, 22
	s_cbranch_scc0 .LBB28_1480
; %bb.1471:
	s_cmp_lt_i32 s24, 24
	s_cbranch_scc1 .LBB28_1483
; %bb.1472:
	s_cmp_gt_i32 s24, 24
	s_cbranch_scc0 .LBB28_1484
; %bb.1473:
	global_load_ubyte v3, v[0:1], off
	s_movk_i32 s12, 0x7f
	s_waitcnt vmcnt(0)
	v_cmp_lt_i16_e32 vcc, s12, v3
	s_mov_b64 s[12:13], 0
	s_and_saveexec_b64 s[16:17], vcc
	s_xor_b64 s[16:17], exec, s[16:17]
	s_cbranch_execz .LBB28_1496
; %bb.1474:
	s_movk_i32 s12, 0x80
	v_cmp_eq_u16_e32 vcc, s12, v3
	s_mov_b64 s[12:13], -1
	s_and_saveexec_b64 s[18:19], vcc
; %bb.1475:
	s_xor_b64 s[12:13], exec, -1
; %bb.1476:
	s_or_b64 exec, exec, s[18:19]
	s_and_b64 s[12:13], s[12:13], exec
	s_or_saveexec_b64 s[16:17], s[16:17]
	v_mov_b32_e32 v2, 0x7e00
	s_xor_b64 exec, exec, s[16:17]
	s_cbranch_execnz .LBB28_1497
.LBB28_1477:
	s_or_b64 exec, exec, s[16:17]
	s_and_saveexec_b64 s[16:17], s[12:13]
	s_cbranch_execz .LBB28_1479
.LBB28_1478:
	v_lshlrev_b32_e32 v2, 24, v3
	v_and_b32_e32 v3, 0xffff, v3
	v_and_b32_e32 v4, 3, v3
	v_ffbh_u32_e32 v9, v4
	v_min_u32_e32 v9, 32, v9
	v_subrev_u32_e32 v11, 29, v9
	v_bfe_u32 v5, v3, 2, 5
	v_lshlrev_b32_e32 v3, v11, v3
	v_sub_u32_e32 v9, 30, v9
	v_and_b32_e32 v3, 3, v3
	v_cmp_eq_u32_e32 vcc, 0, v5
	v_cndmask_b32_e32 v5, v5, v9, vcc
	v_cndmask_b32_e32 v3, v4, v3, vcc
	v_mov_b32_e32 v4, 0x37800000
	v_lshlrev_b32_e32 v3, 21, v3
	v_and_b32_e32 v2, 0x80000000, v2
	v_lshl_add_u32 v4, v5, 23, v4
	v_or3_b32 v2, v2, v4, v3
	v_cvt_f16_f32_e32 v2, v2
.LBB28_1479:
	s_or_b64 exec, exec, s[16:17]
	s_mov_b64 s[12:13], 0
	s_branch .LBB28_1485
.LBB28_1480:
	s_mov_b64 s[12:13], -1
                                        ; implicit-def: $vgpr2
	s_branch .LBB28_1491
.LBB28_1481:
	s_or_saveexec_b64 s[18:19], s[18:19]
	v_mov_b32_e32 v2, 0x7e00
	s_xor_b64 exec, exec, s[18:19]
	s_cbranch_execz .LBB28_1464
.LBB28_1482:
	v_cmp_ne_u16_e32 vcc, 0, v3
	s_andn2_b64 s[16:17], s[16:17], exec
	s_and_b64 s[20:21], vcc, exec
	s_or_b64 s[16:17], s[16:17], s[20:21]
	v_mov_b32_e32 v2, v3
	s_or_b64 exec, exec, s[18:19]
	s_and_saveexec_b64 s[18:19], s[16:17]
	s_cbranch_execnz .LBB28_1465
	s_branch .LBB28_1466
.LBB28_1483:
	s_mov_b64 s[12:13], -1
                                        ; implicit-def: $vgpr2
	s_branch .LBB28_1488
.LBB28_1484:
	s_mov_b64 s[12:13], -1
                                        ; implicit-def: $vgpr2
.LBB28_1485:
	s_and_b64 vcc, exec, s[12:13]
	s_cbranch_vccz .LBB28_1487
; %bb.1486:
	global_load_ubyte v2, v[0:1], off
	s_mov_b32 s12, 0x7f800000
	s_waitcnt vmcnt(0)
	v_lshlrev_b32_e32 v2, 24, v2
	v_and_b32_e32 v3, 0x7f000000, v2
	v_ffbh_u32_e32 v4, v3
	v_min_u32_e32 v4, 32, v4
	v_sub_u32_e64 v4, v4, 4 clamp
	v_lshlrev_b32_e32 v9, v4, v3
	v_lshlrev_b32_e32 v4, 23, v4
	v_lshrrev_b32_e32 v9, 4, v9
	v_add_u32_e32 v5, 0x1000000, v3
	v_sub_u32_e32 v4, v9, v4
	v_ashrrev_i32_e32 v5, 8, v5
	v_add_u32_e32 v4, 0x3c000000, v4
	v_and_or_b32 v4, v5, s12, v4
	v_cmp_ne_u32_e32 vcc, 0, v3
	v_cndmask_b32_e32 v3, 0, v4, vcc
	s_brev_b32 s12, 1
	v_and_or_b32 v2, v2, s12, v3
	v_cvt_f16_f32_e32 v2, v2
.LBB28_1487:
	s_mov_b64 s[12:13], 0
.LBB28_1488:
	s_andn2_b64 vcc, exec, s[12:13]
	s_cbranch_vccnz .LBB28_1490
; %bb.1489:
	global_load_ubyte v2, v[0:1], off
	s_movk_i32 s12, 0x7f00
	s_brev_b32 s13, 16
	s_waitcnt vmcnt(0)
	v_lshlrev_b16_e32 v3, 8, v2
	v_lshlrev_b32_e32 v2, 25, v2
	v_lshrrev_b32_e32 v4, 4, v2
	v_and_or_b32 v5, v3, s12, 0.5
	v_or_b32_e32 v4, 0x70000000, v4
	v_add_f32_e32 v5, -0.5, v5
	v_mul_f32_e32 v4, 0x7800000, v4
	v_cmp_gt_u32_e32 vcc, s13, v2
	v_bfe_i32 v3, v3, 0, 16
	v_cndmask_b32_e32 v2, v4, v5, vcc
	s_brev_b32 s12, 1
	v_and_or_b32 v2, v3, s12, v2
	v_cvt_f16_f32_e32 v2, v2
.LBB28_1490:
	s_mov_b64 s[12:13], 0
	s_mov_b64 s[16:17], -1
.LBB28_1491:
	s_andn2_b64 vcc, exec, s[12:13]
	s_mov_b64 s[12:13], 0
	s_cbranch_vccnz .LBB28_1502
; %bb.1492:
	s_cmp_gt_i32 s24, 14
	s_cbranch_scc0 .LBB28_1495
; %bb.1493:
	s_cmp_eq_u32 s24, 15
	s_cbranch_scc0 .LBB28_1498
; %bb.1494:
	global_load_ushort v2, v[0:1], off
	s_mov_b64 s[0:1], 0
	s_mov_b64 s[16:17], -1
	s_waitcnt vmcnt(0)
	v_lshlrev_b32_e32 v2, 16, v2
	v_cvt_f16_f32_e32 v2, v2
	s_branch .LBB28_1499
.LBB28_1495:
	s_mov_b64 s[18:19], -1
                                        ; implicit-def: $vgpr2
	s_branch .LBB28_1500
.LBB28_1496:
	s_or_saveexec_b64 s[16:17], s[16:17]
	v_mov_b32_e32 v2, 0x7e00
	s_xor_b64 exec, exec, s[16:17]
	s_cbranch_execz .LBB28_1477
.LBB28_1497:
	v_cmp_ne_u16_e32 vcc, 0, v3
	s_andn2_b64 s[12:13], s[12:13], exec
	s_and_b64 s[18:19], vcc, exec
	s_or_b64 s[12:13], s[12:13], s[18:19]
	v_mov_b32_e32 v2, v3
	s_or_b64 exec, exec, s[16:17]
	s_and_saveexec_b64 s[16:17], s[12:13]
	s_cbranch_execnz .LBB28_1478
	s_branch .LBB28_1479
.LBB28_1498:
	s_mov_b64 s[0:1], -1
                                        ; implicit-def: $vgpr2
.LBB28_1499:
	s_mov_b64 s[18:19], 0
.LBB28_1500:
	s_and_b64 vcc, exec, s[18:19]
	s_cbranch_vccz .LBB28_1502
; %bb.1501:
	s_cmp_lg_u32 s24, 11
	s_mov_b64 s[12:13], -1
	s_cselect_b64 s[0:1], -1, 0
.LBB28_1502:
	s_and_b64 vcc, exec, s[0:1]
	s_cbranch_vccnz .LBB28_1589
; %bb.1503:
	s_andn2_b64 vcc, exec, s[12:13]
	s_cbranch_vccnz .LBB28_1505
.LBB28_1504:
	global_load_ubyte v2, v[0:1], off
	v_mov_b32_e32 v3, 0x3c00
	s_mov_b64 s[16:17], -1
	s_waitcnt vmcnt(0)
	v_cmp_ne_u16_e32 vcc, 0, v2
	v_cndmask_b32_e32 v2, 0, v3, vcc
.LBB28_1505:
	s_branch .LBB28_1433
.LBB28_1506:
	s_cmp_lt_i32 s24, 5
	s_cbranch_scc1 .LBB28_1511
; %bb.1507:
	s_cmp_lt_i32 s24, 8
	s_cbranch_scc1 .LBB28_1512
; %bb.1508:
	s_cmp_lt_i32 s24, 9
	s_cbranch_scc1 .LBB28_1513
; %bb.1509:
	s_cmp_gt_i32 s24, 9
	s_cbranch_scc0 .LBB28_1514
; %bb.1510:
	global_load_dwordx2 v[2:3], v[0:1], off
	s_movk_i32 s0, 0x1ff
	s_movk_i32 s1, 0xffe
	v_mov_b32_e32 v4, 0x7c00
	v_mov_b32_e32 v5, 0x7e00
	s_movk_i32 s12, 0x40f
	s_mov_b32 s13, 0x8000
	s_waitcnt vmcnt(0)
	v_and_or_b32 v2, v3, s0, v2
	v_cmp_ne_u32_e32 vcc, 0, v2
	v_lshrrev_b32_e32 v9, 8, v3
	v_bfe_u32 v11, v3, 20, 11
	v_cndmask_b32_e64 v2, 0, 1, vcc
	v_sub_u32_e32 v12, 0x3f1, v11
	v_and_or_b32 v2, v9, s1, v2
	v_add_u32_e32 v11, 0xfffffc10, v11
	v_med3_i32 v9, v12, 0, 13
	v_or_b32_e32 v12, 0x1000, v2
	v_cmp_ne_u32_e32 vcc, 0, v2
	v_lshl_or_b32 v13, v11, 12, v2
	v_cndmask_b32_e32 v2, v4, v5, vcc
	v_lshrrev_b32_e32 v5, v9, v12
	v_lshlrev_b32_e32 v9, v9, v5
	v_cmp_ne_u32_e32 vcc, v9, v12
	v_cndmask_b32_e64 v9, 0, 1, vcc
	v_or_b32_e32 v5, v5, v9
	v_cmp_gt_i32_e32 vcc, 1, v11
	v_cndmask_b32_e32 v5, v13, v5, vcc
	v_and_b32_e32 v9, 7, v5
	v_cmp_lt_i32_e32 vcc, 5, v9
	v_cndmask_b32_e64 v12, 0, 1, vcc
	v_cmp_eq_u32_e32 vcc, 3, v9
	v_cndmask_b32_e64 v9, 0, 1, vcc
	v_lshrrev_b32_e32 v5, 2, v5
	v_or_b32_e32 v9, v9, v12
	v_add_u32_e32 v5, v5, v9
	v_cmp_gt_i32_e32 vcc, 31, v11
	v_cndmask_b32_e32 v4, v4, v5, vcc
	v_cmp_eq_u32_e32 vcc, s12, v11
	v_lshrrev_b32_e32 v3, 16, v3
	v_cndmask_b32_e32 v2, v4, v2, vcc
	v_and_or_b32 v2, v3, s13, v2
	s_mov_b64 s[0:1], 0
	s_branch .LBB28_1515
.LBB28_1511:
	s_mov_b64 s[0:1], -1
                                        ; implicit-def: $vgpr2
	s_branch .LBB28_1533
.LBB28_1512:
	s_mov_b64 s[0:1], -1
                                        ; implicit-def: $vgpr2
	s_branch .LBB28_1521
.LBB28_1513:
	s_mov_b64 s[0:1], -1
                                        ; implicit-def: $vgpr2
	s_branch .LBB28_1518
.LBB28_1514:
	s_mov_b64 s[0:1], -1
                                        ; implicit-def: $vgpr2
.LBB28_1515:
	s_andn2_b64 vcc, exec, s[0:1]
	s_cbranch_vccnz .LBB28_1517
; %bb.1516:
	global_load_dword v2, v[0:1], off
	s_waitcnt vmcnt(0)
	v_cvt_f16_f32_e32 v2, v2
.LBB28_1517:
	s_mov_b64 s[0:1], 0
.LBB28_1518:
	s_andn2_b64 vcc, exec, s[0:1]
	s_cbranch_vccnz .LBB28_1520
; %bb.1519:
	global_load_dword v2, v[0:1], off
.LBB28_1520:
	s_mov_b64 s[0:1], 0
.LBB28_1521:
	s_andn2_b64 vcc, exec, s[0:1]
	s_cbranch_vccnz .LBB28_1532
; %bb.1522:
	s_cmp_lt_i32 s24, 6
	s_cbranch_scc1 .LBB28_1525
; %bb.1523:
	s_cmp_gt_i32 s24, 6
	s_cbranch_scc0 .LBB28_1526
; %bb.1524:
	global_load_dwordx2 v[2:3], v[0:1], off
	s_movk_i32 s0, 0x1ff
	s_movk_i32 s1, 0xffe
	v_mov_b32_e32 v4, 0x7c00
	v_mov_b32_e32 v5, 0x7e00
	s_movk_i32 s12, 0x40f
	s_mov_b32 s13, 0x8000
	s_waitcnt vmcnt(0)
	v_and_or_b32 v2, v3, s0, v2
	v_cmp_ne_u32_e32 vcc, 0, v2
	v_lshrrev_b32_e32 v9, 8, v3
	v_bfe_u32 v11, v3, 20, 11
	v_cndmask_b32_e64 v2, 0, 1, vcc
	v_sub_u32_e32 v12, 0x3f1, v11
	v_and_or_b32 v2, v9, s1, v2
	v_add_u32_e32 v11, 0xfffffc10, v11
	v_med3_i32 v9, v12, 0, 13
	v_or_b32_e32 v12, 0x1000, v2
	v_cmp_ne_u32_e32 vcc, 0, v2
	v_lshl_or_b32 v13, v11, 12, v2
	v_cndmask_b32_e32 v2, v4, v5, vcc
	v_lshrrev_b32_e32 v5, v9, v12
	v_lshlrev_b32_e32 v9, v9, v5
	v_cmp_ne_u32_e32 vcc, v9, v12
	v_cndmask_b32_e64 v9, 0, 1, vcc
	v_or_b32_e32 v5, v5, v9
	v_cmp_gt_i32_e32 vcc, 1, v11
	v_cndmask_b32_e32 v5, v13, v5, vcc
	v_and_b32_e32 v9, 7, v5
	v_cmp_lt_i32_e32 vcc, 5, v9
	v_cndmask_b32_e64 v12, 0, 1, vcc
	v_cmp_eq_u32_e32 vcc, 3, v9
	v_cndmask_b32_e64 v9, 0, 1, vcc
	v_lshrrev_b32_e32 v5, 2, v5
	v_or_b32_e32 v9, v9, v12
	v_add_u32_e32 v5, v5, v9
	v_cmp_gt_i32_e32 vcc, 31, v11
	v_cndmask_b32_e32 v4, v4, v5, vcc
	v_cmp_eq_u32_e32 vcc, s12, v11
	v_lshrrev_b32_e32 v3, 16, v3
	v_cndmask_b32_e32 v2, v4, v2, vcc
	v_and_or_b32 v2, v3, s13, v2
	s_mov_b64 s[0:1], 0
	s_branch .LBB28_1527
.LBB28_1525:
	s_mov_b64 s[0:1], -1
                                        ; implicit-def: $vgpr2
	s_branch .LBB28_1530
.LBB28_1526:
	s_mov_b64 s[0:1], -1
                                        ; implicit-def: $vgpr2
.LBB28_1527:
	s_andn2_b64 vcc, exec, s[0:1]
	s_cbranch_vccnz .LBB28_1529
; %bb.1528:
	global_load_dword v2, v[0:1], off
	s_waitcnt vmcnt(0)
	v_cvt_f16_f32_e32 v2, v2
.LBB28_1529:
	s_mov_b64 s[0:1], 0
.LBB28_1530:
	s_andn2_b64 vcc, exec, s[0:1]
	s_cbranch_vccnz .LBB28_1532
; %bb.1531:
	global_load_ushort v2, v[0:1], off
.LBB28_1532:
	s_mov_b64 s[0:1], 0
.LBB28_1533:
	s_andn2_b64 vcc, exec, s[0:1]
	s_cbranch_vccnz .LBB28_1553
; %bb.1534:
	s_cmp_lt_i32 s24, 2
	s_cbranch_scc1 .LBB28_1538
; %bb.1535:
	s_cmp_lt_i32 s24, 3
	s_cbranch_scc1 .LBB28_1539
; %bb.1536:
	s_cmp_gt_i32 s24, 3
	s_cbranch_scc0 .LBB28_1540
; %bb.1537:
	global_load_dwordx2 v[2:3], v[0:1], off
	s_mov_b64 s[0:1], 0
	s_waitcnt vmcnt(0)
	v_xor_b32_e32 v5, v2, v3
	v_ffbh_i32_e32 v4, v3
	v_ashrrev_i32_e32 v5, 31, v5
	v_add_u32_e32 v4, -1, v4
	v_add_u32_e32 v5, 32, v5
	v_min_u32_e32 v4, v4, v5
	v_lshlrev_b64 v[2:3], v4, v[2:3]
	v_min_u32_e32 v2, 1, v2
	v_or_b32_e32 v2, v3, v2
	v_cvt_f32_i32_e32 v2, v2
	v_sub_u32_e32 v3, 32, v4
	v_ldexp_f32 v2, v2, v3
	v_cvt_f16_f32_e32 v2, v2
	s_branch .LBB28_1541
.LBB28_1538:
	s_mov_b64 s[0:1], -1
                                        ; implicit-def: $vgpr2
	s_branch .LBB28_1547
.LBB28_1539:
	s_mov_b64 s[0:1], -1
                                        ; implicit-def: $vgpr2
	s_branch .LBB28_1544
.LBB28_1540:
	s_mov_b64 s[0:1], -1
                                        ; implicit-def: $vgpr2
.LBB28_1541:
	s_andn2_b64 vcc, exec, s[0:1]
	s_cbranch_vccnz .LBB28_1543
; %bb.1542:
	global_load_dword v2, v[0:1], off
	s_waitcnt vmcnt(0)
	v_cvt_f32_i32_e32 v2, v2
	v_cvt_f16_f32_e32 v2, v2
.LBB28_1543:
	s_mov_b64 s[0:1], 0
.LBB28_1544:
	s_andn2_b64 vcc, exec, s[0:1]
	s_cbranch_vccnz .LBB28_1546
; %bb.1545:
	global_load_ushort v2, v[0:1], off
	s_waitcnt vmcnt(0)
	v_cvt_f16_i16_e32 v2, v2
.LBB28_1546:
	s_mov_b64 s[0:1], 0
.LBB28_1547:
	s_andn2_b64 vcc, exec, s[0:1]
	s_cbranch_vccnz .LBB28_1553
; %bb.1548:
	s_cmp_gt_i32 s24, 0
	s_cbranch_scc0 .LBB28_1550
; %bb.1549:
	global_load_sbyte v2, v[0:1], off
	s_mov_b64 s[0:1], 0
	s_waitcnt vmcnt(0)
	v_cvt_f16_i16_e32 v2, v2
	s_branch .LBB28_1551
.LBB28_1550:
	s_mov_b64 s[0:1], -1
                                        ; implicit-def: $vgpr2
.LBB28_1551:
	s_andn2_b64 vcc, exec, s[0:1]
	s_cbranch_vccnz .LBB28_1553
; %bb.1552:
	global_load_ubyte v0, v[0:1], off
	s_waitcnt vmcnt(0)
	v_cvt_f16_u16_e32 v2, v0
.LBB28_1553:
.LBB28_1554:
	s_waitcnt vmcnt(0)
	v_cvt_f32_f16_e32 v11, v2
	v_cmp_neq_f16_e32 vcc, 0, v2
                                        ; implicit-def: $vgpr9
	s_and_saveexec_b64 s[0:1], vcc
	s_xor_b64 s[12:13], exec, s[0:1]
	s_cbranch_execz .LBB28_1576
; %bb.1555:
	v_cmp_gt_f16_e32 vcc, 0, v2
	s_mov_b64 s[0:1], -1
	v_mov_b32_e32 v0, 0
	s_and_saveexec_b64 s[16:17], vcc
	s_cbranch_execz .LBB28_1563
; %bb.1556:
	v_trunc_f32_e32 v0, v11
	v_cmp_neq_f32_e32 vcc, v0, v11
	s_mov_b64 s[20:21], 0
	v_mov_b32_e32 v0, 0
	s_and_saveexec_b64 s[18:19], vcc
	s_cbranch_execz .LBB28_1562
; %bb.1557:
	v_cvt_f32_f16_e32 v0, v2
	s_mov_b32 s22, 0
	s_mov_b32 s1, 0xc00921fb
	;; [unrolled: 1-line block ×3, first 2 shown]
	v_cvt_f64_f32_e32 v[0:1], v0
	s_mov_b32 s23, 0x7ff00000
	v_bfrev_b32_e32 v4, 1
	s_mov_b32 s20, 0
	v_trunc_f64_e32 v[2:3], v[0:1]
	v_cmp_neq_f64_e64 vcc, |v[0:1]|, s[22:23]
	s_mov_b32 s21, 0x41d00000
                                        ; implicit-def: $vgpr9
	v_add_f64 v[2:3], v[0:1], -v[2:3]
	v_mul_f64 v[2:3], |v[2:3]|, s[0:1]
	v_cndmask_b32_e32 v1, v4, v3, vcc
	v_cndmask_b32_e32 v0, 0, v2, vcc
	v_cmp_nlt_f64_e64 s[20:21], |v[0:1]|, s[20:21]
                                        ; implicit-def: $vgpr2_vgpr3
                                        ; implicit-def: $vgpr4_vgpr5
	s_and_saveexec_b64 s[26:27], s[20:21]
	s_xor_b64 s[20:21], exec, s[26:27]
	s_cbranch_execz .LBB28_1559
; %bb.1558:
	v_trig_preop_f64 v[2:3], |v[0:1]|, 0
	s_mov_b32 s26, 0
	s_mov_b32 s27, 0x7b000000
	s_movk_i32 s1, 0xff80
	v_ldexp_f64 v[4:5], |v[0:1]|, s1
	v_cmp_ge_f64_e64 vcc, |v[0:1]|, s[26:27]
	v_trig_preop_f64 v[12:13], |v[0:1]|, 1
	v_and_b32_e32 v9, 0x7fffffff, v1
	v_trig_preop_f64 v[18:19], |v[0:1]|, 2
	s_mov_b32 s1, 0x3ff921fb
	v_cndmask_b32_e32 v5, v9, v5, vcc
	v_cndmask_b32_e32 v4, v0, v4, vcc
	v_mov_b32_e32 v9, 0x40100000
	v_mul_f64 v[14:15], v[2:3], v[4:5]
	v_mul_f64 v[16:17], v[12:13], v[4:5]
	;; [unrolled: 1-line block ×3, first 2 shown]
	v_fma_f64 v[2:3], v[2:3], v[4:5], -v[14:15]
	v_fma_f64 v[12:13], v[12:13], v[4:5], -v[16:17]
	v_add_f64 v[20:21], v[16:17], v[2:3]
	v_add_f64 v[22:23], v[20:21], -v[16:17]
	v_add_f64 v[26:27], v[2:3], -v[22:23]
	;; [unrolled: 1-line block ×3, first 2 shown]
	v_add_f64 v[22:23], v[24:25], v[12:13]
	v_add_f64 v[16:17], v[16:17], -v[2:3]
	v_fma_f64 v[2:3], v[18:19], v[4:5], -v[24:25]
	v_add_f64 v[4:5], v[14:15], v[20:21]
	v_add_f64 v[18:19], v[22:23], -v[24:25]
	v_add_f64 v[16:17], v[26:27], v[16:17]
	v_add_f64 v[14:15], v[4:5], -v[14:15]
	v_ldexp_f64 v[4:5], v[4:5], -2
	v_add_f64 v[12:13], v[12:13], -v[18:19]
	v_add_f64 v[18:19], v[22:23], -v[18:19]
	;; [unrolled: 1-line block ×3, first 2 shown]
	v_fract_f64_e32 v[20:21], v[4:5]
	v_cmp_neq_f64_e64 vcc, |v[4:5]|, s[22:23]
	v_add_f64 v[4:5], v[22:23], v[16:17]
	v_add_f64 v[18:19], v[24:25], -v[18:19]
	s_mov_b32 s22, 0x33145c07
	s_mov_b32 s23, 0x3c91a626
	v_ldexp_f64 v[20:21], v[20:21], 2
	v_add_f64 v[24:25], v[14:15], v[4:5]
	v_add_f64 v[12:13], v[12:13], v[18:19]
	v_cndmask_b32_e32 v19, 0, v21, vcc
	v_cndmask_b32_e32 v18, 0, v20, vcc
	v_add_f64 v[20:21], v[24:25], v[18:19]
	v_add_f64 v[14:15], v[24:25], -v[14:15]
	v_cmp_gt_f64_e32 vcc, 0, v[20:21]
	v_add_f64 v[20:21], v[4:5], -v[22:23]
	v_add_f64 v[16:17], v[16:17], -v[20:21]
	;; [unrolled: 1-line block ×5, first 2 shown]
	v_mov_b32_e32 v22, 0
	v_cndmask_b32_e32 v23, 0, v9, vcc
	v_add_f64 v[18:19], v[18:19], v[22:23]
	v_add_f64 v[16:17], v[16:17], v[20:21]
	;; [unrolled: 1-line block ×4, first 2 shown]
	v_cvt_i32_f64_e32 v9, v[26:27]
	v_cvt_f64_i32_e32 v[20:21], v9
	v_add_f64 v[2:3], v[2:3], v[12:13]
	v_add_f64 v[18:19], v[18:19], -v[20:21]
	v_add_f64 v[2:3], v[4:5], v[2:3]
	v_add_f64 v[16:17], v[24:25], v[18:19]
	v_add_f64 v[12:13], v[16:17], -v[18:19]
	v_cmp_le_f64_e32 vcc, 0.5, v[16:17]
	v_add_f64 v[4:5], v[24:25], -v[12:13]
	v_mov_b32_e32 v12, 0x3ff00000
	v_cndmask_b32_e32 v23, 0, v12, vcc
	v_addc_co_u32_e32 v9, vcc, 0, v9, vcc
	v_add_f64 v[2:3], v[2:3], v[4:5]
	v_add_f64 v[4:5], v[16:17], -v[22:23]
	v_add_f64 v[12:13], v[4:5], v[2:3]
	v_mul_f64 v[14:15], v[12:13], s[0:1]
	v_add_f64 v[4:5], v[12:13], -v[4:5]
	v_fma_f64 v[16:17], v[12:13], s[0:1], -v[14:15]
	v_add_f64 v[2:3], v[2:3], -v[4:5]
	v_fma_f64 v[4:5], v[12:13], s[22:23], v[16:17]
	v_fma_f64 v[4:5], v[2:3], s[0:1], v[4:5]
	v_add_f64 v[2:3], v[14:15], v[4:5]
	v_add_f64 v[12:13], v[2:3], -v[14:15]
	v_add_f64 v[4:5], v[4:5], -v[12:13]
.LBB28_1559:
	s_andn2_saveexec_b64 s[0:1], s[20:21]
	s_cbranch_execz .LBB28_1561
; %bb.1560:
	s_mov_b32 s20, 0x6dc9c883
	s_mov_b32 s21, 0x3fe45f30
	v_mul_f64 v[2:3], |v[0:1]|, s[20:21]
	s_mov_b32 s20, 0x54442d18
	s_mov_b32 s21, 0xbff921fb
	;; [unrolled: 1-line block ×4, first 2 shown]
	v_rndne_f64_e32 v[12:13], v[2:3]
	v_fma_f64 v[2:3], v[12:13], s[20:21], |v[0:1]|
	v_mul_f64 v[4:5], v[12:13], s[22:23]
	s_mov_b32 s20, 0x252049c0
	s_mov_b32 s21, 0xb97b839a
	v_cvt_i32_f64_e32 v9, v[12:13]
	v_fma_f64 v[18:19], v[12:13], s[22:23], v[2:3]
	v_add_f64 v[14:15], v[2:3], v[4:5]
	s_mov_b32 s23, 0x3c91a626
	v_add_f64 v[16:17], v[2:3], -v[14:15]
	v_add_f64 v[14:15], v[14:15], -v[18:19]
	v_add_f64 v[2:3], v[16:17], v[4:5]
	v_fma_f64 v[4:5], v[12:13], s[22:23], v[4:5]
	v_add_f64 v[2:3], v[14:15], v[2:3]
	v_add_f64 v[2:3], v[2:3], -v[4:5]
	v_fma_f64 v[4:5], v[12:13], s[20:21], v[2:3]
	v_add_f64 v[2:3], v[18:19], v[4:5]
	v_add_f64 v[14:15], v[2:3], -v[18:19]
	v_add_f64 v[4:5], v[4:5], -v[14:15]
.LBB28_1561:
	s_or_b64 exec, exec, s[0:1]
	v_mul_f64 v[12:13], v[2:3], v[2:3]
	v_add_f64 v[14:15], v[4:5], v[4:5]
	s_mov_b32 s0, 0xc751c08c
	s_mov_b32 s1, 0x3ef5e089
	v_and_b32_e32 v9, 1, v9
	v_cmp_eq_u32_e32 vcc, 0, v9
	s_mov_b32 s22, 0x54442d18
	s_mov_b32 s23, 0xc00921fb
	v_fma_f64 v[16:17], v[2:3], v[2:3], -v[12:13]
	s_mov_b64 s[20:21], exec
	v_sub_f32_e32 v11, 1.0, v11
	v_fma_f64 v[14:15], v[2:3], v[14:15], v[16:17]
	v_add_f64 v[12:13], v[12:13], v[14:15]
	v_mov_b32_e32 v14, 0xa9a29f71
	v_mov_b32_e32 v15, 0xbf078809
	v_fma_f64 v[14:15], v[12:13], s[0:1], v[14:15]
	s_mov_b32 s0, 0x90a8aae0
	s_mov_b32 s1, 0x3f17746f
	v_fma_f64 v[14:15], v[12:13], v[14:15], s[0:1]
	s_mov_b32 s0, 0xa6fbf144
	s_mov_b32 s1, 0xbefbb44d
	;; [unrolled: 3-line block ×12, first 2 shown]
	v_fma_f64 v[14:15], v[12:13], v[14:15], s[0:1]
	s_movk_i32 s0, 0x1f8
	v_cmp_class_f64_e64 s[0:1], v[0:1], s0
	v_mul_f64 v[12:13], v[12:13], v[14:15]
	v_mul_f64 v[14:15], v[2:3], v[12:13]
	v_add_f64 v[16:17], v[2:3], v[14:15]
	v_fma_f64 v[12:13], v[2:3], v[12:13], -v[14:15]
	v_add_f64 v[2:3], v[16:17], -v[2:3]
	v_add_f64 v[4:5], v[4:5], v[12:13]
	v_add_f64 v[2:3], v[14:15], -v[2:3]
	v_add_f64 v[2:3], v[4:5], v[2:3]
	v_add_f64 v[4:5], v[16:17], v[2:3]
	v_rcp_f64_e32 v[12:13], v[4:5]
	v_fma_f64 v[14:15], -v[4:5], v[12:13], 1.0
	v_fma_f64 v[12:13], v[14:15], v[12:13], v[12:13]
	v_fma_f64 v[14:15], -v[4:5], v[12:13], 1.0
	v_fma_f64 v[12:13], v[14:15], v[12:13], v[12:13]
	v_add_f64 v[14:15], v[4:5], -v[16:17]
	v_mul_f64 v[16:17], v[4:5], v[12:13]
	v_add_f64 v[2:3], v[2:3], -v[14:15]
	v_fma_f64 v[14:15], v[12:13], v[4:5], -v[16:17]
	v_fma_f64 v[2:3], v[12:13], v[2:3], v[14:15]
	v_add_f64 v[14:15], v[16:17], v[2:3]
	v_add_f64 v[18:19], -v[14:15], 1.0
	v_add_f64 v[16:17], v[14:15], -v[16:17]
	v_add_f64 v[20:21], -v[18:19], 1.0
	v_add_f64 v[2:3], v[16:17], -v[2:3]
	v_add_f64 v[14:15], v[20:21], -v[14:15]
	v_add_f64 v[2:3], v[2:3], v[14:15]
	v_add_f64 v[2:3], v[18:19], v[2:3]
	v_mul_f64 v[2:3], v[12:13], v[2:3]
	v_add_f64 v[2:3], v[12:13], v[2:3]
	v_and_b32_e32 v12, 0x80000000, v1
	v_mov_b32_e32 v1, 0x7ff80000
	v_xor_b32_e32 v0, 0x80000000, v3
	v_cndmask_b32_e32 v2, v2, v4, vcc
	v_cndmask_b32_e32 v3, v0, v5, vcc
	v_cndmask_b32_e64 v0, 0, v2, s[0:1]
	v_xor_b32_e32 v2, v3, v12
	v_cndmask_b32_e64 v1, v1, v2, s[0:1]
	v_div_scale_f64 v[2:3], s[0:1], v[0:1], v[0:1], s[22:23]
	v_div_scale_f64 v[14:15], vcc, s[22:23], v[0:1], s[22:23]
	v_rcp_f64_e32 v[4:5], v[2:3]
	v_fma_f64 v[12:13], -v[2:3], v[4:5], 1.0
	v_fma_f64 v[4:5], v[4:5], v[12:13], v[4:5]
	v_fma_f64 v[12:13], -v[2:3], v[4:5], 1.0
	v_fma_f64 v[4:5], v[4:5], v[12:13], v[4:5]
	v_mul_f64 v[12:13], v[14:15], v[4:5]
	v_fma_f64 v[2:3], -v[2:3], v[12:13], v[14:15]
	v_div_fmas_f64 v[2:3], v[2:3], v[4:5], v[12:13]
	v_div_fixup_f64 v[0:1], v[2:3], v[0:1], s[22:23]
	v_cvt_f32_f64_e32 v0, v[0:1]
.LBB28_1562:
	s_or_b64 exec, exec, s[18:19]
	s_orn2_b64 s[0:1], s[20:21], exec
.LBB28_1563:
	s_or_b64 exec, exec, s[16:17]
	v_mov_b32_e32 v9, 0x7e00
	s_and_saveexec_b64 s[16:17], s[0:1]
	s_cbranch_execz .LBB28_1575
; %bb.1564:
	s_mov_b32 s20, 0x41200000
	v_cmp_gt_f32_e32 vcc, s20, v11
	s_and_saveexec_b64 s[0:1], vcc
	s_cbranch_execz .LBB28_1568
; %bb.1565:
	s_mov_b64 s[18:19], 0
.LBB28_1566:                            ; =>This Inner Loop Header: Depth=1
	v_div_scale_f32 v1, s[22:23], v11, v11, 1.0
	v_div_scale_f32 v2, vcc, 1.0, v11, 1.0
	v_rcp_f32_e32 v3, v1
	v_fma_f32 v4, -v1, v3, 1.0
	v_fmac_f32_e32 v3, v4, v3
	v_mul_f32_e32 v4, v2, v3
	v_fma_f32 v5, -v1, v4, v2
	v_fmac_f32_e32 v4, v5, v3
	v_fma_f32 v1, -v1, v4, v2
	v_div_fmas_f32 v1, v1, v3, v4
	v_div_fixup_f32 v1, v1, v11, 1.0
	v_add_f32_e32 v11, 1.0, v11
	v_cmp_ngt_f32_e32 vcc, s20, v11
	s_or_b64 s[18:19], vcc, s[18:19]
	v_sub_f32_e32 v0, v0, v1
	s_andn2_b64 exec, exec, s[18:19]
	s_cbranch_execnz .LBB28_1566
; %bb.1567:
	s_or_b64 exec, exec, s[18:19]
.LBB28_1568:
	s_or_b64 exec, exec, s[0:1]
	s_mov_b32 s0, 0x41200000
	v_cmp_neq_f32_e32 vcc, s0, v11
                                        ; implicit-def: $vgpr9
	s_and_saveexec_b64 s[0:1], vcc
	s_xor_b64 s[18:19], exec, s[0:1]
	s_cbranch_execz .LBB28_1572
; %bb.1569:
	v_cvt_f64_f32_e32 v[1:2], v11
	s_mov_b32 s0, 0x85d8a000
	s_mov_b32 s1, 0x43763457
	v_cmp_gt_f64_e32 vcc, s[0:1], v[1:2]
	v_mov_b32_e32 v1, 0
	s_and_saveexec_b64 s[0:1], vcc
	s_cbranch_execz .LBB28_1571
; %bb.1570:
	v_mul_f32_e32 v1, v11, v11
	v_div_scale_f32 v2, s[20:21], v1, v1, 1.0
	v_div_scale_f32 v3, vcc, 1.0, v1, 1.0
	v_mov_b32_e32 v12, 0x3b820821
	v_rcp_f32_e32 v4, v2
	v_fma_f32 v5, -v2, v4, 1.0
	v_fmac_f32_e32 v4, v5, v4
	v_mul_f32_e32 v5, v3, v4
	v_fma_f32 v9, -v2, v5, v3
	v_fmac_f32_e32 v5, v9, v4
	v_fma_f32 v2, -v2, v5, v3
	v_div_fmas_f32 v2, v2, v4, v5
	v_mov_b32_e32 v3, 0x3daaaaab
	v_mov_b32_e32 v4, 0xbcaccacd
	;; [unrolled: 1-line block ×4, first 2 shown]
	v_div_fixup_f32 v1, v2, v1, 1.0
	v_fma_f32 v2, 0, v1, v3
	v_fmac_f32_e32 v4, v1, v2
	v_fmac_f32_e32 v5, v1, v4
	;; [unrolled: 1-line block ×4, first 2 shown]
	v_mov_b32_e32 v2, 0xbc088889
	v_fmac_f32_e32 v2, v1, v12
	v_fmac_f32_e32 v3, v1, v2
	v_mul_f32_e32 v1, v1, v3
.LBB28_1571:
	s_or_b64 exec, exec, s[0:1]
	v_div_scale_f32 v2, s[0:1], v11, v11, -0.5
	v_div_scale_f32 v3, vcc, -0.5, v11, -0.5
	s_mov_b32 s0, 0x800000
	v_cmp_gt_f32_e64 s[0:1], s0, v11
	v_cndmask_b32_e64 v5, 0, 32, s[0:1]
	s_mov_b32 s20, 0x3f317217
	v_rcp_f32_e32 v4, v2
	v_fma_f32 v9, -v2, v4, 1.0
	v_fmac_f32_e32 v4, v9, v4
	v_mul_f32_e32 v9, v3, v4
	v_fma_f32 v12, -v2, v9, v3
	v_fmac_f32_e32 v9, v12, v4
	v_fma_f32 v2, -v2, v9, v3
	v_div_fmas_f32 v2, v2, v4, v9
	v_ldexp_f32 v3, v11, v5
	v_log_f32_e32 v3, v3
	v_mul_f32_e32 v4, 0x3f317217, v3
	v_fma_f32 v4, v3, s20, -v4
	v_fmac_f32_e32 v4, 0x3377d1cf, v3
	s_mov_b32 s20, 0x7f800000
	v_fmac_f32_e32 v4, 0x3f317217, v3
	v_cmp_lt_f32_e64 vcc, |v3|, s20
	v_cndmask_b32_e32 v3, v3, v4, vcc
	v_mov_b32_e32 v4, 0x41b17218
	v_cndmask_b32_e64 v4, 0, v4, s[0:1]
	v_sub_f32_e32 v3, v3, v4
	v_div_fixup_f32 v2, v2, v11, -0.5
	v_add_f32_e32 v2, v3, v2
	v_sub_f32_e32 v1, v2, v1
	v_add_f32_e32 v0, v0, v1
	v_cvt_f16_f32_e32 v9, v0
                                        ; implicit-def: $vgpr0
.LBB28_1572:
	s_andn2_saveexec_b64 s[0:1], s[18:19]
; %bb.1573:
	v_add_f32_e32 v0, 0x40101cb7, v0
	v_cvt_f16_f32_e32 v9, v0
; %bb.1574:
	s_or_b64 exec, exec, s[0:1]
.LBB28_1575:
	s_or_b64 exec, exec, s[16:17]
                                        ; implicit-def: $vgpr11
.LBB28_1576:
	s_andn2_saveexec_b64 s[0:1], s[12:13]
; %bb.1577:
	v_xor_b32_e32 v0, 0x80000000, v11
	s_movk_i32 s12, 0x8000
	v_and_b32_sdwa v0, v0, s12 dst_sel:DWORD dst_unused:UNUSED_PAD src0_sel:WORD_1 src1_sel:DWORD
	v_or_b32_e32 v9, 0x7c00, v0
; %bb.1578:
	s_or_b64 exec, exec, s[0:1]
	v_add_u32_e32 v0, s3, v10
	v_ashrrev_i32_e32 v1, 31, v0
	v_mov_b32_e32 v2, s11
	v_add_co_u32_e32 v0, vcc, s10, v0
	s_cmp_lt_i32 s24, 11
	v_addc_co_u32_e32 v1, vcc, v2, v1, vcc
	s_cbranch_scc1 .LBB28_1585
; %bb.1579:
	s_cmp_gt_i32 s24, 25
	s_mov_b64 s[10:11], 0
	s_cbranch_scc0 .LBB28_1586
; %bb.1580:
	s_cmp_gt_i32 s24, 28
	s_cbranch_scc0 .LBB28_1587
; %bb.1581:
	s_cmp_gt_i32 s24, 43
	;; [unrolled: 3-line block ×3, first 2 shown]
	s_cbranch_scc0 .LBB28_1590
; %bb.1583:
	s_cmp_eq_u32 s24, 46
	s_mov_b64 s[16:17], 0
	s_cbranch_scc0 .LBB28_1591
; %bb.1584:
	global_load_dword v2, v[0:1], off
	s_mov_b64 s[0:1], 0
	s_mov_b64 s[12:13], -1
	s_waitcnt vmcnt(0)
	v_lshlrev_b32_e32 v2, 16, v2
	v_cvt_f16_f32_e32 v3, v2
	s_branch .LBB28_1592
.LBB28_1585:
	s_mov_b64 s[0:1], -1
	s_mov_b64 s[12:13], 0
                                        ; implicit-def: $vgpr3
	s_branch .LBB28_1658
.LBB28_1586:
	s_mov_b64 s[16:17], -1
	s_mov_b64 s[12:13], 0
	s_mov_b64 s[0:1], 0
                                        ; implicit-def: $vgpr3
	s_branch .LBB28_1621
.LBB28_1587:
	s_mov_b64 s[16:17], -1
	s_mov_b64 s[12:13], 0
	s_mov_b64 s[0:1], 0
                                        ; implicit-def: $vgpr3
	s_branch .LBB28_1602
.LBB28_1588:
	s_mov_b64 s[16:17], -1
	s_mov_b64 s[12:13], 0
	s_mov_b64 s[0:1], 0
                                        ; implicit-def: $vgpr3
	s_branch .LBB28_1597
.LBB28_1589:
	s_trap 2
	s_or_b64 s[14:15], s[14:15], exec
	s_cbranch_execz .LBB28_1504
	s_branch .LBB28_1505
.LBB28_1590:
	s_mov_b64 s[16:17], -1
	s_mov_b64 s[12:13], 0
	s_mov_b64 s[0:1], 0
                                        ; implicit-def: $vgpr3
	s_branch .LBB28_1592
.LBB28_1591:
	s_mov_b64 s[0:1], -1
                                        ; implicit-def: $vgpr3
	s_mov_b64 s[12:13], 0
.LBB28_1592:
	s_and_b64 vcc, exec, s[16:17]
	s_cbranch_vccz .LBB28_1596
; %bb.1593:
	s_cmp_eq_u32 s24, 44
	s_cbranch_scc0 .LBB28_1595
; %bb.1594:
	global_load_ubyte v2, v[0:1], off
	s_movk_i32 s3, 0xff
	v_mov_b32_e32 v4, 0x7e00
	s_mov_b64 s[0:1], 0
	s_mov_b64 s[12:13], -1
	s_waitcnt vmcnt(0)
	v_lshlrev_b32_e32 v3, 23, v2
	v_cvt_f16_f32_e32 v3, v3
	v_cmp_ne_u32_e32 vcc, s3, v2
	v_cndmask_b32_e32 v3, v4, v3, vcc
	v_cmp_ne_u32_e32 vcc, 0, v2
	v_cndmask_b32_e32 v3, 0, v3, vcc
	s_branch .LBB28_1596
.LBB28_1595:
	s_mov_b64 s[0:1], -1
                                        ; implicit-def: $vgpr3
.LBB28_1596:
	s_mov_b64 s[16:17], 0
.LBB28_1597:
	s_and_b64 vcc, exec, s[16:17]
	s_cbranch_vccz .LBB28_1601
; %bb.1598:
	s_cmp_eq_u32 s24, 29
	s_cbranch_scc0 .LBB28_1600
; %bb.1599:
	global_load_dwordx2 v[2:3], v[0:1], off
	s_mov_b64 s[0:1], 0
	s_mov_b64 s[12:13], -1
	s_mov_b64 s[16:17], 0
	s_waitcnt vmcnt(0)
	v_ffbh_u32_e32 v4, v3
	v_min_u32_e32 v4, 32, v4
	v_lshlrev_b64 v[2:3], v4, v[2:3]
	v_min_u32_e32 v2, 1, v2
	v_or_b32_e32 v2, v3, v2
	v_cvt_f32_u32_e32 v2, v2
	v_sub_u32_e32 v3, 32, v4
	v_ldexp_f32 v2, v2, v3
	v_cvt_f16_f32_e32 v3, v2
	s_branch .LBB28_1602
.LBB28_1600:
	s_mov_b64 s[0:1], -1
                                        ; implicit-def: $vgpr3
.LBB28_1601:
	s_mov_b64 s[16:17], 0
.LBB28_1602:
	s_and_b64 vcc, exec, s[16:17]
	s_cbranch_vccz .LBB28_1620
; %bb.1603:
	s_cmp_lt_i32 s24, 27
	s_cbranch_scc1 .LBB28_1606
; %bb.1604:
	s_cmp_gt_i32 s24, 27
	s_cbranch_scc0 .LBB28_1607
; %bb.1605:
	global_load_dword v2, v[0:1], off
	s_mov_b64 s[12:13], 0
	s_waitcnt vmcnt(0)
	v_cvt_f32_u32_e32 v2, v2
	v_cvt_f16_f32_e32 v3, v2
	s_branch .LBB28_1608
.LBB28_1606:
	s_mov_b64 s[12:13], -1
                                        ; implicit-def: $vgpr3
	s_branch .LBB28_1611
.LBB28_1607:
	s_mov_b64 s[12:13], -1
                                        ; implicit-def: $vgpr3
.LBB28_1608:
	s_andn2_b64 vcc, exec, s[12:13]
	s_cbranch_vccnz .LBB28_1610
; %bb.1609:
	global_load_ushort v2, v[0:1], off
	s_waitcnt vmcnt(0)
	v_cvt_f16_u16_e32 v3, v2
.LBB28_1610:
	s_mov_b64 s[12:13], 0
.LBB28_1611:
	s_andn2_b64 vcc, exec, s[12:13]
	s_cbranch_vccnz .LBB28_1619
; %bb.1612:
	global_load_ubyte v2, v[0:1], off
	s_movk_i32 s3, 0x7f
	s_mov_b64 s[12:13], 0
	s_waitcnt vmcnt(0)
	v_cmp_lt_i16_e32 vcc, s3, v2
	s_and_saveexec_b64 s[16:17], vcc
	s_xor_b64 s[16:17], exec, s[16:17]
	s_cbranch_execz .LBB28_1633
; %bb.1613:
	s_movk_i32 s3, 0x80
	v_cmp_eq_u16_e32 vcc, s3, v2
	s_mov_b64 s[12:13], -1
	s_and_saveexec_b64 s[18:19], vcc
; %bb.1614:
	s_xor_b64 s[12:13], exec, -1
; %bb.1615:
	s_or_b64 exec, exec, s[18:19]
	s_and_b64 s[12:13], s[12:13], exec
	s_or_saveexec_b64 s[16:17], s[16:17]
	v_mov_b32_e32 v3, 0x7e00
	s_xor_b64 exec, exec, s[16:17]
	s_cbranch_execnz .LBB28_1634
.LBB28_1616:
	s_or_b64 exec, exec, s[16:17]
	s_and_saveexec_b64 s[16:17], s[12:13]
	s_cbranch_execz .LBB28_1618
.LBB28_1617:
	v_lshlrev_b32_e32 v3, 24, v2
	v_and_b32_e32 v2, 0xffff, v2
	v_and_b32_e32 v4, 7, v2
	v_ffbh_u32_e32 v10, v4
	v_min_u32_e32 v10, 32, v10
	v_subrev_u32_e32 v11, 28, v10
	v_bfe_u32 v5, v2, 3, 4
	v_lshlrev_b32_e32 v2, v11, v2
	v_sub_u32_e32 v10, 29, v10
	v_and_b32_e32 v2, 7, v2
	v_cmp_eq_u32_e32 vcc, 0, v5
	v_cndmask_b32_e32 v5, v5, v10, vcc
	v_cndmask_b32_e32 v2, v4, v2, vcc
	v_mov_b32_e32 v4, 0x3b800000
	v_lshlrev_b32_e32 v2, 20, v2
	v_and_b32_e32 v3, 0x80000000, v3
	v_lshl_add_u32 v4, v5, 23, v4
	v_or3_b32 v2, v3, v4, v2
	v_cvt_f16_f32_e32 v3, v2
.LBB28_1618:
	s_or_b64 exec, exec, s[16:17]
.LBB28_1619:
	s_mov_b64 s[12:13], -1
.LBB28_1620:
	s_mov_b64 s[16:17], 0
.LBB28_1621:
	s_and_b64 vcc, exec, s[16:17]
	s_cbranch_vccz .LBB28_1654
; %bb.1622:
	s_cmp_gt_i32 s24, 22
	s_cbranch_scc0 .LBB28_1632
; %bb.1623:
	s_cmp_lt_i32 s24, 24
	s_cbranch_scc1 .LBB28_1635
; %bb.1624:
	s_cmp_gt_i32 s24, 24
	s_cbranch_scc0 .LBB28_1636
; %bb.1625:
	global_load_ubyte v2, v[0:1], off
	s_movk_i32 s3, 0x7f
	s_waitcnt vmcnt(0)
	v_cmp_lt_i16_e32 vcc, s3, v2
	s_and_saveexec_b64 s[12:13], vcc
	s_xor_b64 s[12:13], exec, s[12:13]
	s_cbranch_execz .LBB28_1648
; %bb.1626:
	s_movk_i32 s3, 0x80
	v_cmp_eq_u16_e32 vcc, s3, v2
	s_mov_b64 s[10:11], -1
	s_and_saveexec_b64 s[16:17], vcc
; %bb.1627:
	s_xor_b64 s[10:11], exec, -1
; %bb.1628:
	s_or_b64 exec, exec, s[16:17]
	s_and_b64 s[10:11], s[10:11], exec
	s_or_saveexec_b64 s[12:13], s[12:13]
	v_mov_b32_e32 v3, 0x7e00
	s_xor_b64 exec, exec, s[12:13]
	s_cbranch_execnz .LBB28_1649
.LBB28_1629:
	s_or_b64 exec, exec, s[12:13]
	s_and_saveexec_b64 s[12:13], s[10:11]
	s_cbranch_execz .LBB28_1631
.LBB28_1630:
	v_lshlrev_b32_e32 v3, 24, v2
	v_and_b32_e32 v2, 0xffff, v2
	v_and_b32_e32 v4, 3, v2
	v_ffbh_u32_e32 v10, v4
	v_min_u32_e32 v10, 32, v10
	v_subrev_u32_e32 v11, 29, v10
	v_bfe_u32 v5, v2, 2, 5
	v_lshlrev_b32_e32 v2, v11, v2
	v_sub_u32_e32 v10, 30, v10
	v_and_b32_e32 v2, 3, v2
	v_cmp_eq_u32_e32 vcc, 0, v5
	v_cndmask_b32_e32 v5, v5, v10, vcc
	v_cndmask_b32_e32 v2, v4, v2, vcc
	v_mov_b32_e32 v4, 0x37800000
	v_lshlrev_b32_e32 v2, 21, v2
	v_and_b32_e32 v3, 0x80000000, v3
	v_lshl_add_u32 v4, v5, 23, v4
	v_or3_b32 v2, v3, v4, v2
	v_cvt_f16_f32_e32 v3, v2
.LBB28_1631:
	s_or_b64 exec, exec, s[12:13]
	s_mov_b64 s[10:11], 0
	s_branch .LBB28_1637
.LBB28_1632:
	s_mov_b64 s[10:11], -1
                                        ; implicit-def: $vgpr3
	s_branch .LBB28_1643
.LBB28_1633:
	s_or_saveexec_b64 s[16:17], s[16:17]
	v_mov_b32_e32 v3, 0x7e00
	s_xor_b64 exec, exec, s[16:17]
	s_cbranch_execz .LBB28_1616
.LBB28_1634:
	v_cmp_ne_u16_e32 vcc, 0, v2
	s_andn2_b64 s[12:13], s[12:13], exec
	s_and_b64 s[18:19], vcc, exec
	s_or_b64 s[12:13], s[12:13], s[18:19]
	v_mov_b32_e32 v3, v2
	s_or_b64 exec, exec, s[16:17]
	s_and_saveexec_b64 s[16:17], s[12:13]
	s_cbranch_execnz .LBB28_1617
	s_branch .LBB28_1618
.LBB28_1635:
	s_mov_b64 s[10:11], -1
                                        ; implicit-def: $vgpr3
	s_branch .LBB28_1640
.LBB28_1636:
	s_mov_b64 s[10:11], -1
                                        ; implicit-def: $vgpr3
.LBB28_1637:
	s_and_b64 vcc, exec, s[10:11]
	s_cbranch_vccz .LBB28_1639
; %bb.1638:
	global_load_ubyte v2, v[0:1], off
	s_mov_b32 s3, 0x7f800000
	s_waitcnt vmcnt(0)
	v_lshlrev_b32_e32 v2, 24, v2
	v_and_b32_e32 v3, 0x7f000000, v2
	v_ffbh_u32_e32 v4, v3
	v_min_u32_e32 v4, 32, v4
	v_sub_u32_e64 v4, v4, 4 clamp
	v_lshlrev_b32_e32 v10, v4, v3
	v_lshlrev_b32_e32 v4, 23, v4
	v_lshrrev_b32_e32 v10, 4, v10
	v_add_u32_e32 v5, 0x1000000, v3
	v_sub_u32_e32 v4, v10, v4
	v_ashrrev_i32_e32 v5, 8, v5
	v_add_u32_e32 v4, 0x3c000000, v4
	v_and_or_b32 v4, v5, s3, v4
	v_cmp_ne_u32_e32 vcc, 0, v3
	v_cndmask_b32_e32 v3, 0, v4, vcc
	s_brev_b32 s3, 1
	v_and_or_b32 v2, v2, s3, v3
	v_cvt_f16_f32_e32 v3, v2
.LBB28_1639:
	s_mov_b64 s[10:11], 0
.LBB28_1640:
	s_andn2_b64 vcc, exec, s[10:11]
	s_cbranch_vccnz .LBB28_1642
; %bb.1641:
	global_load_ubyte v2, v[0:1], off
	s_movk_i32 s3, 0x7f00
	s_brev_b32 s10, 16
	s_waitcnt vmcnt(0)
	v_lshlrev_b16_e32 v3, 8, v2
	v_lshlrev_b32_e32 v2, 25, v2
	v_lshrrev_b32_e32 v4, 4, v2
	v_and_or_b32 v5, v3, s3, 0.5
	v_or_b32_e32 v4, 0x70000000, v4
	v_add_f32_e32 v5, -0.5, v5
	v_mul_f32_e32 v4, 0x7800000, v4
	v_cmp_gt_u32_e32 vcc, s10, v2
	v_bfe_i32 v3, v3, 0, 16
	v_cndmask_b32_e32 v2, v4, v5, vcc
	s_brev_b32 s3, 1
	v_and_or_b32 v2, v3, s3, v2
	v_cvt_f16_f32_e32 v3, v2
.LBB28_1642:
	s_mov_b64 s[10:11], 0
	s_mov_b64 s[12:13], -1
.LBB28_1643:
	s_andn2_b64 vcc, exec, s[10:11]
	s_mov_b64 s[10:11], 0
	s_cbranch_vccnz .LBB28_1654
; %bb.1644:
	s_cmp_gt_i32 s24, 14
	s_cbranch_scc0 .LBB28_1647
; %bb.1645:
	s_cmp_eq_u32 s24, 15
	s_cbranch_scc0 .LBB28_1650
; %bb.1646:
	global_load_ushort v2, v[0:1], off
	s_mov_b64 s[0:1], 0
	s_mov_b64 s[12:13], -1
	s_waitcnt vmcnt(0)
	v_lshlrev_b32_e32 v2, 16, v2
	v_cvt_f16_f32_e32 v3, v2
	s_branch .LBB28_1651
.LBB28_1647:
	s_mov_b64 s[16:17], -1
                                        ; implicit-def: $vgpr3
	s_branch .LBB28_1652
.LBB28_1648:
	s_or_saveexec_b64 s[12:13], s[12:13]
	v_mov_b32_e32 v3, 0x7e00
	s_xor_b64 exec, exec, s[12:13]
	s_cbranch_execz .LBB28_1629
.LBB28_1649:
	v_cmp_ne_u16_e32 vcc, 0, v2
	s_andn2_b64 s[10:11], s[10:11], exec
	s_and_b64 s[16:17], vcc, exec
	s_or_b64 s[10:11], s[10:11], s[16:17]
	v_mov_b32_e32 v3, v2
	s_or_b64 exec, exec, s[12:13]
	s_and_saveexec_b64 s[12:13], s[10:11]
	s_cbranch_execnz .LBB28_1630
	s_branch .LBB28_1631
.LBB28_1650:
	s_mov_b64 s[0:1], -1
                                        ; implicit-def: $vgpr3
.LBB28_1651:
	s_mov_b64 s[16:17], 0
.LBB28_1652:
	s_and_b64 vcc, exec, s[16:17]
	s_cbranch_vccz .LBB28_1654
; %bb.1653:
	s_cmp_lg_u32 s24, 11
	s_mov_b64 s[10:11], -1
	s_cselect_b64 s[0:1], -1, 0
.LBB28_1654:
	s_and_b64 vcc, exec, s[0:1]
	s_cbranch_vccnz .LBB28_2213
; %bb.1655:
	s_andn2_b64 vcc, exec, s[10:11]
	s_cbranch_vccnz .LBB28_1657
.LBB28_1656:
	global_load_ubyte v2, v[0:1], off
	v_mov_b32_e32 v3, 0x3c00
	s_mov_b64 s[12:13], -1
	s_waitcnt vmcnt(0)
	v_cmp_ne_u16_e32 vcc, 0, v2
	v_cndmask_b32_e32 v3, 0, v3, vcc
.LBB28_1657:
	s_mov_b64 s[0:1], 0
.LBB28_1658:
	s_and_b64 vcc, exec, s[0:1]
	s_cbranch_vccz .LBB28_1707
; %bb.1659:
	s_cmp_lt_i32 s24, 5
	s_cbranch_scc1 .LBB28_1664
; %bb.1660:
	s_cmp_lt_i32 s24, 8
	s_cbranch_scc1 .LBB28_1665
	;; [unrolled: 3-line block ×3, first 2 shown]
; %bb.1662:
	s_cmp_gt_i32 s24, 9
	s_cbranch_scc0 .LBB28_1667
; %bb.1663:
	global_load_dwordx2 v[2:3], v[0:1], off
	s_movk_i32 s0, 0x1ff
	s_movk_i32 s1, 0xffe
	v_mov_b32_e32 v4, 0x7c00
	v_mov_b32_e32 v5, 0x7e00
	s_movk_i32 s3, 0x40f
	s_mov_b32 s10, 0x8000
	s_waitcnt vmcnt(0)
	v_and_or_b32 v2, v3, s0, v2
	v_cmp_ne_u32_e32 vcc, 0, v2
	v_lshrrev_b32_e32 v10, 8, v3
	v_bfe_u32 v11, v3, 20, 11
	v_cndmask_b32_e64 v2, 0, 1, vcc
	v_sub_u32_e32 v12, 0x3f1, v11
	v_and_or_b32 v2, v10, s1, v2
	v_add_u32_e32 v11, 0xfffffc10, v11
	v_med3_i32 v10, v12, 0, 13
	v_or_b32_e32 v12, 0x1000, v2
	v_cmp_ne_u32_e32 vcc, 0, v2
	v_lshl_or_b32 v13, v11, 12, v2
	v_cndmask_b32_e32 v2, v4, v5, vcc
	v_lshrrev_b32_e32 v5, v10, v12
	v_lshlrev_b32_e32 v10, v10, v5
	v_cmp_ne_u32_e32 vcc, v10, v12
	v_cndmask_b32_e64 v10, 0, 1, vcc
	v_or_b32_e32 v5, v5, v10
	v_cmp_gt_i32_e32 vcc, 1, v11
	v_cndmask_b32_e32 v5, v13, v5, vcc
	v_and_b32_e32 v10, 7, v5
	v_cmp_lt_i32_e32 vcc, 5, v10
	v_cndmask_b32_e64 v12, 0, 1, vcc
	v_cmp_eq_u32_e32 vcc, 3, v10
	v_cndmask_b32_e64 v10, 0, 1, vcc
	v_lshrrev_b32_e32 v5, 2, v5
	v_or_b32_e32 v10, v10, v12
	v_add_u32_e32 v5, v5, v10
	v_cmp_gt_i32_e32 vcc, 31, v11
	v_cndmask_b32_e32 v4, v4, v5, vcc
	v_cmp_eq_u32_e32 vcc, s3, v11
	v_lshrrev_b32_e32 v3, 16, v3
	v_cndmask_b32_e32 v2, v4, v2, vcc
	v_and_or_b32 v3, v3, s10, v2
	s_mov_b64 s[0:1], 0
	s_branch .LBB28_1668
.LBB28_1664:
	s_mov_b64 s[0:1], -1
                                        ; implicit-def: $vgpr3
	s_branch .LBB28_1686
.LBB28_1665:
	s_mov_b64 s[0:1], -1
                                        ; implicit-def: $vgpr3
	s_branch .LBB28_1674
.LBB28_1666:
	s_mov_b64 s[0:1], -1
                                        ; implicit-def: $vgpr3
	s_branch .LBB28_1671
.LBB28_1667:
	s_mov_b64 s[0:1], -1
                                        ; implicit-def: $vgpr3
.LBB28_1668:
	s_andn2_b64 vcc, exec, s[0:1]
	s_cbranch_vccnz .LBB28_1670
; %bb.1669:
	global_load_dword v2, v[0:1], off
	s_waitcnt vmcnt(0)
	v_cvt_f16_f32_e32 v3, v2
.LBB28_1670:
	s_mov_b64 s[0:1], 0
.LBB28_1671:
	s_andn2_b64 vcc, exec, s[0:1]
	s_cbranch_vccnz .LBB28_1673
; %bb.1672:
	global_load_dword v3, v[0:1], off
.LBB28_1673:
	s_mov_b64 s[0:1], 0
.LBB28_1674:
	s_andn2_b64 vcc, exec, s[0:1]
	s_cbranch_vccnz .LBB28_1685
; %bb.1675:
	s_cmp_lt_i32 s24, 6
	s_cbranch_scc1 .LBB28_1678
; %bb.1676:
	s_cmp_gt_i32 s24, 6
	s_cbranch_scc0 .LBB28_1679
; %bb.1677:
	global_load_dwordx2 v[2:3], v[0:1], off
	s_movk_i32 s0, 0x1ff
	s_movk_i32 s1, 0xffe
	v_mov_b32_e32 v4, 0x7c00
	v_mov_b32_e32 v5, 0x7e00
	s_movk_i32 s3, 0x40f
	s_mov_b32 s10, 0x8000
	s_waitcnt vmcnt(0)
	v_and_or_b32 v2, v3, s0, v2
	v_cmp_ne_u32_e32 vcc, 0, v2
	v_lshrrev_b32_e32 v10, 8, v3
	v_bfe_u32 v11, v3, 20, 11
	v_cndmask_b32_e64 v2, 0, 1, vcc
	v_sub_u32_e32 v12, 0x3f1, v11
	v_and_or_b32 v2, v10, s1, v2
	v_add_u32_e32 v11, 0xfffffc10, v11
	v_med3_i32 v10, v12, 0, 13
	v_or_b32_e32 v12, 0x1000, v2
	v_cmp_ne_u32_e32 vcc, 0, v2
	v_lshl_or_b32 v13, v11, 12, v2
	v_cndmask_b32_e32 v2, v4, v5, vcc
	v_lshrrev_b32_e32 v5, v10, v12
	v_lshlrev_b32_e32 v10, v10, v5
	v_cmp_ne_u32_e32 vcc, v10, v12
	v_cndmask_b32_e64 v10, 0, 1, vcc
	v_or_b32_e32 v5, v5, v10
	v_cmp_gt_i32_e32 vcc, 1, v11
	v_cndmask_b32_e32 v5, v13, v5, vcc
	v_and_b32_e32 v10, 7, v5
	v_cmp_lt_i32_e32 vcc, 5, v10
	v_cndmask_b32_e64 v12, 0, 1, vcc
	v_cmp_eq_u32_e32 vcc, 3, v10
	v_cndmask_b32_e64 v10, 0, 1, vcc
	v_lshrrev_b32_e32 v5, 2, v5
	v_or_b32_e32 v10, v10, v12
	v_add_u32_e32 v5, v5, v10
	v_cmp_gt_i32_e32 vcc, 31, v11
	v_cndmask_b32_e32 v4, v4, v5, vcc
	v_cmp_eq_u32_e32 vcc, s3, v11
	v_lshrrev_b32_e32 v3, 16, v3
	v_cndmask_b32_e32 v2, v4, v2, vcc
	v_and_or_b32 v3, v3, s10, v2
	s_mov_b64 s[0:1], 0
	s_branch .LBB28_1680
.LBB28_1678:
	s_mov_b64 s[0:1], -1
                                        ; implicit-def: $vgpr3
	s_branch .LBB28_1683
.LBB28_1679:
	s_mov_b64 s[0:1], -1
                                        ; implicit-def: $vgpr3
.LBB28_1680:
	s_andn2_b64 vcc, exec, s[0:1]
	s_cbranch_vccnz .LBB28_1682
; %bb.1681:
	global_load_dword v2, v[0:1], off
	s_waitcnt vmcnt(0)
	v_cvt_f16_f32_e32 v3, v2
.LBB28_1682:
	s_mov_b64 s[0:1], 0
.LBB28_1683:
	s_andn2_b64 vcc, exec, s[0:1]
	s_cbranch_vccnz .LBB28_1685
; %bb.1684:
	global_load_ushort v3, v[0:1], off
.LBB28_1685:
	s_mov_b64 s[0:1], 0
.LBB28_1686:
	s_andn2_b64 vcc, exec, s[0:1]
	s_cbranch_vccnz .LBB28_1706
; %bb.1687:
	s_cmp_lt_i32 s24, 2
	s_cbranch_scc1 .LBB28_1691
; %bb.1688:
	s_cmp_lt_i32 s24, 3
	s_cbranch_scc1 .LBB28_1692
; %bb.1689:
	s_cmp_gt_i32 s24, 3
	s_cbranch_scc0 .LBB28_1693
; %bb.1690:
	global_load_dwordx2 v[2:3], v[0:1], off
	s_mov_b64 s[0:1], 0
	s_waitcnt vmcnt(0)
	v_xor_b32_e32 v5, v2, v3
	v_ffbh_i32_e32 v4, v3
	v_ashrrev_i32_e32 v5, 31, v5
	v_add_u32_e32 v4, -1, v4
	v_add_u32_e32 v5, 32, v5
	v_min_u32_e32 v4, v4, v5
	v_lshlrev_b64 v[2:3], v4, v[2:3]
	v_min_u32_e32 v2, 1, v2
	v_or_b32_e32 v2, v3, v2
	v_cvt_f32_i32_e32 v2, v2
	v_sub_u32_e32 v3, 32, v4
	v_ldexp_f32 v2, v2, v3
	v_cvt_f16_f32_e32 v3, v2
	s_branch .LBB28_1694
.LBB28_1691:
	s_mov_b64 s[0:1], -1
                                        ; implicit-def: $vgpr3
	s_branch .LBB28_1700
.LBB28_1692:
	s_mov_b64 s[0:1], -1
                                        ; implicit-def: $vgpr3
	s_branch .LBB28_1697
.LBB28_1693:
	s_mov_b64 s[0:1], -1
                                        ; implicit-def: $vgpr3
.LBB28_1694:
	s_andn2_b64 vcc, exec, s[0:1]
	s_cbranch_vccnz .LBB28_1696
; %bb.1695:
	global_load_dword v2, v[0:1], off
	s_waitcnt vmcnt(0)
	v_cvt_f32_i32_e32 v2, v2
	v_cvt_f16_f32_e32 v3, v2
.LBB28_1696:
	s_mov_b64 s[0:1], 0
.LBB28_1697:
	s_andn2_b64 vcc, exec, s[0:1]
	s_cbranch_vccnz .LBB28_1699
; %bb.1698:
	global_load_ushort v2, v[0:1], off
	s_waitcnt vmcnt(0)
	v_cvt_f16_i16_e32 v3, v2
.LBB28_1699:
	s_mov_b64 s[0:1], 0
.LBB28_1700:
	s_andn2_b64 vcc, exec, s[0:1]
	s_cbranch_vccnz .LBB28_1706
; %bb.1701:
	s_cmp_gt_i32 s24, 0
	s_cbranch_scc0 .LBB28_1703
; %bb.1702:
	global_load_sbyte v2, v[0:1], off
	s_mov_b64 s[0:1], 0
	s_waitcnt vmcnt(0)
	v_cvt_f16_i16_e32 v3, v2
	s_branch .LBB28_1704
.LBB28_1703:
	s_mov_b64 s[0:1], -1
                                        ; implicit-def: $vgpr3
.LBB28_1704:
	s_andn2_b64 vcc, exec, s[0:1]
	s_cbranch_vccnz .LBB28_1706
; %bb.1705:
	global_load_ubyte v0, v[0:1], off
	s_waitcnt vmcnt(0)
	v_cvt_f16_u16_e32 v3, v0
.LBB28_1706:
	s_mov_b64 s[12:13], -1
.LBB28_1707:
	s_andn2_b64 vcc, exec, s[12:13]
	s_cbranch_vccnz .LBB28_1810
; %bb.1708:
	s_waitcnt vmcnt(0)
	v_cvt_f32_f16_e32 v10, v3
	v_cmp_neq_f16_e32 vcc, 0, v3
                                        ; implicit-def: $vgpr2
	s_and_saveexec_b64 s[0:1], vcc
	s_xor_b64 s[10:11], exec, s[0:1]
	s_cbranch_execz .LBB28_1730
; %bb.1709:
	v_cmp_gt_f16_e32 vcc, 0, v3
	s_mov_b64 s[0:1], -1
	v_mov_b32_e32 v0, 0
	s_and_saveexec_b64 s[12:13], vcc
	s_cbranch_execz .LBB28_1717
; %bb.1710:
	v_trunc_f32_e32 v0, v10
	v_cmp_neq_f32_e32 vcc, v0, v10
	s_mov_b64 s[18:19], 0
	v_mov_b32_e32 v0, 0
	s_and_saveexec_b64 s[16:17], vcc
	s_cbranch_execz .LBB28_1716
; %bb.1711:
	v_cvt_f32_f16_e32 v0, v3
	s_mov_b32 s20, 0
	s_mov_b32 s1, 0xc00921fb
	;; [unrolled: 1-line block ×3, first 2 shown]
	v_cvt_f64_f32_e32 v[0:1], v0
	s_mov_b32 s21, 0x7ff00000
	v_bfrev_b32_e32 v4, 1
	s_mov_b32 s18, 0
	v_trunc_f64_e32 v[2:3], v[0:1]
	v_cmp_neq_f64_e64 vcc, |v[0:1]|, s[20:21]
	s_mov_b32 s19, 0x41d00000
                                        ; implicit-def: $vgpr11
	v_add_f64 v[2:3], v[0:1], -v[2:3]
	v_mul_f64 v[2:3], |v[2:3]|, s[0:1]
	v_cndmask_b32_e32 v1, v4, v3, vcc
	v_cndmask_b32_e32 v0, 0, v2, vcc
	v_cmp_nlt_f64_e64 s[18:19], |v[0:1]|, s[18:19]
                                        ; implicit-def: $vgpr2_vgpr3
                                        ; implicit-def: $vgpr4_vgpr5
	s_and_saveexec_b64 s[22:23], s[18:19]
	s_xor_b64 s[18:19], exec, s[22:23]
	s_cbranch_execz .LBB28_1713
; %bb.1712:
	v_trig_preop_f64 v[2:3], |v[0:1]|, 0
	s_mov_b32 s22, 0
	s_mov_b32 s23, 0x7b000000
	s_movk_i32 s1, 0xff80
	v_cmp_ge_f64_e64 vcc, |v[0:1]|, s[22:23]
	v_ldexp_f64 v[4:5], |v[0:1]|, s1
	v_trig_preop_f64 v[11:12], |v[0:1]|, 1
	v_and_b32_e32 v13, 0x7fffffff, v1
	v_trig_preop_f64 v[17:18], |v[0:1]|, 2
	s_mov_b32 s1, 0x3ff921fb
	v_cndmask_b32_e32 v5, v13, v5, vcc
	v_cndmask_b32_e32 v4, v0, v4, vcc
	v_mul_f64 v[13:14], v[2:3], v[4:5]
	v_mul_f64 v[15:16], v[11:12], v[4:5]
	;; [unrolled: 1-line block ×3, first 2 shown]
	v_fma_f64 v[2:3], v[2:3], v[4:5], -v[13:14]
	v_fma_f64 v[11:12], v[11:12], v[4:5], -v[15:16]
	v_add_f64 v[19:20], v[15:16], v[2:3]
	v_add_f64 v[21:22], v[19:20], -v[15:16]
	v_add_f64 v[25:26], v[2:3], -v[21:22]
	;; [unrolled: 1-line block ×3, first 2 shown]
	v_add_f64 v[21:22], v[23:24], v[11:12]
	v_add_f64 v[15:16], v[15:16], -v[2:3]
	v_fma_f64 v[2:3], v[17:18], v[4:5], -v[23:24]
	v_add_f64 v[4:5], v[13:14], v[19:20]
	v_add_f64 v[17:18], v[21:22], -v[23:24]
	v_add_f64 v[15:16], v[25:26], v[15:16]
	v_mov_b32_e32 v25, 0x40100000
	v_add_f64 v[13:14], v[4:5], -v[13:14]
	v_ldexp_f64 v[4:5], v[4:5], -2
	v_add_f64 v[11:12], v[11:12], -v[17:18]
	v_add_f64 v[17:18], v[21:22], -v[17:18]
	;; [unrolled: 1-line block ×3, first 2 shown]
	v_fract_f64_e32 v[19:20], v[4:5]
	v_cmp_neq_f64_e64 vcc, |v[4:5]|, s[20:21]
	v_add_f64 v[17:18], v[23:24], -v[17:18]
	v_add_f64 v[23:24], v[21:22], v[15:16]
	s_mov_b32 s20, 0x33145c07
	s_mov_b32 s21, 0x3c91a626
	v_ldexp_f64 v[4:5], v[19:20], 2
	v_add_f64 v[11:12], v[11:12], v[17:18]
	v_add_f64 v[19:20], v[13:14], v[23:24]
	v_cndmask_b32_e32 v5, 0, v5, vcc
	v_cndmask_b32_e32 v4, 0, v4, vcc
	v_add_f64 v[17:18], v[19:20], v[4:5]
	v_add_f64 v[13:14], v[19:20], -v[13:14]
	v_cmp_gt_f64_e32 vcc, 0, v[17:18]
	v_add_f64 v[17:18], v[23:24], -v[21:22]
	v_add_f64 v[13:14], v[23:24], -v[13:14]
	;; [unrolled: 1-line block ×5, first 2 shown]
	v_mov_b32_e32 v21, 0
	v_cndmask_b32_e32 v22, 0, v25, vcc
	v_add_f64 v[4:5], v[4:5], v[21:22]
	v_add_f64 v[15:16], v[15:16], v[17:18]
	;; [unrolled: 1-line block ×4, first 2 shown]
	v_cvt_i32_f64_e32 v25, v[25:26]
	v_cvt_f64_i32_e32 v[17:18], v25
	v_add_f64 v[2:3], v[2:3], v[11:12]
	v_mov_b32_e32 v11, 0x3ff00000
	v_add_f64 v[4:5], v[4:5], -v[17:18]
	v_add_f64 v[2:3], v[13:14], v[2:3]
	v_add_f64 v[15:16], v[19:20], v[4:5]
	v_add_f64 v[4:5], v[15:16], -v[4:5]
	v_cmp_le_f64_e32 vcc, 0.5, v[15:16]
	v_add_f64 v[4:5], v[19:20], -v[4:5]
	v_cndmask_b32_e32 v22, 0, v11, vcc
	v_add_f64 v[2:3], v[2:3], v[4:5]
	v_add_f64 v[4:5], v[15:16], -v[21:22]
	v_add_f64 v[11:12], v[4:5], v[2:3]
	v_mul_f64 v[13:14], v[11:12], s[0:1]
	v_add_f64 v[4:5], v[11:12], -v[4:5]
	v_fma_f64 v[15:16], v[11:12], s[0:1], -v[13:14]
	v_add_f64 v[2:3], v[2:3], -v[4:5]
	v_fma_f64 v[4:5], v[11:12], s[20:21], v[15:16]
	v_fma_f64 v[4:5], v[2:3], s[0:1], v[4:5]
	v_add_f64 v[2:3], v[13:14], v[4:5]
	v_add_f64 v[11:12], v[2:3], -v[13:14]
	v_add_f64 v[4:5], v[4:5], -v[11:12]
	v_addc_co_u32_e32 v11, vcc, 0, v25, vcc
.LBB28_1713:
	s_andn2_saveexec_b64 s[0:1], s[18:19]
	s_cbranch_execz .LBB28_1715
; %bb.1714:
	s_mov_b32 s18, 0x6dc9c883
	s_mov_b32 s19, 0x3fe45f30
	v_mul_f64 v[2:3], |v[0:1]|, s[18:19]
	s_mov_b32 s18, 0x54442d18
	s_mov_b32 s19, 0xbff921fb
	;; [unrolled: 1-line block ×4, first 2 shown]
	v_rndne_f64_e32 v[11:12], v[2:3]
	v_fma_f64 v[2:3], v[11:12], s[18:19], |v[0:1]|
	v_mul_f64 v[4:5], v[11:12], s[20:21]
	s_mov_b32 s18, 0x252049c0
	s_mov_b32 s19, 0xb97b839a
	v_fma_f64 v[17:18], v[11:12], s[20:21], v[2:3]
	v_add_f64 v[13:14], v[2:3], v[4:5]
	s_mov_b32 s21, 0x3c91a626
	v_add_f64 v[15:16], v[2:3], -v[13:14]
	v_add_f64 v[13:14], v[13:14], -v[17:18]
	v_add_f64 v[2:3], v[15:16], v[4:5]
	v_fma_f64 v[4:5], v[11:12], s[20:21], v[4:5]
	v_add_f64 v[2:3], v[13:14], v[2:3]
	v_add_f64 v[2:3], v[2:3], -v[4:5]
	v_fma_f64 v[4:5], v[11:12], s[18:19], v[2:3]
	v_cvt_i32_f64_e32 v11, v[11:12]
	v_add_f64 v[2:3], v[17:18], v[4:5]
	v_add_f64 v[13:14], v[2:3], -v[17:18]
	v_add_f64 v[4:5], v[4:5], -v[13:14]
.LBB28_1715:
	s_or_b64 exec, exec, s[0:1]
	v_mul_f64 v[12:13], v[2:3], v[2:3]
	v_add_f64 v[14:15], v[4:5], v[4:5]
	s_mov_b32 s0, 0xc751c08c
	s_mov_b32 s1, 0x3ef5e089
	v_and_b32_e32 v11, 1, v11
	v_cmp_eq_u32_e32 vcc, 0, v11
	s_mov_b32 s20, 0x54442d18
	s_mov_b32 s21, 0xc00921fb
	v_fma_f64 v[16:17], v[2:3], v[2:3], -v[12:13]
	s_mov_b64 s[18:19], exec
	v_sub_f32_e32 v10, 1.0, v10
	v_fma_f64 v[14:15], v[2:3], v[14:15], v[16:17]
	v_add_f64 v[12:13], v[12:13], v[14:15]
	v_mov_b32_e32 v14, 0xa9a29f71
	v_mov_b32_e32 v15, 0xbf078809
	v_fma_f64 v[14:15], v[12:13], s[0:1], v[14:15]
	s_mov_b32 s0, 0x90a8aae0
	s_mov_b32 s1, 0x3f17746f
	v_fma_f64 v[14:15], v[12:13], v[14:15], s[0:1]
	s_mov_b32 s0, 0xa6fbf144
	s_mov_b32 s1, 0xbefbb44d
	;; [unrolled: 3-line block ×12, first 2 shown]
	v_fma_f64 v[14:15], v[12:13], v[14:15], s[0:1]
	s_movk_i32 s0, 0x1f8
	v_cmp_class_f64_e64 s[0:1], v[0:1], s0
	v_mul_f64 v[12:13], v[12:13], v[14:15]
	v_mul_f64 v[14:15], v[2:3], v[12:13]
	v_add_f64 v[16:17], v[2:3], v[14:15]
	v_fma_f64 v[12:13], v[2:3], v[12:13], -v[14:15]
	v_add_f64 v[2:3], v[16:17], -v[2:3]
	v_add_f64 v[4:5], v[4:5], v[12:13]
	v_add_f64 v[2:3], v[14:15], -v[2:3]
	v_add_f64 v[2:3], v[4:5], v[2:3]
	v_add_f64 v[4:5], v[16:17], v[2:3]
	v_rcp_f64_e32 v[12:13], v[4:5]
	v_fma_f64 v[14:15], -v[4:5], v[12:13], 1.0
	v_fma_f64 v[12:13], v[14:15], v[12:13], v[12:13]
	v_fma_f64 v[14:15], -v[4:5], v[12:13], 1.0
	v_fma_f64 v[12:13], v[14:15], v[12:13], v[12:13]
	v_add_f64 v[14:15], v[4:5], -v[16:17]
	v_mul_f64 v[16:17], v[4:5], v[12:13]
	v_add_f64 v[2:3], v[2:3], -v[14:15]
	v_fma_f64 v[14:15], v[12:13], v[4:5], -v[16:17]
	v_fma_f64 v[2:3], v[12:13], v[2:3], v[14:15]
	v_add_f64 v[14:15], v[16:17], v[2:3]
	v_add_f64 v[18:19], -v[14:15], 1.0
	v_add_f64 v[16:17], v[14:15], -v[16:17]
	v_add_f64 v[20:21], -v[18:19], 1.0
	v_add_f64 v[2:3], v[16:17], -v[2:3]
	v_add_f64 v[14:15], v[20:21], -v[14:15]
	v_add_f64 v[2:3], v[2:3], v[14:15]
	v_add_f64 v[2:3], v[18:19], v[2:3]
	v_mul_f64 v[2:3], v[12:13], v[2:3]
	v_add_f64 v[2:3], v[12:13], v[2:3]
	v_and_b32_e32 v12, 0x80000000, v1
	v_mov_b32_e32 v1, 0x7ff80000
	v_xor_b32_e32 v0, 0x80000000, v3
	v_cndmask_b32_e32 v2, v2, v4, vcc
	v_cndmask_b32_e32 v3, v0, v5, vcc
	v_cndmask_b32_e64 v0, 0, v2, s[0:1]
	v_xor_b32_e32 v2, v3, v12
	v_cndmask_b32_e64 v1, v1, v2, s[0:1]
	v_div_scale_f64 v[2:3], s[0:1], v[0:1], v[0:1], s[20:21]
	v_div_scale_f64 v[13:14], vcc, s[20:21], v[0:1], s[20:21]
	v_rcp_f64_e32 v[4:5], v[2:3]
	v_fma_f64 v[11:12], -v[2:3], v[4:5], 1.0
	v_fma_f64 v[4:5], v[4:5], v[11:12], v[4:5]
	v_fma_f64 v[11:12], -v[2:3], v[4:5], 1.0
	v_fma_f64 v[4:5], v[4:5], v[11:12], v[4:5]
	v_mul_f64 v[11:12], v[13:14], v[4:5]
	v_fma_f64 v[2:3], -v[2:3], v[11:12], v[13:14]
	v_div_fmas_f64 v[2:3], v[2:3], v[4:5], v[11:12]
	v_div_fixup_f64 v[0:1], v[2:3], v[0:1], s[20:21]
	v_cvt_f32_f64_e32 v0, v[0:1]
.LBB28_1716:
	s_or_b64 exec, exec, s[16:17]
	s_orn2_b64 s[0:1], s[18:19], exec
.LBB28_1717:
	s_or_b64 exec, exec, s[12:13]
	v_mov_b32_e32 v2, 0x7e00
	s_and_saveexec_b64 s[12:13], s[0:1]
	s_cbranch_execz .LBB28_1729
; %bb.1718:
	s_mov_b32 s3, 0x41200000
	v_cmp_gt_f32_e32 vcc, s3, v10
	s_and_saveexec_b64 s[0:1], vcc
	s_cbranch_execz .LBB28_1722
; %bb.1719:
	s_mov_b64 s[16:17], 0
.LBB28_1720:                            ; =>This Inner Loop Header: Depth=1
	v_div_scale_f32 v1, s[18:19], v10, v10, 1.0
	v_div_scale_f32 v2, vcc, 1.0, v10, 1.0
	v_rcp_f32_e32 v3, v1
	v_fma_f32 v4, -v1, v3, 1.0
	v_fmac_f32_e32 v3, v4, v3
	v_mul_f32_e32 v4, v2, v3
	v_fma_f32 v5, -v1, v4, v2
	v_fmac_f32_e32 v4, v5, v3
	v_fma_f32 v1, -v1, v4, v2
	v_div_fmas_f32 v1, v1, v3, v4
	v_div_fixup_f32 v1, v1, v10, 1.0
	v_add_f32_e32 v10, 1.0, v10
	v_cmp_ngt_f32_e32 vcc, s3, v10
	s_or_b64 s[16:17], vcc, s[16:17]
	v_sub_f32_e32 v0, v0, v1
	s_andn2_b64 exec, exec, s[16:17]
	s_cbranch_execnz .LBB28_1720
; %bb.1721:
	s_or_b64 exec, exec, s[16:17]
.LBB28_1722:
	s_or_b64 exec, exec, s[0:1]
	s_mov_b32 s0, 0x41200000
	v_cmp_neq_f32_e32 vcc, s0, v10
                                        ; implicit-def: $vgpr2
	s_and_saveexec_b64 s[0:1], vcc
	s_xor_b64 s[16:17], exec, s[0:1]
	s_cbranch_execz .LBB28_1726
; %bb.1723:
	v_cvt_f64_f32_e32 v[1:2], v10
	s_mov_b32 s0, 0x85d8a000
	s_mov_b32 s1, 0x43763457
	v_cmp_gt_f64_e32 vcc, s[0:1], v[1:2]
	v_mov_b32_e32 v1, 0
	s_and_saveexec_b64 s[0:1], vcc
	s_cbranch_execz .LBB28_1725
; %bb.1724:
	v_mul_f32_e32 v1, v10, v10
	v_div_scale_f32 v2, s[18:19], v1, v1, 1.0
	v_div_scale_f32 v3, vcc, 1.0, v1, 1.0
	v_mov_b32_e32 v12, 0x3b820821
	v_rcp_f32_e32 v4, v2
	v_fma_f32 v5, -v2, v4, 1.0
	v_fmac_f32_e32 v4, v5, v4
	v_mul_f32_e32 v5, v3, v4
	v_fma_f32 v11, -v2, v5, v3
	v_fmac_f32_e32 v5, v11, v4
	v_fma_f32 v2, -v2, v5, v3
	v_div_fmas_f32 v2, v2, v4, v5
	v_mov_b32_e32 v3, 0x3daaaaab
	v_mov_b32_e32 v4, 0xbcaccacd
	;; [unrolled: 1-line block ×4, first 2 shown]
	v_div_fixup_f32 v1, v2, v1, 1.0
	v_fma_f32 v2, 0, v1, v3
	v_fmac_f32_e32 v4, v1, v2
	v_fmac_f32_e32 v5, v1, v4
	v_fmac_f32_e32 v11, v1, v5
	v_fmac_f32_e32 v12, v1, v11
	v_mov_b32_e32 v2, 0xbc088889
	v_fmac_f32_e32 v2, v1, v12
	v_fmac_f32_e32 v3, v1, v2
	v_mul_f32_e32 v1, v1, v3
.LBB28_1725:
	s_or_b64 exec, exec, s[0:1]
	v_div_scale_f32 v2, s[0:1], v10, v10, -0.5
	v_div_scale_f32 v3, vcc, -0.5, v10, -0.5
	s_mov_b32 s0, 0x800000
	v_cmp_gt_f32_e64 s[0:1], s0, v10
	v_cndmask_b32_e64 v5, 0, 32, s[0:1]
	s_mov_b32 s3, 0x3f317217
	v_rcp_f32_e32 v4, v2
	v_fma_f32 v11, -v2, v4, 1.0
	v_fmac_f32_e32 v4, v11, v4
	v_mul_f32_e32 v11, v3, v4
	v_fma_f32 v12, -v2, v11, v3
	v_fmac_f32_e32 v11, v12, v4
	v_fma_f32 v2, -v2, v11, v3
	v_div_fmas_f32 v2, v2, v4, v11
	v_ldexp_f32 v3, v10, v5
	v_log_f32_e32 v3, v3
	v_mul_f32_e32 v4, 0x3f317217, v3
	v_fma_f32 v4, v3, s3, -v4
	v_fmac_f32_e32 v4, 0x3377d1cf, v3
	s_mov_b32 s3, 0x7f800000
	v_fmac_f32_e32 v4, 0x3f317217, v3
	v_cmp_lt_f32_e64 vcc, |v3|, s3
	v_cndmask_b32_e32 v3, v3, v4, vcc
	v_mov_b32_e32 v4, 0x41b17218
	v_cndmask_b32_e64 v4, 0, v4, s[0:1]
	v_sub_f32_e32 v3, v3, v4
	v_div_fixup_f32 v2, v2, v10, -0.5
	v_add_f32_e32 v2, v3, v2
	v_sub_f32_e32 v1, v2, v1
	v_add_f32_e32 v0, v0, v1
	v_cvt_f16_f32_e32 v2, v0
                                        ; implicit-def: $vgpr0
.LBB28_1726:
	s_andn2_saveexec_b64 s[0:1], s[16:17]
; %bb.1727:
	v_add_f32_e32 v0, 0x40101cb7, v0
	v_cvt_f16_f32_e32 v2, v0
; %bb.1728:
	s_or_b64 exec, exec, s[0:1]
.LBB28_1729:
	s_or_b64 exec, exec, s[12:13]
                                        ; implicit-def: $vgpr10
.LBB28_1730:
	s_andn2_saveexec_b64 s[0:1], s[10:11]
; %bb.1731:
	v_xor_b32_e32 v0, 0x80000000, v10
	s_movk_i32 s3, 0x8000
	v_and_b32_sdwa v0, v0, s3 dst_sel:DWORD dst_unused:UNUSED_PAD src0_sel:WORD_1 src1_sel:DWORD
	v_or_b32_e32 v2, 0x7c00, v0
; %bb.1732:
	s_or_b64 exec, exec, s[0:1]
	v_mul_lo_u32 v3, s2, v6
	v_mov_b32_e32 v1, s9
	s_and_b32 s20, s33, 0xff
	s_cmp_lt_i32 s20, 11
	v_ashrrev_i32_e32 v4, 31, v3
	v_add_co_u32_e32 v0, vcc, s8, v3
	v_addc_co_u32_e32 v1, vcc, v1, v4, vcc
	s_cbranch_scc1 .LBB28_1856
; %bb.1733:
	s_and_b32 s3, 0xffff, s20
	s_mov_b64 s[16:17], -1
	s_mov_b64 s[10:11], 0
	s_cmp_gt_i32 s3, 25
	s_mov_b64 s[12:13], 0
	s_mov_b64 s[0:1], 0
	s_cbranch_scc0 .LBB28_1766
; %bb.1734:
	s_cmp_gt_i32 s3, 28
	s_cbranch_scc0 .LBB28_1749
; %bb.1735:
	s_cmp_gt_i32 s3, 43
	;; [unrolled: 3-line block ×3, first 2 shown]
	s_cbranch_scc0 .LBB28_1739
; %bb.1737:
	s_mov_b64 s[0:1], -1
	s_mov_b64 s[16:17], 0
	s_cmp_eq_u32 s3, 46
	s_cbranch_scc0 .LBB28_1739
; %bb.1738:
	v_cvt_f32_f16_e32 v4, v7
	s_movk_i32 s0, 0x7fff
	v_cmp_o_f16_e32 vcc, v7, v7
	v_mov_b32_e32 v5, 0x7fc0
	v_bfe_u32 v6, v4, 16, 1
	v_add3_u32 v4, v4, v6, s0
	v_cndmask_b32_sdwa v4, v5, v4, vcc dst_sel:DWORD dst_unused:UNUSED_PAD src0_sel:DWORD src1_sel:WORD_1
	global_store_dword v[0:1], v4, off
	s_mov_b64 s[0:1], 0
	s_mov_b64 s[12:13], -1
.LBB28_1739:
	s_and_b64 vcc, exec, s[16:17]
	s_cbranch_vccz .LBB28_1744
; %bb.1740:
	s_cmp_eq_u32 s3, 44
	s_mov_b64 s[0:1], -1
	s_cbranch_scc0 .LBB28_1744
; %bb.1741:
	v_cvt_f32_f16_e32 v4, v7
	s_movk_i32 s0, 0xff
	v_mov_b32_e32 v6, 0xff
	v_bfe_u32 v5, v4, 23, 8
	v_cmp_ne_u32_e32 vcc, s0, v5
	s_and_saveexec_b64 s[12:13], vcc
; %bb.1742:
	s_mov_b32 s0, 0x3fffff
	v_lshrrev_b32_e32 v6, 23, v4
	v_and_b32_e32 v10, 0x400000, v4
	v_and_or_b32 v4, v4, s0, v5
	v_cmp_ne_u32_e32 vcc, 0, v10
	v_cmp_ne_u32_e64 s[0:1], 0, v4
	s_and_b64 s[0:1], vcc, s[0:1]
	v_cndmask_b32_e64 v4, 0, 1, s[0:1]
	v_add_u32_e32 v6, v6, v4
; %bb.1743:
	s_or_b64 exec, exec, s[12:13]
	s_mov_b64 s[0:1], 0
	s_mov_b64 s[12:13], -1
	global_store_byte v[0:1], v6, off
.LBB28_1744:
	s_mov_b64 s[16:17], 0
.LBB28_1745:
	s_and_b64 vcc, exec, s[16:17]
	s_cbranch_vccz .LBB28_1748
; %bb.1746:
	s_cmp_eq_u32 s3, 29
	s_mov_b64 s[0:1], -1
	s_cbranch_scc0 .LBB28_1748
; %bb.1747:
	v_cvt_f32_f16_e32 v4, v7
	v_mov_b32_e32 v5, 0
	s_mov_b64 s[0:1], 0
	s_mov_b64 s[12:13], -1
	v_cvt_u32_f32_e32 v4, v4
	global_store_dwordx2 v[0:1], v[4:5], off
.LBB28_1748:
	s_mov_b64 s[16:17], 0
.LBB28_1749:
	s_and_b64 vcc, exec, s[16:17]
	s_cbranch_vccz .LBB28_1765
; %bb.1750:
	s_cmp_lt_i32 s3, 27
	s_mov_b64 s[12:13], -1
	s_cbranch_scc1 .LBB28_1756
; %bb.1751:
	s_cmp_gt_i32 s3, 27
	s_cbranch_scc0 .LBB28_1753
; %bb.1752:
	v_cvt_f32_f16_e32 v4, v7
	s_mov_b64 s[12:13], 0
	v_cvt_u32_f32_e32 v4, v4
	global_store_dword v[0:1], v4, off
.LBB28_1753:
	s_andn2_b64 vcc, exec, s[12:13]
	s_cbranch_vccnz .LBB28_1755
; %bb.1754:
	v_cvt_u16_f16_e32 v4, v7
	global_store_short v[0:1], v4, off
.LBB28_1755:
	s_mov_b64 s[12:13], 0
.LBB28_1756:
	s_andn2_b64 vcc, exec, s[12:13]
	s_cbranch_vccnz .LBB28_1764
; %bb.1757:
	v_cvt_f32_f16_e32 v4, v7
	s_mov_b32 s12, 0x43800000
	v_mov_b32_e32 v6, 0x80
	v_and_b32_e32 v5, 0x7fffffff, v4
	v_cmp_gt_u32_e32 vcc, s12, v5
	s_and_saveexec_b64 s[12:13], vcc
	s_cbranch_execz .LBB28_1763
; %bb.1758:
	s_mov_b32 s16, 0x3bffffff
	v_cmp_lt_u32_e32 vcc, s16, v5
	s_mov_b64 s[16:17], 0
                                        ; implicit-def: $vgpr5
	s_and_saveexec_b64 s[18:19], vcc
	s_xor_b64 s[18:19], exec, s[18:19]
	s_cbranch_execz .LBB28_2214
; %bb.1759:
	v_bfe_u32 v5, v4, 20, 1
	s_mov_b32 s21, 0x487ffff
	v_add3_u32 v5, v4, v5, s21
	s_mov_b64 s[16:17], exec
	v_lshrrev_b32_e32 v5, 20, v5
	s_andn2_saveexec_b64 s[18:19], s[18:19]
	s_cbranch_execnz .LBB28_2215
.LBB28_1760:
	s_or_b64 exec, exec, s[18:19]
	v_mov_b32_e32 v6, 0
	s_and_saveexec_b64 s[18:19], s[16:17]
.LBB28_1761:
	v_lshrrev_b32_e32 v4, 24, v4
	s_movk_i32 s16, 0x80
	v_and_or_b32 v6, v4, s16, v5
.LBB28_1762:
	s_or_b64 exec, exec, s[18:19]
.LBB28_1763:
	s_or_b64 exec, exec, s[12:13]
	global_store_byte v[0:1], v6, off
.LBB28_1764:
	s_mov_b64 s[12:13], -1
.LBB28_1765:
	s_mov_b64 s[16:17], 0
.LBB28_1766:
	s_and_b64 vcc, exec, s[16:17]
	s_cbranch_vccz .LBB28_1806
; %bb.1767:
	s_cmp_gt_i32 s3, 22
	s_mov_b64 s[10:11], -1
	s_cbranch_scc0 .LBB28_1799
; %bb.1768:
	s_cmp_lt_i32 s3, 24
	s_cbranch_scc1 .LBB28_1788
; %bb.1769:
	s_cmp_gt_i32 s3, 24
	s_cbranch_scc0 .LBB28_1777
; %bb.1770:
	v_cvt_f32_f16_e32 v4, v7
	s_mov_b32 s10, 0x47800000
	v_mov_b32_e32 v6, 0x80
	v_and_b32_e32 v5, 0x7fffffff, v4
	v_cmp_gt_u32_e32 vcc, s10, v5
	s_and_saveexec_b64 s[10:11], vcc
	s_cbranch_execz .LBB28_1776
; %bb.1771:
	s_mov_b32 s12, 0x37ffffff
	v_cmp_lt_u32_e32 vcc, s12, v5
	s_mov_b64 s[12:13], 0
                                        ; implicit-def: $vgpr5
	s_and_saveexec_b64 s[16:17], vcc
	s_xor_b64 s[16:17], exec, s[16:17]
	s_cbranch_execz .LBB28_2217
; %bb.1772:
	v_bfe_u32 v5, v4, 21, 1
	s_mov_b32 s18, 0x88fffff
	v_add3_u32 v5, v4, v5, s18
	s_mov_b64 s[12:13], exec
	v_lshrrev_b32_e32 v5, 21, v5
	s_andn2_saveexec_b64 s[16:17], s[16:17]
	s_cbranch_execnz .LBB28_2218
.LBB28_1773:
	s_or_b64 exec, exec, s[16:17]
	v_mov_b32_e32 v6, 0
	s_and_saveexec_b64 s[16:17], s[12:13]
.LBB28_1774:
	v_lshrrev_b32_e32 v4, 24, v4
	s_movk_i32 s12, 0x80
	v_and_or_b32 v6, v4, s12, v5
.LBB28_1775:
	s_or_b64 exec, exec, s[16:17]
.LBB28_1776:
	s_or_b64 exec, exec, s[10:11]
	s_mov_b64 s[10:11], 0
	global_store_byte v[0:1], v6, off
.LBB28_1777:
	s_and_b64 vcc, exec, s[10:11]
	s_cbranch_vccz .LBB28_1787
; %bb.1778:
	v_cvt_f32_f16_e32 v4, v7
	s_mov_b32 s10, 0x43f00000
                                        ; implicit-def: $vgpr5
	v_and_b32_e32 v6, 0x7fffffff, v4
	v_cmp_gt_u32_e32 vcc, s10, v6
	s_and_saveexec_b64 s[10:11], vcc
	s_xor_b64 s[10:11], exec, s[10:11]
	s_cbranch_execz .LBB28_1784
; %bb.1779:
	s_mov_b32 s12, 0x3c7fffff
	v_cmp_lt_u32_e32 vcc, s12, v6
                                        ; implicit-def: $vgpr5
	s_and_saveexec_b64 s[12:13], vcc
	s_xor_b64 s[12:13], exec, s[12:13]
; %bb.1780:
	v_bfe_u32 v5, v4, 20, 1
	s_mov_b32 s16, 0x407ffff
	v_add3_u32 v5, v4, v5, s16
	v_lshrrev_b32_e32 v6, 20, v5
	v_and_b32_e32 v5, 0xff00000, v5
	s_mov_b32 s16, 0x7f00000
	v_mov_b32_e32 v10, 0x7e
	v_cmp_ne_u32_e32 vcc, s16, v5
	v_cndmask_b32_e32 v5, v10, v6, vcc
; %bb.1781:
	s_andn2_saveexec_b64 s[12:13], s[12:13]
; %bb.1782:
	s_mov_b32 s16, 0x46800000
	v_add_f32_e64 v5, |v4|, s16
; %bb.1783:
	s_or_b64 exec, exec, s[12:13]
                                        ; implicit-def: $vgpr6
.LBB28_1784:
	s_andn2_saveexec_b64 s[10:11], s[10:11]
; %bb.1785:
	s_mov_b32 s12, 0x7f800000
	v_mov_b32_e32 v5, 0x7e
	v_mov_b32_e32 v10, 0x7f
	v_cmp_lt_u32_e32 vcc, s12, v6
	v_cndmask_b32_e32 v5, v5, v10, vcc
; %bb.1786:
	s_or_b64 exec, exec, s[10:11]
	v_lshrrev_b32_e32 v4, 24, v4
	s_movk_i32 s10, 0x80
	v_and_or_b32 v4, v4, s10, v5
	global_store_byte v[0:1], v4, off
.LBB28_1787:
	s_mov_b64 s[10:11], 0
.LBB28_1788:
	s_andn2_b64 vcc, exec, s[10:11]
	s_cbranch_vccnz .LBB28_1798
; %bb.1789:
	v_cvt_f32_f16_e32 v4, v7
	s_mov_b32 s10, 0x47800000
                                        ; implicit-def: $vgpr5
	v_and_b32_e32 v6, 0x7fffffff, v4
	v_cmp_gt_u32_e32 vcc, s10, v6
	s_and_saveexec_b64 s[10:11], vcc
	s_xor_b64 s[10:11], exec, s[10:11]
	s_cbranch_execz .LBB28_1795
; %bb.1790:
	s_mov_b32 s12, 0x387fffff
	v_cmp_lt_u32_e32 vcc, s12, v6
                                        ; implicit-def: $vgpr5
	s_and_saveexec_b64 s[12:13], vcc
	s_xor_b64 s[12:13], exec, s[12:13]
; %bb.1791:
	v_bfe_u32 v5, v4, 21, 1
	s_mov_b32 s16, 0x80fffff
	v_add3_u32 v5, v4, v5, s16
	v_lshrrev_b32_e32 v5, 21, v5
; %bb.1792:
	s_andn2_saveexec_b64 s[12:13], s[12:13]
; %bb.1793:
	s_mov_b32 s16, 0x43000000
	v_add_f32_e64 v5, |v4|, s16
; %bb.1794:
	s_or_b64 exec, exec, s[12:13]
                                        ; implicit-def: $vgpr6
.LBB28_1795:
	s_andn2_saveexec_b64 s[10:11], s[10:11]
; %bb.1796:
	s_mov_b32 s12, 0x7f800000
	v_mov_b32_e32 v5, 0x7c
	v_mov_b32_e32 v10, 0x7f
	v_cmp_lt_u32_e32 vcc, s12, v6
	v_cndmask_b32_e32 v5, v5, v10, vcc
; %bb.1797:
	s_or_b64 exec, exec, s[10:11]
	v_lshrrev_b32_e32 v4, 24, v4
	s_movk_i32 s10, 0x80
	v_and_or_b32 v4, v4, s10, v5
	global_store_byte v[0:1], v4, off
.LBB28_1798:
	s_mov_b64 s[10:11], 0
	s_mov_b64 s[12:13], -1
.LBB28_1799:
	s_andn2_b64 vcc, exec, s[10:11]
	s_mov_b64 s[10:11], 0
	s_cbranch_vccnz .LBB28_1806
; %bb.1800:
	s_cmp_gt_i32 s3, 14
	s_mov_b64 s[16:17], -1
	s_cbranch_scc0 .LBB28_1804
; %bb.1801:
	s_cmp_eq_u32 s3, 15
	s_mov_b64 s[0:1], -1
	s_cbranch_scc0 .LBB28_1803
; %bb.1802:
	v_cvt_f32_f16_e32 v4, v7
	s_movk_i32 s0, 0x7fff
	v_cmp_o_f16_e32 vcc, v7, v7
	v_mov_b32_e32 v5, 0x7fc0
	v_bfe_u32 v6, v4, 16, 1
	v_add3_u32 v4, v4, v6, s0
	v_cndmask_b32_sdwa v4, v5, v4, vcc dst_sel:DWORD dst_unused:UNUSED_PAD src0_sel:DWORD src1_sel:WORD_1
	global_store_short v[0:1], v4, off
	s_mov_b64 s[0:1], 0
	s_mov_b64 s[12:13], -1
.LBB28_1803:
	s_mov_b64 s[16:17], 0
.LBB28_1804:
	s_and_b64 vcc, exec, s[16:17]
	s_cbranch_vccz .LBB28_1806
; %bb.1805:
	s_cmp_lg_u32 s3, 11
	s_mov_b64 s[10:11], -1
	s_cselect_b64 s[0:1], -1, 0
.LBB28_1806:
	s_and_b64 vcc, exec, s[0:1]
	s_cbranch_vccnz .LBB28_2216
; %bb.1807:
	s_andn2_b64 vcc, exec, s[10:11]
	s_cbranch_vccnz .LBB28_1809
.LBB28_1808:
	v_and_b32_e32 v4, 0x7fff, v7
	v_cmp_ne_u16_e32 vcc, 0, v4
	v_cndmask_b32_e64 v4, 0, 1, vcc
	s_mov_b64 s[12:13], -1
	global_store_byte v[0:1], v4, off
.LBB28_1809:
	s_mov_b64 s[0:1], 0
	s_branch .LBB28_1857
.LBB28_1810:
	s_mov_b64 s[0:1], 0
                                        ; implicit-def: $sgpr20
                                        ; implicit-def: $vgpr0_vgpr1
                                        ; implicit-def: $vgpr2
.LBB28_1811:
	s_mov_b64 s[2:3], 0
.LBB28_1812:
	s_and_b64 s[12:13], s[2:3], exec
	s_andn2_b64 s[2:3], s[6:7], exec
	s_and_b64 s[6:7], s[14:15], exec
	s_and_b64 s[0:1], s[0:1], exec
	s_or_b64 s[6:7], s[2:3], s[6:7]
.LBB28_1813:
	s_or_b64 exec, exec, s[4:5]
	s_and_saveexec_b64 s[2:3], s[6:7]
	s_cbranch_execz .LBB28_1816
; %bb.1814:
	; divergent unreachable
	s_or_b64 exec, exec, s[2:3]
	s_and_saveexec_b64 s[2:3], s[12:13]
	s_xor_b64 s[2:3], exec, s[2:3]
	s_cbranch_execnz .LBB28_1817
.LBB28_1815:
	s_or_b64 exec, exec, s[2:3]
	s_and_saveexec_b64 s[2:3], s[0:1]
	s_cbranch_execnz .LBB28_1818
	s_branch .LBB28_1855
.LBB28_1816:
	s_or_b64 exec, exec, s[2:3]
	s_and_saveexec_b64 s[2:3], s[12:13]
	s_xor_b64 s[2:3], exec, s[2:3]
	s_cbranch_execz .LBB28_1815
.LBB28_1817:
	s_waitcnt vmcnt(0)
	v_and_b32_e32 v3, 0x7fff, v2
	v_cmp_ne_u16_e32 vcc, 0, v3
	v_cndmask_b32_e64 v3, 0, 1, vcc
	global_store_byte v[0:1], v3, off
	s_or_b64 exec, exec, s[2:3]
	s_and_saveexec_b64 s[2:3], s[0:1]
	s_cbranch_execz .LBB28_1855
.LBB28_1818:
	s_sext_i32_i16 s2, s20
	s_cmp_lt_i32 s2, 5
	s_mov_b64 s[0:1], -1
	s_cbranch_scc1 .LBB28_1839
; %bb.1819:
	s_cmp_lt_i32 s2, 8
	s_cbranch_scc1 .LBB28_1829
; %bb.1820:
	s_cmp_lt_i32 s2, 9
	s_cbranch_scc1 .LBB28_1826
; %bb.1821:
	s_cmp_gt_i32 s2, 9
	s_cbranch_scc0 .LBB28_1823
; %bb.1822:
	s_waitcnt vmcnt(0)
	v_cvt_f32_f16_e32 v3, v2
	v_mov_b32_e32 v5, 0
	v_mov_b32_e32 v6, v5
	s_mov_b64 s[0:1], 0
	v_cvt_f64_f32_e32 v[3:4], v3
	global_store_dwordx4 v[0:1], v[3:6], off
.LBB28_1823:
	s_andn2_b64 vcc, exec, s[0:1]
	s_cbranch_vccnz .LBB28_1825
; %bb.1824:
	s_waitcnt vmcnt(0)
	v_cvt_f32_f16_e32 v3, v2
	v_mov_b32_e32 v4, 0
	global_store_dwordx2 v[0:1], v[3:4], off
.LBB28_1825:
	s_mov_b64 s[0:1], 0
.LBB28_1826:
	s_andn2_b64 vcc, exec, s[0:1]
	s_cbranch_vccnz .LBB28_1828
; %bb.1827:
	s_waitcnt vmcnt(0)
	v_and_b32_e32 v3, 0xffff, v2
	global_store_dword v[0:1], v3, off
.LBB28_1828:
	s_mov_b64 s[0:1], 0
.LBB28_1829:
	s_andn2_b64 vcc, exec, s[0:1]
	s_cbranch_vccnz .LBB28_1838
; %bb.1830:
	s_sext_i32_i16 s2, s20
	s_cmp_lt_i32 s2, 6
	s_mov_b64 s[0:1], -1
	s_cbranch_scc1 .LBB28_1836
; %bb.1831:
	s_cmp_gt_i32 s2, 6
	s_cbranch_scc0 .LBB28_1833
; %bb.1832:
	s_waitcnt vmcnt(0)
	v_cvt_f32_f16_e32 v3, v2
	s_mov_b64 s[0:1], 0
	v_cvt_f64_f32_e32 v[3:4], v3
	global_store_dwordx2 v[0:1], v[3:4], off
.LBB28_1833:
	s_andn2_b64 vcc, exec, s[0:1]
	s_cbranch_vccnz .LBB28_1835
; %bb.1834:
	s_waitcnt vmcnt(0)
	v_cvt_f32_f16_e32 v3, v2
	global_store_dword v[0:1], v3, off
.LBB28_1835:
	s_mov_b64 s[0:1], 0
.LBB28_1836:
	s_andn2_b64 vcc, exec, s[0:1]
	s_cbranch_vccnz .LBB28_1838
; %bb.1837:
	s_waitcnt vmcnt(0)
	global_store_short v[0:1], v2, off
.LBB28_1838:
	s_mov_b64 s[0:1], 0
.LBB28_1839:
	s_andn2_b64 vcc, exec, s[0:1]
	s_cbranch_vccnz .LBB28_1855
; %bb.1840:
	s_sext_i32_i16 s2, s20
	s_cmp_lt_i32 s2, 2
	s_mov_b64 s[0:1], -1
	s_cbranch_scc1 .LBB28_1850
; %bb.1841:
	s_cmp_lt_i32 s2, 3
	s_cbranch_scc1 .LBB28_1847
; %bb.1842:
	s_cmp_gt_i32 s2, 3
	s_cbranch_scc0 .LBB28_1844
; %bb.1843:
	s_waitcnt vmcnt(0)
	v_cvt_f32_f16_e32 v3, v2
	s_mov_b64 s[0:1], 0
	v_cvt_i32_f32_e32 v3, v3
	v_ashrrev_i32_e32 v4, 31, v3
	global_store_dwordx2 v[0:1], v[3:4], off
.LBB28_1844:
	s_andn2_b64 vcc, exec, s[0:1]
	s_cbranch_vccnz .LBB28_1846
; %bb.1845:
	s_waitcnt vmcnt(0)
	v_cvt_f32_f16_e32 v3, v2
	v_cvt_i32_f32_e32 v3, v3
	global_store_dword v[0:1], v3, off
.LBB28_1846:
	s_mov_b64 s[0:1], 0
.LBB28_1847:
	s_andn2_b64 vcc, exec, s[0:1]
	s_cbranch_vccnz .LBB28_1849
; %bb.1848:
	s_waitcnt vmcnt(0)
	v_cvt_i16_f16_e32 v3, v2
	global_store_short v[0:1], v3, off
.LBB28_1849:
	s_mov_b64 s[0:1], 0
.LBB28_1850:
	s_andn2_b64 vcc, exec, s[0:1]
	s_cbranch_vccnz .LBB28_1855
; %bb.1851:
	s_sext_i32_i16 s0, s20
	s_cmp_gt_i32 s0, 0
	s_mov_b64 s[0:1], -1
	s_cbranch_scc0 .LBB28_1853
; %bb.1852:
	s_waitcnt vmcnt(0)
	v_cvt_i16_f16_e32 v3, v2
	global_store_byte v[0:1], v3, off
	s_mov_b64 s[0:1], 0
.LBB28_1853:
	s_andn2_b64 vcc, exec, s[0:1]
	s_cbranch_vccnz .LBB28_1855
; %bb.1854:
	s_waitcnt vmcnt(0)
	v_cvt_f32_f16_e32 v2, v2
	v_cvt_i32_f32_e32 v2, v2
	global_store_byte v[0:1], v2, off
	s_endpgm
.LBB28_1855:
	s_endpgm
.LBB28_1856:
	s_mov_b64 s[0:1], -1
	s_mov_b64 s[12:13], 0
.LBB28_1857:
	s_and_b64 vcc, exec, s[0:1]
	s_cbranch_vccz .LBB28_1896
; %bb.1858:
	s_and_b32 s3, 0xffff, s20
	s_cmp_lt_i32 s3, 5
	s_mov_b64 s[0:1], -1
	s_cbranch_scc1 .LBB28_1879
; %bb.1859:
	s_cmp_lt_i32 s3, 8
	s_cbranch_scc1 .LBB28_1869
; %bb.1860:
	s_cmp_lt_i32 s3, 9
	s_cbranch_scc1 .LBB28_1866
; %bb.1861:
	s_cmp_gt_i32 s3, 9
	s_cbranch_scc0 .LBB28_1863
; %bb.1862:
	v_cvt_f32_f16_e32 v4, v7
	v_mov_b32_e32 v12, 0
	v_mov_b32_e32 v13, v12
	s_mov_b64 s[0:1], 0
	v_cvt_f64_f32_e32 v[10:11], v4
	global_store_dwordx4 v[0:1], v[10:13], off
.LBB28_1863:
	s_andn2_b64 vcc, exec, s[0:1]
	s_cbranch_vccnz .LBB28_1865
; %bb.1864:
	v_cvt_f32_f16_e32 v4, v7
	v_mov_b32_e32 v5, 0
	global_store_dwordx2 v[0:1], v[4:5], off
.LBB28_1865:
	s_mov_b64 s[0:1], 0
.LBB28_1866:
	s_andn2_b64 vcc, exec, s[0:1]
	s_cbranch_vccnz .LBB28_1868
; %bb.1867:
	v_and_b32_e32 v4, 0xffff, v7
	global_store_dword v[0:1], v4, off
.LBB28_1868:
	s_mov_b64 s[0:1], 0
.LBB28_1869:
	s_andn2_b64 vcc, exec, s[0:1]
	s_cbranch_vccnz .LBB28_1878
; %bb.1870:
	s_cmp_lt_i32 s3, 6
	s_mov_b64 s[0:1], -1
	s_cbranch_scc1 .LBB28_1876
; %bb.1871:
	s_cmp_gt_i32 s3, 6
	s_cbranch_scc0 .LBB28_1873
; %bb.1872:
	v_cvt_f32_f16_e32 v4, v7
	s_mov_b64 s[0:1], 0
	v_cvt_f64_f32_e32 v[4:5], v4
	global_store_dwordx2 v[0:1], v[4:5], off
.LBB28_1873:
	s_andn2_b64 vcc, exec, s[0:1]
	s_cbranch_vccnz .LBB28_1875
; %bb.1874:
	v_cvt_f32_f16_e32 v4, v7
	global_store_dword v[0:1], v4, off
.LBB28_1875:
	s_mov_b64 s[0:1], 0
.LBB28_1876:
	s_andn2_b64 vcc, exec, s[0:1]
	s_cbranch_vccnz .LBB28_1878
; %bb.1877:
	global_store_short v[0:1], v7, off
.LBB28_1878:
	s_mov_b64 s[0:1], 0
.LBB28_1879:
	s_andn2_b64 vcc, exec, s[0:1]
	s_cbranch_vccnz .LBB28_1895
; %bb.1880:
	s_cmp_lt_i32 s3, 2
	s_mov_b64 s[0:1], -1
	s_cbranch_scc1 .LBB28_1890
; %bb.1881:
	s_cmp_lt_i32 s3, 3
	s_cbranch_scc1 .LBB28_1887
; %bb.1882:
	s_cmp_gt_i32 s3, 3
	s_cbranch_scc0 .LBB28_1884
; %bb.1883:
	v_cvt_f32_f16_e32 v4, v7
	s_mov_b64 s[0:1], 0
	v_cvt_i32_f32_e32 v4, v4
	v_ashrrev_i32_e32 v5, 31, v4
	global_store_dwordx2 v[0:1], v[4:5], off
.LBB28_1884:
	s_andn2_b64 vcc, exec, s[0:1]
	s_cbranch_vccnz .LBB28_1886
; %bb.1885:
	v_cvt_f32_f16_e32 v4, v7
	v_cvt_i32_f32_e32 v4, v4
	global_store_dword v[0:1], v4, off
.LBB28_1886:
	s_mov_b64 s[0:1], 0
.LBB28_1887:
	s_andn2_b64 vcc, exec, s[0:1]
	s_cbranch_vccnz .LBB28_1889
; %bb.1888:
	v_cvt_i16_f16_e32 v4, v7
	global_store_short v[0:1], v4, off
.LBB28_1889:
	s_mov_b64 s[0:1], 0
.LBB28_1890:
	s_andn2_b64 vcc, exec, s[0:1]
	s_cbranch_vccnz .LBB28_1895
; %bb.1891:
	s_cmp_gt_i32 s3, 0
	s_mov_b64 s[0:1], -1
	s_cbranch_scc0 .LBB28_1893
; %bb.1892:
	v_cvt_i16_f16_e32 v4, v7
	global_store_byte v[0:1], v4, off
	s_mov_b64 s[0:1], 0
.LBB28_1893:
	s_andn2_b64 vcc, exec, s[0:1]
	s_cbranch_vccnz .LBB28_1895
; %bb.1894:
	v_cvt_f32_f16_e32 v4, v7
	v_cvt_i32_f32_e32 v4, v4
	global_store_byte v[0:1], v4, off
.LBB28_1895:
	s_mov_b64 s[12:13], -1
.LBB28_1896:
	s_andn2_b64 vcc, exec, s[12:13]
	s_cbranch_vccnz .LBB28_2211
; %bb.1897:
	s_lshl_b32 s18, s2, 7
	v_add_u32_e32 v3, s18, v3
	v_ashrrev_i32_e32 v1, 31, v3
	v_mov_b32_e32 v4, s9
	v_add_co_u32_e32 v0, vcc, s8, v3
	s_cmp_lt_i32 s20, 11
	v_addc_co_u32_e32 v1, vcc, v4, v1, vcc
	s_cbranch_scc1 .LBB28_1975
; %bb.1898:
	s_and_b32 s19, 0xffff, s20
	s_mov_b64 s[12:13], -1
	s_mov_b64 s[2:3], 0
	s_cmp_gt_i32 s19, 25
	s_mov_b64 s[10:11], 0
	s_mov_b64 s[0:1], 0
	s_cbranch_scc0 .LBB28_1931
; %bb.1899:
	s_cmp_gt_i32 s19, 28
	s_cbranch_scc0 .LBB28_1914
; %bb.1900:
	s_cmp_gt_i32 s19, 43
	;; [unrolled: 3-line block ×3, first 2 shown]
	s_cbranch_scc0 .LBB28_1904
; %bb.1902:
	s_mov_b64 s[0:1], -1
	s_mov_b64 s[12:13], 0
	s_cmp_eq_u32 s19, 46
	s_cbranch_scc0 .LBB28_1904
; %bb.1903:
	v_cvt_f32_f16_e32 v4, v8
	s_movk_i32 s0, 0x7fff
	v_cmp_o_f16_e32 vcc, v8, v8
	v_mov_b32_e32 v5, 0x7fc0
	v_bfe_u32 v6, v4, 16, 1
	v_add3_u32 v4, v4, v6, s0
	v_cndmask_b32_sdwa v4, v5, v4, vcc dst_sel:DWORD dst_unused:UNUSED_PAD src0_sel:DWORD src1_sel:WORD_1
	global_store_dword v[0:1], v4, off
	s_mov_b64 s[0:1], 0
	s_mov_b64 s[10:11], -1
.LBB28_1904:
	s_and_b64 vcc, exec, s[12:13]
	s_cbranch_vccz .LBB28_1909
; %bb.1905:
	s_cmp_eq_u32 s19, 44
	s_mov_b64 s[0:1], -1
	s_cbranch_scc0 .LBB28_1909
; %bb.1906:
	v_cvt_f32_f16_e32 v4, v8
	s_movk_i32 s0, 0xff
	v_mov_b32_e32 v6, 0xff
	v_bfe_u32 v5, v4, 23, 8
	v_cmp_ne_u32_e32 vcc, s0, v5
	s_and_saveexec_b64 s[10:11], vcc
; %bb.1907:
	s_mov_b32 s0, 0x3fffff
	v_lshrrev_b32_e32 v6, 23, v4
	v_and_b32_e32 v7, 0x400000, v4
	v_and_or_b32 v4, v4, s0, v5
	v_cmp_ne_u32_e32 vcc, 0, v7
	v_cmp_ne_u32_e64 s[0:1], 0, v4
	s_and_b64 s[0:1], vcc, s[0:1]
	v_cndmask_b32_e64 v4, 0, 1, s[0:1]
	v_add_u32_e32 v6, v6, v4
; %bb.1908:
	s_or_b64 exec, exec, s[10:11]
	s_mov_b64 s[0:1], 0
	s_mov_b64 s[10:11], -1
	global_store_byte v[0:1], v6, off
.LBB28_1909:
	s_mov_b64 s[12:13], 0
.LBB28_1910:
	s_and_b64 vcc, exec, s[12:13]
	s_cbranch_vccz .LBB28_1913
; %bb.1911:
	s_cmp_eq_u32 s19, 29
	s_mov_b64 s[0:1], -1
	s_cbranch_scc0 .LBB28_1913
; %bb.1912:
	v_cvt_f32_f16_e32 v4, v8
	v_mov_b32_e32 v5, 0
	s_mov_b64 s[0:1], 0
	s_mov_b64 s[10:11], -1
	v_cvt_u32_f32_e32 v4, v4
	global_store_dwordx2 v[0:1], v[4:5], off
.LBB28_1913:
	s_mov_b64 s[12:13], 0
.LBB28_1914:
	s_and_b64 vcc, exec, s[12:13]
	s_cbranch_vccz .LBB28_1930
; %bb.1915:
	s_cmp_lt_i32 s19, 27
	s_mov_b64 s[10:11], -1
	s_cbranch_scc1 .LBB28_1921
; %bb.1916:
	s_cmp_gt_i32 s19, 27
	s_cbranch_scc0 .LBB28_1918
; %bb.1917:
	v_cvt_f32_f16_e32 v4, v8
	s_mov_b64 s[10:11], 0
	v_cvt_u32_f32_e32 v4, v4
	global_store_dword v[0:1], v4, off
.LBB28_1918:
	s_andn2_b64 vcc, exec, s[10:11]
	s_cbranch_vccnz .LBB28_1920
; %bb.1919:
	v_cvt_u16_f16_e32 v4, v8
	global_store_short v[0:1], v4, off
.LBB28_1920:
	s_mov_b64 s[10:11], 0
.LBB28_1921:
	s_andn2_b64 vcc, exec, s[10:11]
	s_cbranch_vccnz .LBB28_1929
; %bb.1922:
	v_cvt_f32_f16_e32 v4, v8
	s_mov_b32 s10, 0x43800000
	v_mov_b32_e32 v6, 0x80
	v_and_b32_e32 v5, 0x7fffffff, v4
	v_cmp_gt_u32_e32 vcc, s10, v5
	s_and_saveexec_b64 s[10:11], vcc
	s_cbranch_execz .LBB28_1928
; %bb.1923:
	s_mov_b32 s12, 0x3bffffff
	v_cmp_lt_u32_e32 vcc, s12, v5
	s_mov_b64 s[12:13], 0
                                        ; implicit-def: $vgpr5
	s_and_saveexec_b64 s[16:17], vcc
	s_xor_b64 s[16:17], exec, s[16:17]
	s_cbranch_execz .LBB28_2219
; %bb.1924:
	v_bfe_u32 v5, v4, 20, 1
	s_mov_b32 s21, 0x487ffff
	v_add3_u32 v5, v4, v5, s21
	s_mov_b64 s[12:13], exec
	v_lshrrev_b32_e32 v5, 20, v5
	s_andn2_saveexec_b64 s[16:17], s[16:17]
	s_cbranch_execnz .LBB28_2220
.LBB28_1925:
	s_or_b64 exec, exec, s[16:17]
	v_mov_b32_e32 v6, 0
	s_and_saveexec_b64 s[16:17], s[12:13]
.LBB28_1926:
	v_lshrrev_b32_e32 v4, 24, v4
	s_movk_i32 s12, 0x80
	v_and_or_b32 v6, v4, s12, v5
.LBB28_1927:
	s_or_b64 exec, exec, s[16:17]
.LBB28_1928:
	s_or_b64 exec, exec, s[10:11]
	global_store_byte v[0:1], v6, off
.LBB28_1929:
	s_mov_b64 s[10:11], -1
.LBB28_1930:
	s_mov_b64 s[12:13], 0
.LBB28_1931:
	s_and_b64 vcc, exec, s[12:13]
	s_cbranch_vccz .LBB28_1971
; %bb.1932:
	s_cmp_gt_i32 s19, 22
	s_mov_b64 s[2:3], -1
	s_cbranch_scc0 .LBB28_1964
; %bb.1933:
	s_cmp_lt_i32 s19, 24
	s_cbranch_scc1 .LBB28_1953
; %bb.1934:
	s_cmp_gt_i32 s19, 24
	s_cbranch_scc0 .LBB28_1942
; %bb.1935:
	v_cvt_f32_f16_e32 v4, v8
	s_mov_b32 s2, 0x47800000
	v_mov_b32_e32 v6, 0x80
	v_and_b32_e32 v5, 0x7fffffff, v4
	v_cmp_gt_u32_e32 vcc, s2, v5
	s_and_saveexec_b64 s[2:3], vcc
	s_cbranch_execz .LBB28_1941
; %bb.1936:
	s_mov_b32 s10, 0x37ffffff
	v_cmp_lt_u32_e32 vcc, s10, v5
	s_mov_b64 s[10:11], 0
                                        ; implicit-def: $vgpr5
	s_and_saveexec_b64 s[12:13], vcc
	s_xor_b64 s[12:13], exec, s[12:13]
	s_cbranch_execz .LBB28_2222
; %bb.1937:
	v_bfe_u32 v5, v4, 21, 1
	s_mov_b32 s16, 0x88fffff
	v_add3_u32 v5, v4, v5, s16
	s_mov_b64 s[10:11], exec
	v_lshrrev_b32_e32 v5, 21, v5
	s_andn2_saveexec_b64 s[12:13], s[12:13]
	s_cbranch_execnz .LBB28_2223
.LBB28_1938:
	s_or_b64 exec, exec, s[12:13]
	v_mov_b32_e32 v6, 0
	s_and_saveexec_b64 s[12:13], s[10:11]
.LBB28_1939:
	v_lshrrev_b32_e32 v4, 24, v4
	s_movk_i32 s10, 0x80
	v_and_or_b32 v6, v4, s10, v5
.LBB28_1940:
	s_or_b64 exec, exec, s[12:13]
.LBB28_1941:
	s_or_b64 exec, exec, s[2:3]
	s_mov_b64 s[2:3], 0
	global_store_byte v[0:1], v6, off
.LBB28_1942:
	s_and_b64 vcc, exec, s[2:3]
	s_cbranch_vccz .LBB28_1952
; %bb.1943:
	v_cvt_f32_f16_e32 v4, v8
	s_mov_b32 s2, 0x43f00000
                                        ; implicit-def: $vgpr5
	v_and_b32_e32 v6, 0x7fffffff, v4
	v_cmp_gt_u32_e32 vcc, s2, v6
	s_and_saveexec_b64 s[2:3], vcc
	s_xor_b64 s[2:3], exec, s[2:3]
	s_cbranch_execz .LBB28_1949
; %bb.1944:
	s_mov_b32 s10, 0x3c7fffff
	v_cmp_lt_u32_e32 vcc, s10, v6
                                        ; implicit-def: $vgpr5
	s_and_saveexec_b64 s[10:11], vcc
	s_xor_b64 s[10:11], exec, s[10:11]
; %bb.1945:
	v_bfe_u32 v5, v4, 20, 1
	s_mov_b32 s12, 0x407ffff
	v_add3_u32 v5, v4, v5, s12
	v_lshrrev_b32_e32 v6, 20, v5
	v_and_b32_e32 v5, 0xff00000, v5
	s_mov_b32 s12, 0x7f00000
	v_mov_b32_e32 v7, 0x7e
	v_cmp_ne_u32_e32 vcc, s12, v5
	v_cndmask_b32_e32 v5, v7, v6, vcc
; %bb.1946:
	s_andn2_saveexec_b64 s[10:11], s[10:11]
; %bb.1947:
	s_mov_b32 s12, 0x46800000
	v_add_f32_e64 v5, |v4|, s12
; %bb.1948:
	s_or_b64 exec, exec, s[10:11]
                                        ; implicit-def: $vgpr6
.LBB28_1949:
	s_andn2_saveexec_b64 s[2:3], s[2:3]
; %bb.1950:
	s_mov_b32 s10, 0x7f800000
	v_mov_b32_e32 v5, 0x7e
	v_mov_b32_e32 v7, 0x7f
	v_cmp_lt_u32_e32 vcc, s10, v6
	v_cndmask_b32_e32 v5, v5, v7, vcc
; %bb.1951:
	s_or_b64 exec, exec, s[2:3]
	v_lshrrev_b32_e32 v4, 24, v4
	s_movk_i32 s2, 0x80
	v_and_or_b32 v4, v4, s2, v5
	global_store_byte v[0:1], v4, off
.LBB28_1952:
	s_mov_b64 s[2:3], 0
.LBB28_1953:
	s_andn2_b64 vcc, exec, s[2:3]
	s_cbranch_vccnz .LBB28_1963
; %bb.1954:
	v_cvt_f32_f16_e32 v4, v8
	s_mov_b32 s2, 0x47800000
                                        ; implicit-def: $vgpr5
	v_and_b32_e32 v6, 0x7fffffff, v4
	v_cmp_gt_u32_e32 vcc, s2, v6
	s_and_saveexec_b64 s[2:3], vcc
	s_xor_b64 s[2:3], exec, s[2:3]
	s_cbranch_execz .LBB28_1960
; %bb.1955:
	s_mov_b32 s10, 0x387fffff
	v_cmp_lt_u32_e32 vcc, s10, v6
                                        ; implicit-def: $vgpr5
	s_and_saveexec_b64 s[10:11], vcc
	s_xor_b64 s[10:11], exec, s[10:11]
; %bb.1956:
	v_bfe_u32 v5, v4, 21, 1
	s_mov_b32 s12, 0x80fffff
	v_add3_u32 v5, v4, v5, s12
	v_lshrrev_b32_e32 v5, 21, v5
; %bb.1957:
	s_andn2_saveexec_b64 s[10:11], s[10:11]
; %bb.1958:
	s_mov_b32 s12, 0x43000000
	v_add_f32_e64 v5, |v4|, s12
; %bb.1959:
	s_or_b64 exec, exec, s[10:11]
                                        ; implicit-def: $vgpr6
.LBB28_1960:
	s_andn2_saveexec_b64 s[2:3], s[2:3]
; %bb.1961:
	s_mov_b32 s10, 0x7f800000
	v_mov_b32_e32 v5, 0x7c
	v_mov_b32_e32 v7, 0x7f
	v_cmp_lt_u32_e32 vcc, s10, v6
	v_cndmask_b32_e32 v5, v5, v7, vcc
; %bb.1962:
	s_or_b64 exec, exec, s[2:3]
	v_lshrrev_b32_e32 v4, 24, v4
	s_movk_i32 s2, 0x80
	v_and_or_b32 v4, v4, s2, v5
	global_store_byte v[0:1], v4, off
.LBB28_1963:
	s_mov_b64 s[2:3], 0
	s_mov_b64 s[10:11], -1
.LBB28_1964:
	s_andn2_b64 vcc, exec, s[2:3]
	s_mov_b64 s[2:3], 0
	s_cbranch_vccnz .LBB28_1971
; %bb.1965:
	s_cmp_gt_i32 s19, 14
	s_mov_b64 s[12:13], -1
	s_cbranch_scc0 .LBB28_1969
; %bb.1966:
	s_cmp_eq_u32 s19, 15
	s_mov_b64 s[0:1], -1
	s_cbranch_scc0 .LBB28_1968
; %bb.1967:
	v_cvt_f32_f16_e32 v4, v8
	s_movk_i32 s0, 0x7fff
	v_cmp_o_f16_e32 vcc, v8, v8
	v_mov_b32_e32 v5, 0x7fc0
	v_bfe_u32 v6, v4, 16, 1
	v_add3_u32 v4, v4, v6, s0
	v_cndmask_b32_sdwa v4, v5, v4, vcc dst_sel:DWORD dst_unused:UNUSED_PAD src0_sel:DWORD src1_sel:WORD_1
	global_store_short v[0:1], v4, off
	s_mov_b64 s[0:1], 0
	s_mov_b64 s[10:11], -1
.LBB28_1968:
	s_mov_b64 s[12:13], 0
.LBB28_1969:
	s_and_b64 vcc, exec, s[12:13]
	s_cbranch_vccz .LBB28_1971
; %bb.1970:
	s_cmp_lg_u32 s19, 11
	s_mov_b64 s[2:3], -1
	s_cselect_b64 s[0:1], -1, 0
.LBB28_1971:
	s_and_b64 vcc, exec, s[0:1]
	s_cbranch_vccnz .LBB28_2221
; %bb.1972:
	s_andn2_b64 vcc, exec, s[2:3]
	s_cbranch_vccnz .LBB28_1974
.LBB28_1973:
	v_and_b32_e32 v4, 0x7fff, v8
	v_cmp_ne_u16_e32 vcc, 0, v4
	v_cndmask_b32_e64 v4, 0, 1, vcc
	s_mov_b64 s[10:11], -1
	global_store_byte v[0:1], v4, off
.LBB28_1974:
	s_mov_b64 s[0:1], 0
	s_branch .LBB28_1976
.LBB28_1975:
	s_mov_b64 s[0:1], -1
	s_mov_b64 s[10:11], 0
.LBB28_1976:
	s_and_b64 vcc, exec, s[0:1]
	s_cbranch_vccz .LBB28_2015
; %bb.1977:
	s_and_b32 s2, 0xffff, s20
	s_cmp_lt_i32 s2, 5
	s_mov_b64 s[0:1], -1
	s_cbranch_scc1 .LBB28_1998
; %bb.1978:
	s_cmp_lt_i32 s2, 8
	s_cbranch_scc1 .LBB28_1988
; %bb.1979:
	s_cmp_lt_i32 s2, 9
	s_cbranch_scc1 .LBB28_1985
; %bb.1980:
	s_cmp_gt_i32 s2, 9
	s_cbranch_scc0 .LBB28_1982
; %bb.1981:
	v_cvt_f32_f16_e32 v4, v8
	v_mov_b32_e32 v6, 0
	v_mov_b32_e32 v7, v6
	s_mov_b64 s[0:1], 0
	v_cvt_f64_f32_e32 v[4:5], v4
	global_store_dwordx4 v[0:1], v[4:7], off
.LBB28_1982:
	s_andn2_b64 vcc, exec, s[0:1]
	s_cbranch_vccnz .LBB28_1984
; %bb.1983:
	v_cvt_f32_f16_e32 v4, v8
	v_mov_b32_e32 v5, 0
	global_store_dwordx2 v[0:1], v[4:5], off
.LBB28_1984:
	s_mov_b64 s[0:1], 0
.LBB28_1985:
	s_andn2_b64 vcc, exec, s[0:1]
	s_cbranch_vccnz .LBB28_1987
; %bb.1986:
	v_and_b32_e32 v4, 0xffff, v8
	global_store_dword v[0:1], v4, off
.LBB28_1987:
	s_mov_b64 s[0:1], 0
.LBB28_1988:
	s_andn2_b64 vcc, exec, s[0:1]
	s_cbranch_vccnz .LBB28_1997
; %bb.1989:
	s_cmp_lt_i32 s2, 6
	s_mov_b64 s[0:1], -1
	s_cbranch_scc1 .LBB28_1995
; %bb.1990:
	s_cmp_gt_i32 s2, 6
	s_cbranch_scc0 .LBB28_1992
; %bb.1991:
	v_cvt_f32_f16_e32 v4, v8
	s_mov_b64 s[0:1], 0
	v_cvt_f64_f32_e32 v[4:5], v4
	global_store_dwordx2 v[0:1], v[4:5], off
.LBB28_1992:
	s_andn2_b64 vcc, exec, s[0:1]
	s_cbranch_vccnz .LBB28_1994
; %bb.1993:
	v_cvt_f32_f16_e32 v4, v8
	global_store_dword v[0:1], v4, off
.LBB28_1994:
	s_mov_b64 s[0:1], 0
.LBB28_1995:
	s_andn2_b64 vcc, exec, s[0:1]
	s_cbranch_vccnz .LBB28_1997
; %bb.1996:
	global_store_short v[0:1], v8, off
.LBB28_1997:
	s_mov_b64 s[0:1], 0
.LBB28_1998:
	s_andn2_b64 vcc, exec, s[0:1]
	s_cbranch_vccnz .LBB28_2014
; %bb.1999:
	s_cmp_lt_i32 s2, 2
	s_mov_b64 s[0:1], -1
	s_cbranch_scc1 .LBB28_2009
; %bb.2000:
	s_cmp_lt_i32 s2, 3
	s_cbranch_scc1 .LBB28_2006
; %bb.2001:
	s_cmp_gt_i32 s2, 3
	s_cbranch_scc0 .LBB28_2003
; %bb.2002:
	v_cvt_f32_f16_e32 v4, v8
	s_mov_b64 s[0:1], 0
	v_cvt_i32_f32_e32 v4, v4
	v_ashrrev_i32_e32 v5, 31, v4
	global_store_dwordx2 v[0:1], v[4:5], off
.LBB28_2003:
	s_andn2_b64 vcc, exec, s[0:1]
	s_cbranch_vccnz .LBB28_2005
; %bb.2004:
	v_cvt_f32_f16_e32 v4, v8
	v_cvt_i32_f32_e32 v4, v4
	global_store_dword v[0:1], v4, off
.LBB28_2005:
	s_mov_b64 s[0:1], 0
.LBB28_2006:
	s_andn2_b64 vcc, exec, s[0:1]
	s_cbranch_vccnz .LBB28_2008
; %bb.2007:
	v_cvt_i16_f16_e32 v4, v8
	global_store_short v[0:1], v4, off
.LBB28_2008:
	s_mov_b64 s[0:1], 0
.LBB28_2009:
	s_andn2_b64 vcc, exec, s[0:1]
	s_cbranch_vccnz .LBB28_2014
; %bb.2010:
	s_cmp_gt_i32 s2, 0
	s_mov_b64 s[0:1], -1
	s_cbranch_scc0 .LBB28_2012
; %bb.2011:
	v_cvt_i16_f16_e32 v4, v8
	global_store_byte v[0:1], v4, off
	s_mov_b64 s[0:1], 0
.LBB28_2012:
	s_andn2_b64 vcc, exec, s[0:1]
	s_cbranch_vccnz .LBB28_2014
; %bb.2013:
	v_cvt_f32_f16_e32 v4, v8
	v_cvt_i32_f32_e32 v4, v4
	global_store_byte v[0:1], v4, off
.LBB28_2014:
	s_mov_b64 s[10:11], -1
.LBB28_2015:
	s_andn2_b64 vcc, exec, s[10:11]
	s_cbranch_vccnz .LBB28_2211
; %bb.2016:
	v_add_u32_e32 v3, s18, v3
	v_ashrrev_i32_e32 v1, 31, v3
	v_mov_b32_e32 v4, s9
	v_add_co_u32_e32 v0, vcc, s8, v3
	s_cmp_lt_i32 s20, 11
	v_addc_co_u32_e32 v1, vcc, v4, v1, vcc
	s_cbranch_scc1 .LBB28_2094
; %bb.2017:
	s_and_b32 s19, 0xffff, s20
	s_mov_b64 s[12:13], -1
	s_mov_b64 s[2:3], 0
	s_cmp_gt_i32 s19, 25
	s_mov_b64 s[10:11], 0
	s_mov_b64 s[0:1], 0
	s_cbranch_scc0 .LBB28_2050
; %bb.2018:
	s_cmp_gt_i32 s19, 28
	s_cbranch_scc0 .LBB28_2033
; %bb.2019:
	s_cmp_gt_i32 s19, 43
	;; [unrolled: 3-line block ×3, first 2 shown]
	s_cbranch_scc0 .LBB28_2023
; %bb.2021:
	s_mov_b64 s[0:1], -1
	s_mov_b64 s[12:13], 0
	s_cmp_eq_u32 s19, 46
	s_cbranch_scc0 .LBB28_2023
; %bb.2022:
	v_cvt_f32_f16_e32 v4, v9
	s_movk_i32 s0, 0x7fff
	v_cmp_o_f16_e32 vcc, v9, v9
	v_mov_b32_e32 v5, 0x7fc0
	v_bfe_u32 v6, v4, 16, 1
	v_add3_u32 v4, v4, v6, s0
	v_cndmask_b32_sdwa v4, v5, v4, vcc dst_sel:DWORD dst_unused:UNUSED_PAD src0_sel:DWORD src1_sel:WORD_1
	global_store_dword v[0:1], v4, off
	s_mov_b64 s[0:1], 0
	s_mov_b64 s[10:11], -1
.LBB28_2023:
	s_and_b64 vcc, exec, s[12:13]
	s_cbranch_vccz .LBB28_2028
; %bb.2024:
	s_cmp_eq_u32 s19, 44
	s_mov_b64 s[0:1], -1
	s_cbranch_scc0 .LBB28_2028
; %bb.2025:
	v_cvt_f32_f16_e32 v4, v9
	s_movk_i32 s0, 0xff
	v_mov_b32_e32 v6, 0xff
	v_bfe_u32 v5, v4, 23, 8
	v_cmp_ne_u32_e32 vcc, s0, v5
	s_and_saveexec_b64 s[10:11], vcc
; %bb.2026:
	s_mov_b32 s0, 0x3fffff
	v_lshrrev_b32_e32 v6, 23, v4
	v_and_b32_e32 v7, 0x400000, v4
	v_and_or_b32 v4, v4, s0, v5
	v_cmp_ne_u32_e32 vcc, 0, v7
	v_cmp_ne_u32_e64 s[0:1], 0, v4
	s_and_b64 s[0:1], vcc, s[0:1]
	v_cndmask_b32_e64 v4, 0, 1, s[0:1]
	v_add_u32_e32 v6, v6, v4
; %bb.2027:
	s_or_b64 exec, exec, s[10:11]
	s_mov_b64 s[0:1], 0
	s_mov_b64 s[10:11], -1
	global_store_byte v[0:1], v6, off
.LBB28_2028:
	s_mov_b64 s[12:13], 0
.LBB28_2029:
	s_and_b64 vcc, exec, s[12:13]
	s_cbranch_vccz .LBB28_2032
; %bb.2030:
	s_cmp_eq_u32 s19, 29
	s_mov_b64 s[0:1], -1
	s_cbranch_scc0 .LBB28_2032
; %bb.2031:
	v_cvt_f32_f16_e32 v4, v9
	v_mov_b32_e32 v5, 0
	s_mov_b64 s[0:1], 0
	s_mov_b64 s[10:11], -1
	v_cvt_u32_f32_e32 v4, v4
	global_store_dwordx2 v[0:1], v[4:5], off
.LBB28_2032:
	s_mov_b64 s[12:13], 0
.LBB28_2033:
	s_and_b64 vcc, exec, s[12:13]
	s_cbranch_vccz .LBB28_2049
; %bb.2034:
	s_cmp_lt_i32 s19, 27
	s_mov_b64 s[10:11], -1
	s_cbranch_scc1 .LBB28_2040
; %bb.2035:
	s_cmp_gt_i32 s19, 27
	s_cbranch_scc0 .LBB28_2037
; %bb.2036:
	v_cvt_f32_f16_e32 v4, v9
	s_mov_b64 s[10:11], 0
	v_cvt_u32_f32_e32 v4, v4
	global_store_dword v[0:1], v4, off
.LBB28_2037:
	s_andn2_b64 vcc, exec, s[10:11]
	s_cbranch_vccnz .LBB28_2039
; %bb.2038:
	v_cvt_u16_f16_e32 v4, v9
	global_store_short v[0:1], v4, off
.LBB28_2039:
	s_mov_b64 s[10:11], 0
.LBB28_2040:
	s_andn2_b64 vcc, exec, s[10:11]
	s_cbranch_vccnz .LBB28_2048
; %bb.2041:
	v_cvt_f32_f16_e32 v4, v9
	s_mov_b32 s10, 0x43800000
	v_mov_b32_e32 v6, 0x80
	v_and_b32_e32 v5, 0x7fffffff, v4
	v_cmp_gt_u32_e32 vcc, s10, v5
	s_and_saveexec_b64 s[10:11], vcc
	s_cbranch_execz .LBB28_2047
; %bb.2042:
	s_mov_b32 s12, 0x3bffffff
	v_cmp_lt_u32_e32 vcc, s12, v5
	s_mov_b64 s[12:13], 0
                                        ; implicit-def: $vgpr5
	s_and_saveexec_b64 s[16:17], vcc
	s_xor_b64 s[16:17], exec, s[16:17]
	s_cbranch_execz .LBB28_2224
; %bb.2043:
	v_bfe_u32 v5, v4, 20, 1
	s_mov_b32 s21, 0x487ffff
	v_add3_u32 v5, v4, v5, s21
	s_mov_b64 s[12:13], exec
	v_lshrrev_b32_e32 v5, 20, v5
	s_andn2_saveexec_b64 s[16:17], s[16:17]
	s_cbranch_execnz .LBB28_2225
.LBB28_2044:
	s_or_b64 exec, exec, s[16:17]
	v_mov_b32_e32 v6, 0
	s_and_saveexec_b64 s[16:17], s[12:13]
.LBB28_2045:
	v_lshrrev_b32_e32 v4, 24, v4
	s_movk_i32 s12, 0x80
	v_and_or_b32 v6, v4, s12, v5
.LBB28_2046:
	s_or_b64 exec, exec, s[16:17]
.LBB28_2047:
	s_or_b64 exec, exec, s[10:11]
	global_store_byte v[0:1], v6, off
.LBB28_2048:
	s_mov_b64 s[10:11], -1
.LBB28_2049:
	s_mov_b64 s[12:13], 0
.LBB28_2050:
	s_and_b64 vcc, exec, s[12:13]
	s_cbranch_vccz .LBB28_2090
; %bb.2051:
	s_cmp_gt_i32 s19, 22
	s_mov_b64 s[2:3], -1
	s_cbranch_scc0 .LBB28_2083
; %bb.2052:
	s_cmp_lt_i32 s19, 24
	s_cbranch_scc1 .LBB28_2072
; %bb.2053:
	s_cmp_gt_i32 s19, 24
	s_cbranch_scc0 .LBB28_2061
; %bb.2054:
	v_cvt_f32_f16_e32 v4, v9
	s_mov_b32 s2, 0x47800000
	v_mov_b32_e32 v6, 0x80
	v_and_b32_e32 v5, 0x7fffffff, v4
	v_cmp_gt_u32_e32 vcc, s2, v5
	s_and_saveexec_b64 s[2:3], vcc
	s_cbranch_execz .LBB28_2060
; %bb.2055:
	s_mov_b32 s10, 0x37ffffff
	v_cmp_lt_u32_e32 vcc, s10, v5
	s_mov_b64 s[10:11], 0
                                        ; implicit-def: $vgpr5
	s_and_saveexec_b64 s[12:13], vcc
	s_xor_b64 s[12:13], exec, s[12:13]
	s_cbranch_execz .LBB28_2227
; %bb.2056:
	v_bfe_u32 v5, v4, 21, 1
	s_mov_b32 s16, 0x88fffff
	v_add3_u32 v5, v4, v5, s16
	s_mov_b64 s[10:11], exec
	v_lshrrev_b32_e32 v5, 21, v5
	s_andn2_saveexec_b64 s[12:13], s[12:13]
	s_cbranch_execnz .LBB28_2228
.LBB28_2057:
	s_or_b64 exec, exec, s[12:13]
	v_mov_b32_e32 v6, 0
	s_and_saveexec_b64 s[12:13], s[10:11]
.LBB28_2058:
	v_lshrrev_b32_e32 v4, 24, v4
	s_movk_i32 s10, 0x80
	v_and_or_b32 v6, v4, s10, v5
.LBB28_2059:
	s_or_b64 exec, exec, s[12:13]
.LBB28_2060:
	s_or_b64 exec, exec, s[2:3]
	s_mov_b64 s[2:3], 0
	global_store_byte v[0:1], v6, off
.LBB28_2061:
	s_and_b64 vcc, exec, s[2:3]
	s_cbranch_vccz .LBB28_2071
; %bb.2062:
	v_cvt_f32_f16_e32 v4, v9
	s_mov_b32 s2, 0x43f00000
                                        ; implicit-def: $vgpr5
	v_and_b32_e32 v6, 0x7fffffff, v4
	v_cmp_gt_u32_e32 vcc, s2, v6
	s_and_saveexec_b64 s[2:3], vcc
	s_xor_b64 s[2:3], exec, s[2:3]
	s_cbranch_execz .LBB28_2068
; %bb.2063:
	s_mov_b32 s10, 0x3c7fffff
	v_cmp_lt_u32_e32 vcc, s10, v6
                                        ; implicit-def: $vgpr5
	s_and_saveexec_b64 s[10:11], vcc
	s_xor_b64 s[10:11], exec, s[10:11]
; %bb.2064:
	v_bfe_u32 v5, v4, 20, 1
	s_mov_b32 s12, 0x407ffff
	v_add3_u32 v5, v4, v5, s12
	v_lshrrev_b32_e32 v6, 20, v5
	v_and_b32_e32 v5, 0xff00000, v5
	s_mov_b32 s12, 0x7f00000
	v_mov_b32_e32 v7, 0x7e
	v_cmp_ne_u32_e32 vcc, s12, v5
	v_cndmask_b32_e32 v5, v7, v6, vcc
; %bb.2065:
	s_andn2_saveexec_b64 s[10:11], s[10:11]
; %bb.2066:
	s_mov_b32 s12, 0x46800000
	v_add_f32_e64 v5, |v4|, s12
; %bb.2067:
	s_or_b64 exec, exec, s[10:11]
                                        ; implicit-def: $vgpr6
.LBB28_2068:
	s_andn2_saveexec_b64 s[2:3], s[2:3]
; %bb.2069:
	s_mov_b32 s10, 0x7f800000
	v_mov_b32_e32 v5, 0x7e
	v_mov_b32_e32 v7, 0x7f
	v_cmp_lt_u32_e32 vcc, s10, v6
	v_cndmask_b32_e32 v5, v5, v7, vcc
; %bb.2070:
	s_or_b64 exec, exec, s[2:3]
	v_lshrrev_b32_e32 v4, 24, v4
	s_movk_i32 s2, 0x80
	v_and_or_b32 v4, v4, s2, v5
	global_store_byte v[0:1], v4, off
.LBB28_2071:
	s_mov_b64 s[2:3], 0
.LBB28_2072:
	s_andn2_b64 vcc, exec, s[2:3]
	s_cbranch_vccnz .LBB28_2082
; %bb.2073:
	v_cvt_f32_f16_e32 v4, v9
	s_mov_b32 s2, 0x47800000
                                        ; implicit-def: $vgpr5
	v_and_b32_e32 v6, 0x7fffffff, v4
	v_cmp_gt_u32_e32 vcc, s2, v6
	s_and_saveexec_b64 s[2:3], vcc
	s_xor_b64 s[2:3], exec, s[2:3]
	s_cbranch_execz .LBB28_2079
; %bb.2074:
	s_mov_b32 s10, 0x387fffff
	v_cmp_lt_u32_e32 vcc, s10, v6
                                        ; implicit-def: $vgpr5
	s_and_saveexec_b64 s[10:11], vcc
	s_xor_b64 s[10:11], exec, s[10:11]
; %bb.2075:
	v_bfe_u32 v5, v4, 21, 1
	s_mov_b32 s12, 0x80fffff
	v_add3_u32 v5, v4, v5, s12
	v_lshrrev_b32_e32 v5, 21, v5
; %bb.2076:
	s_andn2_saveexec_b64 s[10:11], s[10:11]
; %bb.2077:
	s_mov_b32 s12, 0x43000000
	v_add_f32_e64 v5, |v4|, s12
; %bb.2078:
	s_or_b64 exec, exec, s[10:11]
                                        ; implicit-def: $vgpr6
.LBB28_2079:
	s_andn2_saveexec_b64 s[2:3], s[2:3]
; %bb.2080:
	s_mov_b32 s10, 0x7f800000
	v_mov_b32_e32 v5, 0x7c
	v_mov_b32_e32 v7, 0x7f
	v_cmp_lt_u32_e32 vcc, s10, v6
	v_cndmask_b32_e32 v5, v5, v7, vcc
; %bb.2081:
	s_or_b64 exec, exec, s[2:3]
	v_lshrrev_b32_e32 v4, 24, v4
	s_movk_i32 s2, 0x80
	v_and_or_b32 v4, v4, s2, v5
	global_store_byte v[0:1], v4, off
.LBB28_2082:
	s_mov_b64 s[2:3], 0
	s_mov_b64 s[10:11], -1
.LBB28_2083:
	s_andn2_b64 vcc, exec, s[2:3]
	s_mov_b64 s[2:3], 0
	s_cbranch_vccnz .LBB28_2090
; %bb.2084:
	s_cmp_gt_i32 s19, 14
	s_mov_b64 s[12:13], -1
	s_cbranch_scc0 .LBB28_2088
; %bb.2085:
	s_cmp_eq_u32 s19, 15
	s_mov_b64 s[0:1], -1
	s_cbranch_scc0 .LBB28_2087
; %bb.2086:
	v_cvt_f32_f16_e32 v4, v9
	s_movk_i32 s0, 0x7fff
	v_cmp_o_f16_e32 vcc, v9, v9
	v_mov_b32_e32 v5, 0x7fc0
	v_bfe_u32 v6, v4, 16, 1
	v_add3_u32 v4, v4, v6, s0
	v_cndmask_b32_sdwa v4, v5, v4, vcc dst_sel:DWORD dst_unused:UNUSED_PAD src0_sel:DWORD src1_sel:WORD_1
	global_store_short v[0:1], v4, off
	s_mov_b64 s[0:1], 0
	s_mov_b64 s[10:11], -1
.LBB28_2087:
	s_mov_b64 s[12:13], 0
.LBB28_2088:
	s_and_b64 vcc, exec, s[12:13]
	s_cbranch_vccz .LBB28_2090
; %bb.2089:
	s_cmp_lg_u32 s19, 11
	s_mov_b64 s[2:3], -1
	s_cselect_b64 s[0:1], -1, 0
.LBB28_2090:
	s_and_b64 vcc, exec, s[0:1]
	s_cbranch_vccnz .LBB28_2226
; %bb.2091:
	s_andn2_b64 vcc, exec, s[2:3]
	s_cbranch_vccnz .LBB28_2093
.LBB28_2092:
	v_and_b32_e32 v4, 0x7fff, v9
	v_cmp_ne_u16_e32 vcc, 0, v4
	v_cndmask_b32_e64 v4, 0, 1, vcc
	s_mov_b64 s[10:11], -1
	global_store_byte v[0:1], v4, off
.LBB28_2093:
	s_mov_b64 s[0:1], 0
	s_branch .LBB28_2095
.LBB28_2094:
	s_mov_b64 s[0:1], -1
	s_mov_b64 s[10:11], 0
.LBB28_2095:
	s_and_b64 vcc, exec, s[0:1]
	s_cbranch_vccz .LBB28_2134
; %bb.2096:
	s_and_b32 s2, 0xffff, s20
	s_cmp_lt_i32 s2, 5
	s_mov_b64 s[0:1], -1
	s_cbranch_scc1 .LBB28_2117
; %bb.2097:
	s_cmp_lt_i32 s2, 8
	s_cbranch_scc1 .LBB28_2107
; %bb.2098:
	s_cmp_lt_i32 s2, 9
	s_cbranch_scc1 .LBB28_2104
; %bb.2099:
	s_cmp_gt_i32 s2, 9
	s_cbranch_scc0 .LBB28_2101
; %bb.2100:
	v_cvt_f32_f16_e32 v4, v9
	v_mov_b32_e32 v6, 0
	v_mov_b32_e32 v7, v6
	s_mov_b64 s[0:1], 0
	v_cvt_f64_f32_e32 v[4:5], v4
	global_store_dwordx4 v[0:1], v[4:7], off
.LBB28_2101:
	s_andn2_b64 vcc, exec, s[0:1]
	s_cbranch_vccnz .LBB28_2103
; %bb.2102:
	v_cvt_f32_f16_e32 v4, v9
	v_mov_b32_e32 v5, 0
	global_store_dwordx2 v[0:1], v[4:5], off
.LBB28_2103:
	s_mov_b64 s[0:1], 0
.LBB28_2104:
	s_andn2_b64 vcc, exec, s[0:1]
	s_cbranch_vccnz .LBB28_2106
; %bb.2105:
	v_and_b32_e32 v4, 0xffff, v9
	global_store_dword v[0:1], v4, off
.LBB28_2106:
	s_mov_b64 s[0:1], 0
.LBB28_2107:
	s_andn2_b64 vcc, exec, s[0:1]
	s_cbranch_vccnz .LBB28_2116
; %bb.2108:
	s_cmp_lt_i32 s2, 6
	s_mov_b64 s[0:1], -1
	s_cbranch_scc1 .LBB28_2114
; %bb.2109:
	s_cmp_gt_i32 s2, 6
	s_cbranch_scc0 .LBB28_2111
; %bb.2110:
	v_cvt_f32_f16_e32 v4, v9
	s_mov_b64 s[0:1], 0
	v_cvt_f64_f32_e32 v[4:5], v4
	global_store_dwordx2 v[0:1], v[4:5], off
.LBB28_2111:
	s_andn2_b64 vcc, exec, s[0:1]
	s_cbranch_vccnz .LBB28_2113
; %bb.2112:
	v_cvt_f32_f16_e32 v4, v9
	global_store_dword v[0:1], v4, off
.LBB28_2113:
	s_mov_b64 s[0:1], 0
.LBB28_2114:
	s_andn2_b64 vcc, exec, s[0:1]
	s_cbranch_vccnz .LBB28_2116
; %bb.2115:
	global_store_short v[0:1], v9, off
.LBB28_2116:
	s_mov_b64 s[0:1], 0
.LBB28_2117:
	s_andn2_b64 vcc, exec, s[0:1]
	s_cbranch_vccnz .LBB28_2133
; %bb.2118:
	s_cmp_lt_i32 s2, 2
	s_mov_b64 s[0:1], -1
	s_cbranch_scc1 .LBB28_2128
; %bb.2119:
	s_cmp_lt_i32 s2, 3
	s_cbranch_scc1 .LBB28_2125
; %bb.2120:
	s_cmp_gt_i32 s2, 3
	s_cbranch_scc0 .LBB28_2122
; %bb.2121:
	v_cvt_f32_f16_e32 v4, v9
	s_mov_b64 s[0:1], 0
	v_cvt_i32_f32_e32 v4, v4
	v_ashrrev_i32_e32 v5, 31, v4
	global_store_dwordx2 v[0:1], v[4:5], off
.LBB28_2122:
	s_andn2_b64 vcc, exec, s[0:1]
	s_cbranch_vccnz .LBB28_2124
; %bb.2123:
	v_cvt_f32_f16_e32 v4, v9
	v_cvt_i32_f32_e32 v4, v4
	global_store_dword v[0:1], v4, off
.LBB28_2124:
	s_mov_b64 s[0:1], 0
.LBB28_2125:
	s_andn2_b64 vcc, exec, s[0:1]
	s_cbranch_vccnz .LBB28_2127
; %bb.2126:
	v_cvt_i16_f16_e32 v4, v9
	global_store_short v[0:1], v4, off
.LBB28_2127:
	s_mov_b64 s[0:1], 0
.LBB28_2128:
	s_andn2_b64 vcc, exec, s[0:1]
	s_cbranch_vccnz .LBB28_2133
; %bb.2129:
	s_cmp_gt_i32 s2, 0
	s_mov_b64 s[0:1], -1
	s_cbranch_scc0 .LBB28_2131
; %bb.2130:
	v_cvt_i16_f16_e32 v4, v9
	global_store_byte v[0:1], v4, off
	s_mov_b64 s[0:1], 0
.LBB28_2131:
	s_andn2_b64 vcc, exec, s[0:1]
	s_cbranch_vccnz .LBB28_2133
; %bb.2132:
	v_cvt_f32_f16_e32 v4, v9
	v_cvt_i32_f32_e32 v4, v4
	global_store_byte v[0:1], v4, off
.LBB28_2133:
	s_mov_b64 s[10:11], -1
.LBB28_2134:
	s_andn2_b64 vcc, exec, s[10:11]
	s_cbranch_vccnz .LBB28_2211
; %bb.2135:
	v_add_u32_e32 v0, s18, v3
	v_ashrrev_i32_e32 v1, 31, v0
	v_mov_b32_e32 v3, s9
	v_add_co_u32_e32 v0, vcc, s8, v0
	s_cmp_lt_i32 s20, 11
	v_addc_co_u32_e32 v1, vcc, v3, v1, vcc
	s_cbranch_scc1 .LBB28_2212
; %bb.2136:
	s_and_b32 s16, 0xffff, s20
	s_mov_b64 s[8:9], -1
	s_mov_b64 s[2:3], 0
	s_cmp_gt_i32 s16, 25
	s_mov_b64 s[0:1], 0
	s_cbranch_scc0 .LBB28_2169
; %bb.2137:
	s_cmp_gt_i32 s16, 28
	s_cbranch_scc0 .LBB28_2153
; %bb.2138:
	s_cmp_gt_i32 s16, 43
	;; [unrolled: 3-line block ×3, first 2 shown]
	s_cbranch_scc0 .LBB28_2143
; %bb.2140:
	s_cmp_eq_u32 s16, 46
	s_mov_b64 s[0:1], -1
	s_cbranch_scc0 .LBB28_2142
; %bb.2141:
	v_cvt_f32_f16_e32 v3, v2
	s_movk_i32 s0, 0x7fff
	v_cmp_o_f16_e32 vcc, v2, v2
	v_mov_b32_e32 v4, 0x7fc0
	v_bfe_u32 v5, v3, 16, 1
	v_add3_u32 v3, v3, v5, s0
	v_cndmask_b32_sdwa v3, v4, v3, vcc dst_sel:DWORD dst_unused:UNUSED_PAD src0_sel:DWORD src1_sel:WORD_1
	global_store_dword v[0:1], v3, off
	s_mov_b64 s[0:1], 0
.LBB28_2142:
	s_mov_b64 s[8:9], 0
.LBB28_2143:
	s_and_b64 vcc, exec, s[8:9]
	s_cbranch_vccz .LBB28_2148
; %bb.2144:
	s_cmp_eq_u32 s16, 44
	s_mov_b64 s[0:1], -1
	s_cbranch_scc0 .LBB28_2148
; %bb.2145:
	v_cvt_f32_f16_e32 v3, v2
	s_movk_i32 s0, 0xff
	v_mov_b32_e32 v5, 0xff
	v_bfe_u32 v4, v3, 23, 8
	v_cmp_ne_u32_e32 vcc, s0, v4
	s_and_saveexec_b64 s[8:9], vcc
; %bb.2146:
	s_mov_b32 s0, 0x3fffff
	v_lshrrev_b32_e32 v5, 23, v3
	v_and_b32_e32 v6, 0x400000, v3
	v_and_or_b32 v3, v3, s0, v4
	v_cmp_ne_u32_e32 vcc, 0, v6
	v_cmp_ne_u32_e64 s[0:1], 0, v3
	s_and_b64 s[0:1], vcc, s[0:1]
	v_cndmask_b32_e64 v3, 0, 1, s[0:1]
	v_add_u32_e32 v5, v5, v3
; %bb.2147:
	s_or_b64 exec, exec, s[8:9]
	s_mov_b64 s[0:1], 0
	global_store_byte v[0:1], v5, off
.LBB28_2148:
	s_mov_b64 s[8:9], 0
.LBB28_2149:
	s_and_b64 vcc, exec, s[8:9]
	s_cbranch_vccz .LBB28_2152
; %bb.2150:
	s_cmp_eq_u32 s16, 29
	s_mov_b64 s[0:1], -1
	s_cbranch_scc0 .LBB28_2152
; %bb.2151:
	v_cvt_f32_f16_e32 v3, v2
	v_mov_b32_e32 v4, 0
	s_mov_b64 s[0:1], 0
	v_cvt_u32_f32_e32 v3, v3
	global_store_dwordx2 v[0:1], v[3:4], off
.LBB28_2152:
	s_mov_b64 s[8:9], 0
.LBB28_2153:
	s_and_b64 vcc, exec, s[8:9]
	s_cbranch_vccz .LBB28_2168
; %bb.2154:
	s_cmp_lt_i32 s16, 27
	s_mov_b64 s[8:9], -1
	s_cbranch_scc1 .LBB28_2160
; %bb.2155:
	s_cmp_gt_i32 s16, 27
	s_cbranch_scc0 .LBB28_2157
; %bb.2156:
	v_cvt_f32_f16_e32 v3, v2
	s_mov_b64 s[8:9], 0
	v_cvt_u32_f32_e32 v3, v3
	global_store_dword v[0:1], v3, off
.LBB28_2157:
	s_andn2_b64 vcc, exec, s[8:9]
	s_cbranch_vccnz .LBB28_2159
; %bb.2158:
	v_cvt_u16_f16_e32 v3, v2
	global_store_short v[0:1], v3, off
.LBB28_2159:
	s_mov_b64 s[8:9], 0
.LBB28_2160:
	s_andn2_b64 vcc, exec, s[8:9]
	s_cbranch_vccnz .LBB28_2168
; %bb.2161:
	v_cvt_f32_f16_e32 v3, v2
	s_mov_b32 s8, 0x43800000
	v_mov_b32_e32 v5, 0x80
	v_and_b32_e32 v4, 0x7fffffff, v3
	v_cmp_gt_u32_e32 vcc, s8, v4
	s_and_saveexec_b64 s[8:9], vcc
	s_cbranch_execz .LBB28_2167
; %bb.2162:
	s_mov_b32 s10, 0x3bffffff
	v_cmp_lt_u32_e32 vcc, s10, v4
	s_mov_b64 s[10:11], 0
                                        ; implicit-def: $vgpr4
	s_and_saveexec_b64 s[12:13], vcc
	s_xor_b64 s[12:13], exec, s[12:13]
	s_cbranch_execz .LBB28_2229
; %bb.2163:
	v_bfe_u32 v4, v3, 20, 1
	s_mov_b32 s17, 0x487ffff
	v_add3_u32 v4, v3, v4, s17
	s_mov_b64 s[10:11], exec
	v_lshrrev_b32_e32 v4, 20, v4
	s_andn2_saveexec_b64 s[12:13], s[12:13]
	s_cbranch_execnz .LBB28_2230
.LBB28_2164:
	s_or_b64 exec, exec, s[12:13]
	v_mov_b32_e32 v5, 0
	s_and_saveexec_b64 s[12:13], s[10:11]
.LBB28_2165:
	v_lshrrev_b32_e32 v3, 24, v3
	s_movk_i32 s10, 0x80
	v_and_or_b32 v5, v3, s10, v4
.LBB28_2166:
	s_or_b64 exec, exec, s[12:13]
.LBB28_2167:
	s_or_b64 exec, exec, s[8:9]
	global_store_byte v[0:1], v5, off
.LBB28_2168:
	s_mov_b64 s[8:9], 0
.LBB28_2169:
	s_and_b64 vcc, exec, s[8:9]
	s_cbranch_vccz .LBB28_2209
; %bb.2170:
	s_cmp_gt_i32 s16, 22
	s_mov_b64 s[2:3], -1
	s_cbranch_scc0 .LBB28_2202
; %bb.2171:
	s_cmp_lt_i32 s16, 24
	s_cbranch_scc1 .LBB28_2191
; %bb.2172:
	s_cmp_gt_i32 s16, 24
	s_cbranch_scc0 .LBB28_2180
; %bb.2173:
	v_cvt_f32_f16_e32 v3, v2
	s_mov_b32 s2, 0x47800000
	v_mov_b32_e32 v5, 0x80
	v_and_b32_e32 v4, 0x7fffffff, v3
	v_cmp_gt_u32_e32 vcc, s2, v4
	s_and_saveexec_b64 s[2:3], vcc
	s_cbranch_execz .LBB28_2179
; %bb.2174:
	s_mov_b32 s8, 0x37ffffff
	v_cmp_lt_u32_e32 vcc, s8, v4
	s_mov_b64 s[8:9], 0
                                        ; implicit-def: $vgpr4
	s_and_saveexec_b64 s[10:11], vcc
	s_xor_b64 s[10:11], exec, s[10:11]
	s_cbranch_execz .LBB28_2232
; %bb.2175:
	v_bfe_u32 v4, v3, 21, 1
	s_mov_b32 s12, 0x88fffff
	v_add3_u32 v4, v3, v4, s12
	s_mov_b64 s[8:9], exec
	v_lshrrev_b32_e32 v4, 21, v4
	s_andn2_saveexec_b64 s[10:11], s[10:11]
	s_cbranch_execnz .LBB28_2233
.LBB28_2176:
	s_or_b64 exec, exec, s[10:11]
	v_mov_b32_e32 v5, 0
	s_and_saveexec_b64 s[10:11], s[8:9]
.LBB28_2177:
	v_lshrrev_b32_e32 v3, 24, v3
	s_movk_i32 s8, 0x80
	v_and_or_b32 v5, v3, s8, v4
.LBB28_2178:
	s_or_b64 exec, exec, s[10:11]
.LBB28_2179:
	s_or_b64 exec, exec, s[2:3]
	s_mov_b64 s[2:3], 0
	global_store_byte v[0:1], v5, off
.LBB28_2180:
	s_and_b64 vcc, exec, s[2:3]
	s_cbranch_vccz .LBB28_2190
; %bb.2181:
	v_cvt_f32_f16_e32 v3, v2
	s_mov_b32 s2, 0x43f00000
                                        ; implicit-def: $vgpr4
	v_and_b32_e32 v5, 0x7fffffff, v3
	v_cmp_gt_u32_e32 vcc, s2, v5
	s_and_saveexec_b64 s[2:3], vcc
	s_xor_b64 s[2:3], exec, s[2:3]
	s_cbranch_execz .LBB28_2187
; %bb.2182:
	s_mov_b32 s8, 0x3c7fffff
	v_cmp_lt_u32_e32 vcc, s8, v5
                                        ; implicit-def: $vgpr4
	s_and_saveexec_b64 s[8:9], vcc
	s_xor_b64 s[8:9], exec, s[8:9]
; %bb.2183:
	v_bfe_u32 v4, v3, 20, 1
	s_mov_b32 s10, 0x407ffff
	v_add3_u32 v4, v3, v4, s10
	v_lshrrev_b32_e32 v5, 20, v4
	v_and_b32_e32 v4, 0xff00000, v4
	s_mov_b32 s10, 0x7f00000
	v_mov_b32_e32 v6, 0x7e
	v_cmp_ne_u32_e32 vcc, s10, v4
	v_cndmask_b32_e32 v4, v6, v5, vcc
; %bb.2184:
	s_andn2_saveexec_b64 s[8:9], s[8:9]
; %bb.2185:
	s_mov_b32 s10, 0x46800000
	v_add_f32_e64 v4, |v3|, s10
; %bb.2186:
	s_or_b64 exec, exec, s[8:9]
                                        ; implicit-def: $vgpr5
.LBB28_2187:
	s_andn2_saveexec_b64 s[2:3], s[2:3]
; %bb.2188:
	s_mov_b32 s8, 0x7f800000
	v_mov_b32_e32 v4, 0x7e
	v_mov_b32_e32 v6, 0x7f
	v_cmp_lt_u32_e32 vcc, s8, v5
	v_cndmask_b32_e32 v4, v4, v6, vcc
; %bb.2189:
	s_or_b64 exec, exec, s[2:3]
	v_lshrrev_b32_e32 v3, 24, v3
	s_movk_i32 s2, 0x80
	v_and_or_b32 v3, v3, s2, v4
	global_store_byte v[0:1], v3, off
.LBB28_2190:
	s_mov_b64 s[2:3], 0
.LBB28_2191:
	s_andn2_b64 vcc, exec, s[2:3]
	s_cbranch_vccnz .LBB28_2201
; %bb.2192:
	v_cvt_f32_f16_e32 v3, v2
	s_mov_b32 s2, 0x47800000
                                        ; implicit-def: $vgpr4
	v_and_b32_e32 v5, 0x7fffffff, v3
	v_cmp_gt_u32_e32 vcc, s2, v5
	s_and_saveexec_b64 s[2:3], vcc
	s_xor_b64 s[2:3], exec, s[2:3]
	s_cbranch_execz .LBB28_2198
; %bb.2193:
	s_mov_b32 s8, 0x387fffff
	v_cmp_lt_u32_e32 vcc, s8, v5
                                        ; implicit-def: $vgpr4
	s_and_saveexec_b64 s[8:9], vcc
	s_xor_b64 s[8:9], exec, s[8:9]
; %bb.2194:
	v_bfe_u32 v4, v3, 21, 1
	s_mov_b32 s10, 0x80fffff
	v_add3_u32 v4, v3, v4, s10
	v_lshrrev_b32_e32 v4, 21, v4
; %bb.2195:
	s_andn2_saveexec_b64 s[8:9], s[8:9]
; %bb.2196:
	s_mov_b32 s10, 0x43000000
	v_add_f32_e64 v4, |v3|, s10
; %bb.2197:
	s_or_b64 exec, exec, s[8:9]
                                        ; implicit-def: $vgpr5
.LBB28_2198:
	s_andn2_saveexec_b64 s[2:3], s[2:3]
; %bb.2199:
	s_mov_b32 s8, 0x7f800000
	v_mov_b32_e32 v4, 0x7c
	v_mov_b32_e32 v6, 0x7f
	v_cmp_lt_u32_e32 vcc, s8, v5
	v_cndmask_b32_e32 v4, v4, v6, vcc
; %bb.2200:
	s_or_b64 exec, exec, s[2:3]
	v_lshrrev_b32_e32 v3, 24, v3
	s_movk_i32 s2, 0x80
	v_and_or_b32 v3, v3, s2, v4
	global_store_byte v[0:1], v3, off
.LBB28_2201:
	s_mov_b64 s[2:3], 0
.LBB28_2202:
	s_andn2_b64 vcc, exec, s[2:3]
	s_mov_b64 s[2:3], 0
	s_cbranch_vccnz .LBB28_2209
; %bb.2203:
	s_cmp_gt_i32 s16, 14
	s_mov_b64 s[8:9], -1
	s_cbranch_scc0 .LBB28_2207
; %bb.2204:
	s_cmp_eq_u32 s16, 15
	s_mov_b64 s[0:1], -1
	s_cbranch_scc0 .LBB28_2206
; %bb.2205:
	v_cvt_f32_f16_e32 v3, v2
	s_movk_i32 s0, 0x7fff
	v_cmp_o_f16_e32 vcc, v2, v2
	v_mov_b32_e32 v4, 0x7fc0
	v_bfe_u32 v5, v3, 16, 1
	v_add3_u32 v3, v3, v5, s0
	v_cndmask_b32_sdwa v3, v4, v3, vcc dst_sel:DWORD dst_unused:UNUSED_PAD src0_sel:DWORD src1_sel:WORD_1
	global_store_short v[0:1], v3, off
	s_mov_b64 s[0:1], 0
.LBB28_2206:
	s_mov_b64 s[8:9], 0
.LBB28_2207:
	s_and_b64 vcc, exec, s[8:9]
	s_cbranch_vccz .LBB28_2209
; %bb.2208:
	s_cmp_lg_u32 s16, 11
	s_mov_b64 s[2:3], -1
	s_cselect_b64 s[0:1], -1, 0
.LBB28_2209:
	s_and_b64 vcc, exec, s[0:1]
	s_cbranch_vccnz .LBB28_2231
.LBB28_2210:
	s_mov_b64 s[0:1], 0
	s_branch .LBB28_1812
.LBB28_2211:
	s_mov_b64 s[0:1], 0
                                        ; implicit-def: $sgpr20
                                        ; implicit-def: $vgpr0_vgpr1
	s_branch .LBB28_1811
.LBB28_2212:
	s_mov_b64 s[2:3], 0
	s_mov_b64 s[0:1], -1
	s_branch .LBB28_1812
.LBB28_2213:
	s_trap 2
	s_or_b64 s[14:15], s[14:15], exec
	s_cbranch_execz .LBB28_1656
	s_branch .LBB28_1657
.LBB28_2214:
	s_andn2_saveexec_b64 s[18:19], s[18:19]
	s_cbranch_execz .LBB28_1760
.LBB28_2215:
	s_mov_b32 s21, 0x46000000
	v_add_f32_e64 v5, |v4|, s21
	v_and_b32_e32 v5, 0xff, v5
	v_cmp_ne_u32_e32 vcc, 0, v5
	s_andn2_b64 s[16:17], s[16:17], exec
	s_and_b64 s[22:23], vcc, exec
	s_or_b64 s[16:17], s[16:17], s[22:23]
	s_or_b64 exec, exec, s[18:19]
	v_mov_b32_e32 v6, 0
	s_and_saveexec_b64 s[18:19], s[16:17]
	s_cbranch_execnz .LBB28_1761
	s_branch .LBB28_1762
.LBB28_2216:
	s_trap 2
	s_or_b64 s[14:15], s[14:15], exec
	s_cbranch_execz .LBB28_1808
	s_branch .LBB28_1809
.LBB28_2217:
	s_andn2_saveexec_b64 s[16:17], s[16:17]
	s_cbranch_execz .LBB28_1773
.LBB28_2218:
	s_mov_b32 s18, 0x42800000
	v_add_f32_e64 v5, |v4|, s18
	v_and_b32_e32 v5, 0xff, v5
	v_cmp_ne_u32_e32 vcc, 0, v5
	s_andn2_b64 s[12:13], s[12:13], exec
	s_and_b64 s[18:19], vcc, exec
	s_or_b64 s[12:13], s[12:13], s[18:19]
	s_or_b64 exec, exec, s[16:17]
	v_mov_b32_e32 v6, 0
	s_and_saveexec_b64 s[16:17], s[12:13]
	s_cbranch_execnz .LBB28_1774
	s_branch .LBB28_1775
.LBB28_2219:
	s_andn2_saveexec_b64 s[16:17], s[16:17]
	s_cbranch_execz .LBB28_1925
.LBB28_2220:
	s_mov_b32 s21, 0x46000000
	v_add_f32_e64 v5, |v4|, s21
	v_and_b32_e32 v5, 0xff, v5
	v_cmp_ne_u32_e32 vcc, 0, v5
	s_andn2_b64 s[12:13], s[12:13], exec
	s_and_b64 s[22:23], vcc, exec
	s_or_b64 s[12:13], s[12:13], s[22:23]
	s_or_b64 exec, exec, s[16:17]
	v_mov_b32_e32 v6, 0
	s_and_saveexec_b64 s[16:17], s[12:13]
	s_cbranch_execnz .LBB28_1926
	s_branch .LBB28_1927
.LBB28_2221:
	s_trap 2
	s_or_b64 s[14:15], s[14:15], exec
	s_cbranch_execz .LBB28_1973
	s_branch .LBB28_1974
.LBB28_2222:
	s_andn2_saveexec_b64 s[12:13], s[12:13]
	s_cbranch_execz .LBB28_1938
.LBB28_2223:
	s_mov_b32 s16, 0x42800000
	v_add_f32_e64 v5, |v4|, s16
	v_and_b32_e32 v5, 0xff, v5
	v_cmp_ne_u32_e32 vcc, 0, v5
	s_andn2_b64 s[10:11], s[10:11], exec
	s_and_b64 s[16:17], vcc, exec
	s_or_b64 s[10:11], s[10:11], s[16:17]
	s_or_b64 exec, exec, s[12:13]
	v_mov_b32_e32 v6, 0
	s_and_saveexec_b64 s[12:13], s[10:11]
	s_cbranch_execnz .LBB28_1939
	s_branch .LBB28_1940
.LBB28_2224:
	s_andn2_saveexec_b64 s[16:17], s[16:17]
	s_cbranch_execz .LBB28_2044
.LBB28_2225:
	s_mov_b32 s21, 0x46000000
	v_add_f32_e64 v5, |v4|, s21
	v_and_b32_e32 v5, 0xff, v5
	v_cmp_ne_u32_e32 vcc, 0, v5
	s_andn2_b64 s[12:13], s[12:13], exec
	s_and_b64 s[22:23], vcc, exec
	s_or_b64 s[12:13], s[12:13], s[22:23]
	s_or_b64 exec, exec, s[16:17]
	v_mov_b32_e32 v6, 0
	s_and_saveexec_b64 s[16:17], s[12:13]
	s_cbranch_execnz .LBB28_2045
	s_branch .LBB28_2046
.LBB28_2226:
	s_trap 2
	s_or_b64 s[14:15], s[14:15], exec
	s_cbranch_execz .LBB28_2092
	s_branch .LBB28_2093
.LBB28_2227:
	s_andn2_saveexec_b64 s[12:13], s[12:13]
	s_cbranch_execz .LBB28_2057
.LBB28_2228:
	s_mov_b32 s16, 0x42800000
	v_add_f32_e64 v5, |v4|, s16
	v_and_b32_e32 v5, 0xff, v5
	v_cmp_ne_u32_e32 vcc, 0, v5
	s_andn2_b64 s[10:11], s[10:11], exec
	s_and_b64 s[16:17], vcc, exec
	s_or_b64 s[10:11], s[10:11], s[16:17]
	s_or_b64 exec, exec, s[12:13]
	v_mov_b32_e32 v6, 0
	s_and_saveexec_b64 s[12:13], s[10:11]
	s_cbranch_execnz .LBB28_2058
	s_branch .LBB28_2059
.LBB28_2229:
	s_andn2_saveexec_b64 s[12:13], s[12:13]
	s_cbranch_execz .LBB28_2164
.LBB28_2230:
	s_mov_b32 s17, 0x46000000
	v_add_f32_e64 v4, |v3|, s17
	v_and_b32_e32 v4, 0xff, v4
	v_cmp_ne_u32_e32 vcc, 0, v4
	s_andn2_b64 s[10:11], s[10:11], exec
	s_and_b64 s[18:19], vcc, exec
	s_or_b64 s[10:11], s[10:11], s[18:19]
	s_or_b64 exec, exec, s[12:13]
	v_mov_b32_e32 v5, 0
	s_and_saveexec_b64 s[12:13], s[10:11]
	s_cbranch_execnz .LBB28_2165
	s_branch .LBB28_2166
.LBB28_2231:
	s_mov_b64 s[2:3], 0
	s_or_b64 s[14:15], s[14:15], exec
	s_trap 2
	s_branch .LBB28_2210
.LBB28_2232:
	s_andn2_saveexec_b64 s[10:11], s[10:11]
	s_cbranch_execz .LBB28_2176
.LBB28_2233:
	s_mov_b32 s12, 0x42800000
	v_add_f32_e64 v4, |v3|, s12
	v_and_b32_e32 v4, 0xff, v4
	v_cmp_ne_u32_e32 vcc, 0, v4
	s_andn2_b64 s[8:9], s[8:9], exec
	s_and_b64 s[12:13], vcc, exec
	s_or_b64 s[8:9], s[8:9], s[12:13]
	s_or_b64 exec, exec, s[10:11]
	v_mov_b32_e32 v5, 0
	s_and_saveexec_b64 s[10:11], s[8:9]
	s_cbranch_execnz .LBB28_2177
	s_branch .LBB28_2178
	.section	.rodata,"a",@progbits
	.p2align	6, 0x0
	.amdhsa_kernel _ZN2at6native32elementwise_kernel_manual_unrollILi128ELi4EZNS0_15gpu_kernel_implIZZZNS0_19digamma_kernel_cudaERNS_18TensorIteratorBaseEENKUlvE_clEvENKUlvE1_clEvEUlN3c104HalfEE_EEvS4_RKT_EUlibE_EEviT1_
		.amdhsa_group_segment_fixed_size 0
		.amdhsa_private_segment_fixed_size 0
		.amdhsa_kernarg_size 40
		.amdhsa_user_sgpr_count 6
		.amdhsa_user_sgpr_private_segment_buffer 1
		.amdhsa_user_sgpr_dispatch_ptr 0
		.amdhsa_user_sgpr_queue_ptr 0
		.amdhsa_user_sgpr_kernarg_segment_ptr 1
		.amdhsa_user_sgpr_dispatch_id 0
		.amdhsa_user_sgpr_flat_scratch_init 0
		.amdhsa_user_sgpr_private_segment_size 0
		.amdhsa_uses_dynamic_stack 0
		.amdhsa_system_sgpr_private_segment_wavefront_offset 0
		.amdhsa_system_sgpr_workgroup_id_x 1
		.amdhsa_system_sgpr_workgroup_id_y 0
		.amdhsa_system_sgpr_workgroup_id_z 0
		.amdhsa_system_sgpr_workgroup_info 0
		.amdhsa_system_vgpr_workitem_id 0
		.amdhsa_next_free_vgpr 30
		.amdhsa_next_free_sgpr 46
		.amdhsa_reserve_vcc 1
		.amdhsa_reserve_flat_scratch 0
		.amdhsa_float_round_mode_32 0
		.amdhsa_float_round_mode_16_64 0
		.amdhsa_float_denorm_mode_32 3
		.amdhsa_float_denorm_mode_16_64 3
		.amdhsa_dx10_clamp 1
		.amdhsa_ieee_mode 1
		.amdhsa_fp16_overflow 0
		.amdhsa_exception_fp_ieee_invalid_op 0
		.amdhsa_exception_fp_denorm_src 0
		.amdhsa_exception_fp_ieee_div_zero 0
		.amdhsa_exception_fp_ieee_overflow 0
		.amdhsa_exception_fp_ieee_underflow 0
		.amdhsa_exception_fp_ieee_inexact 0
		.amdhsa_exception_int_div_zero 0
	.end_amdhsa_kernel
	.section	.text._ZN2at6native32elementwise_kernel_manual_unrollILi128ELi4EZNS0_15gpu_kernel_implIZZZNS0_19digamma_kernel_cudaERNS_18TensorIteratorBaseEENKUlvE_clEvENKUlvE1_clEvEUlN3c104HalfEE_EEvS4_RKT_EUlibE_EEviT1_,"axG",@progbits,_ZN2at6native32elementwise_kernel_manual_unrollILi128ELi4EZNS0_15gpu_kernel_implIZZZNS0_19digamma_kernel_cudaERNS_18TensorIteratorBaseEENKUlvE_clEvENKUlvE1_clEvEUlN3c104HalfEE_EEvS4_RKT_EUlibE_EEviT1_,comdat
.Lfunc_end28:
	.size	_ZN2at6native32elementwise_kernel_manual_unrollILi128ELi4EZNS0_15gpu_kernel_implIZZZNS0_19digamma_kernel_cudaERNS_18TensorIteratorBaseEENKUlvE_clEvENKUlvE1_clEvEUlN3c104HalfEE_EEvS4_RKT_EUlibE_EEviT1_, .Lfunc_end28-_ZN2at6native32elementwise_kernel_manual_unrollILi128ELi4EZNS0_15gpu_kernel_implIZZZNS0_19digamma_kernel_cudaERNS_18TensorIteratorBaseEENKUlvE_clEvENKUlvE1_clEvEUlN3c104HalfEE_EEvS4_RKT_EUlibE_EEviT1_
                                        ; -- End function
	.set _ZN2at6native32elementwise_kernel_manual_unrollILi128ELi4EZNS0_15gpu_kernel_implIZZZNS0_19digamma_kernel_cudaERNS_18TensorIteratorBaseEENKUlvE_clEvENKUlvE1_clEvEUlN3c104HalfEE_EEvS4_RKT_EUlibE_EEviT1_.num_vgpr, 30
	.set _ZN2at6native32elementwise_kernel_manual_unrollILi128ELi4EZNS0_15gpu_kernel_implIZZZNS0_19digamma_kernel_cudaERNS_18TensorIteratorBaseEENKUlvE_clEvENKUlvE1_clEvEUlN3c104HalfEE_EEvS4_RKT_EUlibE_EEviT1_.num_agpr, 0
	.set _ZN2at6native32elementwise_kernel_manual_unrollILi128ELi4EZNS0_15gpu_kernel_implIZZZNS0_19digamma_kernel_cudaERNS_18TensorIteratorBaseEENKUlvE_clEvENKUlvE1_clEvEUlN3c104HalfEE_EEvS4_RKT_EUlibE_EEviT1_.numbered_sgpr, 46
	.set _ZN2at6native32elementwise_kernel_manual_unrollILi128ELi4EZNS0_15gpu_kernel_implIZZZNS0_19digamma_kernel_cudaERNS_18TensorIteratorBaseEENKUlvE_clEvENKUlvE1_clEvEUlN3c104HalfEE_EEvS4_RKT_EUlibE_EEviT1_.num_named_barrier, 0
	.set _ZN2at6native32elementwise_kernel_manual_unrollILi128ELi4EZNS0_15gpu_kernel_implIZZZNS0_19digamma_kernel_cudaERNS_18TensorIteratorBaseEENKUlvE_clEvENKUlvE1_clEvEUlN3c104HalfEE_EEvS4_RKT_EUlibE_EEviT1_.private_seg_size, 0
	.set _ZN2at6native32elementwise_kernel_manual_unrollILi128ELi4EZNS0_15gpu_kernel_implIZZZNS0_19digamma_kernel_cudaERNS_18TensorIteratorBaseEENKUlvE_clEvENKUlvE1_clEvEUlN3c104HalfEE_EEvS4_RKT_EUlibE_EEviT1_.uses_vcc, 1
	.set _ZN2at6native32elementwise_kernel_manual_unrollILi128ELi4EZNS0_15gpu_kernel_implIZZZNS0_19digamma_kernel_cudaERNS_18TensorIteratorBaseEENKUlvE_clEvENKUlvE1_clEvEUlN3c104HalfEE_EEvS4_RKT_EUlibE_EEviT1_.uses_flat_scratch, 0
	.set _ZN2at6native32elementwise_kernel_manual_unrollILi128ELi4EZNS0_15gpu_kernel_implIZZZNS0_19digamma_kernel_cudaERNS_18TensorIteratorBaseEENKUlvE_clEvENKUlvE1_clEvEUlN3c104HalfEE_EEvS4_RKT_EUlibE_EEviT1_.has_dyn_sized_stack, 0
	.set _ZN2at6native32elementwise_kernel_manual_unrollILi128ELi4EZNS0_15gpu_kernel_implIZZZNS0_19digamma_kernel_cudaERNS_18TensorIteratorBaseEENKUlvE_clEvENKUlvE1_clEvEUlN3c104HalfEE_EEvS4_RKT_EUlibE_EEviT1_.has_recursion, 0
	.set _ZN2at6native32elementwise_kernel_manual_unrollILi128ELi4EZNS0_15gpu_kernel_implIZZZNS0_19digamma_kernel_cudaERNS_18TensorIteratorBaseEENKUlvE_clEvENKUlvE1_clEvEUlN3c104HalfEE_EEvS4_RKT_EUlibE_EEviT1_.has_indirect_call, 0
	.section	.AMDGPU.csdata,"",@progbits
; Kernel info:
; codeLenInByte = 54804
; TotalNumSgprs: 50
; NumVgprs: 30
; ScratchSize: 0
; MemoryBound: 0
; FloatMode: 240
; IeeeMode: 1
; LDSByteSize: 0 bytes/workgroup (compile time only)
; SGPRBlocks: 6
; VGPRBlocks: 7
; NumSGPRsForWavesPerEU: 50
; NumVGPRsForWavesPerEU: 30
; Occupancy: 8
; WaveLimiterHint : 0
; COMPUTE_PGM_RSRC2:SCRATCH_EN: 0
; COMPUTE_PGM_RSRC2:USER_SGPR: 6
; COMPUTE_PGM_RSRC2:TRAP_HANDLER: 0
; COMPUTE_PGM_RSRC2:TGID_X_EN: 1
; COMPUTE_PGM_RSRC2:TGID_Y_EN: 0
; COMPUTE_PGM_RSRC2:TGID_Z_EN: 0
; COMPUTE_PGM_RSRC2:TIDIG_COMP_CNT: 0
	.section	.text._ZN2at6native32elementwise_kernel_manual_unrollILi128ELi4EZNS0_15gpu_kernel_implIZZZNS0_19digamma_kernel_cudaERNS_18TensorIteratorBaseEENKUlvE_clEvENKUlvE1_clEvEUlN3c104HalfEE_EEvS4_RKT_EUlibE0_EEviT1_,"axG",@progbits,_ZN2at6native32elementwise_kernel_manual_unrollILi128ELi4EZNS0_15gpu_kernel_implIZZZNS0_19digamma_kernel_cudaERNS_18TensorIteratorBaseEENKUlvE_clEvENKUlvE1_clEvEUlN3c104HalfEE_EEvS4_RKT_EUlibE0_EEviT1_,comdat
	.globl	_ZN2at6native32elementwise_kernel_manual_unrollILi128ELi4EZNS0_15gpu_kernel_implIZZZNS0_19digamma_kernel_cudaERNS_18TensorIteratorBaseEENKUlvE_clEvENKUlvE1_clEvEUlN3c104HalfEE_EEvS4_RKT_EUlibE0_EEviT1_ ; -- Begin function _ZN2at6native32elementwise_kernel_manual_unrollILi128ELi4EZNS0_15gpu_kernel_implIZZZNS0_19digamma_kernel_cudaERNS_18TensorIteratorBaseEENKUlvE_clEvENKUlvE1_clEvEUlN3c104HalfEE_EEvS4_RKT_EUlibE0_EEviT1_
	.p2align	8
	.type	_ZN2at6native32elementwise_kernel_manual_unrollILi128ELi4EZNS0_15gpu_kernel_implIZZZNS0_19digamma_kernel_cudaERNS_18TensorIteratorBaseEENKUlvE_clEvENKUlvE1_clEvEUlN3c104HalfEE_EEvS4_RKT_EUlibE0_EEviT1_,@function
_ZN2at6native32elementwise_kernel_manual_unrollILi128ELi4EZNS0_15gpu_kernel_implIZZZNS0_19digamma_kernel_cudaERNS_18TensorIteratorBaseEENKUlvE_clEvENKUlvE1_clEvEUlN3c104HalfEE_EEvS4_RKT_EUlibE0_EEviT1_: ; @_ZN2at6native32elementwise_kernel_manual_unrollILi128ELi4EZNS0_15gpu_kernel_implIZZZNS0_19digamma_kernel_cudaERNS_18TensorIteratorBaseEENKUlvE_clEvENKUlvE1_clEvEUlN3c104HalfEE_EEvS4_RKT_EUlibE0_EEviT1_
; %bb.0:
	s_load_dword s70, s[4:5], 0x0
	s_load_dword s33, s[4:5], 0x8
	s_add_u32 s34, s4, 8
	s_addc_u32 s35, s5, 0
	v_lshl_or_b32 v8, s6, 9, v0
	v_or_b32_e32 v15, 0x180, v8
	s_waitcnt lgkmcnt(0)
	s_add_i32 s72, s33, -1
	s_cmp_gt_u32 s72, 1
	v_cmp_le_i32_e32 vcc, s70, v15
	s_cselect_b64 s[40:41], -1, 0
	s_mov_b64 s[6:7], 0
	s_mov_b64 s[28:29], 0
	s_and_saveexec_b64 s[0:1], vcc
	s_xor_b64 s[42:43], exec, s[0:1]
	s_cbranch_execz .LBB29_1182
; %bb.1:
	v_mov_b32_e32 v0, 0
	global_load_ushort v0, v0, s[34:35] offset:345
	s_load_dwordx4 s[36:39], s[34:35], 0x4
	s_load_dwordx2 s[44:45], s[34:35], 0x14
	s_load_dwordx4 s[28:31], s[34:35], 0xc4
	s_load_dwordx4 s[24:27], s[34:35], 0x148
	s_cmp_lg_u32 s33, 0
	s_cselect_b64 s[50:51], -1, 0
	s_add_u32 s48, s34, 0xc4
	s_addc_u32 s49, s35, 0
	s_min_u32 s75, s72, 15
	s_cmp_gt_u32 s33, 1
	s_cselect_b64 s[46:47], -1, 0
	v_cmp_gt_i32_e32 vcc, s70, v8
	s_mov_b64 s[2:3], -1
	s_mov_b64 s[60:61], 0
	s_mov_b64 s[54:55], 0
	;; [unrolled: 1-line block ×3, first 2 shown]
	s_waitcnt vmcnt(0)
	v_readfirstlane_b32 s73, v0
	s_and_b32 s0, 0xffff, s73
	s_lshr_b32 s74, s0, 8
	s_and_saveexec_b64 s[56:57], vcc
	s_cbranch_execz .LBB29_290
; %bb.2:
	s_andn2_b64 vcc, exec, s[40:41]
	s_cbranch_vccnz .LBB29_7
; %bb.3:
	s_andn2_b64 vcc, exec, s[50:51]
	s_cbranch_vccnz .LBB29_8
; %bb.4:
	s_add_i32 s59, s75, 1
	s_cmp_eq_u32 s72, 2
	s_cbranch_scc1 .LBB29_9
; %bb.5:
	s_and_b32 s58, s59, 28
	v_mov_b32_e32 v2, 0
	s_mov_b32 s62, 0
	s_mov_b64 s[52:53], s[34:35]
	s_mov_b64 s[54:55], s[48:49]
	v_mov_b32_e32 v0, 0
	v_mov_b32_e32 v1, v8
.LBB29_6:                               ; =>This Inner Loop Header: Depth=1
	s_load_dwordx8 s[16:23], s[52:53], 0x4
	s_load_dwordx4 s[0:3], s[52:53], 0x24
	s_load_dwordx8 s[8:15], s[54:55], 0x0
	s_add_u32 s52, s52, 48
	s_addc_u32 s53, s53, 0
	s_waitcnt lgkmcnt(0)
	v_mul_hi_u32 v3, s17, v1
	s_add_i32 s62, s62, 4
	s_add_u32 s54, s54, 32
	s_addc_u32 s55, s55, 0
	v_add_u32_e32 v3, v1, v3
	v_lshrrev_b32_e32 v3, s18, v3
	v_mul_lo_u32 v4, v3, s16
	v_mul_hi_u32 v5, s20, v3
	s_cmp_lg_u32 s58, s62
	v_sub_u32_e32 v1, v1, v4
	v_add_u32_e32 v4, v3, v5
	v_mul_lo_u32 v5, v1, s8
	v_mul_lo_u32 v6, v1, s9
	v_lshrrev_b32_e32 v1, s21, v4
	v_mul_lo_u32 v4, v1, s19
	v_mul_hi_u32 v7, s23, v1
	v_sub_u32_e32 v3, v3, v4
	v_add_u32_e32 v4, v1, v7
	v_lshrrev_b32_e32 v4, s0, v4
	v_mul_hi_u32 v9, s2, v4
	v_mul_lo_u32 v10, v4, s22
	v_mul_lo_u32 v7, v3, s10
	;; [unrolled: 1-line block ×3, first 2 shown]
	v_sub_u32_e32 v10, v1, v10
	v_add_u32_e32 v1, v4, v9
	v_lshrrev_b32_e32 v1, s3, v1
	v_mul_lo_u32 v9, v1, s1
	v_mul_lo_u32 v11, v10, s12
	;; [unrolled: 1-line block ×3, first 2 shown]
	v_add3_u32 v0, v5, v0, v7
	v_sub_u32_e32 v4, v4, v9
	v_mul_lo_u32 v9, v4, s14
	v_mul_lo_u32 v4, v4, s15
	v_add3_u32 v2, v6, v2, v3
	v_add3_u32 v0, v11, v0, v9
	;; [unrolled: 1-line block ×3, first 2 shown]
	s_cbranch_scc1 .LBB29_6
	s_branch .LBB29_10
.LBB29_7:
                                        ; implicit-def: $vgpr0
                                        ; implicit-def: $vgpr2
	s_branch .LBB29_14
.LBB29_8:
	v_mov_b32_e32 v0, 0
	v_mov_b32_e32 v2, 0
	s_branch .LBB29_13
.LBB29_9:
	s_mov_b32 s58, 0
	v_mov_b32_e32 v0, 0
	v_mov_b32_e32 v2, 0
	;; [unrolled: 1-line block ×3, first 2 shown]
.LBB29_10:
	s_and_b32 s8, s59, 3
	s_cmp_eq_u32 s8, 0
	s_cbranch_scc1 .LBB29_13
; %bb.11:
	s_lshl_b32 s0, s58, 3
	s_add_u32 s0, s34, s0
	s_addc_u32 s1, s35, 0
	s_add_u32 s0, s0, 0xc4
	s_addc_u32 s1, s1, 0
	s_mul_i32 s2, s58, 12
	s_add_u32 s2, s34, s2
	s_addc_u32 s3, s35, 0
.LBB29_12:                              ; =>This Inner Loop Header: Depth=1
	s_load_dwordx2 s[10:11], s[2:3], 0x4
	s_load_dword s9, s[2:3], 0xc
	s_load_dwordx2 s[12:13], s[0:1], 0x0
	s_add_u32 s2, s2, 12
	s_addc_u32 s3, s3, 0
	s_waitcnt lgkmcnt(0)
	v_mul_hi_u32 v3, s11, v1
	s_add_u32 s0, s0, 8
	s_addc_u32 s1, s1, 0
	s_add_i32 s8, s8, -1
	v_add_u32_e32 v3, v1, v3
	v_lshrrev_b32_e32 v4, s9, v3
	v_mul_lo_u32 v3, v4, s10
	s_cmp_lg_u32 s8, 0
	v_sub_u32_e32 v3, v1, v3
	v_mad_u64_u32 v[0:1], s[10:11], v3, s12, v[0:1]
	v_mad_u64_u32 v[2:3], s[10:11], v3, s13, v[2:3]
	v_mov_b32_e32 v1, v4
	s_cbranch_scc1 .LBB29_12
.LBB29_13:
	s_cbranch_execnz .LBB29_16
.LBB29_14:
	s_waitcnt lgkmcnt(0)
	v_mul_hi_u32 v0, s37, v8
	s_andn2_b64 vcc, exec, s[46:47]
	v_add_u32_e32 v0, v8, v0
	v_lshrrev_b32_e32 v1, s38, v0
	v_mul_lo_u32 v0, v1, s36
	v_sub_u32_e32 v2, v8, v0
	v_mul_lo_u32 v0, v2, s28
	v_mul_lo_u32 v2, v2, s29
	s_cbranch_vccnz .LBB29_16
; %bb.15:
	v_mul_hi_u32 v3, s44, v1
	v_add_u32_e32 v3, v1, v3
	v_lshrrev_b32_e32 v3, s45, v3
	v_mul_lo_u32 v3, v3, s39
	v_sub_u32_e32 v3, v1, v3
	v_mad_u64_u32 v[0:1], s[0:1], v3, s30, v[0:1]
	v_mad_u64_u32 v[2:3], s[0:1], v3, s31, v[2:3]
.LBB29_16:
	s_waitcnt lgkmcnt(0)
	v_mov_b32_e32 v3, s27
	s_and_b32 s12, 0xffff, s74
	v_add_co_u32_e32 v1, vcc, s26, v2
	s_cmp_lt_i32 s12, 11
	v_addc_co_u32_e32 v2, vcc, 0, v3, vcc
	s_cbranch_scc1 .LBB29_23
; %bb.17:
	s_cmp_gt_i32 s12, 25
	s_cbranch_scc0 .LBB29_56
; %bb.18:
	s_cmp_gt_i32 s12, 28
	s_cbranch_scc0 .LBB29_59
; %bb.19:
	s_cmp_gt_i32 s12, 43
	s_cbranch_scc0 .LBB29_61
; %bb.20:
	s_cmp_gt_i32 s12, 45
	s_cbranch_scc0 .LBB29_63
; %bb.21:
	s_cmp_eq_u32 s12, 46
	s_mov_b64 s[8:9], 0
	s_cbranch_scc0 .LBB29_65
; %bb.22:
	global_load_dword v3, v[1:2], off
	s_mov_b64 s[0:1], -1
	s_mov_b64 s[2:3], 0
	s_waitcnt vmcnt(0)
	v_lshlrev_b32_e32 v3, 16, v3
	v_cvt_f16_f32_e32 v3, v3
	s_branch .LBB29_67
.LBB29_23:
	s_mov_b64 s[2:3], 0
                                        ; implicit-def: $vgpr3
	s_mov_b64 s[0:1], 0
	s_cbranch_execnz .LBB29_240
.LBB29_24:
	s_andn2_b64 vcc, exec, s[0:1]
	s_cbranch_vccnz .LBB29_287
.LBB29_25:
	s_waitcnt vmcnt(0)
	v_cvt_f32_f16_e32 v7, v3
	v_cmp_neq_f16_e32 vcc, 0, v3
                                        ; implicit-def: $vgpr2
	s_and_saveexec_b64 s[0:1], vcc
	s_xor_b64 s[8:9], exec, s[0:1]
	s_cbranch_execz .LBB29_47
; %bb.26:
	v_cmp_gt_f16_e32 vcc, 0, v3
	s_mov_b64 s[0:1], -1
	v_mov_b32_e32 v1, 0
	s_and_saveexec_b64 s[10:11], vcc
	s_cbranch_execz .LBB29_34
; %bb.27:
	v_trunc_f32_e32 v1, v7
	v_cmp_neq_f32_e32 vcc, v1, v7
	s_mov_b64 s[14:15], 0
	v_mov_b32_e32 v1, 0
	s_and_saveexec_b64 s[12:13], vcc
	s_cbranch_execz .LBB29_33
; %bb.28:
	v_cvt_f32_f16_e32 v1, v3
	s_mov_b32 s0, 0
	s_mov_b32 s15, 0xc00921fb
	s_mov_b32 s14, 0x54442d18
	v_cvt_f64_f32_e32 v[1:2], v1
	s_mov_b32 s1, 0x7ff00000
	v_bfrev_b32_e32 v5, 1
	s_mov_b32 s16, 0
	v_trunc_f64_e32 v[3:4], v[1:2]
	v_cmp_neq_f64_e64 vcc, |v[1:2]|, s[0:1]
	s_mov_b32 s17, 0x41d00000
                                        ; implicit-def: $vgpr9
	v_add_f64 v[3:4], v[1:2], -v[3:4]
	v_mul_f64 v[3:4], |v[3:4]|, s[14:15]
	v_cndmask_b32_e32 v2, v5, v4, vcc
	v_cndmask_b32_e32 v1, 0, v3, vcc
	v_cmp_nlt_f64_e64 s[16:17], |v[1:2]|, s[16:17]
                                        ; implicit-def: $vgpr3_vgpr4
                                        ; implicit-def: $vgpr5_vgpr6
	s_and_saveexec_b64 s[18:19], s[16:17]
	s_xor_b64 s[16:17], exec, s[18:19]
	s_cbranch_execz .LBB29_30
; %bb.29:
	v_trig_preop_f64 v[3:4], |v[1:2]|, 0
	s_mov_b32 s18, 0
	s_mov_b32 s19, 0x7b000000
	s_movk_i32 s15, 0xff80
	v_ldexp_f64 v[9:10], |v[1:2]|, s15
	v_cmp_ge_f64_e64 vcc, |v[1:2]|, s[18:19]
	v_trig_preop_f64 v[5:6], |v[1:2]|, 1
	v_and_b32_e32 v11, 0x7fffffff, v2
	v_trig_preop_f64 v[17:18], |v[1:2]|, 2
	v_mov_b32_e32 v28, 0x40100000
	v_mov_b32_e32 v27, 0
	s_mov_b32 s15, 0x3ff921fb
	v_cndmask_b32_e32 v10, v11, v10, vcc
	v_cndmask_b32_e32 v9, v1, v9, vcc
	v_mul_f64 v[11:12], v[3:4], v[9:10]
	v_mul_f64 v[13:14], v[5:6], v[9:10]
	;; [unrolled: 1-line block ×3, first 2 shown]
	v_fma_f64 v[3:4], v[3:4], v[9:10], -v[11:12]
	v_fma_f64 v[5:6], v[5:6], v[9:10], -v[13:14]
	;; [unrolled: 1-line block ×3, first 2 shown]
	v_add_f64 v[15:16], v[13:14], v[3:4]
	v_add_f64 v[19:20], v[15:16], -v[13:14]
	v_add_f64 v[25:26], v[11:12], v[15:16]
	v_add_f64 v[21:22], v[15:16], -v[19:20]
	v_add_f64 v[3:4], v[3:4], -v[19:20]
	v_add_f64 v[19:20], v[23:24], v[5:6]
	v_add_f64 v[11:12], v[25:26], -v[11:12]
	v_add_f64 v[13:14], v[13:14], -v[21:22]
	v_ldexp_f64 v[21:22], v[25:26], -2
	v_add_f64 v[29:30], v[19:20], -v[23:24]
	v_add_f64 v[11:12], v[15:16], -v[11:12]
	v_add_f64 v[3:4], v[3:4], v[13:14]
	v_fract_f64_e32 v[13:14], v[21:22]
	v_cmp_neq_f64_e64 vcc, |v[21:22]|, s[0:1]
	v_add_f64 v[5:6], v[5:6], -v[29:30]
	v_add_f64 v[15:16], v[19:20], v[3:4]
	v_ldexp_f64 v[13:14], v[13:14], 2
	v_add_f64 v[21:22], v[11:12], v[15:16]
	v_cndmask_b32_e32 v14, 0, v14, vcc
	v_cndmask_b32_e32 v13, 0, v13, vcc
	v_add_f64 v[31:32], v[15:16], -v[19:20]
	v_add_f64 v[25:26], v[21:22], v[13:14]
	v_add_f64 v[11:12], v[21:22], -v[11:12]
	v_add_f64 v[33:34], v[15:16], -v[31:32]
	;; [unrolled: 1-line block ×3, first 2 shown]
	v_cmp_gt_f64_e32 vcc, 0, v[25:26]
	v_add_f64 v[25:26], v[19:20], -v[29:30]
	v_add_f64 v[11:12], v[15:16], -v[11:12]
	;; [unrolled: 1-line block ×3, first 2 shown]
	v_cndmask_b32_e32 v28, 0, v28, vcc
	v_add_f64 v[13:14], v[13:14], v[27:28]
	v_add_f64 v[25:26], v[23:24], -v[25:26]
	v_add_f64 v[3:4], v[3:4], v[19:20]
	v_add_f64 v[35:36], v[21:22], v[13:14]
	;; [unrolled: 1-line block ×3, first 2 shown]
	v_cvt_i32_f64_e32 v30, v[35:36]
	v_add_f64 v[3:4], v[5:6], v[3:4]
	v_cvt_f64_i32_e32 v[28:29], v30
	v_add_f64 v[13:14], v[13:14], -v[28:29]
	v_add_f64 v[3:4], v[9:10], v[3:4]
	v_add_f64 v[5:6], v[21:22], v[13:14]
	;; [unrolled: 1-line block ×3, first 2 shown]
	v_mov_b32_e32 v12, 0x3ff00000
	v_add_f64 v[9:10], v[5:6], -v[13:14]
	v_cmp_le_f64_e32 vcc, 0.5, v[5:6]
	v_add_f64 v[10:11], v[21:22], -v[9:10]
	v_cndmask_b32_e32 v28, 0, v12, vcc
	v_add_f64 v[5:6], v[5:6], -v[27:28]
	v_addc_co_u32_e64 v9, s[0:1], 0, v30, vcc
	s_mov_b32 s0, 0x33145c07
	s_mov_b32 s1, 0x3c91a626
	v_add_f64 v[3:4], v[3:4], v[10:11]
	v_add_f64 v[10:11], v[5:6], v[3:4]
	v_mul_f64 v[12:13], v[10:11], s[14:15]
	v_add_f64 v[5:6], v[10:11], -v[5:6]
	v_fma_f64 v[14:15], v[10:11], s[14:15], -v[12:13]
	v_add_f64 v[3:4], v[3:4], -v[5:6]
	v_fma_f64 v[5:6], v[10:11], s[0:1], v[14:15]
	v_fma_f64 v[5:6], v[3:4], s[14:15], v[5:6]
	v_add_f64 v[3:4], v[12:13], v[5:6]
	v_add_f64 v[10:11], v[3:4], -v[12:13]
	v_add_f64 v[5:6], v[5:6], -v[10:11]
.LBB29_30:
	s_andn2_saveexec_b64 s[0:1], s[16:17]
	s_cbranch_execz .LBB29_32
; %bb.31:
	s_mov_b32 s14, 0x6dc9c883
	s_mov_b32 s15, 0x3fe45f30
	v_mul_f64 v[3:4], |v[1:2]|, s[14:15]
	s_mov_b32 s14, 0x54442d18
	s_mov_b32 s15, 0xbff921fb
	;; [unrolled: 1-line block ×4, first 2 shown]
	v_rndne_f64_e32 v[9:10], v[3:4]
	v_fma_f64 v[3:4], v[9:10], s[14:15], |v[1:2]|
	v_mul_f64 v[5:6], v[9:10], s[16:17]
	s_mov_b32 s14, 0x252049c0
	s_mov_b32 s15, 0xb97b839a
	v_fma_f64 v[15:16], v[9:10], s[16:17], v[3:4]
	v_add_f64 v[11:12], v[3:4], v[5:6]
	s_mov_b32 s17, 0x3c91a626
	v_add_f64 v[13:14], v[3:4], -v[11:12]
	v_add_f64 v[11:12], v[11:12], -v[15:16]
	v_add_f64 v[3:4], v[13:14], v[5:6]
	v_fma_f64 v[5:6], v[9:10], s[16:17], v[5:6]
	v_add_f64 v[3:4], v[11:12], v[3:4]
	v_add_f64 v[3:4], v[3:4], -v[5:6]
	v_fma_f64 v[5:6], v[9:10], s[14:15], v[3:4]
	v_cvt_i32_f64_e32 v9, v[9:10]
	v_add_f64 v[3:4], v[15:16], v[5:6]
	v_add_f64 v[11:12], v[3:4], -v[15:16]
	v_add_f64 v[5:6], v[5:6], -v[11:12]
.LBB29_32:
	s_or_b64 exec, exec, s[0:1]
	v_mul_f64 v[10:11], v[3:4], v[3:4]
	v_add_f64 v[12:13], v[5:6], v[5:6]
	s_mov_b32 s0, 0xc751c08c
	s_mov_b32 s1, 0x3ef5e089
	v_and_b32_e32 v9, 1, v9
	v_cmp_eq_u32_e32 vcc, 0, v9
	s_mov_b32 s16, 0x54442d18
	s_mov_b32 s17, 0xc00921fb
	v_fma_f64 v[14:15], v[3:4], v[3:4], -v[10:11]
	s_mov_b64 s[14:15], exec
	v_sub_f32_e32 v7, 1.0, v7
	v_fma_f64 v[12:13], v[3:4], v[12:13], v[14:15]
	v_add_f64 v[10:11], v[10:11], v[12:13]
	v_mov_b32_e32 v12, 0xa9a29f71
	v_mov_b32_e32 v13, 0xbf078809
	v_fma_f64 v[12:13], v[10:11], s[0:1], v[12:13]
	s_mov_b32 s0, 0x90a8aae0
	s_mov_b32 s1, 0x3f17746f
	v_fma_f64 v[12:13], v[10:11], v[12:13], s[0:1]
	s_mov_b32 s0, 0xa6fbf144
	s_mov_b32 s1, 0xbefbb44d
	;; [unrolled: 3-line block ×12, first 2 shown]
	v_fma_f64 v[12:13], v[10:11], v[12:13], s[0:1]
	s_movk_i32 s0, 0x1f8
	v_cmp_class_f64_e64 s[0:1], v[1:2], s0
	v_mul_f64 v[10:11], v[10:11], v[12:13]
	v_mul_f64 v[12:13], v[3:4], v[10:11]
	v_add_f64 v[14:15], v[3:4], v[12:13]
	v_fma_f64 v[10:11], v[3:4], v[10:11], -v[12:13]
	v_add_f64 v[3:4], v[14:15], -v[3:4]
	v_add_f64 v[5:6], v[5:6], v[10:11]
	v_add_f64 v[3:4], v[12:13], -v[3:4]
	v_add_f64 v[3:4], v[5:6], v[3:4]
	v_add_f64 v[5:6], v[14:15], v[3:4]
	v_rcp_f64_e32 v[10:11], v[5:6]
	v_fma_f64 v[12:13], -v[5:6], v[10:11], 1.0
	v_fma_f64 v[10:11], v[12:13], v[10:11], v[10:11]
	v_fma_f64 v[12:13], -v[5:6], v[10:11], 1.0
	v_fma_f64 v[10:11], v[12:13], v[10:11], v[10:11]
	v_add_f64 v[12:13], v[5:6], -v[14:15]
	v_mul_f64 v[14:15], v[5:6], v[10:11]
	v_add_f64 v[3:4], v[3:4], -v[12:13]
	v_fma_f64 v[12:13], v[10:11], v[5:6], -v[14:15]
	v_fma_f64 v[3:4], v[10:11], v[3:4], v[12:13]
	v_add_f64 v[12:13], v[14:15], v[3:4]
	v_add_f64 v[16:17], -v[12:13], 1.0
	v_add_f64 v[14:15], v[12:13], -v[14:15]
	v_add_f64 v[18:19], -v[16:17], 1.0
	v_add_f64 v[3:4], v[14:15], -v[3:4]
	v_add_f64 v[12:13], v[18:19], -v[12:13]
	v_add_f64 v[3:4], v[3:4], v[12:13]
	v_add_f64 v[3:4], v[16:17], v[3:4]
	v_mul_f64 v[3:4], v[10:11], v[3:4]
	v_add_f64 v[3:4], v[10:11], v[3:4]
	v_and_b32_e32 v10, 0x80000000, v2
	v_mov_b32_e32 v2, 0x7ff80000
	v_xor_b32_e32 v1, 0x80000000, v4
	v_cndmask_b32_e32 v3, v3, v5, vcc
	v_cndmask_b32_e32 v4, v1, v6, vcc
	v_cndmask_b32_e64 v1, 0, v3, s[0:1]
	v_xor_b32_e32 v3, v4, v10
	v_cndmask_b32_e64 v2, v2, v3, s[0:1]
	v_div_scale_f64 v[3:4], s[0:1], v[1:2], v[1:2], s[16:17]
	v_div_scale_f64 v[11:12], vcc, s[16:17], v[1:2], s[16:17]
	v_rcp_f64_e32 v[5:6], v[3:4]
	v_fma_f64 v[9:10], -v[3:4], v[5:6], 1.0
	v_fma_f64 v[5:6], v[5:6], v[9:10], v[5:6]
	v_fma_f64 v[9:10], -v[3:4], v[5:6], 1.0
	v_fma_f64 v[5:6], v[5:6], v[9:10], v[5:6]
	v_mul_f64 v[9:10], v[11:12], v[5:6]
	v_fma_f64 v[3:4], -v[3:4], v[9:10], v[11:12]
	v_div_fmas_f64 v[3:4], v[3:4], v[5:6], v[9:10]
	v_div_fixup_f64 v[1:2], v[3:4], v[1:2], s[16:17]
	v_cvt_f32_f64_e32 v1, v[1:2]
.LBB29_33:
	s_or_b64 exec, exec, s[12:13]
	s_orn2_b64 s[0:1], s[14:15], exec
.LBB29_34:
	s_or_b64 exec, exec, s[10:11]
	v_mov_b32_e32 v2, 0x7e00
	s_and_saveexec_b64 s[10:11], s[0:1]
	s_cbranch_execz .LBB29_46
; %bb.35:
	s_mov_b32 s14, 0x41200000
	v_cmp_gt_f32_e32 vcc, s14, v7
	s_and_saveexec_b64 s[0:1], vcc
	s_cbranch_execz .LBB29_39
; %bb.36:
	s_mov_b64 s[12:13], 0
.LBB29_37:                              ; =>This Inner Loop Header: Depth=1
	v_div_scale_f32 v2, s[16:17], v7, v7, 1.0
	v_div_scale_f32 v3, vcc, 1.0, v7, 1.0
	v_rcp_f32_e32 v4, v2
	v_fma_f32 v5, -v2, v4, 1.0
	v_fmac_f32_e32 v4, v5, v4
	v_mul_f32_e32 v5, v3, v4
	v_fma_f32 v6, -v2, v5, v3
	v_fmac_f32_e32 v5, v6, v4
	v_fma_f32 v2, -v2, v5, v3
	v_div_fmas_f32 v2, v2, v4, v5
	v_div_fixup_f32 v2, v2, v7, 1.0
	v_add_f32_e32 v7, 1.0, v7
	v_cmp_ngt_f32_e32 vcc, s14, v7
	s_or_b64 s[12:13], vcc, s[12:13]
	v_sub_f32_e32 v1, v1, v2
	s_andn2_b64 exec, exec, s[12:13]
	s_cbranch_execnz .LBB29_37
; %bb.38:
	s_or_b64 exec, exec, s[12:13]
.LBB29_39:
	s_or_b64 exec, exec, s[0:1]
	s_mov_b32 s0, 0x41200000
	v_cmp_neq_f32_e32 vcc, s0, v7
                                        ; implicit-def: $vgpr2
	s_and_saveexec_b64 s[0:1], vcc
	s_xor_b64 s[12:13], exec, s[0:1]
	s_cbranch_execz .LBB29_43
; %bb.40:
	v_cvt_f64_f32_e32 v[2:3], v7
	s_mov_b32 s0, 0x85d8a000
	s_mov_b32 s1, 0x43763457
	v_cmp_gt_f64_e32 vcc, s[0:1], v[2:3]
	v_mov_b32_e32 v2, 0
	s_and_saveexec_b64 s[0:1], vcc
	s_cbranch_execz .LBB29_42
; %bb.41:
	v_mul_f32_e32 v2, v7, v7
	v_div_scale_f32 v3, s[14:15], v2, v2, 1.0
	v_div_scale_f32 v4, vcc, 1.0, v2, 1.0
	v_mov_b32_e32 v10, 0x3b820821
	v_rcp_f32_e32 v5, v3
	v_fma_f32 v6, -v3, v5, 1.0
	v_fmac_f32_e32 v5, v6, v5
	v_mul_f32_e32 v6, v4, v5
	v_fma_f32 v9, -v3, v6, v4
	v_fmac_f32_e32 v6, v9, v5
	v_fma_f32 v3, -v3, v6, v4
	v_div_fmas_f32 v3, v3, v5, v6
	v_mov_b32_e32 v4, 0x3daaaaab
	v_mov_b32_e32 v5, 0xbcaccacd
	v_mov_b32_e32 v6, 0x3bf83e10
	v_mov_b32_e32 v9, 0xbb888889
	v_div_fixup_f32 v2, v3, v2, 1.0
	v_fma_f32 v3, 0, v2, v4
	v_fmac_f32_e32 v5, v2, v3
	v_fmac_f32_e32 v6, v2, v5
	;; [unrolled: 1-line block ×4, first 2 shown]
	v_mov_b32_e32 v3, 0xbc088889
	v_fmac_f32_e32 v3, v2, v10
	v_fmac_f32_e32 v4, v2, v3
	v_mul_f32_e32 v2, v2, v4
.LBB29_42:
	s_or_b64 exec, exec, s[0:1]
	v_div_scale_f32 v3, s[0:1], v7, v7, -0.5
	v_div_scale_f32 v4, vcc, -0.5, v7, -0.5
	s_mov_b32 s0, 0x800000
	v_cmp_gt_f32_e64 s[0:1], s0, v7
	v_cndmask_b32_e64 v6, 0, 32, s[0:1]
	s_mov_b32 s14, 0x3f317217
	v_rcp_f32_e32 v5, v3
	v_fma_f32 v9, -v3, v5, 1.0
	v_fmac_f32_e32 v5, v9, v5
	v_mul_f32_e32 v9, v4, v5
	v_fma_f32 v10, -v3, v9, v4
	v_fmac_f32_e32 v9, v10, v5
	v_fma_f32 v3, -v3, v9, v4
	v_div_fmas_f32 v3, v3, v5, v9
	v_ldexp_f32 v4, v7, v6
	v_log_f32_e32 v4, v4
	v_mul_f32_e32 v5, 0x3f317217, v4
	v_fma_f32 v5, v4, s14, -v5
	v_fmac_f32_e32 v5, 0x3377d1cf, v4
	s_mov_b32 s14, 0x7f800000
	v_fmac_f32_e32 v5, 0x3f317217, v4
	v_cmp_lt_f32_e64 vcc, |v4|, s14
	v_cndmask_b32_e32 v4, v4, v5, vcc
	v_mov_b32_e32 v5, 0x41b17218
	v_cndmask_b32_e64 v5, 0, v5, s[0:1]
	v_sub_f32_e32 v4, v4, v5
	v_div_fixup_f32 v3, v3, v7, -0.5
	v_add_f32_e32 v3, v4, v3
	v_sub_f32_e32 v2, v3, v2
	v_add_f32_e32 v1, v1, v2
	v_cvt_f16_f32_e32 v2, v1
                                        ; implicit-def: $vgpr1
.LBB29_43:
	s_andn2_saveexec_b64 s[0:1], s[12:13]
; %bb.44:
	v_add_f32_e32 v1, 0x40101cb7, v1
	v_cvt_f16_f32_e32 v2, v1
; %bb.45:
	s_or_b64 exec, exec, s[0:1]
.LBB29_46:
	s_or_b64 exec, exec, s[10:11]
                                        ; implicit-def: $vgpr7
.LBB29_47:
	s_andn2_saveexec_b64 s[0:1], s[8:9]
; %bb.48:
	v_xor_b32_e32 v1, 0x80000000, v7
	s_movk_i32 s8, 0x8000
	v_and_b32_sdwa v1, v1, s8 dst_sel:DWORD dst_unused:UNUSED_PAD src0_sel:WORD_1 src1_sel:DWORD
	v_or_b32_e32 v2, 0x7c00, v1
; %bb.49:
	s_or_b64 exec, exec, s[0:1]
	v_mov_b32_e32 v1, s25
	s_and_b32 s14, s73, 0xff
	v_add_co_u32_e32 v0, vcc, s24, v0
	s_cmp_lt_i32 s14, 11
	v_addc_co_u32_e32 v1, vcc, 0, v1, vcc
	s_cbranch_scc1 .LBB29_57
; %bb.50:
	s_and_b32 s15, 0xffff, s14
	s_cmp_gt_i32 s15, 25
	s_cbranch_scc0 .LBB29_60
; %bb.51:
	s_cmp_gt_i32 s15, 28
	s_cbranch_scc0 .LBB29_62
; %bb.52:
	;; [unrolled: 3-line block ×4, first 2 shown]
	s_mov_b64 s[10:11], 0
	s_mov_b64 s[0:1], -1
	s_cmp_eq_u32 s15, 46
	s_mov_b64 s[8:9], 0
	s_cbranch_scc0 .LBB29_71
; %bb.55:
	v_cvt_f32_f16_e32 v3, v2
	s_movk_i32 s0, 0x7fff
	v_cmp_o_f16_e32 vcc, v2, v2
	v_mov_b32_e32 v4, 0x7fc0
	v_bfe_u32 v5, v3, 16, 1
	v_add3_u32 v3, v3, v5, s0
	v_cndmask_b32_sdwa v3, v4, v3, vcc dst_sel:DWORD dst_unused:UNUSED_PAD src0_sel:DWORD src1_sel:WORD_1
	global_store_dword v[0:1], v3, off
	s_mov_b64 s[8:9], -1
	s_mov_b64 s[0:1], 0
	s_branch .LBB29_71
.LBB29_56:
	s_mov_b64 s[2:3], 0
	s_mov_b64 s[0:1], 0
                                        ; implicit-def: $vgpr3
	s_cbranch_execnz .LBB29_205
	s_branch .LBB29_239
.LBB29_57:
	s_mov_b64 s[0:1], 0
	s_mov_b64 s[8:9], 0
	s_cbranch_execnz .LBB29_140
.LBB29_58:
	s_andn2_b64 vcc, exec, s[8:9]
	s_cbranch_vccnz .LBB29_288
	s_branch .LBB29_178
.LBB29_59:
	s_mov_b64 s[8:9], -1
	s_mov_b64 s[2:3], 0
	s_mov_b64 s[0:1], 0
                                        ; implicit-def: $vgpr3
	s_branch .LBB29_186
.LBB29_60:
	s_mov_b64 s[10:11], -1
	s_mov_b64 s[0:1], 0
	s_mov_b64 s[8:9], 0
	s_branch .LBB29_98
.LBB29_61:
	s_mov_b64 s[8:9], -1
	s_mov_b64 s[2:3], 0
	s_mov_b64 s[0:1], 0
                                        ; implicit-def: $vgpr3
	s_branch .LBB29_181
.LBB29_62:
	s_mov_b64 s[10:11], -1
	s_mov_b64 s[0:1], 0
	s_mov_b64 s[8:9], 0
	s_branch .LBB29_81
.LBB29_63:
	s_mov_b64 s[8:9], -1
	s_mov_b64 s[2:3], 0
	s_branch .LBB29_66
.LBB29_64:
	s_mov_b64 s[10:11], -1
	s_mov_b64 s[0:1], 0
	s_mov_b64 s[8:9], 0
	s_branch .LBB29_77
.LBB29_65:
	s_mov_b64 s[2:3], -1
.LBB29_66:
	s_mov_b64 s[0:1], 0
                                        ; implicit-def: $vgpr3
.LBB29_67:
	s_and_b64 vcc, exec, s[8:9]
	s_cbranch_vccz .LBB29_180
; %bb.68:
	s_cmp_eq_u32 s12, 44
	s_cbranch_scc0 .LBB29_179
; %bb.69:
	global_load_ubyte v3, v[1:2], off
	s_movk_i32 s2, 0xff
	v_mov_b32_e32 v5, 0x7e00
	s_mov_b64 s[0:1], -1
	s_waitcnt vmcnt(0)
	v_lshlrev_b32_e32 v4, 23, v3
	v_cvt_f16_f32_e32 v4, v4
	v_cmp_ne_u32_e32 vcc, s2, v3
	s_mov_b64 s[2:3], 0
	v_cndmask_b32_e32 v4, v5, v4, vcc
	v_cmp_ne_u32_e32 vcc, 0, v3
	v_cndmask_b32_e32 v3, 0, v4, vcc
	s_branch .LBB29_180
.LBB29_70:
	s_mov_b64 s[10:11], -1
	s_mov_b64 s[0:1], 0
	s_mov_b64 s[8:9], 0
.LBB29_71:
	s_and_b64 vcc, exec, s[10:11]
	s_cbranch_vccz .LBB29_76
; %bb.72:
	s_cmp_eq_u32 s15, 44
	s_mov_b64 s[0:1], -1
	s_cbranch_scc0 .LBB29_76
; %bb.73:
	v_cvt_f32_f16_e32 v3, v2
	s_movk_i32 s0, 0xff
	v_mov_b32_e32 v5, 0xff
	v_bfe_u32 v4, v3, 23, 8
	v_cmp_ne_u32_e32 vcc, s0, v4
	s_and_saveexec_b64 s[8:9], vcc
; %bb.74:
	s_mov_b32 s0, 0x3fffff
	v_lshrrev_b32_e32 v5, 23, v3
	v_and_b32_e32 v6, 0x400000, v3
	v_and_or_b32 v3, v3, s0, v4
	v_cmp_ne_u32_e32 vcc, 0, v6
	v_cmp_ne_u32_e64 s[0:1], 0, v3
	s_and_b64 s[0:1], vcc, s[0:1]
	v_cndmask_b32_e64 v3, 0, 1, s[0:1]
	v_add_u32_e32 v5, v5, v3
; %bb.75:
	s_or_b64 exec, exec, s[8:9]
	s_mov_b64 s[8:9], -1
	s_mov_b64 s[0:1], 0
	global_store_byte v[0:1], v5, off
.LBB29_76:
	s_mov_b64 s[10:11], 0
.LBB29_77:
	s_and_b64 vcc, exec, s[10:11]
	s_cbranch_vccz .LBB29_80
; %bb.78:
	s_cmp_eq_u32 s15, 29
	s_mov_b64 s[0:1], -1
	s_cbranch_scc0 .LBB29_80
; %bb.79:
	v_cvt_f32_f16_e32 v3, v2
	v_mov_b32_e32 v4, 0
	s_mov_b64 s[8:9], -1
	s_mov_b64 s[0:1], 0
	v_cvt_u32_f32_e32 v3, v3
	s_mov_b64 s[10:11], 0
	global_store_dwordx2 v[0:1], v[3:4], off
	s_branch .LBB29_81
.LBB29_80:
	s_mov_b64 s[10:11], 0
.LBB29_81:
	s_and_b64 vcc, exec, s[10:11]
	s_cbranch_vccz .LBB29_97
; %bb.82:
	s_cmp_lt_i32 s15, 27
	s_mov_b64 s[8:9], -1
	s_cbranch_scc1 .LBB29_88
; %bb.83:
	s_cmp_gt_i32 s15, 27
	s_cbranch_scc0 .LBB29_85
; %bb.84:
	v_cvt_f32_f16_e32 v3, v2
	s_mov_b64 s[8:9], 0
	v_cvt_u32_f32_e32 v3, v3
	global_store_dword v[0:1], v3, off
.LBB29_85:
	s_andn2_b64 vcc, exec, s[8:9]
	s_cbranch_vccnz .LBB29_87
; %bb.86:
	v_cvt_u16_f16_e32 v3, v2
	global_store_short v[0:1], v3, off
.LBB29_87:
	s_mov_b64 s[8:9], 0
.LBB29_88:
	s_andn2_b64 vcc, exec, s[8:9]
	s_cbranch_vccnz .LBB29_96
; %bb.89:
	v_cvt_f32_f16_e32 v3, v2
	s_mov_b32 s8, 0x43800000
	v_mov_b32_e32 v5, 0x80
	v_and_b32_e32 v4, 0x7fffffff, v3
	v_cmp_gt_u32_e32 vcc, s8, v4
	s_and_saveexec_b64 s[8:9], vcc
	s_cbranch_execz .LBB29_95
; %bb.90:
	s_mov_b32 s10, 0x3bffffff
	v_cmp_lt_u32_e32 vcc, s10, v4
	s_mov_b64 s[10:11], 0
                                        ; implicit-def: $vgpr4
	s_and_saveexec_b64 s[12:13], vcc
	s_xor_b64 s[12:13], exec, s[12:13]
	s_cbranch_execz .LBB29_355
; %bb.91:
	v_bfe_u32 v4, v3, 20, 1
	s_mov_b32 s16, 0x487ffff
	v_add3_u32 v4, v3, v4, s16
	s_mov_b64 s[10:11], exec
	v_lshrrev_b32_e32 v4, 20, v4
	s_andn2_saveexec_b64 s[12:13], s[12:13]
	s_cbranch_execnz .LBB29_356
.LBB29_92:
	s_or_b64 exec, exec, s[12:13]
	v_mov_b32_e32 v5, 0
	s_and_saveexec_b64 s[12:13], s[10:11]
.LBB29_93:
	v_lshrrev_b32_e32 v3, 24, v3
	s_movk_i32 s10, 0x80
	v_and_or_b32 v5, v3, s10, v4
.LBB29_94:
	s_or_b64 exec, exec, s[12:13]
.LBB29_95:
	s_or_b64 exec, exec, s[8:9]
	global_store_byte v[0:1], v5, off
.LBB29_96:
	s_mov_b64 s[8:9], -1
.LBB29_97:
	s_mov_b64 s[10:11], 0
.LBB29_98:
	s_and_b64 vcc, exec, s[10:11]
	s_cbranch_vccz .LBB29_139
; %bb.99:
	s_cmp_gt_i32 s15, 22
	s_mov_b64 s[10:11], -1
	s_cbranch_scc0 .LBB29_131
; %bb.100:
	s_cmp_lt_i32 s15, 24
	s_mov_b64 s[8:9], -1
	s_cbranch_scc1 .LBB29_120
; %bb.101:
	s_cmp_gt_i32 s15, 24
	s_cbranch_scc0 .LBB29_109
; %bb.102:
	v_cvt_f32_f16_e32 v3, v2
	s_mov_b32 s8, 0x47800000
	v_mov_b32_e32 v5, 0x80
	v_and_b32_e32 v4, 0x7fffffff, v3
	v_cmp_gt_u32_e32 vcc, s8, v4
	s_and_saveexec_b64 s[8:9], vcc
	s_cbranch_execz .LBB29_108
; %bb.103:
	s_mov_b32 s10, 0x37ffffff
	v_cmp_lt_u32_e32 vcc, s10, v4
	s_mov_b64 s[10:11], 0
                                        ; implicit-def: $vgpr4
	s_and_saveexec_b64 s[12:13], vcc
	s_xor_b64 s[12:13], exec, s[12:13]
	s_cbranch_execz .LBB29_359
; %bb.104:
	v_bfe_u32 v4, v3, 21, 1
	s_mov_b32 s16, 0x88fffff
	v_add3_u32 v4, v3, v4, s16
	s_mov_b64 s[10:11], exec
	v_lshrrev_b32_e32 v4, 21, v4
	s_andn2_saveexec_b64 s[12:13], s[12:13]
	s_cbranch_execnz .LBB29_360
.LBB29_105:
	s_or_b64 exec, exec, s[12:13]
	v_mov_b32_e32 v5, 0
	s_and_saveexec_b64 s[12:13], s[10:11]
.LBB29_106:
	v_lshrrev_b32_e32 v3, 24, v3
	s_movk_i32 s10, 0x80
	v_and_or_b32 v5, v3, s10, v4
.LBB29_107:
	s_or_b64 exec, exec, s[12:13]
.LBB29_108:
	s_or_b64 exec, exec, s[8:9]
	s_mov_b64 s[8:9], 0
	global_store_byte v[0:1], v5, off
.LBB29_109:
	s_and_b64 vcc, exec, s[8:9]
	s_cbranch_vccz .LBB29_119
; %bb.110:
	v_cvt_f32_f16_e32 v3, v2
	s_mov_b32 s8, 0x43f00000
                                        ; implicit-def: $vgpr4
	v_and_b32_e32 v5, 0x7fffffff, v3
	v_cmp_gt_u32_e32 vcc, s8, v5
	s_and_saveexec_b64 s[8:9], vcc
	s_xor_b64 s[8:9], exec, s[8:9]
	s_cbranch_execz .LBB29_116
; %bb.111:
	s_mov_b32 s10, 0x3c7fffff
	v_cmp_lt_u32_e32 vcc, s10, v5
                                        ; implicit-def: $vgpr4
	s_and_saveexec_b64 s[10:11], vcc
	s_xor_b64 s[10:11], exec, s[10:11]
; %bb.112:
	v_bfe_u32 v4, v3, 20, 1
	s_mov_b32 s12, 0x407ffff
	v_add3_u32 v4, v3, v4, s12
	v_lshrrev_b32_e32 v5, 20, v4
	v_and_b32_e32 v4, 0xff00000, v4
	s_mov_b32 s12, 0x7f00000
	v_mov_b32_e32 v6, 0x7e
	v_cmp_ne_u32_e32 vcc, s12, v4
	v_cndmask_b32_e32 v4, v6, v5, vcc
; %bb.113:
	s_andn2_saveexec_b64 s[10:11], s[10:11]
; %bb.114:
	s_mov_b32 s12, 0x46800000
	v_add_f32_e64 v4, |v3|, s12
; %bb.115:
	s_or_b64 exec, exec, s[10:11]
                                        ; implicit-def: $vgpr5
.LBB29_116:
	s_andn2_saveexec_b64 s[8:9], s[8:9]
; %bb.117:
	s_mov_b32 s10, 0x7f800000
	v_mov_b32_e32 v4, 0x7e
	v_mov_b32_e32 v6, 0x7f
	v_cmp_lt_u32_e32 vcc, s10, v5
	v_cndmask_b32_e32 v4, v4, v6, vcc
; %bb.118:
	s_or_b64 exec, exec, s[8:9]
	v_lshrrev_b32_e32 v3, 24, v3
	s_movk_i32 s8, 0x80
	v_and_or_b32 v3, v3, s8, v4
	global_store_byte v[0:1], v3, off
.LBB29_119:
	s_mov_b64 s[8:9], 0
.LBB29_120:
	s_andn2_b64 vcc, exec, s[8:9]
	s_cbranch_vccnz .LBB29_130
; %bb.121:
	v_cvt_f32_f16_e32 v3, v2
	s_mov_b32 s8, 0x47800000
                                        ; implicit-def: $vgpr4
	v_and_b32_e32 v5, 0x7fffffff, v3
	v_cmp_gt_u32_e32 vcc, s8, v5
	s_and_saveexec_b64 s[8:9], vcc
	s_xor_b64 s[8:9], exec, s[8:9]
	s_cbranch_execz .LBB29_127
; %bb.122:
	s_mov_b32 s10, 0x387fffff
	v_cmp_lt_u32_e32 vcc, s10, v5
                                        ; implicit-def: $vgpr4
	s_and_saveexec_b64 s[10:11], vcc
	s_xor_b64 s[10:11], exec, s[10:11]
; %bb.123:
	v_bfe_u32 v4, v3, 21, 1
	s_mov_b32 s12, 0x80fffff
	v_add3_u32 v4, v3, v4, s12
	v_lshrrev_b32_e32 v4, 21, v4
; %bb.124:
	s_andn2_saveexec_b64 s[10:11], s[10:11]
; %bb.125:
	s_mov_b32 s12, 0x43000000
	v_add_f32_e64 v4, |v3|, s12
; %bb.126:
	s_or_b64 exec, exec, s[10:11]
                                        ; implicit-def: $vgpr5
.LBB29_127:
	s_andn2_saveexec_b64 s[8:9], s[8:9]
; %bb.128:
	s_mov_b32 s10, 0x7f800000
	v_mov_b32_e32 v4, 0x7c
	v_mov_b32_e32 v6, 0x7f
	v_cmp_lt_u32_e32 vcc, s10, v5
	v_cndmask_b32_e32 v4, v4, v6, vcc
; %bb.129:
	s_or_b64 exec, exec, s[8:9]
	v_lshrrev_b32_e32 v3, 24, v3
	s_movk_i32 s8, 0x80
	v_and_or_b32 v3, v3, s8, v4
	global_store_byte v[0:1], v3, off
.LBB29_130:
	s_mov_b64 s[10:11], 0
	s_mov_b64 s[8:9], -1
.LBB29_131:
	s_andn2_b64 vcc, exec, s[10:11]
	s_cbranch_vccnz .LBB29_139
; %bb.132:
	s_cmp_gt_i32 s15, 14
	s_mov_b64 s[10:11], -1
	s_cbranch_scc0 .LBB29_136
; %bb.133:
	s_cmp_eq_u32 s15, 15
	s_mov_b64 s[0:1], -1
	s_cbranch_scc0 .LBB29_135
; %bb.134:
	v_cvt_f32_f16_e32 v3, v2
	s_movk_i32 s0, 0x7fff
	v_cmp_o_f16_e32 vcc, v2, v2
	v_mov_b32_e32 v4, 0x7fc0
	v_bfe_u32 v5, v3, 16, 1
	v_add3_u32 v3, v3, v5, s0
	v_cndmask_b32_sdwa v3, v4, v3, vcc dst_sel:DWORD dst_unused:UNUSED_PAD src0_sel:DWORD src1_sel:WORD_1
	global_store_short v[0:1], v3, off
	s_mov_b64 s[8:9], -1
	s_mov_b64 s[0:1], 0
.LBB29_135:
	s_mov_b64 s[10:11], 0
.LBB29_136:
	s_and_b64 vcc, exec, s[10:11]
	s_cbranch_vccz .LBB29_139
; %bb.137:
	s_cmp_eq_u32 s15, 11
	s_mov_b64 s[0:1], -1
	s_cbranch_scc0 .LBB29_139
; %bb.138:
	v_and_b32_e32 v3, 0x7fff, v2
	v_cmp_ne_u16_e32 vcc, 0, v3
	v_cndmask_b32_e64 v3, 0, 1, vcc
	s_mov_b64 s[8:9], -1
	s_mov_b64 s[0:1], 0
	global_store_byte v[0:1], v3, off
.LBB29_139:
	s_branch .LBB29_58
.LBB29_140:
	s_and_b32 s10, 0xffff, s14
	s_cmp_lt_i32 s10, 5
	s_mov_b64 s[8:9], -1
	s_cbranch_scc1 .LBB29_161
; %bb.141:
	s_cmp_lt_i32 s10, 8
	s_cbranch_scc1 .LBB29_151
; %bb.142:
	s_cmp_lt_i32 s10, 9
	s_cbranch_scc1 .LBB29_148
; %bb.143:
	s_cmp_gt_i32 s10, 9
	s_cbranch_scc0 .LBB29_145
; %bb.144:
	v_cvt_f32_f16_e32 v3, v2
	v_mov_b32_e32 v5, 0
	v_mov_b32_e32 v6, v5
	s_mov_b64 s[8:9], 0
	v_cvt_f64_f32_e32 v[3:4], v3
	global_store_dwordx4 v[0:1], v[3:6], off
.LBB29_145:
	s_andn2_b64 vcc, exec, s[8:9]
	s_cbranch_vccnz .LBB29_147
; %bb.146:
	v_cvt_f32_f16_e32 v3, v2
	v_mov_b32_e32 v4, 0
	global_store_dwordx2 v[0:1], v[3:4], off
.LBB29_147:
	s_mov_b64 s[8:9], 0
.LBB29_148:
	s_andn2_b64 vcc, exec, s[8:9]
	s_cbranch_vccnz .LBB29_150
; %bb.149:
	v_and_b32_e32 v3, 0xffff, v2
	global_store_dword v[0:1], v3, off
.LBB29_150:
	s_mov_b64 s[8:9], 0
.LBB29_151:
	s_andn2_b64 vcc, exec, s[8:9]
	s_cbranch_vccnz .LBB29_160
; %bb.152:
	s_cmp_lt_i32 s10, 6
	s_mov_b64 s[8:9], -1
	s_cbranch_scc1 .LBB29_158
; %bb.153:
	s_cmp_gt_i32 s10, 6
	s_cbranch_scc0 .LBB29_155
; %bb.154:
	v_cvt_f32_f16_e32 v3, v2
	s_mov_b64 s[8:9], 0
	v_cvt_f64_f32_e32 v[3:4], v3
	global_store_dwordx2 v[0:1], v[3:4], off
.LBB29_155:
	s_andn2_b64 vcc, exec, s[8:9]
	s_cbranch_vccnz .LBB29_157
; %bb.156:
	v_cvt_f32_f16_e32 v3, v2
	global_store_dword v[0:1], v3, off
.LBB29_157:
	s_mov_b64 s[8:9], 0
.LBB29_158:
	s_andn2_b64 vcc, exec, s[8:9]
	s_cbranch_vccnz .LBB29_160
; %bb.159:
	global_store_short v[0:1], v2, off
.LBB29_160:
	s_mov_b64 s[8:9], 0
.LBB29_161:
	s_andn2_b64 vcc, exec, s[8:9]
	s_cbranch_vccnz .LBB29_177
; %bb.162:
	s_cmp_lt_i32 s10, 2
	s_mov_b64 s[8:9], -1
	s_cbranch_scc1 .LBB29_172
; %bb.163:
	s_cmp_lt_i32 s10, 3
	s_cbranch_scc1 .LBB29_169
; %bb.164:
	s_cmp_gt_i32 s10, 3
	s_cbranch_scc0 .LBB29_166
; %bb.165:
	v_cvt_f32_f16_e32 v3, v2
	s_mov_b64 s[8:9], 0
	v_cvt_i32_f32_e32 v3, v3
	v_ashrrev_i32_e32 v4, 31, v3
	global_store_dwordx2 v[0:1], v[3:4], off
.LBB29_166:
	s_andn2_b64 vcc, exec, s[8:9]
	s_cbranch_vccnz .LBB29_168
; %bb.167:
	v_cvt_f32_f16_e32 v3, v2
	v_cvt_i32_f32_e32 v3, v3
	global_store_dword v[0:1], v3, off
.LBB29_168:
	s_mov_b64 s[8:9], 0
.LBB29_169:
	s_andn2_b64 vcc, exec, s[8:9]
	s_cbranch_vccnz .LBB29_171
; %bb.170:
	v_cvt_i16_f16_e32 v3, v2
	global_store_short v[0:1], v3, off
.LBB29_171:
	s_mov_b64 s[8:9], 0
.LBB29_172:
	s_andn2_b64 vcc, exec, s[8:9]
	s_cbranch_vccnz .LBB29_177
; %bb.173:
	s_cmp_gt_i32 s10, 0
	s_mov_b64 s[8:9], -1
	s_cbranch_scc0 .LBB29_175
; %bb.174:
	v_cvt_i16_f16_e32 v3, v2
	global_store_byte v[0:1], v3, off
	s_mov_b64 s[8:9], 0
.LBB29_175:
	s_andn2_b64 vcc, exec, s[8:9]
	s_cbranch_vccnz .LBB29_177
; %bb.176:
	v_cvt_f32_f16_e32 v2, v2
	v_cvt_i32_f32_e32 v2, v2
	global_store_byte v[0:1], v2, off
.LBB29_177:
.LBB29_178:
	v_add_u32_e32 v8, 0x80, v8
	s_mov_b64 s[8:9], -1
	s_branch .LBB29_289
.LBB29_179:
	s_mov_b64 s[2:3], -1
                                        ; implicit-def: $vgpr3
.LBB29_180:
	s_mov_b64 s[8:9], 0
.LBB29_181:
	s_and_b64 vcc, exec, s[8:9]
	s_cbranch_vccz .LBB29_185
; %bb.182:
	s_cmp_eq_u32 s12, 29
	s_cbranch_scc0 .LBB29_184
; %bb.183:
	global_load_dwordx2 v[3:4], v[1:2], off
	s_mov_b64 s[0:1], -1
	s_mov_b64 s[2:3], 0
	s_mov_b64 s[8:9], 0
	s_waitcnt vmcnt(0)
	v_ffbh_u32_e32 v5, v4
	v_min_u32_e32 v5, 32, v5
	v_lshlrev_b64 v[3:4], v5, v[3:4]
	v_min_u32_e32 v3, 1, v3
	v_or_b32_e32 v3, v4, v3
	v_cvt_f32_u32_e32 v3, v3
	v_sub_u32_e32 v4, 32, v5
	v_ldexp_f32 v3, v3, v4
	v_cvt_f16_f32_e32 v3, v3
	s_branch .LBB29_186
.LBB29_184:
	s_mov_b64 s[2:3], -1
                                        ; implicit-def: $vgpr3
.LBB29_185:
	s_mov_b64 s[8:9], 0
.LBB29_186:
	s_and_b64 vcc, exec, s[8:9]
	s_cbranch_vccz .LBB29_204
; %bb.187:
	s_cmp_lt_i32 s12, 27
	s_cbranch_scc1 .LBB29_190
; %bb.188:
	s_cmp_gt_i32 s12, 27
	s_cbranch_scc0 .LBB29_191
; %bb.189:
	global_load_dword v3, v[1:2], off
	s_mov_b64 s[0:1], 0
	s_waitcnt vmcnt(0)
	v_cvt_f32_u32_e32 v3, v3
	v_cvt_f16_f32_e32 v3, v3
	s_branch .LBB29_192
.LBB29_190:
	s_mov_b64 s[0:1], -1
                                        ; implicit-def: $vgpr3
	s_branch .LBB29_195
.LBB29_191:
	s_mov_b64 s[0:1], -1
                                        ; implicit-def: $vgpr3
.LBB29_192:
	s_andn2_b64 vcc, exec, s[0:1]
	s_cbranch_vccnz .LBB29_194
; %bb.193:
	global_load_ushort v3, v[1:2], off
	s_waitcnt vmcnt(0)
	v_cvt_f16_u16_e32 v3, v3
.LBB29_194:
	s_mov_b64 s[0:1], 0
.LBB29_195:
	s_andn2_b64 vcc, exec, s[0:1]
	s_cbranch_vccnz .LBB29_203
; %bb.196:
	global_load_ubyte v4, v[1:2], off
	s_movk_i32 s0, 0x7f
	s_waitcnt vmcnt(0)
	v_cmp_lt_i16_e32 vcc, s0, v4
	s_mov_b64 s[0:1], 0
	s_and_saveexec_b64 s[8:9], vcc
	s_xor_b64 s[8:9], exec, s[8:9]
	s_cbranch_execz .LBB29_216
; %bb.197:
	s_movk_i32 s0, 0x80
	v_cmp_eq_u16_e32 vcc, s0, v4
	s_mov_b64 s[0:1], -1
	s_and_saveexec_b64 s[10:11], vcc
; %bb.198:
	s_xor_b64 s[0:1], exec, -1
; %bb.199:
	s_or_b64 exec, exec, s[10:11]
	s_and_b64 s[0:1], s[0:1], exec
	s_or_saveexec_b64 s[8:9], s[8:9]
	v_mov_b32_e32 v3, 0x7e00
	s_xor_b64 exec, exec, s[8:9]
	s_cbranch_execnz .LBB29_217
.LBB29_200:
	s_or_b64 exec, exec, s[8:9]
	s_and_saveexec_b64 s[8:9], s[0:1]
	s_cbranch_execz .LBB29_202
.LBB29_201:
	v_lshlrev_b32_e32 v3, 24, v4
	v_and_b32_e32 v4, 0xffff, v4
	v_and_b32_e32 v5, 7, v4
	v_ffbh_u32_e32 v7, v5
	v_min_u32_e32 v7, 32, v7
	v_subrev_u32_e32 v9, 28, v7
	v_bfe_u32 v6, v4, 3, 4
	v_lshlrev_b32_e32 v4, v9, v4
	v_sub_u32_e32 v7, 29, v7
	v_and_b32_e32 v4, 7, v4
	v_cmp_eq_u32_e32 vcc, 0, v6
	v_cndmask_b32_e32 v6, v6, v7, vcc
	v_cndmask_b32_e32 v4, v5, v4, vcc
	v_mov_b32_e32 v5, 0x3b800000
	v_lshlrev_b32_e32 v4, 20, v4
	v_and_b32_e32 v3, 0x80000000, v3
	v_lshl_add_u32 v5, v6, 23, v5
	v_or3_b32 v3, v3, v5, v4
	v_cvt_f16_f32_e32 v3, v3
.LBB29_202:
	s_or_b64 exec, exec, s[8:9]
.LBB29_203:
	s_mov_b64 s[0:1], -1
.LBB29_204:
	s_branch .LBB29_239
.LBB29_205:
	s_cmp_gt_i32 s12, 22
	s_cbranch_scc0 .LBB29_215
; %bb.206:
	s_cmp_lt_i32 s12, 24
	s_cbranch_scc1 .LBB29_218
; %bb.207:
	s_cmp_gt_i32 s12, 24
	s_cbranch_scc0 .LBB29_219
; %bb.208:
	global_load_ubyte v4, v[1:2], off
	s_movk_i32 s0, 0x7f
	s_waitcnt vmcnt(0)
	v_cmp_lt_i16_e32 vcc, s0, v4
	s_mov_b64 s[0:1], 0
	s_and_saveexec_b64 s[8:9], vcc
	s_xor_b64 s[8:9], exec, s[8:9]
	s_cbranch_execz .LBB29_231
; %bb.209:
	s_movk_i32 s0, 0x80
	v_cmp_eq_u16_e32 vcc, s0, v4
	s_mov_b64 s[0:1], -1
	s_and_saveexec_b64 s[10:11], vcc
; %bb.210:
	s_xor_b64 s[0:1], exec, -1
; %bb.211:
	s_or_b64 exec, exec, s[10:11]
	s_and_b64 s[0:1], s[0:1], exec
	s_or_saveexec_b64 s[8:9], s[8:9]
	v_mov_b32_e32 v3, 0x7e00
	s_xor_b64 exec, exec, s[8:9]
	s_cbranch_execnz .LBB29_232
.LBB29_212:
	s_or_b64 exec, exec, s[8:9]
	s_and_saveexec_b64 s[8:9], s[0:1]
	s_cbranch_execz .LBB29_214
.LBB29_213:
	v_lshlrev_b32_e32 v3, 24, v4
	v_and_b32_e32 v4, 0xffff, v4
	v_and_b32_e32 v5, 3, v4
	v_ffbh_u32_e32 v7, v5
	v_min_u32_e32 v7, 32, v7
	v_subrev_u32_e32 v9, 29, v7
	v_bfe_u32 v6, v4, 2, 5
	v_lshlrev_b32_e32 v4, v9, v4
	v_sub_u32_e32 v7, 30, v7
	v_and_b32_e32 v4, 3, v4
	v_cmp_eq_u32_e32 vcc, 0, v6
	v_cndmask_b32_e32 v6, v6, v7, vcc
	v_cndmask_b32_e32 v4, v5, v4, vcc
	v_mov_b32_e32 v5, 0x37800000
	v_lshlrev_b32_e32 v4, 21, v4
	v_and_b32_e32 v3, 0x80000000, v3
	v_lshl_add_u32 v5, v6, 23, v5
	v_or3_b32 v3, v3, v5, v4
	v_cvt_f16_f32_e32 v3, v3
.LBB29_214:
	s_or_b64 exec, exec, s[8:9]
	s_mov_b64 s[0:1], 0
	s_branch .LBB29_220
.LBB29_215:
	s_mov_b64 s[8:9], -1
                                        ; implicit-def: $vgpr3
	s_branch .LBB29_226
.LBB29_216:
	s_or_saveexec_b64 s[8:9], s[8:9]
	v_mov_b32_e32 v3, 0x7e00
	s_xor_b64 exec, exec, s[8:9]
	s_cbranch_execz .LBB29_200
.LBB29_217:
	v_cmp_ne_u16_e32 vcc, 0, v4
	s_andn2_b64 s[0:1], s[0:1], exec
	s_and_b64 s[10:11], vcc, exec
	s_or_b64 s[0:1], s[0:1], s[10:11]
	v_mov_b32_e32 v3, v4
	s_or_b64 exec, exec, s[8:9]
	s_and_saveexec_b64 s[8:9], s[0:1]
	s_cbranch_execnz .LBB29_201
	s_branch .LBB29_202
.LBB29_218:
	s_mov_b64 s[0:1], -1
                                        ; implicit-def: $vgpr3
	s_branch .LBB29_223
.LBB29_219:
	s_mov_b64 s[0:1], -1
                                        ; implicit-def: $vgpr3
.LBB29_220:
	s_and_b64 vcc, exec, s[0:1]
	s_cbranch_vccz .LBB29_222
; %bb.221:
	global_load_ubyte v3, v[1:2], off
	s_mov_b32 s0, 0x7f800000
	s_waitcnt vmcnt(0)
	v_lshlrev_b32_e32 v3, 24, v3
	v_and_b32_e32 v4, 0x7f000000, v3
	v_ffbh_u32_e32 v5, v4
	v_min_u32_e32 v5, 32, v5
	v_sub_u32_e64 v5, v5, 4 clamp
	v_lshlrev_b32_e32 v7, v5, v4
	v_lshlrev_b32_e32 v5, 23, v5
	v_lshrrev_b32_e32 v7, 4, v7
	v_add_u32_e32 v6, 0x1000000, v4
	v_sub_u32_e32 v5, v7, v5
	v_ashrrev_i32_e32 v6, 8, v6
	v_add_u32_e32 v5, 0x3c000000, v5
	v_and_or_b32 v5, v6, s0, v5
	v_cmp_ne_u32_e32 vcc, 0, v4
	v_cndmask_b32_e32 v4, 0, v5, vcc
	s_brev_b32 s0, 1
	v_and_or_b32 v3, v3, s0, v4
	v_cvt_f16_f32_e32 v3, v3
.LBB29_222:
	s_mov_b64 s[0:1], 0
.LBB29_223:
	s_andn2_b64 vcc, exec, s[0:1]
	s_cbranch_vccnz .LBB29_225
; %bb.224:
	global_load_ubyte v3, v[1:2], off
	s_movk_i32 s0, 0x7f00
	s_brev_b32 s1, 16
	s_waitcnt vmcnt(0)
	v_lshlrev_b16_e32 v4, 8, v3
	v_lshlrev_b32_e32 v3, 25, v3
	v_lshrrev_b32_e32 v5, 4, v3
	v_and_or_b32 v6, v4, s0, 0.5
	v_or_b32_e32 v5, 0x70000000, v5
	v_add_f32_e32 v6, -0.5, v6
	v_mul_f32_e32 v5, 0x7800000, v5
	v_cmp_gt_u32_e32 vcc, s1, v3
	v_bfe_i32 v4, v4, 0, 16
	v_cndmask_b32_e32 v3, v5, v6, vcc
	s_brev_b32 s0, 1
	v_and_or_b32 v3, v4, s0, v3
	v_cvt_f16_f32_e32 v3, v3
.LBB29_225:
	s_mov_b64 s[8:9], 0
	s_mov_b64 s[0:1], -1
.LBB29_226:
	s_andn2_b64 vcc, exec, s[8:9]
	s_cbranch_vccnz .LBB29_239
; %bb.227:
	s_cmp_gt_i32 s12, 14
	s_cbranch_scc0 .LBB29_230
; %bb.228:
	s_cmp_eq_u32 s12, 15
	s_cbranch_scc0 .LBB29_233
; %bb.229:
	global_load_ushort v3, v[1:2], off
	s_mov_b64 s[0:1], -1
	s_mov_b64 s[2:3], 0
	s_waitcnt vmcnt(0)
	v_lshlrev_b32_e32 v3, 16, v3
	v_cvt_f16_f32_e32 v3, v3
	s_branch .LBB29_234
.LBB29_230:
	s_mov_b64 s[8:9], -1
                                        ; implicit-def: $vgpr3
	s_branch .LBB29_235
.LBB29_231:
	s_or_saveexec_b64 s[8:9], s[8:9]
	v_mov_b32_e32 v3, 0x7e00
	s_xor_b64 exec, exec, s[8:9]
	s_cbranch_execz .LBB29_212
.LBB29_232:
	v_cmp_ne_u16_e32 vcc, 0, v4
	s_andn2_b64 s[0:1], s[0:1], exec
	s_and_b64 s[10:11], vcc, exec
	s_or_b64 s[0:1], s[0:1], s[10:11]
	v_mov_b32_e32 v3, v4
	s_or_b64 exec, exec, s[8:9]
	s_and_saveexec_b64 s[8:9], s[0:1]
	s_cbranch_execnz .LBB29_213
	s_branch .LBB29_214
.LBB29_233:
	s_mov_b64 s[2:3], -1
                                        ; implicit-def: $vgpr3
.LBB29_234:
	s_mov_b64 s[8:9], 0
.LBB29_235:
	s_and_b64 vcc, exec, s[8:9]
	s_cbranch_vccz .LBB29_239
; %bb.236:
	s_cmp_eq_u32 s12, 11
	s_cbranch_scc0 .LBB29_238
; %bb.237:
	global_load_ubyte v3, v[1:2], off
	v_mov_b32_e32 v4, 0x3c00
	s_mov_b64 s[0:1], -1
	s_mov_b64 s[2:3], 0
	s_waitcnt vmcnt(0)
	v_cmp_ne_u16_e32 vcc, 0, v3
	v_cndmask_b32_e32 v3, 0, v4, vcc
	s_branch .LBB29_239
.LBB29_238:
	s_mov_b64 s[2:3], -1
                                        ; implicit-def: $vgpr3
.LBB29_239:
	s_branch .LBB29_24
.LBB29_240:
	s_cmp_lt_i32 s12, 5
	s_cbranch_scc1 .LBB29_245
; %bb.241:
	s_cmp_lt_i32 s12, 8
	s_cbranch_scc1 .LBB29_246
; %bb.242:
	;; [unrolled: 3-line block ×3, first 2 shown]
	s_cmp_gt_i32 s12, 9
	s_cbranch_scc0 .LBB29_248
; %bb.244:
	global_load_dwordx2 v[3:4], v[1:2], off
	s_movk_i32 s0, 0x1ff
	s_movk_i32 s1, 0xffe
	v_mov_b32_e32 v5, 0x7c00
	v_mov_b32_e32 v6, 0x7e00
	s_movk_i32 s8, 0x40f
	s_mov_b32 s9, 0x8000
	s_waitcnt vmcnt(0)
	v_and_or_b32 v3, v4, s0, v3
	v_cmp_ne_u32_e32 vcc, 0, v3
	v_lshrrev_b32_e32 v7, 8, v4
	v_bfe_u32 v9, v4, 20, 11
	v_cndmask_b32_e64 v3, 0, 1, vcc
	v_sub_u32_e32 v10, 0x3f1, v9
	v_and_or_b32 v3, v7, s1, v3
	v_add_u32_e32 v9, 0xfffffc10, v9
	v_med3_i32 v7, v10, 0, 13
	v_or_b32_e32 v10, 0x1000, v3
	v_cmp_ne_u32_e32 vcc, 0, v3
	v_lshl_or_b32 v11, v9, 12, v3
	v_cndmask_b32_e32 v3, v5, v6, vcc
	v_lshrrev_b32_e32 v6, v7, v10
	v_lshlrev_b32_e32 v7, v7, v6
	v_cmp_ne_u32_e32 vcc, v7, v10
	v_cndmask_b32_e64 v7, 0, 1, vcc
	v_or_b32_e32 v6, v6, v7
	v_cmp_gt_i32_e32 vcc, 1, v9
	v_cndmask_b32_e32 v6, v11, v6, vcc
	v_and_b32_e32 v7, 7, v6
	v_cmp_lt_i32_e32 vcc, 5, v7
	v_cndmask_b32_e64 v10, 0, 1, vcc
	v_cmp_eq_u32_e32 vcc, 3, v7
	v_cndmask_b32_e64 v7, 0, 1, vcc
	v_lshrrev_b32_e32 v6, 2, v6
	v_or_b32_e32 v7, v7, v10
	v_add_u32_e32 v6, v6, v7
	v_cmp_gt_i32_e32 vcc, 31, v9
	v_cndmask_b32_e32 v5, v5, v6, vcc
	v_cmp_eq_u32_e32 vcc, s8, v9
	v_lshrrev_b32_e32 v4, 16, v4
	v_cndmask_b32_e32 v3, v5, v3, vcc
	v_and_or_b32 v3, v4, s9, v3
	s_mov_b64 s[0:1], 0
	s_branch .LBB29_249
.LBB29_245:
                                        ; implicit-def: $vgpr3
	s_branch .LBB29_267
.LBB29_246:
	s_mov_b64 s[0:1], -1
                                        ; implicit-def: $vgpr3
	s_branch .LBB29_255
.LBB29_247:
	s_mov_b64 s[0:1], -1
                                        ; implicit-def: $vgpr3
	s_branch .LBB29_252
.LBB29_248:
	s_mov_b64 s[0:1], -1
                                        ; implicit-def: $vgpr3
.LBB29_249:
	s_andn2_b64 vcc, exec, s[0:1]
	s_cbranch_vccnz .LBB29_251
; %bb.250:
	global_load_dword v3, v[1:2], off
	s_waitcnt vmcnt(0)
	v_cvt_f16_f32_e32 v3, v3
.LBB29_251:
	s_mov_b64 s[0:1], 0
.LBB29_252:
	s_andn2_b64 vcc, exec, s[0:1]
	s_cbranch_vccnz .LBB29_254
; %bb.253:
	global_load_dword v3, v[1:2], off
.LBB29_254:
	s_mov_b64 s[0:1], 0
.LBB29_255:
	s_andn2_b64 vcc, exec, s[0:1]
	s_cbranch_vccnz .LBB29_266
; %bb.256:
	s_cmp_lt_i32 s12, 6
	s_cbranch_scc1 .LBB29_259
; %bb.257:
	s_cmp_gt_i32 s12, 6
	s_cbranch_scc0 .LBB29_260
; %bb.258:
	global_load_dwordx2 v[3:4], v[1:2], off
	s_movk_i32 s0, 0x1ff
	s_movk_i32 s1, 0xffe
	v_mov_b32_e32 v5, 0x7c00
	v_mov_b32_e32 v6, 0x7e00
	s_movk_i32 s8, 0x40f
	s_mov_b32 s9, 0x8000
	s_waitcnt vmcnt(0)
	v_and_or_b32 v3, v4, s0, v3
	v_cmp_ne_u32_e32 vcc, 0, v3
	v_lshrrev_b32_e32 v7, 8, v4
	v_bfe_u32 v9, v4, 20, 11
	v_cndmask_b32_e64 v3, 0, 1, vcc
	v_sub_u32_e32 v10, 0x3f1, v9
	v_and_or_b32 v3, v7, s1, v3
	v_add_u32_e32 v9, 0xfffffc10, v9
	v_med3_i32 v7, v10, 0, 13
	v_or_b32_e32 v10, 0x1000, v3
	v_cmp_ne_u32_e32 vcc, 0, v3
	v_lshl_or_b32 v11, v9, 12, v3
	v_cndmask_b32_e32 v3, v5, v6, vcc
	v_lshrrev_b32_e32 v6, v7, v10
	v_lshlrev_b32_e32 v7, v7, v6
	v_cmp_ne_u32_e32 vcc, v7, v10
	v_cndmask_b32_e64 v7, 0, 1, vcc
	v_or_b32_e32 v6, v6, v7
	v_cmp_gt_i32_e32 vcc, 1, v9
	v_cndmask_b32_e32 v6, v11, v6, vcc
	v_and_b32_e32 v7, 7, v6
	v_cmp_lt_i32_e32 vcc, 5, v7
	v_cndmask_b32_e64 v10, 0, 1, vcc
	v_cmp_eq_u32_e32 vcc, 3, v7
	v_cndmask_b32_e64 v7, 0, 1, vcc
	v_lshrrev_b32_e32 v6, 2, v6
	v_or_b32_e32 v7, v7, v10
	v_add_u32_e32 v6, v6, v7
	v_cmp_gt_i32_e32 vcc, 31, v9
	v_cndmask_b32_e32 v5, v5, v6, vcc
	v_cmp_eq_u32_e32 vcc, s8, v9
	v_lshrrev_b32_e32 v4, 16, v4
	v_cndmask_b32_e32 v3, v5, v3, vcc
	v_and_or_b32 v3, v4, s9, v3
	s_mov_b64 s[0:1], 0
	s_branch .LBB29_261
.LBB29_259:
	s_mov_b64 s[0:1], -1
                                        ; implicit-def: $vgpr3
	s_branch .LBB29_264
.LBB29_260:
	s_mov_b64 s[0:1], -1
                                        ; implicit-def: $vgpr3
.LBB29_261:
	s_andn2_b64 vcc, exec, s[0:1]
	s_cbranch_vccnz .LBB29_263
; %bb.262:
	global_load_dword v3, v[1:2], off
	s_waitcnt vmcnt(0)
	v_cvt_f16_f32_e32 v3, v3
.LBB29_263:
	s_mov_b64 s[0:1], 0
.LBB29_264:
	s_andn2_b64 vcc, exec, s[0:1]
	s_cbranch_vccnz .LBB29_266
; %bb.265:
	global_load_ushort v3, v[1:2], off
.LBB29_266:
	s_cbranch_execnz .LBB29_286
.LBB29_267:
	s_cmp_lt_i32 s12, 2
	s_cbranch_scc1 .LBB29_271
; %bb.268:
	s_cmp_lt_i32 s12, 3
	s_cbranch_scc1 .LBB29_272
; %bb.269:
	s_cmp_gt_i32 s12, 3
	s_cbranch_scc0 .LBB29_273
; %bb.270:
	global_load_dwordx2 v[3:4], v[1:2], off
	s_mov_b64 s[0:1], 0
	s_waitcnt vmcnt(0)
	v_xor_b32_e32 v6, v3, v4
	v_ffbh_i32_e32 v5, v4
	v_ashrrev_i32_e32 v6, 31, v6
	v_add_u32_e32 v5, -1, v5
	v_add_u32_e32 v6, 32, v6
	v_min_u32_e32 v5, v5, v6
	v_lshlrev_b64 v[3:4], v5, v[3:4]
	v_min_u32_e32 v3, 1, v3
	v_or_b32_e32 v3, v4, v3
	v_cvt_f32_i32_e32 v3, v3
	v_sub_u32_e32 v4, 32, v5
	v_ldexp_f32 v3, v3, v4
	v_cvt_f16_f32_e32 v3, v3
	s_branch .LBB29_274
.LBB29_271:
	s_mov_b64 s[0:1], -1
                                        ; implicit-def: $vgpr3
	s_branch .LBB29_280
.LBB29_272:
	s_mov_b64 s[0:1], -1
                                        ; implicit-def: $vgpr3
	s_branch .LBB29_277
.LBB29_273:
	s_mov_b64 s[0:1], -1
                                        ; implicit-def: $vgpr3
.LBB29_274:
	s_andn2_b64 vcc, exec, s[0:1]
	s_cbranch_vccnz .LBB29_276
; %bb.275:
	global_load_dword v3, v[1:2], off
	s_waitcnt vmcnt(0)
	v_cvt_f32_i32_e32 v3, v3
	v_cvt_f16_f32_e32 v3, v3
.LBB29_276:
	s_mov_b64 s[0:1], 0
.LBB29_277:
	s_andn2_b64 vcc, exec, s[0:1]
	s_cbranch_vccnz .LBB29_279
; %bb.278:
	global_load_ushort v3, v[1:2], off
	s_waitcnt vmcnt(0)
	v_cvt_f16_i16_e32 v3, v3
.LBB29_279:
	s_mov_b64 s[0:1], 0
.LBB29_280:
	s_andn2_b64 vcc, exec, s[0:1]
	s_cbranch_vccnz .LBB29_286
; %bb.281:
	s_cmp_gt_i32 s12, 0
	s_cbranch_scc0 .LBB29_283
; %bb.282:
	global_load_sbyte v3, v[1:2], off
	s_mov_b64 s[0:1], 0
	s_waitcnt vmcnt(0)
	v_cvt_f16_i16_e32 v3, v3
	s_branch .LBB29_284
.LBB29_283:
	s_mov_b64 s[0:1], -1
                                        ; implicit-def: $vgpr3
.LBB29_284:
	s_andn2_b64 vcc, exec, s[0:1]
	s_cbranch_vccnz .LBB29_286
; %bb.285:
	global_load_ubyte v1, v[1:2], off
	s_waitcnt vmcnt(0)
	v_cvt_f16_u16_e32 v3, v1
.LBB29_286:
	s_branch .LBB29_25
.LBB29_287:
	s_mov_b64 s[0:1], 0
.LBB29_288:
	s_mov_b64 s[8:9], 0
                                        ; implicit-def: $vgpr8
.LBB29_289:
	s_and_b64 s[52:53], s[0:1], exec
	s_and_b64 s[54:55], s[2:3], exec
	s_orn2_b64 s[2:3], s[8:9], exec
.LBB29_290:
	s_or_b64 exec, exec, s[56:57]
	s_mov_b64 s[10:11], 0
	s_mov_b64 s[0:1], 0
                                        ; implicit-def: $vgpr1_vgpr2
                                        ; implicit-def: $vgpr0
                                        ; implicit-def: $vgpr4
	s_and_saveexec_b64 s[56:57], s[2:3]
	s_cbranch_execz .LBB29_297
; %bb.291:
	v_cmp_gt_i32_e32 vcc, s70, v8
	s_mov_b64 s[0:1], -1
	s_mov_b64 s[58:59], s[54:55]
	s_mov_b64 s[60:61], s[52:53]
	s_and_saveexec_b64 s[62:63], vcc
	s_cbranch_execz .LBB29_590
; %bb.292:
	s_andn2_b64 vcc, exec, s[40:41]
	s_cbranch_vccnz .LBB29_300
; %bb.293:
	s_andn2_b64 vcc, exec, s[50:51]
	s_cbranch_vccnz .LBB29_301
; %bb.294:
	s_add_i32 s65, s75, 1
	s_cmp_eq_u32 s72, 2
	s_cbranch_scc1 .LBB29_302
; %bb.295:
	s_and_b32 s64, s65, 28
	v_mov_b32_e32 v2, 0
	s_mov_b32 s66, 0
	s_mov_b64 s[58:59], s[34:35]
	s_mov_b64 s[60:61], s[48:49]
	v_mov_b32_e32 v0, 0
	v_mov_b32_e32 v1, v8
.LBB29_296:                             ; =>This Inner Loop Header: Depth=1
	s_load_dwordx8 s[16:23], s[58:59], 0x4
	s_load_dwordx4 s[0:3], s[58:59], 0x24
	s_load_dwordx8 s[8:15], s[60:61], 0x0
	s_add_u32 s58, s58, 48
	s_addc_u32 s59, s59, 0
	s_waitcnt vmcnt(0) lgkmcnt(0)
	v_mul_hi_u32 v3, s17, v1
	s_add_i32 s66, s66, 4
	s_add_u32 s60, s60, 32
	s_addc_u32 s61, s61, 0
	v_add_u32_e32 v3, v1, v3
	v_lshrrev_b32_e32 v3, s18, v3
	v_mul_lo_u32 v4, v3, s16
	v_mul_hi_u32 v5, s20, v3
	s_cmp_eq_u32 s64, s66
	v_sub_u32_e32 v1, v1, v4
	v_add_u32_e32 v4, v3, v5
	v_mul_lo_u32 v5, v1, s8
	v_mul_lo_u32 v6, v1, s9
	v_lshrrev_b32_e32 v1, s21, v4
	v_mul_lo_u32 v4, v1, s19
	v_mul_hi_u32 v7, s23, v1
	v_sub_u32_e32 v3, v3, v4
	v_add_u32_e32 v4, v1, v7
	v_lshrrev_b32_e32 v4, s0, v4
	v_mul_hi_u32 v9, s2, v4
	v_mul_lo_u32 v10, v4, s22
	v_mul_lo_u32 v7, v3, s10
	;; [unrolled: 1-line block ×3, first 2 shown]
	v_sub_u32_e32 v10, v1, v10
	v_add_u32_e32 v1, v4, v9
	v_lshrrev_b32_e32 v1, s3, v1
	v_mul_lo_u32 v9, v1, s1
	v_mul_lo_u32 v11, v10, s12
	;; [unrolled: 1-line block ×3, first 2 shown]
	v_add3_u32 v0, v5, v0, v7
	v_sub_u32_e32 v4, v4, v9
	v_mul_lo_u32 v9, v4, s14
	v_mul_lo_u32 v4, v4, s15
	v_add3_u32 v2, v6, v2, v3
	v_add3_u32 v0, v11, v0, v9
	v_add3_u32 v2, v10, v2, v4
	s_cbranch_scc0 .LBB29_296
	s_branch .LBB29_303
.LBB29_297:
	s_or_b64 exec, exec, s[56:57]
	s_mov_b64 s[2:3], 0
	s_and_saveexec_b64 s[8:9], s[54:55]
	s_cbranch_execnz .LBB29_990
.LBB29_298:
	s_or_b64 exec, exec, s[8:9]
	s_and_saveexec_b64 s[8:9], s[60:61]
	s_xor_b64 s[8:9], exec, s[8:9]
	s_cbranch_execz .LBB29_991
.LBB29_299:
	global_load_ubyte v3, v[1:2], off
	v_mov_b32_e32 v4, 0x3c00
	s_or_b64 s[0:1], s[0:1], exec
	s_waitcnt vmcnt(0)
	v_cmp_ne_u16_e32 vcc, 0, v3
	v_cndmask_b32_e32 v4, 0, v4, vcc
	s_or_b64 exec, exec, s[8:9]
	s_and_saveexec_b64 s[8:9], s[10:11]
	s_cbranch_execz .LBB29_1037
	s_branch .LBB29_992
.LBB29_300:
                                        ; implicit-def: $vgpr0
                                        ; implicit-def: $vgpr2
	s_andn2_b64 vcc, exec, s[0:1]
	s_cbranch_vccz .LBB29_307
	s_branch .LBB29_309
.LBB29_301:
	v_mov_b32_e32 v0, 0
	v_mov_b32_e32 v2, 0
	s_branch .LBB29_306
.LBB29_302:
	s_mov_b32 s64, 0
	v_mov_b32_e32 v0, 0
	v_mov_b32_e32 v2, 0
	;; [unrolled: 1-line block ×3, first 2 shown]
.LBB29_303:
	s_and_b32 s8, s65, 3
	s_cmp_eq_u32 s8, 0
	s_cbranch_scc1 .LBB29_306
; %bb.304:
	s_lshl_b32 s0, s64, 3
	s_add_u32 s0, s34, s0
	s_addc_u32 s1, s35, 0
	s_add_u32 s0, s0, 0xc4
	s_addc_u32 s1, s1, 0
	s_mul_i32 s2, s64, 12
	s_add_u32 s2, s34, s2
	s_addc_u32 s3, s35, 0
.LBB29_305:                             ; =>This Inner Loop Header: Depth=1
	s_load_dwordx2 s[10:11], s[2:3], 0x4
	s_load_dword s9, s[2:3], 0xc
	s_load_dwordx2 s[12:13], s[0:1], 0x0
	s_add_u32 s2, s2, 12
	s_addc_u32 s3, s3, 0
	s_waitcnt vmcnt(0) lgkmcnt(0)
	v_mul_hi_u32 v3, s11, v1
	s_add_u32 s0, s0, 8
	s_addc_u32 s1, s1, 0
	s_add_i32 s8, s8, -1
	v_add_u32_e32 v3, v1, v3
	v_lshrrev_b32_e32 v4, s9, v3
	v_mul_lo_u32 v3, v4, s10
	s_cmp_lg_u32 s8, 0
	v_sub_u32_e32 v3, v1, v3
	v_mad_u64_u32 v[0:1], s[10:11], v3, s12, v[0:1]
	v_mad_u64_u32 v[2:3], s[10:11], v3, s13, v[2:3]
	v_mov_b32_e32 v1, v4
	s_cbranch_scc1 .LBB29_305
.LBB29_306:
	s_cbranch_execnz .LBB29_309
.LBB29_307:
	s_waitcnt lgkmcnt(0)
	v_mul_hi_u32 v0, s37, v8
	s_andn2_b64 vcc, exec, s[46:47]
	v_add_u32_e32 v0, v8, v0
	v_lshrrev_b32_e32 v1, s38, v0
	v_mul_lo_u32 v0, v1, s36
	v_sub_u32_e32 v2, v8, v0
	v_mul_lo_u32 v0, v2, s28
	v_mul_lo_u32 v2, v2, s29
	s_cbranch_vccnz .LBB29_309
; %bb.308:
	s_waitcnt vmcnt(0)
	v_mul_hi_u32 v3, s44, v1
	v_add_u32_e32 v3, v1, v3
	v_lshrrev_b32_e32 v3, s45, v3
	v_mul_lo_u32 v3, v3, s39
	v_sub_u32_e32 v3, v1, v3
	v_mad_u64_u32 v[0:1], s[0:1], v3, s30, v[0:1]
	v_mad_u64_u32 v[2:3], s[0:1], v3, s31, v[2:3]
.LBB29_309:
	s_waitcnt vmcnt(0) lgkmcnt(0)
	v_mov_b32_e32 v3, s27
	s_and_b32 s12, 0xffff, s74
	v_add_co_u32_e32 v1, vcc, s26, v2
	s_cmp_lt_i32 s12, 11
	v_addc_co_u32_e32 v2, vcc, 0, v3, vcc
	s_cbranch_scc1 .LBB29_316
; %bb.310:
	s_cmp_gt_i32 s12, 25
	s_cbranch_scc0 .LBB29_349
; %bb.311:
	s_cmp_gt_i32 s12, 28
	s_cbranch_scc0 .LBB29_351
; %bb.312:
	s_cmp_gt_i32 s12, 43
	s_cbranch_scc0 .LBB29_353
; %bb.313:
	s_cmp_gt_i32 s12, 45
	s_cbranch_scc0 .LBB29_357
; %bb.314:
	s_cmp_eq_u32 s12, 46
	s_mov_b64 s[8:9], 0
	s_cbranch_scc0 .LBB29_361
; %bb.315:
	global_load_dword v3, v[1:2], off
	s_mov_b64 s[0:1], -1
	s_mov_b64 s[2:3], 0
	s_waitcnt vmcnt(0)
	v_lshlrev_b32_e32 v3, 16, v3
	v_cvt_f16_f32_e32 v3, v3
	s_branch .LBB29_362
.LBB29_316:
	s_mov_b64 s[0:1], 0
                                        ; implicit-def: $vgpr3
	s_mov_b64 s[2:3], s[54:55]
	s_cbranch_execnz .LBB29_539
.LBB29_317:
	s_andn2_b64 vcc, exec, s[0:1]
	s_cbranch_vccnz .LBB29_587
.LBB29_318:
	s_waitcnt vmcnt(0)
	v_cvt_f32_f16_e32 v7, v3
	v_cmp_neq_f16_e32 vcc, 0, v3
                                        ; implicit-def: $vgpr2
	s_and_saveexec_b64 s[0:1], vcc
	s_xor_b64 s[8:9], exec, s[0:1]
	s_cbranch_execz .LBB29_340
; %bb.319:
	v_cmp_gt_f16_e32 vcc, 0, v3
	s_mov_b64 s[0:1], -1
	v_mov_b32_e32 v1, 0
	s_and_saveexec_b64 s[10:11], vcc
	s_cbranch_execz .LBB29_327
; %bb.320:
	v_trunc_f32_e32 v1, v7
	v_cmp_neq_f32_e32 vcc, v1, v7
	s_mov_b64 s[14:15], 0
	v_mov_b32_e32 v1, 0
	s_and_saveexec_b64 s[12:13], vcc
	s_cbranch_execz .LBB29_326
; %bb.321:
	v_cvt_f32_f16_e32 v1, v3
	s_mov_b32 s0, 0
	s_mov_b32 s15, 0xc00921fb
	;; [unrolled: 1-line block ×3, first 2 shown]
	v_cvt_f64_f32_e32 v[1:2], v1
	s_mov_b32 s1, 0x7ff00000
	v_bfrev_b32_e32 v5, 1
	s_mov_b32 s16, 0
	v_trunc_f64_e32 v[3:4], v[1:2]
	v_cmp_neq_f64_e64 vcc, |v[1:2]|, s[0:1]
	s_mov_b32 s17, 0x41d00000
                                        ; implicit-def: $vgpr9
	v_add_f64 v[3:4], v[1:2], -v[3:4]
	v_mul_f64 v[3:4], |v[3:4]|, s[14:15]
	v_cndmask_b32_e32 v2, v5, v4, vcc
	v_cndmask_b32_e32 v1, 0, v3, vcc
	v_cmp_nlt_f64_e64 s[16:17], |v[1:2]|, s[16:17]
                                        ; implicit-def: $vgpr3_vgpr4
                                        ; implicit-def: $vgpr5_vgpr6
	s_and_saveexec_b64 s[18:19], s[16:17]
	s_xor_b64 s[16:17], exec, s[18:19]
	s_cbranch_execz .LBB29_323
; %bb.322:
	v_trig_preop_f64 v[3:4], |v[1:2]|, 0
	s_mov_b32 s18, 0
	s_mov_b32 s19, 0x7b000000
	s_movk_i32 s15, 0xff80
	v_ldexp_f64 v[9:10], |v[1:2]|, s15
	v_cmp_ge_f64_e64 vcc, |v[1:2]|, s[18:19]
	v_trig_preop_f64 v[5:6], |v[1:2]|, 1
	v_and_b32_e32 v11, 0x7fffffff, v2
	v_trig_preop_f64 v[17:18], |v[1:2]|, 2
	v_mov_b32_e32 v28, 0x40100000
	v_mov_b32_e32 v27, 0
	s_mov_b32 s15, 0x3ff921fb
	v_cndmask_b32_e32 v10, v11, v10, vcc
	v_cndmask_b32_e32 v9, v1, v9, vcc
	v_mul_f64 v[11:12], v[3:4], v[9:10]
	v_mul_f64 v[13:14], v[5:6], v[9:10]
	;; [unrolled: 1-line block ×3, first 2 shown]
	v_fma_f64 v[3:4], v[3:4], v[9:10], -v[11:12]
	v_fma_f64 v[5:6], v[5:6], v[9:10], -v[13:14]
	;; [unrolled: 1-line block ×3, first 2 shown]
	v_add_f64 v[15:16], v[13:14], v[3:4]
	v_add_f64 v[19:20], v[15:16], -v[13:14]
	v_add_f64 v[25:26], v[11:12], v[15:16]
	v_add_f64 v[21:22], v[15:16], -v[19:20]
	v_add_f64 v[3:4], v[3:4], -v[19:20]
	v_add_f64 v[19:20], v[23:24], v[5:6]
	v_add_f64 v[11:12], v[25:26], -v[11:12]
	v_add_f64 v[13:14], v[13:14], -v[21:22]
	v_ldexp_f64 v[21:22], v[25:26], -2
	v_add_f64 v[29:30], v[19:20], -v[23:24]
	v_add_f64 v[11:12], v[15:16], -v[11:12]
	v_add_f64 v[3:4], v[3:4], v[13:14]
	v_fract_f64_e32 v[13:14], v[21:22]
	v_cmp_neq_f64_e64 vcc, |v[21:22]|, s[0:1]
	v_add_f64 v[5:6], v[5:6], -v[29:30]
	v_add_f64 v[15:16], v[19:20], v[3:4]
	v_ldexp_f64 v[13:14], v[13:14], 2
	v_add_f64 v[21:22], v[11:12], v[15:16]
	v_cndmask_b32_e32 v14, 0, v14, vcc
	v_cndmask_b32_e32 v13, 0, v13, vcc
	v_add_f64 v[31:32], v[15:16], -v[19:20]
	v_add_f64 v[25:26], v[21:22], v[13:14]
	v_add_f64 v[11:12], v[21:22], -v[11:12]
	v_add_f64 v[33:34], v[15:16], -v[31:32]
	;; [unrolled: 1-line block ×3, first 2 shown]
	v_cmp_gt_f64_e32 vcc, 0, v[25:26]
	v_add_f64 v[25:26], v[19:20], -v[29:30]
	v_add_f64 v[11:12], v[15:16], -v[11:12]
	;; [unrolled: 1-line block ×3, first 2 shown]
	v_cndmask_b32_e32 v28, 0, v28, vcc
	v_add_f64 v[13:14], v[13:14], v[27:28]
	v_add_f64 v[25:26], v[23:24], -v[25:26]
	v_add_f64 v[3:4], v[3:4], v[19:20]
	v_add_f64 v[35:36], v[21:22], v[13:14]
	v_add_f64 v[5:6], v[5:6], v[25:26]
	v_cvt_i32_f64_e32 v30, v[35:36]
	v_add_f64 v[3:4], v[5:6], v[3:4]
	v_cvt_f64_i32_e32 v[28:29], v30
	v_add_f64 v[13:14], v[13:14], -v[28:29]
	v_add_f64 v[3:4], v[9:10], v[3:4]
	v_add_f64 v[5:6], v[21:22], v[13:14]
	;; [unrolled: 1-line block ×3, first 2 shown]
	v_mov_b32_e32 v12, 0x3ff00000
	v_add_f64 v[9:10], v[5:6], -v[13:14]
	v_cmp_le_f64_e32 vcc, 0.5, v[5:6]
	v_add_f64 v[10:11], v[21:22], -v[9:10]
	v_cndmask_b32_e32 v28, 0, v12, vcc
	v_add_f64 v[5:6], v[5:6], -v[27:28]
	v_addc_co_u32_e64 v9, s[0:1], 0, v30, vcc
	s_mov_b32 s0, 0x33145c07
	s_mov_b32 s1, 0x3c91a626
	v_add_f64 v[3:4], v[3:4], v[10:11]
	v_add_f64 v[10:11], v[5:6], v[3:4]
	v_mul_f64 v[12:13], v[10:11], s[14:15]
	v_add_f64 v[5:6], v[10:11], -v[5:6]
	v_fma_f64 v[14:15], v[10:11], s[14:15], -v[12:13]
	v_add_f64 v[3:4], v[3:4], -v[5:6]
	v_fma_f64 v[5:6], v[10:11], s[0:1], v[14:15]
	v_fma_f64 v[5:6], v[3:4], s[14:15], v[5:6]
	v_add_f64 v[3:4], v[12:13], v[5:6]
	v_add_f64 v[10:11], v[3:4], -v[12:13]
	v_add_f64 v[5:6], v[5:6], -v[10:11]
.LBB29_323:
	s_andn2_saveexec_b64 s[0:1], s[16:17]
	s_cbranch_execz .LBB29_325
; %bb.324:
	s_mov_b32 s14, 0x6dc9c883
	s_mov_b32 s15, 0x3fe45f30
	v_mul_f64 v[3:4], |v[1:2]|, s[14:15]
	s_mov_b32 s14, 0x54442d18
	s_mov_b32 s15, 0xbff921fb
	;; [unrolled: 1-line block ×4, first 2 shown]
	v_rndne_f64_e32 v[9:10], v[3:4]
	v_fma_f64 v[3:4], v[9:10], s[14:15], |v[1:2]|
	v_mul_f64 v[5:6], v[9:10], s[16:17]
	s_mov_b32 s14, 0x252049c0
	s_mov_b32 s15, 0xb97b839a
	v_fma_f64 v[15:16], v[9:10], s[16:17], v[3:4]
	v_add_f64 v[11:12], v[3:4], v[5:6]
	s_mov_b32 s17, 0x3c91a626
	v_add_f64 v[13:14], v[3:4], -v[11:12]
	v_add_f64 v[11:12], v[11:12], -v[15:16]
	v_add_f64 v[3:4], v[13:14], v[5:6]
	v_fma_f64 v[5:6], v[9:10], s[16:17], v[5:6]
	v_add_f64 v[3:4], v[11:12], v[3:4]
	v_add_f64 v[3:4], v[3:4], -v[5:6]
	v_fma_f64 v[5:6], v[9:10], s[14:15], v[3:4]
	v_cvt_i32_f64_e32 v9, v[9:10]
	v_add_f64 v[3:4], v[15:16], v[5:6]
	v_add_f64 v[11:12], v[3:4], -v[15:16]
	v_add_f64 v[5:6], v[5:6], -v[11:12]
.LBB29_325:
	s_or_b64 exec, exec, s[0:1]
	v_mul_f64 v[10:11], v[3:4], v[3:4]
	v_add_f64 v[12:13], v[5:6], v[5:6]
	s_mov_b32 s0, 0xc751c08c
	s_mov_b32 s1, 0x3ef5e089
	v_and_b32_e32 v9, 1, v9
	v_cmp_eq_u32_e32 vcc, 0, v9
	s_mov_b32 s16, 0x54442d18
	s_mov_b32 s17, 0xc00921fb
	v_fma_f64 v[14:15], v[3:4], v[3:4], -v[10:11]
	s_mov_b64 s[14:15], exec
	v_sub_f32_e32 v7, 1.0, v7
	v_fma_f64 v[12:13], v[3:4], v[12:13], v[14:15]
	v_add_f64 v[10:11], v[10:11], v[12:13]
	v_mov_b32_e32 v12, 0xa9a29f71
	v_mov_b32_e32 v13, 0xbf078809
	v_fma_f64 v[12:13], v[10:11], s[0:1], v[12:13]
	s_mov_b32 s0, 0x90a8aae0
	s_mov_b32 s1, 0x3f17746f
	v_fma_f64 v[12:13], v[10:11], v[12:13], s[0:1]
	s_mov_b32 s0, 0xa6fbf144
	s_mov_b32 s1, 0xbefbb44d
	;; [unrolled: 3-line block ×12, first 2 shown]
	v_fma_f64 v[12:13], v[10:11], v[12:13], s[0:1]
	s_movk_i32 s0, 0x1f8
	v_cmp_class_f64_e64 s[0:1], v[1:2], s0
	v_mul_f64 v[10:11], v[10:11], v[12:13]
	v_mul_f64 v[12:13], v[3:4], v[10:11]
	v_add_f64 v[14:15], v[3:4], v[12:13]
	v_fma_f64 v[10:11], v[3:4], v[10:11], -v[12:13]
	v_add_f64 v[3:4], v[14:15], -v[3:4]
	v_add_f64 v[5:6], v[5:6], v[10:11]
	v_add_f64 v[3:4], v[12:13], -v[3:4]
	v_add_f64 v[3:4], v[5:6], v[3:4]
	v_add_f64 v[5:6], v[14:15], v[3:4]
	v_rcp_f64_e32 v[10:11], v[5:6]
	v_fma_f64 v[12:13], -v[5:6], v[10:11], 1.0
	v_fma_f64 v[10:11], v[12:13], v[10:11], v[10:11]
	v_fma_f64 v[12:13], -v[5:6], v[10:11], 1.0
	v_fma_f64 v[10:11], v[12:13], v[10:11], v[10:11]
	v_add_f64 v[12:13], v[5:6], -v[14:15]
	v_mul_f64 v[14:15], v[5:6], v[10:11]
	v_add_f64 v[3:4], v[3:4], -v[12:13]
	v_fma_f64 v[12:13], v[10:11], v[5:6], -v[14:15]
	v_fma_f64 v[3:4], v[10:11], v[3:4], v[12:13]
	v_add_f64 v[12:13], v[14:15], v[3:4]
	v_add_f64 v[16:17], -v[12:13], 1.0
	v_add_f64 v[14:15], v[12:13], -v[14:15]
	v_add_f64 v[18:19], -v[16:17], 1.0
	v_add_f64 v[3:4], v[14:15], -v[3:4]
	v_add_f64 v[12:13], v[18:19], -v[12:13]
	v_add_f64 v[3:4], v[3:4], v[12:13]
	v_add_f64 v[3:4], v[16:17], v[3:4]
	v_mul_f64 v[3:4], v[10:11], v[3:4]
	v_add_f64 v[3:4], v[10:11], v[3:4]
	v_and_b32_e32 v10, 0x80000000, v2
	v_mov_b32_e32 v2, 0x7ff80000
	v_xor_b32_e32 v1, 0x80000000, v4
	v_cndmask_b32_e32 v3, v3, v5, vcc
	v_cndmask_b32_e32 v4, v1, v6, vcc
	v_cndmask_b32_e64 v1, 0, v3, s[0:1]
	v_xor_b32_e32 v3, v4, v10
	v_cndmask_b32_e64 v2, v2, v3, s[0:1]
	v_div_scale_f64 v[3:4], s[0:1], v[1:2], v[1:2], s[16:17]
	v_div_scale_f64 v[11:12], vcc, s[16:17], v[1:2], s[16:17]
	v_rcp_f64_e32 v[5:6], v[3:4]
	v_fma_f64 v[9:10], -v[3:4], v[5:6], 1.0
	v_fma_f64 v[5:6], v[5:6], v[9:10], v[5:6]
	v_fma_f64 v[9:10], -v[3:4], v[5:6], 1.0
	v_fma_f64 v[5:6], v[5:6], v[9:10], v[5:6]
	v_mul_f64 v[9:10], v[11:12], v[5:6]
	v_fma_f64 v[3:4], -v[3:4], v[9:10], v[11:12]
	v_div_fmas_f64 v[3:4], v[3:4], v[5:6], v[9:10]
	v_div_fixup_f64 v[1:2], v[3:4], v[1:2], s[16:17]
	v_cvt_f32_f64_e32 v1, v[1:2]
.LBB29_326:
	s_or_b64 exec, exec, s[12:13]
	s_orn2_b64 s[0:1], s[14:15], exec
.LBB29_327:
	s_or_b64 exec, exec, s[10:11]
	v_mov_b32_e32 v2, 0x7e00
	s_and_saveexec_b64 s[10:11], s[0:1]
	s_cbranch_execz .LBB29_339
; %bb.328:
	s_mov_b32 s14, 0x41200000
	v_cmp_gt_f32_e32 vcc, s14, v7
	s_and_saveexec_b64 s[0:1], vcc
	s_cbranch_execz .LBB29_332
; %bb.329:
	s_mov_b64 s[12:13], 0
.LBB29_330:                             ; =>This Inner Loop Header: Depth=1
	v_div_scale_f32 v2, s[16:17], v7, v7, 1.0
	v_div_scale_f32 v3, vcc, 1.0, v7, 1.0
	v_rcp_f32_e32 v4, v2
	v_fma_f32 v5, -v2, v4, 1.0
	v_fmac_f32_e32 v4, v5, v4
	v_mul_f32_e32 v5, v3, v4
	v_fma_f32 v6, -v2, v5, v3
	v_fmac_f32_e32 v5, v6, v4
	v_fma_f32 v2, -v2, v5, v3
	v_div_fmas_f32 v2, v2, v4, v5
	v_div_fixup_f32 v2, v2, v7, 1.0
	v_add_f32_e32 v7, 1.0, v7
	v_cmp_ngt_f32_e32 vcc, s14, v7
	s_or_b64 s[12:13], vcc, s[12:13]
	v_sub_f32_e32 v1, v1, v2
	s_andn2_b64 exec, exec, s[12:13]
	s_cbranch_execnz .LBB29_330
; %bb.331:
	s_or_b64 exec, exec, s[12:13]
.LBB29_332:
	s_or_b64 exec, exec, s[0:1]
	s_mov_b32 s0, 0x41200000
	v_cmp_neq_f32_e32 vcc, s0, v7
                                        ; implicit-def: $vgpr2
	s_and_saveexec_b64 s[0:1], vcc
	s_xor_b64 s[12:13], exec, s[0:1]
	s_cbranch_execz .LBB29_336
; %bb.333:
	v_cvt_f64_f32_e32 v[2:3], v7
	s_mov_b32 s0, 0x85d8a000
	s_mov_b32 s1, 0x43763457
	v_cmp_gt_f64_e32 vcc, s[0:1], v[2:3]
	v_mov_b32_e32 v2, 0
	s_and_saveexec_b64 s[0:1], vcc
	s_cbranch_execz .LBB29_335
; %bb.334:
	v_mul_f32_e32 v2, v7, v7
	v_div_scale_f32 v3, s[14:15], v2, v2, 1.0
	v_div_scale_f32 v4, vcc, 1.0, v2, 1.0
	v_mov_b32_e32 v10, 0x3b820821
	v_rcp_f32_e32 v5, v3
	v_fma_f32 v6, -v3, v5, 1.0
	v_fmac_f32_e32 v5, v6, v5
	v_mul_f32_e32 v6, v4, v5
	v_fma_f32 v9, -v3, v6, v4
	v_fmac_f32_e32 v6, v9, v5
	v_fma_f32 v3, -v3, v6, v4
	v_div_fmas_f32 v3, v3, v5, v6
	v_mov_b32_e32 v4, 0x3daaaaab
	v_mov_b32_e32 v5, 0xbcaccacd
	;; [unrolled: 1-line block ×4, first 2 shown]
	v_div_fixup_f32 v2, v3, v2, 1.0
	v_fma_f32 v3, 0, v2, v4
	v_fmac_f32_e32 v5, v2, v3
	v_fmac_f32_e32 v6, v2, v5
	;; [unrolled: 1-line block ×4, first 2 shown]
	v_mov_b32_e32 v3, 0xbc088889
	v_fmac_f32_e32 v3, v2, v10
	v_fmac_f32_e32 v4, v2, v3
	v_mul_f32_e32 v2, v2, v4
.LBB29_335:
	s_or_b64 exec, exec, s[0:1]
	v_div_scale_f32 v3, s[0:1], v7, v7, -0.5
	v_div_scale_f32 v4, vcc, -0.5, v7, -0.5
	s_mov_b32 s0, 0x800000
	v_cmp_gt_f32_e64 s[0:1], s0, v7
	v_cndmask_b32_e64 v6, 0, 32, s[0:1]
	s_mov_b32 s14, 0x3f317217
	v_rcp_f32_e32 v5, v3
	v_fma_f32 v9, -v3, v5, 1.0
	v_fmac_f32_e32 v5, v9, v5
	v_mul_f32_e32 v9, v4, v5
	v_fma_f32 v10, -v3, v9, v4
	v_fmac_f32_e32 v9, v10, v5
	v_fma_f32 v3, -v3, v9, v4
	v_div_fmas_f32 v3, v3, v5, v9
	v_ldexp_f32 v4, v7, v6
	v_log_f32_e32 v4, v4
	v_mul_f32_e32 v5, 0x3f317217, v4
	v_fma_f32 v5, v4, s14, -v5
	v_fmac_f32_e32 v5, 0x3377d1cf, v4
	s_mov_b32 s14, 0x7f800000
	v_fmac_f32_e32 v5, 0x3f317217, v4
	v_cmp_lt_f32_e64 vcc, |v4|, s14
	v_cndmask_b32_e32 v4, v4, v5, vcc
	v_mov_b32_e32 v5, 0x41b17218
	v_cndmask_b32_e64 v5, 0, v5, s[0:1]
	v_sub_f32_e32 v4, v4, v5
	v_div_fixup_f32 v3, v3, v7, -0.5
	v_add_f32_e32 v3, v4, v3
	v_sub_f32_e32 v2, v3, v2
	v_add_f32_e32 v1, v1, v2
	v_cvt_f16_f32_e32 v2, v1
                                        ; implicit-def: $vgpr1
.LBB29_336:
	s_andn2_saveexec_b64 s[0:1], s[12:13]
; %bb.337:
	v_add_f32_e32 v1, 0x40101cb7, v1
	v_cvt_f16_f32_e32 v2, v1
; %bb.338:
	s_or_b64 exec, exec, s[0:1]
.LBB29_339:
	s_or_b64 exec, exec, s[10:11]
                                        ; implicit-def: $vgpr7
.LBB29_340:
	s_andn2_saveexec_b64 s[0:1], s[8:9]
; %bb.341:
	v_xor_b32_e32 v1, 0x80000000, v7
	s_movk_i32 s8, 0x8000
	v_and_b32_sdwa v1, v1, s8 dst_sel:DWORD dst_unused:UNUSED_PAD src0_sel:WORD_1 src1_sel:DWORD
	v_or_b32_e32 v2, 0x7c00, v1
; %bb.342:
	s_or_b64 exec, exec, s[0:1]
	v_mov_b32_e32 v1, s25
	s_and_b32 s14, s73, 0xff
	v_add_co_u32_e32 v0, vcc, s24, v0
	s_cmp_lt_i32 s14, 11
	v_addc_co_u32_e32 v1, vcc, 0, v1, vcc
	s_cbranch_scc1 .LBB29_350
; %bb.343:
	s_and_b32 s15, 0xffff, s14
	s_cmp_gt_i32 s15, 25
	s_cbranch_scc0 .LBB29_352
; %bb.344:
	s_cmp_gt_i32 s15, 28
	s_cbranch_scc0 .LBB29_354
; %bb.345:
	;; [unrolled: 3-line block ×4, first 2 shown]
	s_mov_b64 s[10:11], 0
	s_mov_b64 s[0:1], -1
	s_cmp_eq_u32 s15, 46
	s_mov_b64 s[8:9], 0
	s_cbranch_scc0 .LBB29_366
; %bb.348:
	v_cvt_f32_f16_e32 v3, v2
	s_movk_i32 s0, 0x7fff
	v_cmp_o_f16_e32 vcc, v2, v2
	v_mov_b32_e32 v4, 0x7fc0
	v_bfe_u32 v5, v3, 16, 1
	v_add3_u32 v3, v3, v5, s0
	v_cndmask_b32_sdwa v3, v4, v3, vcc dst_sel:DWORD dst_unused:UNUSED_PAD src0_sel:DWORD src1_sel:WORD_1
	global_store_dword v[0:1], v3, off
	s_mov_b64 s[8:9], -1
	s_mov_b64 s[0:1], 0
	s_branch .LBB29_366
.LBB29_349:
	s_mov_b64 s[8:9], -1
	s_mov_b64 s[0:1], 0
	s_mov_b64 s[2:3], s[54:55]
                                        ; implicit-def: $vgpr3
	s_branch .LBB29_503
.LBB29_350:
	s_mov_b64 s[10:11], -1
	s_mov_b64 s[8:9], 0
	s_mov_b64 s[0:1], s[52:53]
	s_branch .LBB29_435
.LBB29_351:
	s_mov_b64 s[8:9], -1
	s_mov_b64 s[0:1], 0
	s_mov_b64 s[2:3], s[54:55]
                                        ; implicit-def: $vgpr3
	s_branch .LBB29_484
.LBB29_352:
	s_mov_b64 s[10:11], -1
	s_mov_b64 s[8:9], 0
	s_mov_b64 s[0:1], s[52:53]
	s_branch .LBB29_393
.LBB29_353:
	s_mov_b64 s[8:9], -1
	s_mov_b64 s[0:1], 0
	s_mov_b64 s[2:3], s[54:55]
                                        ; implicit-def: $vgpr3
	s_branch .LBB29_479
.LBB29_354:
	s_mov_b64 s[10:11], -1
	s_mov_b64 s[8:9], 0
	s_mov_b64 s[0:1], s[52:53]
	s_branch .LBB29_376
.LBB29_355:
	s_andn2_saveexec_b64 s[12:13], s[12:13]
	s_cbranch_execz .LBB29_92
.LBB29_356:
	s_mov_b32 s16, 0x46000000
	v_add_f32_e64 v4, |v3|, s16
	v_and_b32_e32 v4, 0xff, v4
	v_cmp_ne_u32_e32 vcc, 0, v4
	s_andn2_b64 s[10:11], s[10:11], exec
	s_and_b64 s[16:17], vcc, exec
	s_or_b64 s[10:11], s[10:11], s[16:17]
	s_or_b64 exec, exec, s[12:13]
	v_mov_b32_e32 v5, 0
	s_and_saveexec_b64 s[12:13], s[10:11]
	s_cbranch_execnz .LBB29_93
	s_branch .LBB29_94
.LBB29_357:
	s_mov_b64 s[8:9], -1
	s_mov_b64 s[0:1], 0
	s_mov_b64 s[2:3], s[54:55]
                                        ; implicit-def: $vgpr3
	s_branch .LBB29_362
.LBB29_358:
	s_mov_b64 s[10:11], -1
	s_mov_b64 s[8:9], 0
	s_mov_b64 s[0:1], s[52:53]
	s_branch .LBB29_372
.LBB29_359:
	s_andn2_saveexec_b64 s[12:13], s[12:13]
	s_cbranch_execz .LBB29_105
.LBB29_360:
	s_mov_b32 s16, 0x42800000
	v_add_f32_e64 v4, |v3|, s16
	v_and_b32_e32 v4, 0xff, v4
	v_cmp_ne_u32_e32 vcc, 0, v4
	s_andn2_b64 s[10:11], s[10:11], exec
	s_and_b64 s[16:17], vcc, exec
	s_or_b64 s[10:11], s[10:11], s[16:17]
	s_or_b64 exec, exec, s[12:13]
	v_mov_b32_e32 v5, 0
	s_and_saveexec_b64 s[12:13], s[10:11]
	s_cbranch_execnz .LBB29_106
	s_branch .LBB29_107
.LBB29_361:
	s_mov_b64 s[2:3], -1
                                        ; implicit-def: $vgpr3
	s_mov_b64 s[0:1], 0
.LBB29_362:
	s_and_b64 vcc, exec, s[8:9]
	s_cbranch_vccz .LBB29_478
; %bb.363:
	s_cmp_eq_u32 s12, 44
	s_cbranch_scc0 .LBB29_477
; %bb.364:
	global_load_ubyte v3, v[1:2], off
	s_movk_i32 s2, 0xff
	v_mov_b32_e32 v5, 0x7e00
	s_mov_b64 s[0:1], -1
	s_waitcnt vmcnt(0)
	v_lshlrev_b32_e32 v4, 23, v3
	v_cvt_f16_f32_e32 v4, v4
	v_cmp_ne_u32_e32 vcc, s2, v3
	s_mov_b64 s[2:3], 0
	v_cndmask_b32_e32 v4, v5, v4, vcc
	v_cmp_ne_u32_e32 vcc, 0, v3
	v_cndmask_b32_e32 v3, 0, v4, vcc
	s_branch .LBB29_478
.LBB29_365:
	s_mov_b64 s[10:11], -1
	s_mov_b64 s[8:9], 0
	s_mov_b64 s[0:1], s[52:53]
.LBB29_366:
	s_and_b64 vcc, exec, s[10:11]
	s_cbranch_vccz .LBB29_371
; %bb.367:
	s_cmp_eq_u32 s15, 44
	s_mov_b64 s[0:1], -1
	s_cbranch_scc0 .LBB29_371
; %bb.368:
	v_cvt_f32_f16_e32 v3, v2
	s_movk_i32 s0, 0xff
	v_mov_b32_e32 v5, 0xff
	v_bfe_u32 v4, v3, 23, 8
	v_cmp_ne_u32_e32 vcc, s0, v4
	s_and_saveexec_b64 s[8:9], vcc
; %bb.369:
	s_mov_b32 s0, 0x3fffff
	v_lshrrev_b32_e32 v5, 23, v3
	v_and_b32_e32 v6, 0x400000, v3
	v_and_or_b32 v3, v3, s0, v4
	v_cmp_ne_u32_e32 vcc, 0, v6
	v_cmp_ne_u32_e64 s[0:1], 0, v3
	s_and_b64 s[0:1], vcc, s[0:1]
	v_cndmask_b32_e64 v3, 0, 1, s[0:1]
	v_add_u32_e32 v5, v5, v3
; %bb.370:
	s_or_b64 exec, exec, s[8:9]
	s_mov_b64 s[8:9], -1
	s_mov_b64 s[0:1], 0
	global_store_byte v[0:1], v5, off
.LBB29_371:
	s_mov_b64 s[10:11], 0
.LBB29_372:
	s_and_b64 vcc, exec, s[10:11]
	s_cbranch_vccz .LBB29_375
; %bb.373:
	s_cmp_eq_u32 s15, 29
	s_mov_b64 s[0:1], -1
	s_cbranch_scc0 .LBB29_375
; %bb.374:
	v_cvt_f32_f16_e32 v3, v2
	v_mov_b32_e32 v4, 0
	s_mov_b64 s[8:9], -1
	s_mov_b64 s[0:1], 0
	v_cvt_u32_f32_e32 v3, v3
	s_mov_b64 s[10:11], 0
	global_store_dwordx2 v[0:1], v[3:4], off
	s_branch .LBB29_376
.LBB29_375:
	s_mov_b64 s[10:11], 0
.LBB29_376:
	s_and_b64 vcc, exec, s[10:11]
	s_cbranch_vccz .LBB29_392
; %bb.377:
	s_cmp_lt_i32 s15, 27
	s_mov_b64 s[8:9], -1
	s_cbranch_scc1 .LBB29_383
; %bb.378:
	s_cmp_gt_i32 s15, 27
	s_cbranch_scc0 .LBB29_380
; %bb.379:
	v_cvt_f32_f16_e32 v3, v2
	s_mov_b64 s[8:9], 0
	v_cvt_u32_f32_e32 v3, v3
	global_store_dword v[0:1], v3, off
.LBB29_380:
	s_andn2_b64 vcc, exec, s[8:9]
	s_cbranch_vccnz .LBB29_382
; %bb.381:
	v_cvt_u16_f16_e32 v3, v2
	global_store_short v[0:1], v3, off
.LBB29_382:
	s_mov_b64 s[8:9], 0
.LBB29_383:
	s_andn2_b64 vcc, exec, s[8:9]
	s_cbranch_vccnz .LBB29_391
; %bb.384:
	v_cvt_f32_f16_e32 v3, v2
	s_mov_b32 s8, 0x43800000
	v_mov_b32_e32 v5, 0x80
	v_and_b32_e32 v4, 0x7fffffff, v3
	v_cmp_gt_u32_e32 vcc, s8, v4
	s_and_saveexec_b64 s[8:9], vcc
	s_cbranch_execz .LBB29_390
; %bb.385:
	s_mov_b32 s10, 0x3bffffff
	v_cmp_lt_u32_e32 vcc, s10, v4
	s_mov_b64 s[10:11], 0
                                        ; implicit-def: $vgpr4
	s_and_saveexec_b64 s[12:13], vcc
	s_xor_b64 s[12:13], exec, s[12:13]
	s_cbranch_execz .LBB29_618
; %bb.386:
	v_bfe_u32 v4, v3, 20, 1
	s_mov_b32 s16, 0x487ffff
	v_add3_u32 v4, v3, v4, s16
	s_mov_b64 s[10:11], exec
	v_lshrrev_b32_e32 v4, 20, v4
	s_andn2_saveexec_b64 s[12:13], s[12:13]
	s_cbranch_execnz .LBB29_619
.LBB29_387:
	s_or_b64 exec, exec, s[12:13]
	v_mov_b32_e32 v5, 0
	s_and_saveexec_b64 s[12:13], s[10:11]
.LBB29_388:
	v_lshrrev_b32_e32 v3, 24, v3
	s_movk_i32 s10, 0x80
	v_and_or_b32 v5, v3, s10, v4
.LBB29_389:
	s_or_b64 exec, exec, s[12:13]
.LBB29_390:
	s_or_b64 exec, exec, s[8:9]
	global_store_byte v[0:1], v5, off
.LBB29_391:
	s_mov_b64 s[8:9], -1
.LBB29_392:
	s_mov_b64 s[10:11], 0
.LBB29_393:
	s_and_b64 vcc, exec, s[10:11]
	s_cbranch_vccz .LBB29_434
; %bb.394:
	s_cmp_gt_i32 s15, 22
	s_mov_b64 s[10:11], -1
	s_cbranch_scc0 .LBB29_426
; %bb.395:
	s_cmp_lt_i32 s15, 24
	s_mov_b64 s[8:9], -1
	s_cbranch_scc1 .LBB29_415
; %bb.396:
	s_cmp_gt_i32 s15, 24
	s_cbranch_scc0 .LBB29_404
; %bb.397:
	v_cvt_f32_f16_e32 v3, v2
	s_mov_b32 s8, 0x47800000
	v_mov_b32_e32 v5, 0x80
	v_and_b32_e32 v4, 0x7fffffff, v3
	v_cmp_gt_u32_e32 vcc, s8, v4
	s_and_saveexec_b64 s[8:9], vcc
	s_cbranch_execz .LBB29_403
; %bb.398:
	s_mov_b32 s10, 0x37ffffff
	v_cmp_lt_u32_e32 vcc, s10, v4
	s_mov_b64 s[10:11], 0
                                        ; implicit-def: $vgpr4
	s_and_saveexec_b64 s[12:13], vcc
	s_xor_b64 s[12:13], exec, s[12:13]
	s_cbranch_execz .LBB29_621
; %bb.399:
	v_bfe_u32 v4, v3, 21, 1
	s_mov_b32 s16, 0x88fffff
	v_add3_u32 v4, v3, v4, s16
	s_mov_b64 s[10:11], exec
	v_lshrrev_b32_e32 v4, 21, v4
	s_andn2_saveexec_b64 s[12:13], s[12:13]
	s_cbranch_execnz .LBB29_622
.LBB29_400:
	s_or_b64 exec, exec, s[12:13]
	v_mov_b32_e32 v5, 0
	s_and_saveexec_b64 s[12:13], s[10:11]
.LBB29_401:
	v_lshrrev_b32_e32 v3, 24, v3
	s_movk_i32 s10, 0x80
	v_and_or_b32 v5, v3, s10, v4
.LBB29_402:
	s_or_b64 exec, exec, s[12:13]
.LBB29_403:
	s_or_b64 exec, exec, s[8:9]
	s_mov_b64 s[8:9], 0
	global_store_byte v[0:1], v5, off
.LBB29_404:
	s_and_b64 vcc, exec, s[8:9]
	s_cbranch_vccz .LBB29_414
; %bb.405:
	v_cvt_f32_f16_e32 v3, v2
	s_mov_b32 s8, 0x43f00000
                                        ; implicit-def: $vgpr4
	v_and_b32_e32 v5, 0x7fffffff, v3
	v_cmp_gt_u32_e32 vcc, s8, v5
	s_and_saveexec_b64 s[8:9], vcc
	s_xor_b64 s[8:9], exec, s[8:9]
	s_cbranch_execz .LBB29_411
; %bb.406:
	s_mov_b32 s10, 0x3c7fffff
	v_cmp_lt_u32_e32 vcc, s10, v5
                                        ; implicit-def: $vgpr4
	s_and_saveexec_b64 s[10:11], vcc
	s_xor_b64 s[10:11], exec, s[10:11]
; %bb.407:
	v_bfe_u32 v4, v3, 20, 1
	s_mov_b32 s12, 0x407ffff
	v_add3_u32 v4, v3, v4, s12
	v_lshrrev_b32_e32 v5, 20, v4
	v_and_b32_e32 v4, 0xff00000, v4
	s_mov_b32 s12, 0x7f00000
	v_mov_b32_e32 v6, 0x7e
	v_cmp_ne_u32_e32 vcc, s12, v4
	v_cndmask_b32_e32 v4, v6, v5, vcc
; %bb.408:
	s_andn2_saveexec_b64 s[10:11], s[10:11]
; %bb.409:
	s_mov_b32 s12, 0x46800000
	v_add_f32_e64 v4, |v3|, s12
; %bb.410:
	s_or_b64 exec, exec, s[10:11]
                                        ; implicit-def: $vgpr5
.LBB29_411:
	s_andn2_saveexec_b64 s[8:9], s[8:9]
; %bb.412:
	s_mov_b32 s10, 0x7f800000
	v_mov_b32_e32 v4, 0x7e
	v_mov_b32_e32 v6, 0x7f
	v_cmp_lt_u32_e32 vcc, s10, v5
	v_cndmask_b32_e32 v4, v4, v6, vcc
; %bb.413:
	s_or_b64 exec, exec, s[8:9]
	v_lshrrev_b32_e32 v3, 24, v3
	s_movk_i32 s8, 0x80
	v_and_or_b32 v3, v3, s8, v4
	global_store_byte v[0:1], v3, off
.LBB29_414:
	s_mov_b64 s[8:9], 0
.LBB29_415:
	s_andn2_b64 vcc, exec, s[8:9]
	s_cbranch_vccnz .LBB29_425
; %bb.416:
	v_cvt_f32_f16_e32 v3, v2
	s_mov_b32 s8, 0x47800000
                                        ; implicit-def: $vgpr4
	v_and_b32_e32 v5, 0x7fffffff, v3
	v_cmp_gt_u32_e32 vcc, s8, v5
	s_and_saveexec_b64 s[8:9], vcc
	s_xor_b64 s[8:9], exec, s[8:9]
	s_cbranch_execz .LBB29_422
; %bb.417:
	s_mov_b32 s10, 0x387fffff
	v_cmp_lt_u32_e32 vcc, s10, v5
                                        ; implicit-def: $vgpr4
	s_and_saveexec_b64 s[10:11], vcc
	s_xor_b64 s[10:11], exec, s[10:11]
; %bb.418:
	v_bfe_u32 v4, v3, 21, 1
	s_mov_b32 s12, 0x80fffff
	v_add3_u32 v4, v3, v4, s12
	v_lshrrev_b32_e32 v4, 21, v4
; %bb.419:
	s_andn2_saveexec_b64 s[10:11], s[10:11]
; %bb.420:
	s_mov_b32 s12, 0x43000000
	v_add_f32_e64 v4, |v3|, s12
; %bb.421:
	s_or_b64 exec, exec, s[10:11]
                                        ; implicit-def: $vgpr5
.LBB29_422:
	s_andn2_saveexec_b64 s[8:9], s[8:9]
; %bb.423:
	s_mov_b32 s10, 0x7f800000
	v_mov_b32_e32 v4, 0x7c
	v_mov_b32_e32 v6, 0x7f
	v_cmp_lt_u32_e32 vcc, s10, v5
	v_cndmask_b32_e32 v4, v4, v6, vcc
; %bb.424:
	s_or_b64 exec, exec, s[8:9]
	v_lshrrev_b32_e32 v3, 24, v3
	s_movk_i32 s8, 0x80
	v_and_or_b32 v3, v3, s8, v4
	global_store_byte v[0:1], v3, off
.LBB29_425:
	s_mov_b64 s[10:11], 0
	s_mov_b64 s[8:9], -1
.LBB29_426:
	s_andn2_b64 vcc, exec, s[10:11]
	s_cbranch_vccnz .LBB29_434
; %bb.427:
	s_cmp_gt_i32 s15, 14
	s_mov_b64 s[10:11], -1
	s_cbranch_scc0 .LBB29_431
; %bb.428:
	s_cmp_eq_u32 s15, 15
	s_mov_b64 s[0:1], -1
	s_cbranch_scc0 .LBB29_430
; %bb.429:
	v_cvt_f32_f16_e32 v3, v2
	s_movk_i32 s0, 0x7fff
	v_cmp_o_f16_e32 vcc, v2, v2
	v_mov_b32_e32 v4, 0x7fc0
	v_bfe_u32 v5, v3, 16, 1
	v_add3_u32 v3, v3, v5, s0
	v_cndmask_b32_sdwa v3, v4, v3, vcc dst_sel:DWORD dst_unused:UNUSED_PAD src0_sel:DWORD src1_sel:WORD_1
	global_store_short v[0:1], v3, off
	s_mov_b64 s[8:9], -1
	s_mov_b64 s[0:1], 0
.LBB29_430:
	s_mov_b64 s[10:11], 0
.LBB29_431:
	s_and_b64 vcc, exec, s[10:11]
	s_cbranch_vccz .LBB29_434
; %bb.432:
	s_cmp_eq_u32 s15, 11
	s_mov_b64 s[0:1], -1
	s_cbranch_scc0 .LBB29_434
; %bb.433:
	v_and_b32_e32 v3, 0x7fff, v2
	v_cmp_ne_u16_e32 vcc, 0, v3
	v_cndmask_b32_e64 v3, 0, 1, vcc
	s_mov_b64 s[8:9], -1
	s_mov_b64 s[0:1], 0
	global_store_byte v[0:1], v3, off
.LBB29_434:
	s_mov_b64 s[10:11], 0
.LBB29_435:
	s_and_b64 vcc, exec, s[10:11]
	s_cbranch_vccz .LBB29_474
; %bb.436:
	s_and_b32 s10, 0xffff, s14
	s_cmp_lt_i32 s10, 5
	s_mov_b64 s[8:9], -1
	s_cbranch_scc1 .LBB29_457
; %bb.437:
	s_cmp_lt_i32 s10, 8
	s_cbranch_scc1 .LBB29_447
; %bb.438:
	s_cmp_lt_i32 s10, 9
	s_cbranch_scc1 .LBB29_444
; %bb.439:
	s_cmp_gt_i32 s10, 9
	s_cbranch_scc0 .LBB29_441
; %bb.440:
	v_cvt_f32_f16_e32 v3, v2
	v_mov_b32_e32 v5, 0
	v_mov_b32_e32 v6, v5
	s_mov_b64 s[8:9], 0
	v_cvt_f64_f32_e32 v[3:4], v3
	global_store_dwordx4 v[0:1], v[3:6], off
.LBB29_441:
	s_andn2_b64 vcc, exec, s[8:9]
	s_cbranch_vccnz .LBB29_443
; %bb.442:
	v_cvt_f32_f16_e32 v3, v2
	v_mov_b32_e32 v4, 0
	global_store_dwordx2 v[0:1], v[3:4], off
.LBB29_443:
	s_mov_b64 s[8:9], 0
.LBB29_444:
	s_andn2_b64 vcc, exec, s[8:9]
	s_cbranch_vccnz .LBB29_446
; %bb.445:
	v_and_b32_e32 v3, 0xffff, v2
	global_store_dword v[0:1], v3, off
.LBB29_446:
	s_mov_b64 s[8:9], 0
.LBB29_447:
	s_andn2_b64 vcc, exec, s[8:9]
	s_cbranch_vccnz .LBB29_456
; %bb.448:
	s_cmp_lt_i32 s10, 6
	s_mov_b64 s[8:9], -1
	s_cbranch_scc1 .LBB29_454
; %bb.449:
	s_cmp_gt_i32 s10, 6
	s_cbranch_scc0 .LBB29_451
; %bb.450:
	v_cvt_f32_f16_e32 v3, v2
	s_mov_b64 s[8:9], 0
	v_cvt_f64_f32_e32 v[3:4], v3
	global_store_dwordx2 v[0:1], v[3:4], off
.LBB29_451:
	s_andn2_b64 vcc, exec, s[8:9]
	s_cbranch_vccnz .LBB29_453
; %bb.452:
	v_cvt_f32_f16_e32 v3, v2
	global_store_dword v[0:1], v3, off
.LBB29_453:
	s_mov_b64 s[8:9], 0
.LBB29_454:
	s_andn2_b64 vcc, exec, s[8:9]
	s_cbranch_vccnz .LBB29_456
; %bb.455:
	global_store_short v[0:1], v2, off
.LBB29_456:
	s_mov_b64 s[8:9], 0
.LBB29_457:
	s_andn2_b64 vcc, exec, s[8:9]
	s_cbranch_vccnz .LBB29_473
; %bb.458:
	s_cmp_lt_i32 s10, 2
	s_mov_b64 s[8:9], -1
	s_cbranch_scc1 .LBB29_468
; %bb.459:
	s_cmp_lt_i32 s10, 3
	s_cbranch_scc1 .LBB29_465
; %bb.460:
	s_cmp_gt_i32 s10, 3
	s_cbranch_scc0 .LBB29_462
; %bb.461:
	v_cvt_f32_f16_e32 v3, v2
	s_mov_b64 s[8:9], 0
	v_cvt_i32_f32_e32 v3, v3
	v_ashrrev_i32_e32 v4, 31, v3
	global_store_dwordx2 v[0:1], v[3:4], off
.LBB29_462:
	s_andn2_b64 vcc, exec, s[8:9]
	s_cbranch_vccnz .LBB29_464
; %bb.463:
	v_cvt_f32_f16_e32 v3, v2
	v_cvt_i32_f32_e32 v3, v3
	global_store_dword v[0:1], v3, off
.LBB29_464:
	s_mov_b64 s[8:9], 0
.LBB29_465:
	s_andn2_b64 vcc, exec, s[8:9]
	s_cbranch_vccnz .LBB29_467
; %bb.466:
	v_cvt_i16_f16_e32 v3, v2
	global_store_short v[0:1], v3, off
.LBB29_467:
	s_mov_b64 s[8:9], 0
.LBB29_468:
	s_andn2_b64 vcc, exec, s[8:9]
	s_cbranch_vccnz .LBB29_473
; %bb.469:
	s_cmp_gt_i32 s10, 0
	s_mov_b64 s[8:9], -1
	s_cbranch_scc0 .LBB29_471
; %bb.470:
	v_cvt_i16_f16_e32 v3, v2
	s_mov_b64 s[8:9], 0
	global_store_byte v[0:1], v3, off
.LBB29_471:
	s_andn2_b64 vcc, exec, s[8:9]
	s_cbranch_vccnz .LBB29_473
; %bb.472:
	v_cvt_f32_f16_e32 v2, v2
	v_cvt_i32_f32_e32 v2, v2
	global_store_byte v[0:1], v2, off
.LBB29_473:
	s_mov_b64 s[8:9], -1
.LBB29_474:
	s_andn2_b64 vcc, exec, s[8:9]
	s_cbranch_vccnz .LBB29_476
; %bb.475:
	v_add_u32_e32 v8, 0x80, v8
	s_mov_b64 s[8:9], -1
	s_branch .LBB29_589
.LBB29_476:
	s_mov_b64 s[8:9], 0
	s_branch .LBB29_588
.LBB29_477:
	s_mov_b64 s[2:3], -1
                                        ; implicit-def: $vgpr3
.LBB29_478:
	s_mov_b64 s[8:9], 0
.LBB29_479:
	s_and_b64 vcc, exec, s[8:9]
	s_cbranch_vccz .LBB29_483
; %bb.480:
	s_cmp_eq_u32 s12, 29
	s_cbranch_scc0 .LBB29_482
; %bb.481:
	global_load_dwordx2 v[3:4], v[1:2], off
	s_mov_b64 s[0:1], -1
	s_mov_b64 s[2:3], 0
	s_mov_b64 s[8:9], 0
	s_waitcnt vmcnt(0)
	v_ffbh_u32_e32 v5, v4
	v_min_u32_e32 v5, 32, v5
	v_lshlrev_b64 v[3:4], v5, v[3:4]
	v_min_u32_e32 v3, 1, v3
	v_or_b32_e32 v3, v4, v3
	v_cvt_f32_u32_e32 v3, v3
	v_sub_u32_e32 v4, 32, v5
	v_ldexp_f32 v3, v3, v4
	v_cvt_f16_f32_e32 v3, v3
	s_branch .LBB29_484
.LBB29_482:
	s_mov_b64 s[2:3], -1
                                        ; implicit-def: $vgpr3
.LBB29_483:
	s_mov_b64 s[8:9], 0
.LBB29_484:
	s_and_b64 vcc, exec, s[8:9]
	s_cbranch_vccz .LBB29_502
; %bb.485:
	s_cmp_lt_i32 s12, 27
	s_cbranch_scc1 .LBB29_488
; %bb.486:
	s_cmp_gt_i32 s12, 27
	s_cbranch_scc0 .LBB29_489
; %bb.487:
	global_load_dword v3, v[1:2], off
	s_mov_b64 s[0:1], 0
	s_waitcnt vmcnt(0)
	v_cvt_f32_u32_e32 v3, v3
	v_cvt_f16_f32_e32 v3, v3
	s_branch .LBB29_490
.LBB29_488:
	s_mov_b64 s[0:1], -1
                                        ; implicit-def: $vgpr3
	s_branch .LBB29_493
.LBB29_489:
	s_mov_b64 s[0:1], -1
                                        ; implicit-def: $vgpr3
.LBB29_490:
	s_andn2_b64 vcc, exec, s[0:1]
	s_cbranch_vccnz .LBB29_492
; %bb.491:
	global_load_ushort v3, v[1:2], off
	s_waitcnt vmcnt(0)
	v_cvt_f16_u16_e32 v3, v3
.LBB29_492:
	s_mov_b64 s[0:1], 0
.LBB29_493:
	s_andn2_b64 vcc, exec, s[0:1]
	s_cbranch_vccnz .LBB29_501
; %bb.494:
	global_load_ubyte v4, v[1:2], off
	s_movk_i32 s0, 0x7f
	s_waitcnt vmcnt(0)
	v_cmp_lt_i16_e32 vcc, s0, v4
	s_mov_b64 s[0:1], 0
	s_and_saveexec_b64 s[8:9], vcc
	s_xor_b64 s[8:9], exec, s[8:9]
	s_cbranch_execz .LBB29_515
; %bb.495:
	s_movk_i32 s0, 0x80
	v_cmp_eq_u16_e32 vcc, s0, v4
	s_mov_b64 s[0:1], -1
	s_and_saveexec_b64 s[10:11], vcc
; %bb.496:
	s_xor_b64 s[0:1], exec, -1
; %bb.497:
	s_or_b64 exec, exec, s[10:11]
	s_and_b64 s[0:1], s[0:1], exec
	s_or_saveexec_b64 s[8:9], s[8:9]
	v_mov_b32_e32 v3, 0x7e00
	s_xor_b64 exec, exec, s[8:9]
	s_cbranch_execnz .LBB29_516
.LBB29_498:
	s_or_b64 exec, exec, s[8:9]
	s_and_saveexec_b64 s[8:9], s[0:1]
	s_cbranch_execz .LBB29_500
.LBB29_499:
	v_lshlrev_b32_e32 v3, 24, v4
	v_and_b32_e32 v4, 0xffff, v4
	v_and_b32_e32 v5, 7, v4
	v_ffbh_u32_e32 v7, v5
	v_min_u32_e32 v7, 32, v7
	v_subrev_u32_e32 v9, 28, v7
	v_bfe_u32 v6, v4, 3, 4
	v_lshlrev_b32_e32 v4, v9, v4
	v_sub_u32_e32 v7, 29, v7
	v_and_b32_e32 v4, 7, v4
	v_cmp_eq_u32_e32 vcc, 0, v6
	v_cndmask_b32_e32 v6, v6, v7, vcc
	v_cndmask_b32_e32 v4, v5, v4, vcc
	v_mov_b32_e32 v5, 0x3b800000
	v_lshlrev_b32_e32 v4, 20, v4
	v_and_b32_e32 v3, 0x80000000, v3
	v_lshl_add_u32 v5, v6, 23, v5
	v_or3_b32 v3, v3, v5, v4
	v_cvt_f16_f32_e32 v3, v3
.LBB29_500:
	s_or_b64 exec, exec, s[8:9]
.LBB29_501:
	s_mov_b64 s[0:1], -1
.LBB29_502:
	s_mov_b64 s[8:9], 0
.LBB29_503:
	s_and_b64 vcc, exec, s[8:9]
	s_cbranch_vccz .LBB29_538
; %bb.504:
	s_cmp_gt_i32 s12, 22
	s_cbranch_scc0 .LBB29_514
; %bb.505:
	s_cmp_lt_i32 s12, 24
	s_cbranch_scc1 .LBB29_517
; %bb.506:
	s_cmp_gt_i32 s12, 24
	s_cbranch_scc0 .LBB29_518
; %bb.507:
	global_load_ubyte v4, v[1:2], off
	s_movk_i32 s0, 0x7f
	s_waitcnt vmcnt(0)
	v_cmp_lt_i16_e32 vcc, s0, v4
	s_mov_b64 s[0:1], 0
	s_and_saveexec_b64 s[8:9], vcc
	s_xor_b64 s[8:9], exec, s[8:9]
	s_cbranch_execz .LBB29_530
; %bb.508:
	s_movk_i32 s0, 0x80
	v_cmp_eq_u16_e32 vcc, s0, v4
	s_mov_b64 s[0:1], -1
	s_and_saveexec_b64 s[10:11], vcc
; %bb.509:
	s_xor_b64 s[0:1], exec, -1
; %bb.510:
	s_or_b64 exec, exec, s[10:11]
	s_and_b64 s[0:1], s[0:1], exec
	s_or_saveexec_b64 s[8:9], s[8:9]
	v_mov_b32_e32 v3, 0x7e00
	s_xor_b64 exec, exec, s[8:9]
	s_cbranch_execnz .LBB29_531
.LBB29_511:
	s_or_b64 exec, exec, s[8:9]
	s_and_saveexec_b64 s[8:9], s[0:1]
	s_cbranch_execz .LBB29_513
.LBB29_512:
	v_lshlrev_b32_e32 v3, 24, v4
	v_and_b32_e32 v4, 0xffff, v4
	v_and_b32_e32 v5, 3, v4
	v_ffbh_u32_e32 v7, v5
	v_min_u32_e32 v7, 32, v7
	v_subrev_u32_e32 v9, 29, v7
	v_bfe_u32 v6, v4, 2, 5
	v_lshlrev_b32_e32 v4, v9, v4
	v_sub_u32_e32 v7, 30, v7
	v_and_b32_e32 v4, 3, v4
	v_cmp_eq_u32_e32 vcc, 0, v6
	v_cndmask_b32_e32 v6, v6, v7, vcc
	v_cndmask_b32_e32 v4, v5, v4, vcc
	v_mov_b32_e32 v5, 0x37800000
	v_lshlrev_b32_e32 v4, 21, v4
	v_and_b32_e32 v3, 0x80000000, v3
	v_lshl_add_u32 v5, v6, 23, v5
	v_or3_b32 v3, v3, v5, v4
	v_cvt_f16_f32_e32 v3, v3
.LBB29_513:
	s_or_b64 exec, exec, s[8:9]
	s_mov_b64 s[0:1], 0
	s_branch .LBB29_519
.LBB29_514:
	s_mov_b64 s[8:9], -1
                                        ; implicit-def: $vgpr3
	s_branch .LBB29_525
.LBB29_515:
	s_or_saveexec_b64 s[8:9], s[8:9]
	v_mov_b32_e32 v3, 0x7e00
	s_xor_b64 exec, exec, s[8:9]
	s_cbranch_execz .LBB29_498
.LBB29_516:
	v_cmp_ne_u16_e32 vcc, 0, v4
	s_andn2_b64 s[0:1], s[0:1], exec
	s_and_b64 s[10:11], vcc, exec
	s_or_b64 s[0:1], s[0:1], s[10:11]
	v_mov_b32_e32 v3, v4
	s_or_b64 exec, exec, s[8:9]
	s_and_saveexec_b64 s[8:9], s[0:1]
	s_cbranch_execnz .LBB29_499
	s_branch .LBB29_500
.LBB29_517:
	s_mov_b64 s[0:1], -1
                                        ; implicit-def: $vgpr3
	s_branch .LBB29_522
.LBB29_518:
	s_mov_b64 s[0:1], -1
                                        ; implicit-def: $vgpr3
.LBB29_519:
	s_and_b64 vcc, exec, s[0:1]
	s_cbranch_vccz .LBB29_521
; %bb.520:
	global_load_ubyte v3, v[1:2], off
	s_mov_b32 s0, 0x7f800000
	s_waitcnt vmcnt(0)
	v_lshlrev_b32_e32 v3, 24, v3
	v_and_b32_e32 v4, 0x7f000000, v3
	v_ffbh_u32_e32 v5, v4
	v_min_u32_e32 v5, 32, v5
	v_sub_u32_e64 v5, v5, 4 clamp
	v_lshlrev_b32_e32 v7, v5, v4
	v_lshlrev_b32_e32 v5, 23, v5
	v_lshrrev_b32_e32 v7, 4, v7
	v_add_u32_e32 v6, 0x1000000, v4
	v_sub_u32_e32 v5, v7, v5
	v_ashrrev_i32_e32 v6, 8, v6
	v_add_u32_e32 v5, 0x3c000000, v5
	v_and_or_b32 v5, v6, s0, v5
	v_cmp_ne_u32_e32 vcc, 0, v4
	v_cndmask_b32_e32 v4, 0, v5, vcc
	s_brev_b32 s0, 1
	v_and_or_b32 v3, v3, s0, v4
	v_cvt_f16_f32_e32 v3, v3
.LBB29_521:
	s_mov_b64 s[0:1], 0
.LBB29_522:
	s_andn2_b64 vcc, exec, s[0:1]
	s_cbranch_vccnz .LBB29_524
; %bb.523:
	global_load_ubyte v3, v[1:2], off
	s_movk_i32 s0, 0x7f00
	s_brev_b32 s1, 16
	s_waitcnt vmcnt(0)
	v_lshlrev_b16_e32 v4, 8, v3
	v_lshlrev_b32_e32 v3, 25, v3
	v_lshrrev_b32_e32 v5, 4, v3
	v_and_or_b32 v6, v4, s0, 0.5
	v_or_b32_e32 v5, 0x70000000, v5
	v_add_f32_e32 v6, -0.5, v6
	v_mul_f32_e32 v5, 0x7800000, v5
	v_cmp_gt_u32_e32 vcc, s1, v3
	v_bfe_i32 v4, v4, 0, 16
	v_cndmask_b32_e32 v3, v5, v6, vcc
	s_brev_b32 s0, 1
	v_and_or_b32 v3, v4, s0, v3
	v_cvt_f16_f32_e32 v3, v3
.LBB29_524:
	s_mov_b64 s[8:9], 0
	s_mov_b64 s[0:1], -1
.LBB29_525:
	s_andn2_b64 vcc, exec, s[8:9]
	s_cbranch_vccnz .LBB29_538
; %bb.526:
	s_cmp_gt_i32 s12, 14
	s_cbranch_scc0 .LBB29_529
; %bb.527:
	s_cmp_eq_u32 s12, 15
	s_cbranch_scc0 .LBB29_532
; %bb.528:
	global_load_ushort v3, v[1:2], off
	s_mov_b64 s[0:1], -1
	s_mov_b64 s[2:3], 0
	s_waitcnt vmcnt(0)
	v_lshlrev_b32_e32 v3, 16, v3
	v_cvt_f16_f32_e32 v3, v3
	s_branch .LBB29_533
.LBB29_529:
	s_mov_b64 s[8:9], -1
                                        ; implicit-def: $vgpr3
	s_branch .LBB29_534
.LBB29_530:
	s_or_saveexec_b64 s[8:9], s[8:9]
	v_mov_b32_e32 v3, 0x7e00
	s_xor_b64 exec, exec, s[8:9]
	s_cbranch_execz .LBB29_511
.LBB29_531:
	v_cmp_ne_u16_e32 vcc, 0, v4
	s_andn2_b64 s[0:1], s[0:1], exec
	s_and_b64 s[10:11], vcc, exec
	s_or_b64 s[0:1], s[0:1], s[10:11]
	v_mov_b32_e32 v3, v4
	s_or_b64 exec, exec, s[8:9]
	s_and_saveexec_b64 s[8:9], s[0:1]
	s_cbranch_execnz .LBB29_512
	s_branch .LBB29_513
.LBB29_532:
	s_mov_b64 s[2:3], -1
                                        ; implicit-def: $vgpr3
.LBB29_533:
	s_mov_b64 s[8:9], 0
.LBB29_534:
	s_and_b64 vcc, exec, s[8:9]
	s_cbranch_vccz .LBB29_538
; %bb.535:
	s_cmp_eq_u32 s12, 11
	s_cbranch_scc0 .LBB29_537
; %bb.536:
	global_load_ubyte v3, v[1:2], off
	v_mov_b32_e32 v4, 0x3c00
	s_mov_b64 s[0:1], -1
	s_mov_b64 s[2:3], 0
	s_waitcnt vmcnt(0)
	v_cmp_ne_u16_e32 vcc, 0, v3
	v_cndmask_b32_e32 v3, 0, v4, vcc
	s_branch .LBB29_538
.LBB29_537:
	s_mov_b64 s[2:3], -1
                                        ; implicit-def: $vgpr3
.LBB29_538:
	s_branch .LBB29_317
.LBB29_539:
	s_cmp_lt_i32 s12, 5
	s_cbranch_scc1 .LBB29_544
; %bb.540:
	s_cmp_lt_i32 s12, 8
	s_cbranch_scc1 .LBB29_545
; %bb.541:
	;; [unrolled: 3-line block ×3, first 2 shown]
	s_cmp_gt_i32 s12, 9
	s_cbranch_scc0 .LBB29_547
; %bb.543:
	global_load_dwordx2 v[3:4], v[1:2], off
	s_movk_i32 s0, 0x1ff
	s_movk_i32 s1, 0xffe
	v_mov_b32_e32 v5, 0x7c00
	v_mov_b32_e32 v6, 0x7e00
	s_movk_i32 s8, 0x40f
	s_mov_b32 s9, 0x8000
	s_waitcnt vmcnt(0)
	v_and_or_b32 v3, v4, s0, v3
	v_cmp_ne_u32_e32 vcc, 0, v3
	v_lshrrev_b32_e32 v7, 8, v4
	v_bfe_u32 v9, v4, 20, 11
	v_cndmask_b32_e64 v3, 0, 1, vcc
	v_sub_u32_e32 v10, 0x3f1, v9
	v_and_or_b32 v3, v7, s1, v3
	v_add_u32_e32 v9, 0xfffffc10, v9
	v_med3_i32 v7, v10, 0, 13
	v_or_b32_e32 v10, 0x1000, v3
	v_cmp_ne_u32_e32 vcc, 0, v3
	v_lshl_or_b32 v11, v9, 12, v3
	v_cndmask_b32_e32 v3, v5, v6, vcc
	v_lshrrev_b32_e32 v6, v7, v10
	v_lshlrev_b32_e32 v7, v7, v6
	v_cmp_ne_u32_e32 vcc, v7, v10
	v_cndmask_b32_e64 v7, 0, 1, vcc
	v_or_b32_e32 v6, v6, v7
	v_cmp_gt_i32_e32 vcc, 1, v9
	v_cndmask_b32_e32 v6, v11, v6, vcc
	v_and_b32_e32 v7, 7, v6
	v_cmp_lt_i32_e32 vcc, 5, v7
	v_cndmask_b32_e64 v10, 0, 1, vcc
	v_cmp_eq_u32_e32 vcc, 3, v7
	v_cndmask_b32_e64 v7, 0, 1, vcc
	v_lshrrev_b32_e32 v6, 2, v6
	v_or_b32_e32 v7, v7, v10
	v_add_u32_e32 v6, v6, v7
	v_cmp_gt_i32_e32 vcc, 31, v9
	v_cndmask_b32_e32 v5, v5, v6, vcc
	v_cmp_eq_u32_e32 vcc, s8, v9
	v_lshrrev_b32_e32 v4, 16, v4
	v_cndmask_b32_e32 v3, v5, v3, vcc
	v_and_or_b32 v3, v4, s9, v3
	s_mov_b64 s[0:1], 0
	s_branch .LBB29_548
.LBB29_544:
	s_mov_b64 s[0:1], -1
                                        ; implicit-def: $vgpr3
	s_branch .LBB29_566
.LBB29_545:
	s_mov_b64 s[0:1], -1
                                        ; implicit-def: $vgpr3
	s_branch .LBB29_554
.LBB29_546:
	s_mov_b64 s[0:1], -1
                                        ; implicit-def: $vgpr3
	s_branch .LBB29_551
.LBB29_547:
	s_mov_b64 s[0:1], -1
                                        ; implicit-def: $vgpr3
.LBB29_548:
	s_andn2_b64 vcc, exec, s[0:1]
	s_cbranch_vccnz .LBB29_550
; %bb.549:
	global_load_dword v3, v[1:2], off
	s_waitcnt vmcnt(0)
	v_cvt_f16_f32_e32 v3, v3
.LBB29_550:
	s_mov_b64 s[0:1], 0
.LBB29_551:
	s_andn2_b64 vcc, exec, s[0:1]
	s_cbranch_vccnz .LBB29_553
; %bb.552:
	global_load_dword v3, v[1:2], off
.LBB29_553:
	s_mov_b64 s[0:1], 0
.LBB29_554:
	s_andn2_b64 vcc, exec, s[0:1]
	s_cbranch_vccnz .LBB29_565
; %bb.555:
	s_cmp_lt_i32 s12, 6
	s_cbranch_scc1 .LBB29_558
; %bb.556:
	s_cmp_gt_i32 s12, 6
	s_cbranch_scc0 .LBB29_559
; %bb.557:
	global_load_dwordx2 v[3:4], v[1:2], off
	s_movk_i32 s0, 0x1ff
	s_movk_i32 s1, 0xffe
	v_mov_b32_e32 v5, 0x7c00
	v_mov_b32_e32 v6, 0x7e00
	s_movk_i32 s8, 0x40f
	s_mov_b32 s9, 0x8000
	s_waitcnt vmcnt(0)
	v_and_or_b32 v3, v4, s0, v3
	v_cmp_ne_u32_e32 vcc, 0, v3
	v_lshrrev_b32_e32 v7, 8, v4
	v_bfe_u32 v9, v4, 20, 11
	v_cndmask_b32_e64 v3, 0, 1, vcc
	v_sub_u32_e32 v10, 0x3f1, v9
	v_and_or_b32 v3, v7, s1, v3
	v_add_u32_e32 v9, 0xfffffc10, v9
	v_med3_i32 v7, v10, 0, 13
	v_or_b32_e32 v10, 0x1000, v3
	v_cmp_ne_u32_e32 vcc, 0, v3
	v_lshl_or_b32 v11, v9, 12, v3
	v_cndmask_b32_e32 v3, v5, v6, vcc
	v_lshrrev_b32_e32 v6, v7, v10
	v_lshlrev_b32_e32 v7, v7, v6
	v_cmp_ne_u32_e32 vcc, v7, v10
	v_cndmask_b32_e64 v7, 0, 1, vcc
	v_or_b32_e32 v6, v6, v7
	v_cmp_gt_i32_e32 vcc, 1, v9
	v_cndmask_b32_e32 v6, v11, v6, vcc
	v_and_b32_e32 v7, 7, v6
	v_cmp_lt_i32_e32 vcc, 5, v7
	v_cndmask_b32_e64 v10, 0, 1, vcc
	v_cmp_eq_u32_e32 vcc, 3, v7
	v_cndmask_b32_e64 v7, 0, 1, vcc
	v_lshrrev_b32_e32 v6, 2, v6
	v_or_b32_e32 v7, v7, v10
	v_add_u32_e32 v6, v6, v7
	v_cmp_gt_i32_e32 vcc, 31, v9
	v_cndmask_b32_e32 v5, v5, v6, vcc
	v_cmp_eq_u32_e32 vcc, s8, v9
	v_lshrrev_b32_e32 v4, 16, v4
	v_cndmask_b32_e32 v3, v5, v3, vcc
	v_and_or_b32 v3, v4, s9, v3
	s_mov_b64 s[0:1], 0
	s_branch .LBB29_560
.LBB29_558:
	s_mov_b64 s[0:1], -1
                                        ; implicit-def: $vgpr3
	s_branch .LBB29_563
.LBB29_559:
	s_mov_b64 s[0:1], -1
                                        ; implicit-def: $vgpr3
.LBB29_560:
	s_andn2_b64 vcc, exec, s[0:1]
	s_cbranch_vccnz .LBB29_562
; %bb.561:
	global_load_dword v3, v[1:2], off
	s_waitcnt vmcnt(0)
	v_cvt_f16_f32_e32 v3, v3
.LBB29_562:
	s_mov_b64 s[0:1], 0
.LBB29_563:
	s_andn2_b64 vcc, exec, s[0:1]
	s_cbranch_vccnz .LBB29_565
; %bb.564:
	global_load_ushort v3, v[1:2], off
.LBB29_565:
	s_mov_b64 s[0:1], 0
.LBB29_566:
	s_andn2_b64 vcc, exec, s[0:1]
	s_cbranch_vccnz .LBB29_586
; %bb.567:
	s_cmp_lt_i32 s12, 2
	s_cbranch_scc1 .LBB29_571
; %bb.568:
	s_cmp_lt_i32 s12, 3
	s_cbranch_scc1 .LBB29_572
; %bb.569:
	s_cmp_gt_i32 s12, 3
	s_cbranch_scc0 .LBB29_573
; %bb.570:
	global_load_dwordx2 v[3:4], v[1:2], off
	s_mov_b64 s[0:1], 0
	s_waitcnt vmcnt(0)
	v_xor_b32_e32 v6, v3, v4
	v_ffbh_i32_e32 v5, v4
	v_ashrrev_i32_e32 v6, 31, v6
	v_add_u32_e32 v5, -1, v5
	v_add_u32_e32 v6, 32, v6
	v_min_u32_e32 v5, v5, v6
	v_lshlrev_b64 v[3:4], v5, v[3:4]
	v_min_u32_e32 v3, 1, v3
	v_or_b32_e32 v3, v4, v3
	v_cvt_f32_i32_e32 v3, v3
	v_sub_u32_e32 v4, 32, v5
	v_ldexp_f32 v3, v3, v4
	v_cvt_f16_f32_e32 v3, v3
	s_branch .LBB29_574
.LBB29_571:
	s_mov_b64 s[0:1], -1
                                        ; implicit-def: $vgpr3
	s_branch .LBB29_580
.LBB29_572:
	s_mov_b64 s[0:1], -1
                                        ; implicit-def: $vgpr3
	s_branch .LBB29_577
.LBB29_573:
	s_mov_b64 s[0:1], -1
                                        ; implicit-def: $vgpr3
.LBB29_574:
	s_andn2_b64 vcc, exec, s[0:1]
	s_cbranch_vccnz .LBB29_576
; %bb.575:
	global_load_dword v3, v[1:2], off
	s_waitcnt vmcnt(0)
	v_cvt_f32_i32_e32 v3, v3
	v_cvt_f16_f32_e32 v3, v3
.LBB29_576:
	s_mov_b64 s[0:1], 0
.LBB29_577:
	s_andn2_b64 vcc, exec, s[0:1]
	s_cbranch_vccnz .LBB29_579
; %bb.578:
	global_load_ushort v3, v[1:2], off
	s_waitcnt vmcnt(0)
	v_cvt_f16_i16_e32 v3, v3
.LBB29_579:
	s_mov_b64 s[0:1], 0
.LBB29_580:
	s_andn2_b64 vcc, exec, s[0:1]
	s_cbranch_vccnz .LBB29_586
; %bb.581:
	s_cmp_gt_i32 s12, 0
	s_cbranch_scc0 .LBB29_583
; %bb.582:
	global_load_sbyte v3, v[1:2], off
	s_mov_b64 s[0:1], 0
	s_waitcnt vmcnt(0)
	v_cvt_f16_i16_e32 v3, v3
	s_branch .LBB29_584
.LBB29_583:
	s_mov_b64 s[0:1], -1
                                        ; implicit-def: $vgpr3
.LBB29_584:
	s_andn2_b64 vcc, exec, s[0:1]
	s_cbranch_vccnz .LBB29_586
; %bb.585:
	global_load_ubyte v1, v[1:2], off
	s_waitcnt vmcnt(0)
	v_cvt_f16_u16_e32 v3, v1
.LBB29_586:
	s_branch .LBB29_318
.LBB29_587:
	s_mov_b64 s[8:9], 0
	s_mov_b64 s[0:1], s[52:53]
.LBB29_588:
                                        ; implicit-def: $vgpr8
.LBB29_589:
	s_andn2_b64 s[10:11], s[52:53], exec
	s_and_b64 s[0:1], s[0:1], exec
	s_or_b64 s[60:61], s[10:11], s[0:1]
	s_andn2_b64 s[0:1], s[54:55], exec
	s_and_b64 s[2:3], s[2:3], exec
	s_or_b64 s[58:59], s[0:1], s[2:3]
	s_orn2_b64 s[0:1], s[8:9], exec
.LBB29_590:
	s_or_b64 exec, exec, s[62:63]
	s_mov_b64 s[2:3], 0
	s_mov_b64 s[8:9], 0
	;; [unrolled: 1-line block ×3, first 2 shown]
                                        ; implicit-def: $vgpr1_vgpr2
                                        ; implicit-def: $vgpr0
                                        ; implicit-def: $vgpr4
	s_and_saveexec_b64 s[62:63], s[0:1]
	s_cbranch_execz .LBB29_989
; %bb.591:
	v_cmp_gt_i32_e32 vcc, s70, v8
	s_mov_b64 s[2:3], -1
	s_mov_b64 s[66:67], s[58:59]
	s_mov_b64 s[68:69], s[60:61]
	s_and_saveexec_b64 s[64:65], vcc
	s_cbranch_execz .LBB29_889
; %bb.592:
	s_andn2_b64 vcc, exec, s[40:41]
	s_cbranch_vccnz .LBB29_597
; %bb.593:
	s_andn2_b64 vcc, exec, s[50:51]
	s_cbranch_vccnz .LBB29_598
; %bb.594:
	s_add_i32 s76, s75, 1
	s_cmp_eq_u32 s72, 2
	s_cbranch_scc1 .LBB29_599
; %bb.595:
	s_and_b32 s71, s76, 28
	v_mov_b32_e32 v2, 0
	s_mov_b32 s77, 0
	s_mov_b64 s[66:67], s[34:35]
	s_mov_b64 s[68:69], s[48:49]
	v_mov_b32_e32 v0, 0
	v_mov_b32_e32 v1, v8
.LBB29_596:                             ; =>This Inner Loop Header: Depth=1
	s_load_dwordx8 s[16:23], s[66:67], 0x4
	s_load_dwordx4 s[0:3], s[66:67], 0x24
	s_load_dwordx8 s[8:15], s[68:69], 0x0
	s_add_u32 s66, s66, 48
	s_addc_u32 s67, s67, 0
	s_waitcnt vmcnt(0) lgkmcnt(0)
	v_mul_hi_u32 v3, s17, v1
	s_add_i32 s77, s77, 4
	s_add_u32 s68, s68, 32
	s_addc_u32 s69, s69, 0
	v_add_u32_e32 v3, v1, v3
	v_lshrrev_b32_e32 v3, s18, v3
	v_mul_lo_u32 v4, v3, s16
	v_mul_hi_u32 v5, s20, v3
	s_cmp_eq_u32 s71, s77
	v_sub_u32_e32 v1, v1, v4
	v_add_u32_e32 v4, v3, v5
	v_mul_lo_u32 v5, v1, s8
	v_mul_lo_u32 v6, v1, s9
	v_lshrrev_b32_e32 v1, s21, v4
	v_mul_lo_u32 v4, v1, s19
	v_mul_hi_u32 v7, s23, v1
	v_sub_u32_e32 v3, v3, v4
	v_add_u32_e32 v4, v1, v7
	v_lshrrev_b32_e32 v4, s0, v4
	v_mul_hi_u32 v9, s2, v4
	v_mul_lo_u32 v10, v4, s22
	v_mul_lo_u32 v7, v3, s10
	v_mul_lo_u32 v3, v3, s11
	v_sub_u32_e32 v10, v1, v10
	v_add_u32_e32 v1, v4, v9
	v_lshrrev_b32_e32 v1, s3, v1
	v_mul_lo_u32 v9, v1, s1
	v_mul_lo_u32 v11, v10, s12
	;; [unrolled: 1-line block ×3, first 2 shown]
	v_add3_u32 v0, v5, v0, v7
	v_sub_u32_e32 v4, v4, v9
	v_mul_lo_u32 v9, v4, s14
	v_mul_lo_u32 v4, v4, s15
	v_add3_u32 v2, v6, v2, v3
	v_add3_u32 v0, v11, v0, v9
	;; [unrolled: 1-line block ×3, first 2 shown]
	s_cbranch_scc0 .LBB29_596
	s_branch .LBB29_600
.LBB29_597:
	s_mov_b64 s[0:1], -1
                                        ; implicit-def: $vgpr0
                                        ; implicit-def: $vgpr2
	s_branch .LBB29_604
.LBB29_598:
	v_mov_b32_e32 v0, 0
	v_mov_b32_e32 v2, 0
	s_branch .LBB29_603
.LBB29_599:
	s_mov_b32 s71, 0
	v_mov_b32_e32 v0, 0
	v_mov_b32_e32 v2, 0
	;; [unrolled: 1-line block ×3, first 2 shown]
.LBB29_600:
	s_and_b32 s8, s76, 3
	s_cmp_eq_u32 s8, 0
	s_cbranch_scc1 .LBB29_603
; %bb.601:
	s_lshl_b32 s0, s71, 3
	s_add_u32 s0, s34, s0
	s_addc_u32 s1, s35, 0
	s_add_u32 s0, s0, 0xc4
	s_addc_u32 s1, s1, 0
	s_mul_i32 s2, s71, 12
	s_add_u32 s2, s34, s2
	s_addc_u32 s3, s35, 0
.LBB29_602:                             ; =>This Inner Loop Header: Depth=1
	s_load_dwordx2 s[10:11], s[2:3], 0x4
	s_load_dword s9, s[2:3], 0xc
	s_load_dwordx2 s[12:13], s[0:1], 0x0
	s_add_u32 s2, s2, 12
	s_addc_u32 s3, s3, 0
	s_waitcnt vmcnt(0) lgkmcnt(0)
	v_mul_hi_u32 v3, s11, v1
	s_add_u32 s0, s0, 8
	s_addc_u32 s1, s1, 0
	s_add_i32 s8, s8, -1
	v_add_u32_e32 v3, v1, v3
	v_lshrrev_b32_e32 v4, s9, v3
	v_mul_lo_u32 v3, v4, s10
	s_cmp_lg_u32 s8, 0
	v_sub_u32_e32 v3, v1, v3
	v_mad_u64_u32 v[0:1], s[10:11], v3, s12, v[0:1]
	v_mad_u64_u32 v[2:3], s[10:11], v3, s13, v[2:3]
	v_mov_b32_e32 v1, v4
	s_cbranch_scc1 .LBB29_602
.LBB29_603:
	s_mov_b64 s[0:1], 0
.LBB29_604:
	s_andn2_b64 vcc, exec, s[0:1]
	s_cbranch_vccnz .LBB29_607
; %bb.605:
	s_waitcnt lgkmcnt(0)
	v_mul_hi_u32 v0, s37, v8
	s_andn2_b64 vcc, exec, s[46:47]
	v_add_u32_e32 v0, v8, v0
	v_lshrrev_b32_e32 v1, s38, v0
	v_mul_lo_u32 v0, v1, s36
	v_sub_u32_e32 v2, v8, v0
	v_mul_lo_u32 v0, v2, s28
	v_mul_lo_u32 v2, v2, s29
	s_cbranch_vccnz .LBB29_607
; %bb.606:
	s_waitcnt vmcnt(0)
	v_mul_hi_u32 v3, s44, v1
	v_add_u32_e32 v3, v1, v3
	v_lshrrev_b32_e32 v3, s45, v3
	v_mul_lo_u32 v3, v3, s39
	v_sub_u32_e32 v3, v1, v3
	v_mad_u64_u32 v[0:1], s[0:1], v3, s30, v[0:1]
	v_mad_u64_u32 v[2:3], s[0:1], v3, s31, v[2:3]
.LBB29_607:
	s_waitcnt vmcnt(0) lgkmcnt(0)
	v_mov_b32_e32 v3, s27
	s_and_b32 s12, 0xffff, s74
	v_add_co_u32_e32 v1, vcc, s26, v2
	s_cmp_lt_i32 s12, 11
	v_addc_co_u32_e32 v2, vcc, 0, v3, vcc
	s_cbranch_scc1 .LBB29_614
; %bb.608:
	s_cmp_gt_i32 s12, 25
	s_cbranch_scc0 .LBB29_615
; %bb.609:
	s_cmp_gt_i32 s12, 28
	s_cbranch_scc0 .LBB29_616
	;; [unrolled: 3-line block ×4, first 2 shown]
; %bb.612:
	s_cmp_eq_u32 s12, 46
	s_mov_b64 s[8:9], 0
	s_cbranch_scc0 .LBB29_623
; %bb.613:
	global_load_dword v3, v[1:2], off
	s_mov_b64 s[0:1], -1
	s_mov_b64 s[2:3], 0
	s_waitcnt vmcnt(0)
	v_lshlrev_b32_e32 v3, 16, v3
	v_cvt_f16_f32_e32 v3, v3
	s_branch .LBB29_624
.LBB29_614:
	s_mov_b64 s[8:9], -1
	s_mov_b64 s[0:1], 0
                                        ; implicit-def: $vgpr3
	s_mov_b64 s[2:3], s[58:59]
	s_branch .LBB29_689
.LBB29_615:
	s_mov_b64 s[8:9], -1
	s_mov_b64 s[0:1], 0
	s_mov_b64 s[2:3], s[58:59]
                                        ; implicit-def: $vgpr3
	s_branch .LBB29_653
.LBB29_616:
	s_mov_b64 s[8:9], -1
	s_mov_b64 s[0:1], 0
	s_mov_b64 s[2:3], s[58:59]
                                        ; implicit-def: $vgpr3
	s_branch .LBB29_634
.LBB29_617:
	s_mov_b64 s[8:9], -1
	s_mov_b64 s[0:1], 0
	s_mov_b64 s[2:3], s[58:59]
                                        ; implicit-def: $vgpr3
	s_branch .LBB29_629
.LBB29_618:
	s_andn2_saveexec_b64 s[12:13], s[12:13]
	s_cbranch_execz .LBB29_387
.LBB29_619:
	s_mov_b32 s16, 0x46000000
	v_add_f32_e64 v4, |v3|, s16
	v_and_b32_e32 v4, 0xff, v4
	v_cmp_ne_u32_e32 vcc, 0, v4
	s_andn2_b64 s[10:11], s[10:11], exec
	s_and_b64 s[16:17], vcc, exec
	s_or_b64 s[10:11], s[10:11], s[16:17]
	s_or_b64 exec, exec, s[12:13]
	v_mov_b32_e32 v5, 0
	s_and_saveexec_b64 s[12:13], s[10:11]
	s_cbranch_execnz .LBB29_388
	s_branch .LBB29_389
.LBB29_620:
	s_mov_b64 s[8:9], -1
	s_mov_b64 s[0:1], 0
	s_mov_b64 s[2:3], s[58:59]
                                        ; implicit-def: $vgpr3
	s_branch .LBB29_624
.LBB29_621:
	s_andn2_saveexec_b64 s[12:13], s[12:13]
	s_cbranch_execz .LBB29_400
.LBB29_622:
	s_mov_b32 s16, 0x42800000
	v_add_f32_e64 v4, |v3|, s16
	v_and_b32_e32 v4, 0xff, v4
	v_cmp_ne_u32_e32 vcc, 0, v4
	s_andn2_b64 s[10:11], s[10:11], exec
	s_and_b64 s[16:17], vcc, exec
	s_or_b64 s[10:11], s[10:11], s[16:17]
	s_or_b64 exec, exec, s[12:13]
	v_mov_b32_e32 v5, 0
	s_and_saveexec_b64 s[12:13], s[10:11]
	s_cbranch_execnz .LBB29_401
	s_branch .LBB29_402
.LBB29_623:
	s_mov_b64 s[2:3], -1
                                        ; implicit-def: $vgpr3
	s_mov_b64 s[0:1], 0
.LBB29_624:
	s_and_b64 vcc, exec, s[8:9]
	s_cbranch_vccz .LBB29_628
; %bb.625:
	s_cmp_eq_u32 s12, 44
	s_cbranch_scc0 .LBB29_627
; %bb.626:
	global_load_ubyte v3, v[1:2], off
	s_movk_i32 s2, 0xff
	v_mov_b32_e32 v5, 0x7e00
	s_mov_b64 s[0:1], -1
	s_waitcnt vmcnt(0)
	v_lshlrev_b32_e32 v4, 23, v3
	v_cvt_f16_f32_e32 v4, v4
	v_cmp_ne_u32_e32 vcc, s2, v3
	s_mov_b64 s[2:3], 0
	v_cndmask_b32_e32 v4, v5, v4, vcc
	v_cmp_ne_u32_e32 vcc, 0, v3
	v_cndmask_b32_e32 v3, 0, v4, vcc
	s_branch .LBB29_628
.LBB29_627:
	s_mov_b64 s[2:3], -1
                                        ; implicit-def: $vgpr3
.LBB29_628:
	s_mov_b64 s[8:9], 0
.LBB29_629:
	s_and_b64 vcc, exec, s[8:9]
	s_cbranch_vccz .LBB29_633
; %bb.630:
	s_cmp_eq_u32 s12, 29
	s_cbranch_scc0 .LBB29_632
; %bb.631:
	global_load_dwordx2 v[3:4], v[1:2], off
	s_mov_b64 s[0:1], -1
	s_mov_b64 s[2:3], 0
	s_mov_b64 s[8:9], 0
	s_waitcnt vmcnt(0)
	v_ffbh_u32_e32 v5, v4
	v_min_u32_e32 v5, 32, v5
	v_lshlrev_b64 v[3:4], v5, v[3:4]
	v_min_u32_e32 v3, 1, v3
	v_or_b32_e32 v3, v4, v3
	v_cvt_f32_u32_e32 v3, v3
	v_sub_u32_e32 v4, 32, v5
	v_ldexp_f32 v3, v3, v4
	v_cvt_f16_f32_e32 v3, v3
	s_branch .LBB29_634
.LBB29_632:
	s_mov_b64 s[2:3], -1
                                        ; implicit-def: $vgpr3
.LBB29_633:
	s_mov_b64 s[8:9], 0
.LBB29_634:
	s_and_b64 vcc, exec, s[8:9]
	s_cbranch_vccz .LBB29_652
; %bb.635:
	s_cmp_lt_i32 s12, 27
	s_cbranch_scc1 .LBB29_638
; %bb.636:
	s_cmp_gt_i32 s12, 27
	s_cbranch_scc0 .LBB29_639
; %bb.637:
	global_load_dword v3, v[1:2], off
	s_mov_b64 s[0:1], 0
	s_waitcnt vmcnt(0)
	v_cvt_f32_u32_e32 v3, v3
	v_cvt_f16_f32_e32 v3, v3
	s_branch .LBB29_640
.LBB29_638:
	s_mov_b64 s[0:1], -1
                                        ; implicit-def: $vgpr3
	s_branch .LBB29_643
.LBB29_639:
	s_mov_b64 s[0:1], -1
                                        ; implicit-def: $vgpr3
.LBB29_640:
	s_andn2_b64 vcc, exec, s[0:1]
	s_cbranch_vccnz .LBB29_642
; %bb.641:
	global_load_ushort v3, v[1:2], off
	s_waitcnt vmcnt(0)
	v_cvt_f16_u16_e32 v3, v3
.LBB29_642:
	s_mov_b64 s[0:1], 0
.LBB29_643:
	s_andn2_b64 vcc, exec, s[0:1]
	s_cbranch_vccnz .LBB29_651
; %bb.644:
	global_load_ubyte v4, v[1:2], off
	s_movk_i32 s0, 0x7f
	s_waitcnt vmcnt(0)
	v_cmp_lt_i16_e32 vcc, s0, v4
	s_mov_b64 s[0:1], 0
	s_and_saveexec_b64 s[8:9], vcc
	s_xor_b64 s[8:9], exec, s[8:9]
	s_cbranch_execz .LBB29_665
; %bb.645:
	s_movk_i32 s0, 0x80
	v_cmp_eq_u16_e32 vcc, s0, v4
	s_mov_b64 s[0:1], -1
	s_and_saveexec_b64 s[10:11], vcc
; %bb.646:
	s_xor_b64 s[0:1], exec, -1
; %bb.647:
	s_or_b64 exec, exec, s[10:11]
	s_and_b64 s[0:1], s[0:1], exec
	s_or_saveexec_b64 s[8:9], s[8:9]
	v_mov_b32_e32 v3, 0x7e00
	s_xor_b64 exec, exec, s[8:9]
	s_cbranch_execnz .LBB29_666
.LBB29_648:
	s_or_b64 exec, exec, s[8:9]
	s_and_saveexec_b64 s[8:9], s[0:1]
	s_cbranch_execz .LBB29_650
.LBB29_649:
	v_lshlrev_b32_e32 v3, 24, v4
	v_and_b32_e32 v4, 0xffff, v4
	v_and_b32_e32 v5, 7, v4
	v_ffbh_u32_e32 v7, v5
	v_min_u32_e32 v7, 32, v7
	v_subrev_u32_e32 v9, 28, v7
	v_bfe_u32 v6, v4, 3, 4
	v_lshlrev_b32_e32 v4, v9, v4
	v_sub_u32_e32 v7, 29, v7
	v_and_b32_e32 v4, 7, v4
	v_cmp_eq_u32_e32 vcc, 0, v6
	v_cndmask_b32_e32 v6, v6, v7, vcc
	v_cndmask_b32_e32 v4, v5, v4, vcc
	v_mov_b32_e32 v5, 0x3b800000
	v_lshlrev_b32_e32 v4, 20, v4
	v_and_b32_e32 v3, 0x80000000, v3
	v_lshl_add_u32 v5, v6, 23, v5
	v_or3_b32 v3, v3, v5, v4
	v_cvt_f16_f32_e32 v3, v3
.LBB29_650:
	s_or_b64 exec, exec, s[8:9]
.LBB29_651:
	s_mov_b64 s[0:1], -1
.LBB29_652:
	s_mov_b64 s[8:9], 0
.LBB29_653:
	s_and_b64 vcc, exec, s[8:9]
	s_cbranch_vccz .LBB29_688
; %bb.654:
	s_cmp_gt_i32 s12, 22
	s_cbranch_scc0 .LBB29_664
; %bb.655:
	s_cmp_lt_i32 s12, 24
	s_cbranch_scc1 .LBB29_667
; %bb.656:
	s_cmp_gt_i32 s12, 24
	s_cbranch_scc0 .LBB29_668
; %bb.657:
	global_load_ubyte v4, v[1:2], off
	s_movk_i32 s0, 0x7f
	s_waitcnt vmcnt(0)
	v_cmp_lt_i16_e32 vcc, s0, v4
	s_mov_b64 s[0:1], 0
	s_and_saveexec_b64 s[8:9], vcc
	s_xor_b64 s[8:9], exec, s[8:9]
	s_cbranch_execz .LBB29_680
; %bb.658:
	s_movk_i32 s0, 0x80
	v_cmp_eq_u16_e32 vcc, s0, v4
	s_mov_b64 s[0:1], -1
	s_and_saveexec_b64 s[10:11], vcc
; %bb.659:
	s_xor_b64 s[0:1], exec, -1
; %bb.660:
	s_or_b64 exec, exec, s[10:11]
	s_and_b64 s[0:1], s[0:1], exec
	s_or_saveexec_b64 s[8:9], s[8:9]
	v_mov_b32_e32 v3, 0x7e00
	s_xor_b64 exec, exec, s[8:9]
	s_cbranch_execnz .LBB29_681
.LBB29_661:
	s_or_b64 exec, exec, s[8:9]
	s_and_saveexec_b64 s[8:9], s[0:1]
	s_cbranch_execz .LBB29_663
.LBB29_662:
	v_lshlrev_b32_e32 v3, 24, v4
	v_and_b32_e32 v4, 0xffff, v4
	v_and_b32_e32 v5, 3, v4
	v_ffbh_u32_e32 v7, v5
	v_min_u32_e32 v7, 32, v7
	v_subrev_u32_e32 v9, 29, v7
	v_bfe_u32 v6, v4, 2, 5
	v_lshlrev_b32_e32 v4, v9, v4
	v_sub_u32_e32 v7, 30, v7
	v_and_b32_e32 v4, 3, v4
	v_cmp_eq_u32_e32 vcc, 0, v6
	v_cndmask_b32_e32 v6, v6, v7, vcc
	v_cndmask_b32_e32 v4, v5, v4, vcc
	v_mov_b32_e32 v5, 0x37800000
	v_lshlrev_b32_e32 v4, 21, v4
	v_and_b32_e32 v3, 0x80000000, v3
	v_lshl_add_u32 v5, v6, 23, v5
	v_or3_b32 v3, v3, v5, v4
	v_cvt_f16_f32_e32 v3, v3
.LBB29_663:
	s_or_b64 exec, exec, s[8:9]
	s_mov_b64 s[0:1], 0
	s_branch .LBB29_669
.LBB29_664:
	s_mov_b64 s[8:9], -1
                                        ; implicit-def: $vgpr3
	s_branch .LBB29_675
.LBB29_665:
	s_or_saveexec_b64 s[8:9], s[8:9]
	v_mov_b32_e32 v3, 0x7e00
	s_xor_b64 exec, exec, s[8:9]
	s_cbranch_execz .LBB29_648
.LBB29_666:
	v_cmp_ne_u16_e32 vcc, 0, v4
	s_andn2_b64 s[0:1], s[0:1], exec
	s_and_b64 s[10:11], vcc, exec
	s_or_b64 s[0:1], s[0:1], s[10:11]
	v_mov_b32_e32 v3, v4
	s_or_b64 exec, exec, s[8:9]
	s_and_saveexec_b64 s[8:9], s[0:1]
	s_cbranch_execnz .LBB29_649
	s_branch .LBB29_650
.LBB29_667:
	s_mov_b64 s[0:1], -1
                                        ; implicit-def: $vgpr3
	s_branch .LBB29_672
.LBB29_668:
	s_mov_b64 s[0:1], -1
                                        ; implicit-def: $vgpr3
.LBB29_669:
	s_and_b64 vcc, exec, s[0:1]
	s_cbranch_vccz .LBB29_671
; %bb.670:
	global_load_ubyte v3, v[1:2], off
	s_mov_b32 s0, 0x7f800000
	s_waitcnt vmcnt(0)
	v_lshlrev_b32_e32 v3, 24, v3
	v_and_b32_e32 v4, 0x7f000000, v3
	v_ffbh_u32_e32 v5, v4
	v_min_u32_e32 v5, 32, v5
	v_sub_u32_e64 v5, v5, 4 clamp
	v_lshlrev_b32_e32 v7, v5, v4
	v_lshlrev_b32_e32 v5, 23, v5
	v_lshrrev_b32_e32 v7, 4, v7
	v_add_u32_e32 v6, 0x1000000, v4
	v_sub_u32_e32 v5, v7, v5
	v_ashrrev_i32_e32 v6, 8, v6
	v_add_u32_e32 v5, 0x3c000000, v5
	v_and_or_b32 v5, v6, s0, v5
	v_cmp_ne_u32_e32 vcc, 0, v4
	v_cndmask_b32_e32 v4, 0, v5, vcc
	s_brev_b32 s0, 1
	v_and_or_b32 v3, v3, s0, v4
	v_cvt_f16_f32_e32 v3, v3
.LBB29_671:
	s_mov_b64 s[0:1], 0
.LBB29_672:
	s_andn2_b64 vcc, exec, s[0:1]
	s_cbranch_vccnz .LBB29_674
; %bb.673:
	global_load_ubyte v3, v[1:2], off
	s_movk_i32 s0, 0x7f00
	s_brev_b32 s1, 16
	s_waitcnt vmcnt(0)
	v_lshlrev_b16_e32 v4, 8, v3
	v_lshlrev_b32_e32 v3, 25, v3
	v_lshrrev_b32_e32 v5, 4, v3
	v_and_or_b32 v6, v4, s0, 0.5
	v_or_b32_e32 v5, 0x70000000, v5
	v_add_f32_e32 v6, -0.5, v6
	v_mul_f32_e32 v5, 0x7800000, v5
	v_cmp_gt_u32_e32 vcc, s1, v3
	v_bfe_i32 v4, v4, 0, 16
	v_cndmask_b32_e32 v3, v5, v6, vcc
	s_brev_b32 s0, 1
	v_and_or_b32 v3, v4, s0, v3
	v_cvt_f16_f32_e32 v3, v3
.LBB29_674:
	s_mov_b64 s[8:9], 0
	s_mov_b64 s[0:1], -1
.LBB29_675:
	s_andn2_b64 vcc, exec, s[8:9]
	s_cbranch_vccnz .LBB29_688
; %bb.676:
	s_cmp_gt_i32 s12, 14
	s_cbranch_scc0 .LBB29_679
; %bb.677:
	s_cmp_eq_u32 s12, 15
	s_cbranch_scc0 .LBB29_682
; %bb.678:
	global_load_ushort v3, v[1:2], off
	s_mov_b64 s[0:1], -1
	s_mov_b64 s[2:3], 0
	s_waitcnt vmcnt(0)
	v_lshlrev_b32_e32 v3, 16, v3
	v_cvt_f16_f32_e32 v3, v3
	s_branch .LBB29_683
.LBB29_679:
	s_mov_b64 s[8:9], -1
                                        ; implicit-def: $vgpr3
	s_branch .LBB29_684
.LBB29_680:
	s_or_saveexec_b64 s[8:9], s[8:9]
	v_mov_b32_e32 v3, 0x7e00
	s_xor_b64 exec, exec, s[8:9]
	s_cbranch_execz .LBB29_661
.LBB29_681:
	v_cmp_ne_u16_e32 vcc, 0, v4
	s_andn2_b64 s[0:1], s[0:1], exec
	s_and_b64 s[10:11], vcc, exec
	s_or_b64 s[0:1], s[0:1], s[10:11]
	v_mov_b32_e32 v3, v4
	s_or_b64 exec, exec, s[8:9]
	s_and_saveexec_b64 s[8:9], s[0:1]
	s_cbranch_execnz .LBB29_662
	s_branch .LBB29_663
.LBB29_682:
	s_mov_b64 s[2:3], -1
                                        ; implicit-def: $vgpr3
.LBB29_683:
	s_mov_b64 s[8:9], 0
.LBB29_684:
	s_and_b64 vcc, exec, s[8:9]
	s_cbranch_vccz .LBB29_688
; %bb.685:
	s_cmp_eq_u32 s12, 11
	s_cbranch_scc0 .LBB29_687
; %bb.686:
	global_load_ubyte v3, v[1:2], off
	v_mov_b32_e32 v4, 0x3c00
	s_mov_b64 s[0:1], -1
	s_mov_b64 s[2:3], 0
	s_waitcnt vmcnt(0)
	v_cmp_ne_u16_e32 vcc, 0, v3
	v_cndmask_b32_e32 v3, 0, v4, vcc
	s_branch .LBB29_688
.LBB29_687:
	s_mov_b64 s[2:3], -1
                                        ; implicit-def: $vgpr3
.LBB29_688:
	s_mov_b64 s[8:9], 0
.LBB29_689:
	s_and_b64 vcc, exec, s[8:9]
	s_cbranch_vccz .LBB29_738
; %bb.690:
	s_cmp_lt_i32 s12, 5
	s_cbranch_scc1 .LBB29_695
; %bb.691:
	s_cmp_lt_i32 s12, 8
	s_cbranch_scc1 .LBB29_696
	;; [unrolled: 3-line block ×3, first 2 shown]
; %bb.693:
	s_cmp_gt_i32 s12, 9
	s_cbranch_scc0 .LBB29_698
; %bb.694:
	global_load_dwordx2 v[3:4], v[1:2], off
	s_movk_i32 s0, 0x1ff
	s_movk_i32 s1, 0xffe
	v_mov_b32_e32 v5, 0x7c00
	v_mov_b32_e32 v6, 0x7e00
	s_movk_i32 s8, 0x40f
	s_mov_b32 s9, 0x8000
	s_waitcnt vmcnt(0)
	v_and_or_b32 v3, v4, s0, v3
	v_cmp_ne_u32_e32 vcc, 0, v3
	v_lshrrev_b32_e32 v7, 8, v4
	v_bfe_u32 v9, v4, 20, 11
	v_cndmask_b32_e64 v3, 0, 1, vcc
	v_sub_u32_e32 v10, 0x3f1, v9
	v_and_or_b32 v3, v7, s1, v3
	v_add_u32_e32 v9, 0xfffffc10, v9
	v_med3_i32 v7, v10, 0, 13
	v_or_b32_e32 v10, 0x1000, v3
	v_cmp_ne_u32_e32 vcc, 0, v3
	v_lshl_or_b32 v11, v9, 12, v3
	v_cndmask_b32_e32 v3, v5, v6, vcc
	v_lshrrev_b32_e32 v6, v7, v10
	v_lshlrev_b32_e32 v7, v7, v6
	v_cmp_ne_u32_e32 vcc, v7, v10
	v_cndmask_b32_e64 v7, 0, 1, vcc
	v_or_b32_e32 v6, v6, v7
	v_cmp_gt_i32_e32 vcc, 1, v9
	v_cndmask_b32_e32 v6, v11, v6, vcc
	v_and_b32_e32 v7, 7, v6
	v_cmp_lt_i32_e32 vcc, 5, v7
	v_cndmask_b32_e64 v10, 0, 1, vcc
	v_cmp_eq_u32_e32 vcc, 3, v7
	v_cndmask_b32_e64 v7, 0, 1, vcc
	v_lshrrev_b32_e32 v6, 2, v6
	v_or_b32_e32 v7, v7, v10
	v_add_u32_e32 v6, v6, v7
	v_cmp_gt_i32_e32 vcc, 31, v9
	v_cndmask_b32_e32 v5, v5, v6, vcc
	v_cmp_eq_u32_e32 vcc, s8, v9
	v_lshrrev_b32_e32 v4, 16, v4
	v_cndmask_b32_e32 v3, v5, v3, vcc
	v_and_or_b32 v3, v4, s9, v3
	s_mov_b64 s[0:1], 0
	s_branch .LBB29_699
.LBB29_695:
	s_mov_b64 s[0:1], -1
                                        ; implicit-def: $vgpr3
	s_branch .LBB29_717
.LBB29_696:
	s_mov_b64 s[0:1], -1
                                        ; implicit-def: $vgpr3
	s_branch .LBB29_705
.LBB29_697:
	s_mov_b64 s[0:1], -1
                                        ; implicit-def: $vgpr3
	s_branch .LBB29_702
.LBB29_698:
	s_mov_b64 s[0:1], -1
                                        ; implicit-def: $vgpr3
.LBB29_699:
	s_andn2_b64 vcc, exec, s[0:1]
	s_cbranch_vccnz .LBB29_701
; %bb.700:
	global_load_dword v3, v[1:2], off
	s_waitcnt vmcnt(0)
	v_cvt_f16_f32_e32 v3, v3
.LBB29_701:
	s_mov_b64 s[0:1], 0
.LBB29_702:
	s_andn2_b64 vcc, exec, s[0:1]
	s_cbranch_vccnz .LBB29_704
; %bb.703:
	global_load_dword v3, v[1:2], off
.LBB29_704:
	s_mov_b64 s[0:1], 0
.LBB29_705:
	s_andn2_b64 vcc, exec, s[0:1]
	s_cbranch_vccnz .LBB29_716
; %bb.706:
	s_cmp_lt_i32 s12, 6
	s_cbranch_scc1 .LBB29_709
; %bb.707:
	s_cmp_gt_i32 s12, 6
	s_cbranch_scc0 .LBB29_710
; %bb.708:
	global_load_dwordx2 v[3:4], v[1:2], off
	s_movk_i32 s0, 0x1ff
	s_movk_i32 s1, 0xffe
	v_mov_b32_e32 v5, 0x7c00
	v_mov_b32_e32 v6, 0x7e00
	s_movk_i32 s8, 0x40f
	s_mov_b32 s9, 0x8000
	s_waitcnt vmcnt(0)
	v_and_or_b32 v3, v4, s0, v3
	v_cmp_ne_u32_e32 vcc, 0, v3
	v_lshrrev_b32_e32 v7, 8, v4
	v_bfe_u32 v9, v4, 20, 11
	v_cndmask_b32_e64 v3, 0, 1, vcc
	v_sub_u32_e32 v10, 0x3f1, v9
	v_and_or_b32 v3, v7, s1, v3
	v_add_u32_e32 v9, 0xfffffc10, v9
	v_med3_i32 v7, v10, 0, 13
	v_or_b32_e32 v10, 0x1000, v3
	v_cmp_ne_u32_e32 vcc, 0, v3
	v_lshl_or_b32 v11, v9, 12, v3
	v_cndmask_b32_e32 v3, v5, v6, vcc
	v_lshrrev_b32_e32 v6, v7, v10
	v_lshlrev_b32_e32 v7, v7, v6
	v_cmp_ne_u32_e32 vcc, v7, v10
	v_cndmask_b32_e64 v7, 0, 1, vcc
	v_or_b32_e32 v6, v6, v7
	v_cmp_gt_i32_e32 vcc, 1, v9
	v_cndmask_b32_e32 v6, v11, v6, vcc
	v_and_b32_e32 v7, 7, v6
	v_cmp_lt_i32_e32 vcc, 5, v7
	v_cndmask_b32_e64 v10, 0, 1, vcc
	v_cmp_eq_u32_e32 vcc, 3, v7
	v_cndmask_b32_e64 v7, 0, 1, vcc
	v_lshrrev_b32_e32 v6, 2, v6
	v_or_b32_e32 v7, v7, v10
	v_add_u32_e32 v6, v6, v7
	v_cmp_gt_i32_e32 vcc, 31, v9
	v_cndmask_b32_e32 v5, v5, v6, vcc
	v_cmp_eq_u32_e32 vcc, s8, v9
	v_lshrrev_b32_e32 v4, 16, v4
	v_cndmask_b32_e32 v3, v5, v3, vcc
	v_and_or_b32 v3, v4, s9, v3
	s_mov_b64 s[0:1], 0
	s_branch .LBB29_711
.LBB29_709:
	s_mov_b64 s[0:1], -1
                                        ; implicit-def: $vgpr3
	s_branch .LBB29_714
.LBB29_710:
	s_mov_b64 s[0:1], -1
                                        ; implicit-def: $vgpr3
.LBB29_711:
	s_andn2_b64 vcc, exec, s[0:1]
	s_cbranch_vccnz .LBB29_713
; %bb.712:
	global_load_dword v3, v[1:2], off
	s_waitcnt vmcnt(0)
	v_cvt_f16_f32_e32 v3, v3
.LBB29_713:
	s_mov_b64 s[0:1], 0
.LBB29_714:
	s_andn2_b64 vcc, exec, s[0:1]
	s_cbranch_vccnz .LBB29_716
; %bb.715:
	global_load_ushort v3, v[1:2], off
.LBB29_716:
	s_mov_b64 s[0:1], 0
.LBB29_717:
	s_andn2_b64 vcc, exec, s[0:1]
	s_cbranch_vccnz .LBB29_737
; %bb.718:
	s_cmp_lt_i32 s12, 2
	s_cbranch_scc1 .LBB29_722
; %bb.719:
	s_cmp_lt_i32 s12, 3
	s_cbranch_scc1 .LBB29_723
; %bb.720:
	s_cmp_gt_i32 s12, 3
	s_cbranch_scc0 .LBB29_724
; %bb.721:
	global_load_dwordx2 v[3:4], v[1:2], off
	s_mov_b64 s[0:1], 0
	s_waitcnt vmcnt(0)
	v_xor_b32_e32 v6, v3, v4
	v_ffbh_i32_e32 v5, v4
	v_ashrrev_i32_e32 v6, 31, v6
	v_add_u32_e32 v5, -1, v5
	v_add_u32_e32 v6, 32, v6
	v_min_u32_e32 v5, v5, v6
	v_lshlrev_b64 v[3:4], v5, v[3:4]
	v_min_u32_e32 v3, 1, v3
	v_or_b32_e32 v3, v4, v3
	v_cvt_f32_i32_e32 v3, v3
	v_sub_u32_e32 v4, 32, v5
	v_ldexp_f32 v3, v3, v4
	v_cvt_f16_f32_e32 v3, v3
	s_branch .LBB29_725
.LBB29_722:
	s_mov_b64 s[0:1], -1
                                        ; implicit-def: $vgpr3
	s_branch .LBB29_731
.LBB29_723:
	s_mov_b64 s[0:1], -1
                                        ; implicit-def: $vgpr3
	s_branch .LBB29_728
.LBB29_724:
	s_mov_b64 s[0:1], -1
                                        ; implicit-def: $vgpr3
.LBB29_725:
	s_andn2_b64 vcc, exec, s[0:1]
	s_cbranch_vccnz .LBB29_727
; %bb.726:
	global_load_dword v3, v[1:2], off
	s_waitcnt vmcnt(0)
	v_cvt_f32_i32_e32 v3, v3
	v_cvt_f16_f32_e32 v3, v3
.LBB29_727:
	s_mov_b64 s[0:1], 0
.LBB29_728:
	s_andn2_b64 vcc, exec, s[0:1]
	s_cbranch_vccnz .LBB29_730
; %bb.729:
	global_load_ushort v3, v[1:2], off
	s_waitcnt vmcnt(0)
	v_cvt_f16_i16_e32 v3, v3
.LBB29_730:
	s_mov_b64 s[0:1], 0
.LBB29_731:
	s_andn2_b64 vcc, exec, s[0:1]
	s_cbranch_vccnz .LBB29_737
; %bb.732:
	s_cmp_gt_i32 s12, 0
	s_cbranch_scc0 .LBB29_734
; %bb.733:
	global_load_sbyte v3, v[1:2], off
	s_mov_b64 s[0:1], 0
	s_waitcnt vmcnt(0)
	v_cvt_f16_i16_e32 v3, v3
	s_branch .LBB29_735
.LBB29_734:
	s_mov_b64 s[0:1], -1
                                        ; implicit-def: $vgpr3
.LBB29_735:
	s_andn2_b64 vcc, exec, s[0:1]
	s_cbranch_vccnz .LBB29_737
; %bb.736:
	global_load_ubyte v1, v[1:2], off
	s_waitcnt vmcnt(0)
	v_cvt_f16_u16_e32 v3, v1
.LBB29_737:
	s_mov_b64 s[0:1], -1
.LBB29_738:
	s_andn2_b64 vcc, exec, s[0:1]
	s_cbranch_vccnz .LBB29_770
; %bb.739:
	s_waitcnt vmcnt(0)
	v_cvt_f32_f16_e32 v7, v3
	v_cmp_neq_f16_e32 vcc, 0, v3
                                        ; implicit-def: $vgpr2
	s_and_saveexec_b64 s[0:1], vcc
	s_xor_b64 s[8:9], exec, s[0:1]
	s_cbranch_execz .LBB29_761
; %bb.740:
	v_cmp_gt_f16_e32 vcc, 0, v3
	s_mov_b64 s[0:1], -1
	v_mov_b32_e32 v1, 0
	s_and_saveexec_b64 s[10:11], vcc
	s_cbranch_execz .LBB29_748
; %bb.741:
	v_trunc_f32_e32 v1, v7
	v_cmp_neq_f32_e32 vcc, v1, v7
	s_mov_b64 s[14:15], 0
	v_mov_b32_e32 v1, 0
	s_and_saveexec_b64 s[12:13], vcc
	s_cbranch_execz .LBB29_747
; %bb.742:
	v_cvt_f32_f16_e32 v1, v3
	s_mov_b32 s0, 0
	s_mov_b32 s15, 0xc00921fb
	;; [unrolled: 1-line block ×3, first 2 shown]
	v_cvt_f64_f32_e32 v[1:2], v1
	s_mov_b32 s1, 0x7ff00000
	v_bfrev_b32_e32 v5, 1
	s_mov_b32 s16, 0
	v_trunc_f64_e32 v[3:4], v[1:2]
	v_cmp_neq_f64_e64 vcc, |v[1:2]|, s[0:1]
	s_mov_b32 s17, 0x41d00000
                                        ; implicit-def: $vgpr9
	v_add_f64 v[3:4], v[1:2], -v[3:4]
	v_mul_f64 v[3:4], |v[3:4]|, s[14:15]
	v_cndmask_b32_e32 v2, v5, v4, vcc
	v_cndmask_b32_e32 v1, 0, v3, vcc
	v_cmp_nlt_f64_e64 s[16:17], |v[1:2]|, s[16:17]
                                        ; implicit-def: $vgpr3_vgpr4
                                        ; implicit-def: $vgpr5_vgpr6
	s_and_saveexec_b64 s[18:19], s[16:17]
	s_xor_b64 s[16:17], exec, s[18:19]
	s_cbranch_execz .LBB29_744
; %bb.743:
	v_trig_preop_f64 v[3:4], |v[1:2]|, 0
	s_mov_b32 s18, 0
	s_mov_b32 s19, 0x7b000000
	s_movk_i32 s15, 0xff80
	v_ldexp_f64 v[9:10], |v[1:2]|, s15
	v_cmp_ge_f64_e64 vcc, |v[1:2]|, s[18:19]
	v_trig_preop_f64 v[5:6], |v[1:2]|, 1
	v_and_b32_e32 v11, 0x7fffffff, v2
	v_trig_preop_f64 v[17:18], |v[1:2]|, 2
	v_mov_b32_e32 v28, 0x40100000
	v_mov_b32_e32 v27, 0
	s_mov_b32 s15, 0x3ff921fb
	v_cndmask_b32_e32 v10, v11, v10, vcc
	v_cndmask_b32_e32 v9, v1, v9, vcc
	v_mul_f64 v[11:12], v[3:4], v[9:10]
	v_mul_f64 v[13:14], v[5:6], v[9:10]
	;; [unrolled: 1-line block ×3, first 2 shown]
	v_fma_f64 v[3:4], v[3:4], v[9:10], -v[11:12]
	v_fma_f64 v[5:6], v[5:6], v[9:10], -v[13:14]
	v_fma_f64 v[9:10], v[17:18], v[9:10], -v[23:24]
	v_add_f64 v[15:16], v[13:14], v[3:4]
	v_add_f64 v[19:20], v[15:16], -v[13:14]
	v_add_f64 v[25:26], v[11:12], v[15:16]
	v_add_f64 v[21:22], v[15:16], -v[19:20]
	v_add_f64 v[3:4], v[3:4], -v[19:20]
	v_add_f64 v[19:20], v[23:24], v[5:6]
	v_add_f64 v[11:12], v[25:26], -v[11:12]
	v_add_f64 v[13:14], v[13:14], -v[21:22]
	v_ldexp_f64 v[21:22], v[25:26], -2
	v_add_f64 v[29:30], v[19:20], -v[23:24]
	v_add_f64 v[11:12], v[15:16], -v[11:12]
	v_add_f64 v[3:4], v[3:4], v[13:14]
	v_fract_f64_e32 v[13:14], v[21:22]
	v_cmp_neq_f64_e64 vcc, |v[21:22]|, s[0:1]
	v_add_f64 v[5:6], v[5:6], -v[29:30]
	v_add_f64 v[15:16], v[19:20], v[3:4]
	v_ldexp_f64 v[13:14], v[13:14], 2
	v_add_f64 v[21:22], v[11:12], v[15:16]
	v_cndmask_b32_e32 v14, 0, v14, vcc
	v_cndmask_b32_e32 v13, 0, v13, vcc
	v_add_f64 v[31:32], v[15:16], -v[19:20]
	v_add_f64 v[25:26], v[21:22], v[13:14]
	v_add_f64 v[11:12], v[21:22], -v[11:12]
	v_add_f64 v[33:34], v[15:16], -v[31:32]
	;; [unrolled: 1-line block ×3, first 2 shown]
	v_cmp_gt_f64_e32 vcc, 0, v[25:26]
	v_add_f64 v[25:26], v[19:20], -v[29:30]
	v_add_f64 v[11:12], v[15:16], -v[11:12]
	;; [unrolled: 1-line block ×3, first 2 shown]
	v_cndmask_b32_e32 v28, 0, v28, vcc
	v_add_f64 v[13:14], v[13:14], v[27:28]
	v_add_f64 v[25:26], v[23:24], -v[25:26]
	v_add_f64 v[3:4], v[3:4], v[19:20]
	v_add_f64 v[35:36], v[21:22], v[13:14]
	;; [unrolled: 1-line block ×3, first 2 shown]
	v_cvt_i32_f64_e32 v30, v[35:36]
	v_add_f64 v[3:4], v[5:6], v[3:4]
	v_cvt_f64_i32_e32 v[28:29], v30
	v_add_f64 v[13:14], v[13:14], -v[28:29]
	v_add_f64 v[3:4], v[9:10], v[3:4]
	v_add_f64 v[5:6], v[21:22], v[13:14]
	;; [unrolled: 1-line block ×3, first 2 shown]
	v_mov_b32_e32 v12, 0x3ff00000
	v_add_f64 v[9:10], v[5:6], -v[13:14]
	v_cmp_le_f64_e32 vcc, 0.5, v[5:6]
	v_add_f64 v[10:11], v[21:22], -v[9:10]
	v_cndmask_b32_e32 v28, 0, v12, vcc
	v_add_f64 v[5:6], v[5:6], -v[27:28]
	v_addc_co_u32_e64 v9, s[0:1], 0, v30, vcc
	s_mov_b32 s0, 0x33145c07
	s_mov_b32 s1, 0x3c91a626
	v_add_f64 v[3:4], v[3:4], v[10:11]
	v_add_f64 v[10:11], v[5:6], v[3:4]
	v_mul_f64 v[12:13], v[10:11], s[14:15]
	v_add_f64 v[5:6], v[10:11], -v[5:6]
	v_fma_f64 v[14:15], v[10:11], s[14:15], -v[12:13]
	v_add_f64 v[3:4], v[3:4], -v[5:6]
	v_fma_f64 v[5:6], v[10:11], s[0:1], v[14:15]
	v_fma_f64 v[5:6], v[3:4], s[14:15], v[5:6]
	v_add_f64 v[3:4], v[12:13], v[5:6]
	v_add_f64 v[10:11], v[3:4], -v[12:13]
	v_add_f64 v[5:6], v[5:6], -v[10:11]
.LBB29_744:
	s_andn2_saveexec_b64 s[0:1], s[16:17]
	s_cbranch_execz .LBB29_746
; %bb.745:
	s_mov_b32 s14, 0x6dc9c883
	s_mov_b32 s15, 0x3fe45f30
	v_mul_f64 v[3:4], |v[1:2]|, s[14:15]
	s_mov_b32 s14, 0x54442d18
	s_mov_b32 s15, 0xbff921fb
	;; [unrolled: 1-line block ×4, first 2 shown]
	v_rndne_f64_e32 v[9:10], v[3:4]
	v_fma_f64 v[3:4], v[9:10], s[14:15], |v[1:2]|
	v_mul_f64 v[5:6], v[9:10], s[16:17]
	s_mov_b32 s14, 0x252049c0
	s_mov_b32 s15, 0xb97b839a
	v_fma_f64 v[15:16], v[9:10], s[16:17], v[3:4]
	v_add_f64 v[11:12], v[3:4], v[5:6]
	s_mov_b32 s17, 0x3c91a626
	v_add_f64 v[13:14], v[3:4], -v[11:12]
	v_add_f64 v[11:12], v[11:12], -v[15:16]
	v_add_f64 v[3:4], v[13:14], v[5:6]
	v_fma_f64 v[5:6], v[9:10], s[16:17], v[5:6]
	v_add_f64 v[3:4], v[11:12], v[3:4]
	v_add_f64 v[3:4], v[3:4], -v[5:6]
	v_fma_f64 v[5:6], v[9:10], s[14:15], v[3:4]
	v_cvt_i32_f64_e32 v9, v[9:10]
	v_add_f64 v[3:4], v[15:16], v[5:6]
	v_add_f64 v[11:12], v[3:4], -v[15:16]
	v_add_f64 v[5:6], v[5:6], -v[11:12]
.LBB29_746:
	s_or_b64 exec, exec, s[0:1]
	v_mul_f64 v[10:11], v[3:4], v[3:4]
	v_add_f64 v[12:13], v[5:6], v[5:6]
	s_mov_b32 s0, 0xc751c08c
	s_mov_b32 s1, 0x3ef5e089
	v_and_b32_e32 v9, 1, v9
	v_cmp_eq_u32_e32 vcc, 0, v9
	s_mov_b32 s16, 0x54442d18
	s_mov_b32 s17, 0xc00921fb
	v_fma_f64 v[14:15], v[3:4], v[3:4], -v[10:11]
	s_mov_b64 s[14:15], exec
	v_sub_f32_e32 v7, 1.0, v7
	v_fma_f64 v[12:13], v[3:4], v[12:13], v[14:15]
	v_add_f64 v[10:11], v[10:11], v[12:13]
	v_mov_b32_e32 v12, 0xa9a29f71
	v_mov_b32_e32 v13, 0xbf078809
	v_fma_f64 v[12:13], v[10:11], s[0:1], v[12:13]
	s_mov_b32 s0, 0x90a8aae0
	s_mov_b32 s1, 0x3f17746f
	v_fma_f64 v[12:13], v[10:11], v[12:13], s[0:1]
	s_mov_b32 s0, 0xa6fbf144
	s_mov_b32 s1, 0xbefbb44d
	;; [unrolled: 3-line block ×12, first 2 shown]
	v_fma_f64 v[12:13], v[10:11], v[12:13], s[0:1]
	s_movk_i32 s0, 0x1f8
	v_cmp_class_f64_e64 s[0:1], v[1:2], s0
	v_mul_f64 v[10:11], v[10:11], v[12:13]
	v_mul_f64 v[12:13], v[3:4], v[10:11]
	v_add_f64 v[14:15], v[3:4], v[12:13]
	v_fma_f64 v[10:11], v[3:4], v[10:11], -v[12:13]
	v_add_f64 v[3:4], v[14:15], -v[3:4]
	v_add_f64 v[5:6], v[5:6], v[10:11]
	v_add_f64 v[3:4], v[12:13], -v[3:4]
	v_add_f64 v[3:4], v[5:6], v[3:4]
	v_add_f64 v[5:6], v[14:15], v[3:4]
	v_rcp_f64_e32 v[10:11], v[5:6]
	v_fma_f64 v[12:13], -v[5:6], v[10:11], 1.0
	v_fma_f64 v[10:11], v[12:13], v[10:11], v[10:11]
	v_fma_f64 v[12:13], -v[5:6], v[10:11], 1.0
	v_fma_f64 v[10:11], v[12:13], v[10:11], v[10:11]
	v_add_f64 v[12:13], v[5:6], -v[14:15]
	v_mul_f64 v[14:15], v[5:6], v[10:11]
	v_add_f64 v[3:4], v[3:4], -v[12:13]
	v_fma_f64 v[12:13], v[10:11], v[5:6], -v[14:15]
	v_fma_f64 v[3:4], v[10:11], v[3:4], v[12:13]
	v_add_f64 v[12:13], v[14:15], v[3:4]
	v_add_f64 v[16:17], -v[12:13], 1.0
	v_add_f64 v[14:15], v[12:13], -v[14:15]
	v_add_f64 v[18:19], -v[16:17], 1.0
	v_add_f64 v[3:4], v[14:15], -v[3:4]
	v_add_f64 v[12:13], v[18:19], -v[12:13]
	v_add_f64 v[3:4], v[3:4], v[12:13]
	v_add_f64 v[3:4], v[16:17], v[3:4]
	v_mul_f64 v[3:4], v[10:11], v[3:4]
	v_add_f64 v[3:4], v[10:11], v[3:4]
	v_and_b32_e32 v10, 0x80000000, v2
	v_mov_b32_e32 v2, 0x7ff80000
	v_xor_b32_e32 v1, 0x80000000, v4
	v_cndmask_b32_e32 v3, v3, v5, vcc
	v_cndmask_b32_e32 v4, v1, v6, vcc
	v_cndmask_b32_e64 v1, 0, v3, s[0:1]
	v_xor_b32_e32 v3, v4, v10
	v_cndmask_b32_e64 v2, v2, v3, s[0:1]
	v_div_scale_f64 v[3:4], s[0:1], v[1:2], v[1:2], s[16:17]
	v_div_scale_f64 v[11:12], vcc, s[16:17], v[1:2], s[16:17]
	v_rcp_f64_e32 v[5:6], v[3:4]
	v_fma_f64 v[9:10], -v[3:4], v[5:6], 1.0
	v_fma_f64 v[5:6], v[5:6], v[9:10], v[5:6]
	v_fma_f64 v[9:10], -v[3:4], v[5:6], 1.0
	v_fma_f64 v[5:6], v[5:6], v[9:10], v[5:6]
	v_mul_f64 v[9:10], v[11:12], v[5:6]
	v_fma_f64 v[3:4], -v[3:4], v[9:10], v[11:12]
	v_div_fmas_f64 v[3:4], v[3:4], v[5:6], v[9:10]
	v_div_fixup_f64 v[1:2], v[3:4], v[1:2], s[16:17]
	v_cvt_f32_f64_e32 v1, v[1:2]
.LBB29_747:
	s_or_b64 exec, exec, s[12:13]
	s_orn2_b64 s[0:1], s[14:15], exec
.LBB29_748:
	s_or_b64 exec, exec, s[10:11]
	v_mov_b32_e32 v2, 0x7e00
	s_and_saveexec_b64 s[10:11], s[0:1]
	s_cbranch_execz .LBB29_760
; %bb.749:
	s_mov_b32 s14, 0x41200000
	v_cmp_gt_f32_e32 vcc, s14, v7
	s_and_saveexec_b64 s[0:1], vcc
	s_cbranch_execz .LBB29_753
; %bb.750:
	s_mov_b64 s[12:13], 0
.LBB29_751:                             ; =>This Inner Loop Header: Depth=1
	v_div_scale_f32 v2, s[16:17], v7, v7, 1.0
	v_div_scale_f32 v3, vcc, 1.0, v7, 1.0
	v_rcp_f32_e32 v4, v2
	v_fma_f32 v5, -v2, v4, 1.0
	v_fmac_f32_e32 v4, v5, v4
	v_mul_f32_e32 v5, v3, v4
	v_fma_f32 v6, -v2, v5, v3
	v_fmac_f32_e32 v5, v6, v4
	v_fma_f32 v2, -v2, v5, v3
	v_div_fmas_f32 v2, v2, v4, v5
	v_div_fixup_f32 v2, v2, v7, 1.0
	v_add_f32_e32 v7, 1.0, v7
	v_cmp_ngt_f32_e32 vcc, s14, v7
	s_or_b64 s[12:13], vcc, s[12:13]
	v_sub_f32_e32 v1, v1, v2
	s_andn2_b64 exec, exec, s[12:13]
	s_cbranch_execnz .LBB29_751
; %bb.752:
	s_or_b64 exec, exec, s[12:13]
.LBB29_753:
	s_or_b64 exec, exec, s[0:1]
	s_mov_b32 s0, 0x41200000
	v_cmp_neq_f32_e32 vcc, s0, v7
                                        ; implicit-def: $vgpr2
	s_and_saveexec_b64 s[0:1], vcc
	s_xor_b64 s[12:13], exec, s[0:1]
	s_cbranch_execz .LBB29_757
; %bb.754:
	v_cvt_f64_f32_e32 v[2:3], v7
	s_mov_b32 s0, 0x85d8a000
	s_mov_b32 s1, 0x43763457
	v_cmp_gt_f64_e32 vcc, s[0:1], v[2:3]
	v_mov_b32_e32 v2, 0
	s_and_saveexec_b64 s[0:1], vcc
	s_cbranch_execz .LBB29_756
; %bb.755:
	v_mul_f32_e32 v2, v7, v7
	v_div_scale_f32 v3, s[14:15], v2, v2, 1.0
	v_div_scale_f32 v4, vcc, 1.0, v2, 1.0
	v_mov_b32_e32 v10, 0x3b820821
	v_rcp_f32_e32 v5, v3
	v_fma_f32 v6, -v3, v5, 1.0
	v_fmac_f32_e32 v5, v6, v5
	v_mul_f32_e32 v6, v4, v5
	v_fma_f32 v9, -v3, v6, v4
	v_fmac_f32_e32 v6, v9, v5
	v_fma_f32 v3, -v3, v6, v4
	v_div_fmas_f32 v3, v3, v5, v6
	v_mov_b32_e32 v4, 0x3daaaaab
	v_mov_b32_e32 v5, 0xbcaccacd
	;; [unrolled: 1-line block ×4, first 2 shown]
	v_div_fixup_f32 v2, v3, v2, 1.0
	v_fma_f32 v3, 0, v2, v4
	v_fmac_f32_e32 v5, v2, v3
	v_fmac_f32_e32 v6, v2, v5
	;; [unrolled: 1-line block ×4, first 2 shown]
	v_mov_b32_e32 v3, 0xbc088889
	v_fmac_f32_e32 v3, v2, v10
	v_fmac_f32_e32 v4, v2, v3
	v_mul_f32_e32 v2, v2, v4
.LBB29_756:
	s_or_b64 exec, exec, s[0:1]
	v_div_scale_f32 v3, s[0:1], v7, v7, -0.5
	v_div_scale_f32 v4, vcc, -0.5, v7, -0.5
	s_mov_b32 s0, 0x800000
	v_cmp_gt_f32_e64 s[0:1], s0, v7
	v_cndmask_b32_e64 v6, 0, 32, s[0:1]
	s_mov_b32 s14, 0x3f317217
	v_rcp_f32_e32 v5, v3
	v_fma_f32 v9, -v3, v5, 1.0
	v_fmac_f32_e32 v5, v9, v5
	v_mul_f32_e32 v9, v4, v5
	v_fma_f32 v10, -v3, v9, v4
	v_fmac_f32_e32 v9, v10, v5
	v_fma_f32 v3, -v3, v9, v4
	v_div_fmas_f32 v3, v3, v5, v9
	v_ldexp_f32 v4, v7, v6
	v_log_f32_e32 v4, v4
	v_mul_f32_e32 v5, 0x3f317217, v4
	v_fma_f32 v5, v4, s14, -v5
	v_fmac_f32_e32 v5, 0x3377d1cf, v4
	s_mov_b32 s14, 0x7f800000
	v_fmac_f32_e32 v5, 0x3f317217, v4
	v_cmp_lt_f32_e64 vcc, |v4|, s14
	v_cndmask_b32_e32 v4, v4, v5, vcc
	v_mov_b32_e32 v5, 0x41b17218
	v_cndmask_b32_e64 v5, 0, v5, s[0:1]
	v_sub_f32_e32 v4, v4, v5
	v_div_fixup_f32 v3, v3, v7, -0.5
	v_add_f32_e32 v3, v4, v3
	v_sub_f32_e32 v2, v3, v2
	v_add_f32_e32 v1, v1, v2
	v_cvt_f16_f32_e32 v2, v1
                                        ; implicit-def: $vgpr1
.LBB29_757:
	s_andn2_saveexec_b64 s[0:1], s[12:13]
; %bb.758:
	v_add_f32_e32 v1, 0x40101cb7, v1
	v_cvt_f16_f32_e32 v2, v1
; %bb.759:
	s_or_b64 exec, exec, s[0:1]
.LBB29_760:
	s_or_b64 exec, exec, s[10:11]
                                        ; implicit-def: $vgpr7
.LBB29_761:
	s_andn2_saveexec_b64 s[0:1], s[8:9]
; %bb.762:
	v_xor_b32_e32 v1, 0x80000000, v7
	s_movk_i32 s8, 0x8000
	v_and_b32_sdwa v1, v1, s8 dst_sel:DWORD dst_unused:UNUSED_PAD src0_sel:WORD_1 src1_sel:DWORD
	v_or_b32_e32 v2, 0x7c00, v1
; %bb.763:
	s_or_b64 exec, exec, s[0:1]
	v_mov_b32_e32 v1, s25
	s_and_b32 s14, s73, 0xff
	v_add_co_u32_e32 v0, vcc, s24, v0
	s_cmp_lt_i32 s14, 11
	v_addc_co_u32_e32 v1, vcc, 0, v1, vcc
	s_cbranch_scc1 .LBB29_771
; %bb.764:
	s_and_b32 s15, 0xffff, s14
	s_cmp_gt_i32 s15, 25
	s_cbranch_scc0 .LBB29_772
; %bb.765:
	s_cmp_gt_i32 s15, 28
	s_cbranch_scc0 .LBB29_773
; %bb.766:
	;; [unrolled: 3-line block ×4, first 2 shown]
	s_mov_b64 s[10:11], 0
	s_mov_b64 s[0:1], -1
	s_cmp_eq_u32 s15, 46
	s_mov_b64 s[8:9], 0
	s_cbranch_scc0 .LBB29_776
; %bb.769:
	v_cvt_f32_f16_e32 v3, v2
	s_movk_i32 s0, 0x7fff
	v_cmp_o_f16_e32 vcc, v2, v2
	v_mov_b32_e32 v4, 0x7fc0
	v_bfe_u32 v5, v3, 16, 1
	v_add3_u32 v3, v3, v5, s0
	v_cndmask_b32_sdwa v3, v4, v3, vcc dst_sel:DWORD dst_unused:UNUSED_PAD src0_sel:DWORD src1_sel:WORD_1
	global_store_dword v[0:1], v3, off
	s_mov_b64 s[8:9], -1
	s_mov_b64 s[0:1], 0
	s_branch .LBB29_776
.LBB29_770:
	s_mov_b64 s[8:9], 0
	s_mov_b64 s[0:1], s[60:61]
	s_branch .LBB29_887
.LBB29_771:
	s_mov_b64 s[10:11], -1
	s_mov_b64 s[8:9], 0
	s_mov_b64 s[0:1], s[60:61]
	s_branch .LBB29_845
.LBB29_772:
	s_mov_b64 s[10:11], -1
	s_mov_b64 s[8:9], 0
	s_mov_b64 s[0:1], s[60:61]
	s_branch .LBB29_803
.LBB29_773:
	s_mov_b64 s[10:11], -1
	s_mov_b64 s[8:9], 0
	s_mov_b64 s[0:1], s[60:61]
	s_branch .LBB29_786
.LBB29_774:
	s_mov_b64 s[10:11], -1
	s_mov_b64 s[8:9], 0
	s_mov_b64 s[0:1], s[60:61]
	s_branch .LBB29_782
.LBB29_775:
	s_mov_b64 s[10:11], -1
	s_mov_b64 s[8:9], 0
	s_mov_b64 s[0:1], s[60:61]
.LBB29_776:
	s_and_b64 vcc, exec, s[10:11]
	s_cbranch_vccz .LBB29_781
; %bb.777:
	s_cmp_eq_u32 s15, 44
	s_mov_b64 s[0:1], -1
	s_cbranch_scc0 .LBB29_781
; %bb.778:
	v_cvt_f32_f16_e32 v3, v2
	s_movk_i32 s0, 0xff
	v_mov_b32_e32 v5, 0xff
	v_bfe_u32 v4, v3, 23, 8
	v_cmp_ne_u32_e32 vcc, s0, v4
	s_and_saveexec_b64 s[8:9], vcc
; %bb.779:
	s_mov_b32 s0, 0x3fffff
	v_lshrrev_b32_e32 v5, 23, v3
	v_and_b32_e32 v6, 0x400000, v3
	v_and_or_b32 v3, v3, s0, v4
	v_cmp_ne_u32_e32 vcc, 0, v6
	v_cmp_ne_u32_e64 s[0:1], 0, v3
	s_and_b64 s[0:1], vcc, s[0:1]
	v_cndmask_b32_e64 v3, 0, 1, s[0:1]
	v_add_u32_e32 v5, v5, v3
; %bb.780:
	s_or_b64 exec, exec, s[8:9]
	s_mov_b64 s[8:9], -1
	s_mov_b64 s[0:1], 0
	global_store_byte v[0:1], v5, off
.LBB29_781:
	s_mov_b64 s[10:11], 0
.LBB29_782:
	s_and_b64 vcc, exec, s[10:11]
	s_cbranch_vccz .LBB29_785
; %bb.783:
	s_cmp_eq_u32 s15, 29
	s_mov_b64 s[0:1], -1
	s_cbranch_scc0 .LBB29_785
; %bb.784:
	v_cvt_f32_f16_e32 v3, v2
	v_mov_b32_e32 v4, 0
	s_mov_b64 s[8:9], -1
	s_mov_b64 s[0:1], 0
	v_cvt_u32_f32_e32 v3, v3
	s_mov_b64 s[10:11], 0
	global_store_dwordx2 v[0:1], v[3:4], off
	s_branch .LBB29_786
.LBB29_785:
	s_mov_b64 s[10:11], 0
.LBB29_786:
	s_and_b64 vcc, exec, s[10:11]
	s_cbranch_vccz .LBB29_802
; %bb.787:
	s_cmp_lt_i32 s15, 27
	s_mov_b64 s[8:9], -1
	s_cbranch_scc1 .LBB29_793
; %bb.788:
	s_cmp_gt_i32 s15, 27
	s_cbranch_scc0 .LBB29_790
; %bb.789:
	v_cvt_f32_f16_e32 v3, v2
	s_mov_b64 s[8:9], 0
	v_cvt_u32_f32_e32 v3, v3
	global_store_dword v[0:1], v3, off
.LBB29_790:
	s_andn2_b64 vcc, exec, s[8:9]
	s_cbranch_vccnz .LBB29_792
; %bb.791:
	v_cvt_u16_f16_e32 v3, v2
	global_store_short v[0:1], v3, off
.LBB29_792:
	s_mov_b64 s[8:9], 0
.LBB29_793:
	s_andn2_b64 vcc, exec, s[8:9]
	s_cbranch_vccnz .LBB29_801
; %bb.794:
	v_cvt_f32_f16_e32 v3, v2
	s_mov_b32 s8, 0x43800000
	v_mov_b32_e32 v5, 0x80
	v_and_b32_e32 v4, 0x7fffffff, v3
	v_cmp_gt_u32_e32 vcc, s8, v4
	s_and_saveexec_b64 s[8:9], vcc
	s_cbranch_execz .LBB29_800
; %bb.795:
	s_mov_b32 s10, 0x3bffffff
	v_cmp_lt_u32_e32 vcc, s10, v4
	s_mov_b64 s[10:11], 0
                                        ; implicit-def: $vgpr4
	s_and_saveexec_b64 s[12:13], vcc
	s_xor_b64 s[12:13], exec, s[12:13]
	s_cbranch_execz .LBB29_917
; %bb.796:
	v_bfe_u32 v4, v3, 20, 1
	s_mov_b32 s16, 0x487ffff
	v_add3_u32 v4, v3, v4, s16
	s_mov_b64 s[10:11], exec
	v_lshrrev_b32_e32 v4, 20, v4
	s_andn2_saveexec_b64 s[12:13], s[12:13]
	s_cbranch_execnz .LBB29_918
.LBB29_797:
	s_or_b64 exec, exec, s[12:13]
	v_mov_b32_e32 v5, 0
	s_and_saveexec_b64 s[12:13], s[10:11]
.LBB29_798:
	v_lshrrev_b32_e32 v3, 24, v3
	s_movk_i32 s10, 0x80
	v_and_or_b32 v5, v3, s10, v4
.LBB29_799:
	s_or_b64 exec, exec, s[12:13]
.LBB29_800:
	s_or_b64 exec, exec, s[8:9]
	global_store_byte v[0:1], v5, off
.LBB29_801:
	s_mov_b64 s[8:9], -1
.LBB29_802:
	s_mov_b64 s[10:11], 0
.LBB29_803:
	s_and_b64 vcc, exec, s[10:11]
	s_cbranch_vccz .LBB29_844
; %bb.804:
	s_cmp_gt_i32 s15, 22
	s_mov_b64 s[10:11], -1
	s_cbranch_scc0 .LBB29_836
; %bb.805:
	s_cmp_lt_i32 s15, 24
	s_mov_b64 s[8:9], -1
	s_cbranch_scc1 .LBB29_825
; %bb.806:
	s_cmp_gt_i32 s15, 24
	s_cbranch_scc0 .LBB29_814
; %bb.807:
	v_cvt_f32_f16_e32 v3, v2
	s_mov_b32 s8, 0x47800000
	v_mov_b32_e32 v5, 0x80
	v_and_b32_e32 v4, 0x7fffffff, v3
	v_cmp_gt_u32_e32 vcc, s8, v4
	s_and_saveexec_b64 s[8:9], vcc
	s_cbranch_execz .LBB29_813
; %bb.808:
	s_mov_b32 s10, 0x37ffffff
	v_cmp_lt_u32_e32 vcc, s10, v4
	s_mov_b64 s[10:11], 0
                                        ; implicit-def: $vgpr4
	s_and_saveexec_b64 s[12:13], vcc
	s_xor_b64 s[12:13], exec, s[12:13]
	s_cbranch_execz .LBB29_920
; %bb.809:
	v_bfe_u32 v4, v3, 21, 1
	s_mov_b32 s16, 0x88fffff
	v_add3_u32 v4, v3, v4, s16
	s_mov_b64 s[10:11], exec
	v_lshrrev_b32_e32 v4, 21, v4
	s_andn2_saveexec_b64 s[12:13], s[12:13]
	s_cbranch_execnz .LBB29_921
.LBB29_810:
	s_or_b64 exec, exec, s[12:13]
	v_mov_b32_e32 v5, 0
	s_and_saveexec_b64 s[12:13], s[10:11]
.LBB29_811:
	v_lshrrev_b32_e32 v3, 24, v3
	s_movk_i32 s10, 0x80
	v_and_or_b32 v5, v3, s10, v4
.LBB29_812:
	s_or_b64 exec, exec, s[12:13]
.LBB29_813:
	s_or_b64 exec, exec, s[8:9]
	s_mov_b64 s[8:9], 0
	global_store_byte v[0:1], v5, off
.LBB29_814:
	s_and_b64 vcc, exec, s[8:9]
	s_cbranch_vccz .LBB29_824
; %bb.815:
	v_cvt_f32_f16_e32 v3, v2
	s_mov_b32 s8, 0x43f00000
                                        ; implicit-def: $vgpr4
	v_and_b32_e32 v5, 0x7fffffff, v3
	v_cmp_gt_u32_e32 vcc, s8, v5
	s_and_saveexec_b64 s[8:9], vcc
	s_xor_b64 s[8:9], exec, s[8:9]
	s_cbranch_execz .LBB29_821
; %bb.816:
	s_mov_b32 s10, 0x3c7fffff
	v_cmp_lt_u32_e32 vcc, s10, v5
                                        ; implicit-def: $vgpr4
	s_and_saveexec_b64 s[10:11], vcc
	s_xor_b64 s[10:11], exec, s[10:11]
; %bb.817:
	v_bfe_u32 v4, v3, 20, 1
	s_mov_b32 s12, 0x407ffff
	v_add3_u32 v4, v3, v4, s12
	v_lshrrev_b32_e32 v5, 20, v4
	v_and_b32_e32 v4, 0xff00000, v4
	s_mov_b32 s12, 0x7f00000
	v_mov_b32_e32 v6, 0x7e
	v_cmp_ne_u32_e32 vcc, s12, v4
	v_cndmask_b32_e32 v4, v6, v5, vcc
; %bb.818:
	s_andn2_saveexec_b64 s[10:11], s[10:11]
; %bb.819:
	s_mov_b32 s12, 0x46800000
	v_add_f32_e64 v4, |v3|, s12
; %bb.820:
	s_or_b64 exec, exec, s[10:11]
                                        ; implicit-def: $vgpr5
.LBB29_821:
	s_andn2_saveexec_b64 s[8:9], s[8:9]
; %bb.822:
	s_mov_b32 s10, 0x7f800000
	v_mov_b32_e32 v4, 0x7e
	v_mov_b32_e32 v6, 0x7f
	v_cmp_lt_u32_e32 vcc, s10, v5
	v_cndmask_b32_e32 v4, v4, v6, vcc
; %bb.823:
	s_or_b64 exec, exec, s[8:9]
	v_lshrrev_b32_e32 v3, 24, v3
	s_movk_i32 s8, 0x80
	v_and_or_b32 v3, v3, s8, v4
	global_store_byte v[0:1], v3, off
.LBB29_824:
	s_mov_b64 s[8:9], 0
.LBB29_825:
	s_andn2_b64 vcc, exec, s[8:9]
	s_cbranch_vccnz .LBB29_835
; %bb.826:
	v_cvt_f32_f16_e32 v3, v2
	s_mov_b32 s8, 0x47800000
                                        ; implicit-def: $vgpr4
	v_and_b32_e32 v5, 0x7fffffff, v3
	v_cmp_gt_u32_e32 vcc, s8, v5
	s_and_saveexec_b64 s[8:9], vcc
	s_xor_b64 s[8:9], exec, s[8:9]
	s_cbranch_execz .LBB29_832
; %bb.827:
	s_mov_b32 s10, 0x387fffff
	v_cmp_lt_u32_e32 vcc, s10, v5
                                        ; implicit-def: $vgpr4
	s_and_saveexec_b64 s[10:11], vcc
	s_xor_b64 s[10:11], exec, s[10:11]
; %bb.828:
	v_bfe_u32 v4, v3, 21, 1
	s_mov_b32 s12, 0x80fffff
	v_add3_u32 v4, v3, v4, s12
	v_lshrrev_b32_e32 v4, 21, v4
; %bb.829:
	s_andn2_saveexec_b64 s[10:11], s[10:11]
; %bb.830:
	s_mov_b32 s12, 0x43000000
	v_add_f32_e64 v4, |v3|, s12
; %bb.831:
	s_or_b64 exec, exec, s[10:11]
                                        ; implicit-def: $vgpr5
.LBB29_832:
	s_andn2_saveexec_b64 s[8:9], s[8:9]
; %bb.833:
	s_mov_b32 s10, 0x7f800000
	v_mov_b32_e32 v4, 0x7c
	v_mov_b32_e32 v6, 0x7f
	v_cmp_lt_u32_e32 vcc, s10, v5
	v_cndmask_b32_e32 v4, v4, v6, vcc
; %bb.834:
	s_or_b64 exec, exec, s[8:9]
	v_lshrrev_b32_e32 v3, 24, v3
	s_movk_i32 s8, 0x80
	v_and_or_b32 v3, v3, s8, v4
	global_store_byte v[0:1], v3, off
.LBB29_835:
	s_mov_b64 s[10:11], 0
	s_mov_b64 s[8:9], -1
.LBB29_836:
	s_andn2_b64 vcc, exec, s[10:11]
	s_cbranch_vccnz .LBB29_844
; %bb.837:
	s_cmp_gt_i32 s15, 14
	s_mov_b64 s[10:11], -1
	s_cbranch_scc0 .LBB29_841
; %bb.838:
	s_cmp_eq_u32 s15, 15
	s_mov_b64 s[0:1], -1
	s_cbranch_scc0 .LBB29_840
; %bb.839:
	v_cvt_f32_f16_e32 v3, v2
	s_movk_i32 s0, 0x7fff
	v_cmp_o_f16_e32 vcc, v2, v2
	v_mov_b32_e32 v4, 0x7fc0
	v_bfe_u32 v5, v3, 16, 1
	v_add3_u32 v3, v3, v5, s0
	v_cndmask_b32_sdwa v3, v4, v3, vcc dst_sel:DWORD dst_unused:UNUSED_PAD src0_sel:DWORD src1_sel:WORD_1
	global_store_short v[0:1], v3, off
	s_mov_b64 s[8:9], -1
	s_mov_b64 s[0:1], 0
.LBB29_840:
	s_mov_b64 s[10:11], 0
.LBB29_841:
	s_and_b64 vcc, exec, s[10:11]
	s_cbranch_vccz .LBB29_844
; %bb.842:
	s_cmp_eq_u32 s15, 11
	s_mov_b64 s[0:1], -1
	s_cbranch_scc0 .LBB29_844
; %bb.843:
	v_and_b32_e32 v3, 0x7fff, v2
	v_cmp_ne_u16_e32 vcc, 0, v3
	v_cndmask_b32_e64 v3, 0, 1, vcc
	s_mov_b64 s[8:9], -1
	s_mov_b64 s[0:1], 0
	global_store_byte v[0:1], v3, off
.LBB29_844:
	s_mov_b64 s[10:11], 0
.LBB29_845:
	s_and_b64 vcc, exec, s[10:11]
	s_cbranch_vccz .LBB29_884
; %bb.846:
	s_and_b32 s10, 0xffff, s14
	s_cmp_lt_i32 s10, 5
	s_mov_b64 s[8:9], -1
	s_cbranch_scc1 .LBB29_867
; %bb.847:
	s_cmp_lt_i32 s10, 8
	s_cbranch_scc1 .LBB29_857
; %bb.848:
	s_cmp_lt_i32 s10, 9
	s_cbranch_scc1 .LBB29_854
; %bb.849:
	s_cmp_gt_i32 s10, 9
	s_cbranch_scc0 .LBB29_851
; %bb.850:
	v_cvt_f32_f16_e32 v3, v2
	v_mov_b32_e32 v5, 0
	v_mov_b32_e32 v6, v5
	s_mov_b64 s[8:9], 0
	v_cvt_f64_f32_e32 v[3:4], v3
	global_store_dwordx4 v[0:1], v[3:6], off
.LBB29_851:
	s_andn2_b64 vcc, exec, s[8:9]
	s_cbranch_vccnz .LBB29_853
; %bb.852:
	v_cvt_f32_f16_e32 v3, v2
	v_mov_b32_e32 v4, 0
	global_store_dwordx2 v[0:1], v[3:4], off
.LBB29_853:
	s_mov_b64 s[8:9], 0
.LBB29_854:
	s_andn2_b64 vcc, exec, s[8:9]
	s_cbranch_vccnz .LBB29_856
; %bb.855:
	v_and_b32_e32 v3, 0xffff, v2
	global_store_dword v[0:1], v3, off
.LBB29_856:
	s_mov_b64 s[8:9], 0
.LBB29_857:
	s_andn2_b64 vcc, exec, s[8:9]
	s_cbranch_vccnz .LBB29_866
; %bb.858:
	s_cmp_lt_i32 s10, 6
	s_mov_b64 s[8:9], -1
	s_cbranch_scc1 .LBB29_864
; %bb.859:
	s_cmp_gt_i32 s10, 6
	s_cbranch_scc0 .LBB29_861
; %bb.860:
	v_cvt_f32_f16_e32 v3, v2
	s_mov_b64 s[8:9], 0
	v_cvt_f64_f32_e32 v[3:4], v3
	global_store_dwordx2 v[0:1], v[3:4], off
.LBB29_861:
	s_andn2_b64 vcc, exec, s[8:9]
	s_cbranch_vccnz .LBB29_863
; %bb.862:
	v_cvt_f32_f16_e32 v3, v2
	global_store_dword v[0:1], v3, off
.LBB29_863:
	s_mov_b64 s[8:9], 0
.LBB29_864:
	s_andn2_b64 vcc, exec, s[8:9]
	s_cbranch_vccnz .LBB29_866
; %bb.865:
	global_store_short v[0:1], v2, off
.LBB29_866:
	s_mov_b64 s[8:9], 0
.LBB29_867:
	s_andn2_b64 vcc, exec, s[8:9]
	s_cbranch_vccnz .LBB29_883
; %bb.868:
	s_cmp_lt_i32 s10, 2
	s_mov_b64 s[8:9], -1
	s_cbranch_scc1 .LBB29_878
; %bb.869:
	s_cmp_lt_i32 s10, 3
	s_cbranch_scc1 .LBB29_875
; %bb.870:
	s_cmp_gt_i32 s10, 3
	s_cbranch_scc0 .LBB29_872
; %bb.871:
	v_cvt_f32_f16_e32 v3, v2
	s_mov_b64 s[8:9], 0
	v_cvt_i32_f32_e32 v3, v3
	v_ashrrev_i32_e32 v4, 31, v3
	global_store_dwordx2 v[0:1], v[3:4], off
.LBB29_872:
	s_andn2_b64 vcc, exec, s[8:9]
	s_cbranch_vccnz .LBB29_874
; %bb.873:
	v_cvt_f32_f16_e32 v3, v2
	v_cvt_i32_f32_e32 v3, v3
	global_store_dword v[0:1], v3, off
.LBB29_874:
	s_mov_b64 s[8:9], 0
.LBB29_875:
	s_andn2_b64 vcc, exec, s[8:9]
	s_cbranch_vccnz .LBB29_877
; %bb.876:
	v_cvt_i16_f16_e32 v3, v2
	global_store_short v[0:1], v3, off
.LBB29_877:
	s_mov_b64 s[8:9], 0
.LBB29_878:
	s_andn2_b64 vcc, exec, s[8:9]
	s_cbranch_vccnz .LBB29_883
; %bb.879:
	s_cmp_gt_i32 s10, 0
	s_mov_b64 s[8:9], -1
	s_cbranch_scc0 .LBB29_881
; %bb.880:
	v_cvt_i16_f16_e32 v3, v2
	s_mov_b64 s[8:9], 0
	global_store_byte v[0:1], v3, off
.LBB29_881:
	s_andn2_b64 vcc, exec, s[8:9]
	s_cbranch_vccnz .LBB29_883
; %bb.882:
	v_cvt_f32_f16_e32 v2, v2
	v_cvt_i32_f32_e32 v2, v2
	global_store_byte v[0:1], v2, off
.LBB29_883:
	s_mov_b64 s[8:9], -1
.LBB29_884:
	s_andn2_b64 vcc, exec, s[8:9]
	s_cbranch_vccnz .LBB29_886
; %bb.885:
	v_add_u32_e32 v8, 0x80, v8
	s_mov_b64 s[8:9], -1
	s_branch .LBB29_888
.LBB29_886:
	s_mov_b64 s[8:9], 0
.LBB29_887:
                                        ; implicit-def: $vgpr8
.LBB29_888:
	s_andn2_b64 s[10:11], s[60:61], exec
	s_and_b64 s[0:1], s[0:1], exec
	s_or_b64 s[68:69], s[10:11], s[0:1]
	s_andn2_b64 s[0:1], s[58:59], exec
	s_and_b64 s[2:3], s[2:3], exec
	s_or_b64 s[66:67], s[0:1], s[2:3]
	s_orn2_b64 s[2:3], s[8:9], exec
.LBB29_889:
	s_or_b64 exec, exec, s[64:65]
	s_mov_b64 s[0:1], 0
	s_mov_b64 s[8:9], 0
	s_mov_b64 s[10:11], 0
                                        ; implicit-def: $vgpr1_vgpr2
                                        ; implicit-def: $vgpr0
                                        ; implicit-def: $vgpr4
	s_and_saveexec_b64 s[64:65], s[2:3]
	s_cbranch_execz .LBB29_988
; %bb.890:
	v_cmp_gt_i32_e32 vcc, s70, v8
	s_mov_b64 s[2:3], 0
	s_mov_b64 s[12:13], s[66:67]
                                        ; implicit-def: $vgpr1_vgpr2
                                        ; implicit-def: $vgpr0
                                        ; implicit-def: $vgpr4
	s_and_saveexec_b64 s[70:71], vcc
	s_cbranch_execz .LBB29_987
; %bb.891:
	s_andn2_b64 vcc, exec, s[40:41]
	s_cbranch_vccnz .LBB29_896
; %bb.892:
	s_andn2_b64 vcc, exec, s[50:51]
	s_cbranch_vccnz .LBB29_897
; %bb.893:
	s_add_i32 s76, s75, 1
	s_cmp_eq_u32 s72, 2
	s_cbranch_scc1 .LBB29_898
; %bb.894:
	s_and_b32 s75, s76, 28
	v_mov_b32_e32 v2, 0
	s_mov_b32 s77, 0
	s_mov_b64 s[50:51], s[34:35]
	v_mov_b32_e32 v0, 0
	v_mov_b32_e32 v1, v8
.LBB29_895:                             ; =>This Inner Loop Header: Depth=1
	s_load_dwordx8 s[16:23], s[50:51], 0x4
	s_load_dwordx4 s[0:3], s[50:51], 0x24
	s_load_dwordx8 s[8:15], s[48:49], 0x0
	s_add_u32 s50, s50, 48
	s_addc_u32 s51, s51, 0
	s_waitcnt vmcnt(0) lgkmcnt(0)
	v_mul_hi_u32 v3, s17, v1
	s_add_i32 s77, s77, 4
	s_add_u32 s48, s48, 32
	s_addc_u32 s49, s49, 0
	v_add_u32_e32 v3, v1, v3
	v_lshrrev_b32_e32 v3, s18, v3
	v_mul_lo_u32 v4, v3, s16
	v_mul_hi_u32 v5, s20, v3
	s_cmp_eq_u32 s75, s77
	v_sub_u32_e32 v1, v1, v4
	v_add_u32_e32 v4, v3, v5
	v_mul_lo_u32 v5, v1, s8
	v_mul_lo_u32 v6, v1, s9
	v_lshrrev_b32_e32 v1, s21, v4
	v_mul_lo_u32 v4, v1, s19
	v_mul_hi_u32 v7, s23, v1
	v_sub_u32_e32 v3, v3, v4
	v_add_u32_e32 v4, v1, v7
	v_lshrrev_b32_e32 v4, s0, v4
	v_mul_hi_u32 v9, s2, v4
	v_mul_lo_u32 v10, v4, s22
	v_mul_lo_u32 v7, v3, s10
	v_mul_lo_u32 v3, v3, s11
	v_sub_u32_e32 v10, v1, v10
	v_add_u32_e32 v1, v4, v9
	v_lshrrev_b32_e32 v1, s3, v1
	v_mul_lo_u32 v9, v1, s1
	v_mul_lo_u32 v11, v10, s12
	;; [unrolled: 1-line block ×3, first 2 shown]
	v_add3_u32 v0, v5, v0, v7
	v_sub_u32_e32 v4, v4, v9
	v_mul_lo_u32 v9, v4, s14
	v_mul_lo_u32 v4, v4, s15
	v_add3_u32 v2, v6, v2, v3
	v_add3_u32 v0, v11, v0, v9
	;; [unrolled: 1-line block ×3, first 2 shown]
	s_cbranch_scc0 .LBB29_895
	s_branch .LBB29_899
.LBB29_896:
	s_mov_b64 s[0:1], -1
                                        ; implicit-def: $vgpr0
                                        ; implicit-def: $vgpr2
	s_branch .LBB29_903
.LBB29_897:
	v_mov_b32_e32 v0, 0
	v_mov_b32_e32 v2, 0
	s_branch .LBB29_902
.LBB29_898:
	s_mov_b32 s75, 0
	v_mov_b32_e32 v0, 0
	v_mov_b32_e32 v2, 0
	;; [unrolled: 1-line block ×3, first 2 shown]
.LBB29_899:
	s_and_b32 s8, s76, 3
	s_cmp_eq_u32 s8, 0
	s_cbranch_scc1 .LBB29_902
; %bb.900:
	s_lshl_b32 s0, s75, 3
	s_add_u32 s0, s34, s0
	s_addc_u32 s1, s35, 0
	s_add_u32 s0, s0, 0xc4
	s_addc_u32 s1, s1, 0
	s_mul_i32 s2, s75, 12
	s_add_u32 s2, s34, s2
	s_addc_u32 s3, s35, 0
.LBB29_901:                             ; =>This Inner Loop Header: Depth=1
	s_load_dwordx2 s[10:11], s[2:3], 0x4
	s_load_dword s9, s[2:3], 0xc
	s_load_dwordx2 s[12:13], s[0:1], 0x0
	s_add_u32 s2, s2, 12
	s_addc_u32 s3, s3, 0
	s_waitcnt vmcnt(0) lgkmcnt(0)
	v_mul_hi_u32 v3, s11, v1
	s_add_u32 s0, s0, 8
	s_addc_u32 s1, s1, 0
	s_add_i32 s8, s8, -1
	v_add_u32_e32 v3, v1, v3
	v_lshrrev_b32_e32 v4, s9, v3
	v_mul_lo_u32 v3, v4, s10
	s_cmp_lg_u32 s8, 0
	v_sub_u32_e32 v3, v1, v3
	v_mad_u64_u32 v[0:1], s[10:11], v3, s12, v[0:1]
	v_mad_u64_u32 v[2:3], s[10:11], v3, s13, v[2:3]
	v_mov_b32_e32 v1, v4
	s_cbranch_scc1 .LBB29_901
.LBB29_902:
	s_mov_b64 s[0:1], 0
.LBB29_903:
	s_andn2_b64 vcc, exec, s[0:1]
	s_cbranch_vccnz .LBB29_906
; %bb.904:
	s_waitcnt lgkmcnt(0)
	v_mul_hi_u32 v0, s37, v8
	s_andn2_b64 vcc, exec, s[46:47]
	v_add_u32_e32 v0, v8, v0
	v_lshrrev_b32_e32 v1, s38, v0
	v_mul_lo_u32 v0, v1, s36
	v_sub_u32_e32 v2, v8, v0
	v_mul_lo_u32 v0, v2, s28
	v_mul_lo_u32 v2, v2, s29
	s_cbranch_vccnz .LBB29_906
; %bb.905:
	s_waitcnt vmcnt(0)
	v_mul_hi_u32 v3, s44, v1
	v_add_u32_e32 v3, v1, v3
	v_lshrrev_b32_e32 v3, s45, v3
	v_mul_lo_u32 v3, v3, s39
	v_sub_u32_e32 v3, v1, v3
	v_mad_u64_u32 v[0:1], s[0:1], v3, s30, v[0:1]
	v_mad_u64_u32 v[2:3], s[0:1], v3, s31, v[2:3]
.LBB29_906:
	s_waitcnt vmcnt(0) lgkmcnt(0)
	v_mov_b32_e32 v3, s27
	s_and_b32 s14, 0xffff, s74
	v_add_co_u32_e32 v1, vcc, s26, v2
	s_cmp_lt_i32 s14, 11
	v_addc_co_u32_e32 v2, vcc, 0, v3, vcc
	s_cbranch_scc1 .LBB29_913
; %bb.907:
	s_cmp_gt_i32 s14, 25
	s_mov_b64 s[2:3], 0
	s_cbranch_scc0 .LBB29_914
; %bb.908:
	s_cmp_gt_i32 s14, 28
	s_cbranch_scc0 .LBB29_915
; %bb.909:
	s_cmp_gt_i32 s14, 43
	;; [unrolled: 3-line block ×3, first 2 shown]
	s_cbranch_scc0 .LBB29_919
; %bb.911:
	s_cmp_eq_u32 s14, 46
	s_mov_b64 s[10:11], 0
	s_cbranch_scc0 .LBB29_922
; %bb.912:
	global_load_dword v3, v[1:2], off
	s_mov_b64 s[0:1], 0
	s_mov_b64 s[8:9], -1
	s_waitcnt vmcnt(0)
	v_lshlrev_b32_e32 v3, 16, v3
	v_cvt_f16_f32_e32 v4, v3
	s_branch .LBB29_923
.LBB29_913:
	s_mov_b64 s[12:13], -1
	s_mov_b64 s[8:9], 0
	s_mov_b64 s[2:3], 0
	;; [unrolled: 1-line block ×3, first 2 shown]
                                        ; implicit-def: $vgpr4
	s_branch .LBB29_986
.LBB29_914:
	s_mov_b64 s[10:11], -1
	s_mov_b64 s[8:9], 0
	s_mov_b64 s[0:1], s[66:67]
                                        ; implicit-def: $vgpr4
	s_branch .LBB29_952
.LBB29_915:
	s_mov_b64 s[10:11], -1
	s_mov_b64 s[8:9], 0
	s_mov_b64 s[0:1], s[66:67]
                                        ; implicit-def: $vgpr4
	s_branch .LBB29_933
.LBB29_916:
	s_mov_b64 s[10:11], -1
	s_mov_b64 s[8:9], 0
	s_mov_b64 s[0:1], s[66:67]
                                        ; implicit-def: $vgpr4
	s_branch .LBB29_928
.LBB29_917:
	s_andn2_saveexec_b64 s[12:13], s[12:13]
	s_cbranch_execz .LBB29_797
.LBB29_918:
	s_mov_b32 s16, 0x46000000
	v_add_f32_e64 v4, |v3|, s16
	v_and_b32_e32 v4, 0xff, v4
	v_cmp_ne_u32_e32 vcc, 0, v4
	s_andn2_b64 s[10:11], s[10:11], exec
	s_and_b64 s[16:17], vcc, exec
	s_or_b64 s[10:11], s[10:11], s[16:17]
	s_or_b64 exec, exec, s[12:13]
	v_mov_b32_e32 v5, 0
	s_and_saveexec_b64 s[12:13], s[10:11]
	s_cbranch_execnz .LBB29_798
	s_branch .LBB29_799
.LBB29_919:
	s_mov_b64 s[10:11], -1
	s_mov_b64 s[8:9], 0
	s_mov_b64 s[0:1], s[66:67]
                                        ; implicit-def: $vgpr4
	s_branch .LBB29_923
.LBB29_920:
	s_andn2_saveexec_b64 s[12:13], s[12:13]
	s_cbranch_execz .LBB29_810
.LBB29_921:
	s_mov_b32 s16, 0x42800000
	v_add_f32_e64 v4, |v3|, s16
	v_and_b32_e32 v4, 0xff, v4
	v_cmp_ne_u32_e32 vcc, 0, v4
	s_andn2_b64 s[10:11], s[10:11], exec
	s_and_b64 s[16:17], vcc, exec
	s_or_b64 s[10:11], s[10:11], s[16:17]
	s_or_b64 exec, exec, s[12:13]
	v_mov_b32_e32 v5, 0
	s_and_saveexec_b64 s[12:13], s[10:11]
	s_cbranch_execnz .LBB29_811
	s_branch .LBB29_812
.LBB29_922:
	s_mov_b64 s[0:1], -1
                                        ; implicit-def: $vgpr4
	s_mov_b64 s[8:9], 0
.LBB29_923:
	s_and_b64 vcc, exec, s[10:11]
	s_cbranch_vccz .LBB29_927
; %bb.924:
	s_cmp_eq_u32 s14, 44
	s_cbranch_scc0 .LBB29_926
; %bb.925:
	global_load_ubyte v3, v[1:2], off
	s_movk_i32 s8, 0xff
	v_mov_b32_e32 v5, 0x7e00
	s_mov_b64 s[0:1], 0
	s_waitcnt vmcnt(0)
	v_lshlrev_b32_e32 v4, 23, v3
	v_cvt_f16_f32_e32 v4, v4
	v_cmp_ne_u32_e32 vcc, s8, v3
	s_mov_b64 s[8:9], -1
	v_cndmask_b32_e32 v4, v5, v4, vcc
	v_cmp_ne_u32_e32 vcc, 0, v3
	v_cndmask_b32_e32 v4, 0, v4, vcc
	s_branch .LBB29_927
.LBB29_926:
	s_mov_b64 s[0:1], -1
                                        ; implicit-def: $vgpr4
.LBB29_927:
	s_mov_b64 s[10:11], 0
.LBB29_928:
	s_and_b64 vcc, exec, s[10:11]
	s_cbranch_vccz .LBB29_932
; %bb.929:
	s_cmp_eq_u32 s14, 29
	s_cbranch_scc0 .LBB29_931
; %bb.930:
	global_load_dwordx2 v[3:4], v[1:2], off
	s_mov_b64 s[0:1], 0
	s_mov_b64 s[8:9], -1
	s_mov_b64 s[10:11], 0
	s_waitcnt vmcnt(0)
	v_ffbh_u32_e32 v5, v4
	v_min_u32_e32 v5, 32, v5
	v_lshlrev_b64 v[3:4], v5, v[3:4]
	v_min_u32_e32 v3, 1, v3
	v_or_b32_e32 v3, v4, v3
	v_cvt_f32_u32_e32 v3, v3
	v_sub_u32_e32 v4, 32, v5
	v_ldexp_f32 v3, v3, v4
	v_cvt_f16_f32_e32 v4, v3
	s_branch .LBB29_933
.LBB29_931:
	s_mov_b64 s[0:1], -1
                                        ; implicit-def: $vgpr4
.LBB29_932:
	s_mov_b64 s[10:11], 0
.LBB29_933:
	s_and_b64 vcc, exec, s[10:11]
	s_cbranch_vccz .LBB29_951
; %bb.934:
	s_cmp_lt_i32 s14, 27
	s_cbranch_scc1 .LBB29_937
; %bb.935:
	s_cmp_gt_i32 s14, 27
	s_cbranch_scc0 .LBB29_938
; %bb.936:
	global_load_dword v3, v[1:2], off
	s_mov_b64 s[8:9], 0
	s_waitcnt vmcnt(0)
	v_cvt_f32_u32_e32 v3, v3
	v_cvt_f16_f32_e32 v4, v3
	s_branch .LBB29_939
.LBB29_937:
	s_mov_b64 s[8:9], -1
                                        ; implicit-def: $vgpr4
	s_branch .LBB29_942
.LBB29_938:
	s_mov_b64 s[8:9], -1
                                        ; implicit-def: $vgpr4
.LBB29_939:
	s_andn2_b64 vcc, exec, s[8:9]
	s_cbranch_vccnz .LBB29_941
; %bb.940:
	global_load_ushort v3, v[1:2], off
	s_waitcnt vmcnt(0)
	v_cvt_f16_u16_e32 v4, v3
.LBB29_941:
	s_mov_b64 s[8:9], 0
.LBB29_942:
	s_andn2_b64 vcc, exec, s[8:9]
	s_cbranch_vccnz .LBB29_950
; %bb.943:
	global_load_ubyte v3, v[1:2], off
	s_movk_i32 s8, 0x7f
	s_waitcnt vmcnt(0)
	v_cmp_lt_i16_e32 vcc, s8, v3
	s_mov_b64 s[8:9], 0
	s_and_saveexec_b64 s[10:11], vcc
	s_xor_b64 s[10:11], exec, s[10:11]
	s_cbranch_execz .LBB29_964
; %bb.944:
	s_movk_i32 s8, 0x80
	v_cmp_eq_u16_e32 vcc, s8, v3
	s_mov_b64 s[8:9], -1
	s_and_saveexec_b64 s[12:13], vcc
; %bb.945:
	s_xor_b64 s[8:9], exec, -1
; %bb.946:
	s_or_b64 exec, exec, s[12:13]
	s_and_b64 s[8:9], s[8:9], exec
	s_or_saveexec_b64 s[10:11], s[10:11]
	v_mov_b32_e32 v4, 0x7e00
	s_xor_b64 exec, exec, s[10:11]
	s_cbranch_execnz .LBB29_965
.LBB29_947:
	s_or_b64 exec, exec, s[10:11]
	s_and_saveexec_b64 s[10:11], s[8:9]
	s_cbranch_execz .LBB29_949
.LBB29_948:
	v_lshlrev_b32_e32 v4, 24, v3
	v_and_b32_e32 v3, 0xffff, v3
	v_and_b32_e32 v5, 7, v3
	v_ffbh_u32_e32 v7, v5
	v_min_u32_e32 v7, 32, v7
	v_subrev_u32_e32 v8, 28, v7
	v_bfe_u32 v6, v3, 3, 4
	v_lshlrev_b32_e32 v3, v8, v3
	v_sub_u32_e32 v7, 29, v7
	v_and_b32_e32 v3, 7, v3
	v_cmp_eq_u32_e32 vcc, 0, v6
	v_cndmask_b32_e32 v6, v6, v7, vcc
	v_cndmask_b32_e32 v3, v5, v3, vcc
	v_mov_b32_e32 v5, 0x3b800000
	v_lshlrev_b32_e32 v3, 20, v3
	v_and_b32_e32 v4, 0x80000000, v4
	v_lshl_add_u32 v5, v6, 23, v5
	v_or3_b32 v3, v4, v5, v3
	v_cvt_f16_f32_e32 v4, v3
.LBB29_949:
	s_or_b64 exec, exec, s[10:11]
.LBB29_950:
	s_mov_b64 s[8:9], -1
.LBB29_951:
	s_mov_b64 s[10:11], 0
.LBB29_952:
	s_and_b64 vcc, exec, s[10:11]
	s_cbranch_vccz .LBB29_985
; %bb.953:
	s_cmp_gt_i32 s14, 22
	s_cbranch_scc0 .LBB29_963
; %bb.954:
	s_cmp_lt_i32 s14, 24
	s_cbranch_scc1 .LBB29_966
; %bb.955:
	s_cmp_gt_i32 s14, 24
	s_cbranch_scc0 .LBB29_967
; %bb.956:
	global_load_ubyte v3, v[1:2], off
	s_movk_i32 s2, 0x7f
	s_waitcnt vmcnt(0)
	v_cmp_lt_i16_e32 vcc, s2, v3
	s_mov_b64 s[2:3], 0
	s_and_saveexec_b64 s[8:9], vcc
	s_xor_b64 s[8:9], exec, s[8:9]
	s_cbranch_execz .LBB29_979
; %bb.957:
	s_movk_i32 s2, 0x80
	v_cmp_eq_u16_e32 vcc, s2, v3
	s_mov_b64 s[2:3], -1
	s_and_saveexec_b64 s[10:11], vcc
; %bb.958:
	s_xor_b64 s[2:3], exec, -1
; %bb.959:
	s_or_b64 exec, exec, s[10:11]
	s_and_b64 s[2:3], s[2:3], exec
	s_or_saveexec_b64 s[8:9], s[8:9]
	v_mov_b32_e32 v4, 0x7e00
	s_xor_b64 exec, exec, s[8:9]
	s_cbranch_execnz .LBB29_980
.LBB29_960:
	s_or_b64 exec, exec, s[8:9]
	s_and_saveexec_b64 s[8:9], s[2:3]
	s_cbranch_execz .LBB29_962
.LBB29_961:
	v_lshlrev_b32_e32 v4, 24, v3
	v_and_b32_e32 v3, 0xffff, v3
	v_and_b32_e32 v5, 3, v3
	v_ffbh_u32_e32 v7, v5
	v_min_u32_e32 v7, 32, v7
	v_subrev_u32_e32 v8, 29, v7
	v_bfe_u32 v6, v3, 2, 5
	v_lshlrev_b32_e32 v3, v8, v3
	v_sub_u32_e32 v7, 30, v7
	v_and_b32_e32 v3, 3, v3
	v_cmp_eq_u32_e32 vcc, 0, v6
	v_cndmask_b32_e32 v6, v6, v7, vcc
	v_cndmask_b32_e32 v3, v5, v3, vcc
	v_mov_b32_e32 v5, 0x37800000
	v_lshlrev_b32_e32 v3, 21, v3
	v_and_b32_e32 v4, 0x80000000, v4
	v_lshl_add_u32 v5, v6, 23, v5
	v_or3_b32 v3, v4, v5, v3
	v_cvt_f16_f32_e32 v4, v3
.LBB29_962:
	s_or_b64 exec, exec, s[8:9]
	s_mov_b64 s[2:3], 0
	s_branch .LBB29_968
.LBB29_963:
	s_mov_b64 s[2:3], -1
                                        ; implicit-def: $vgpr4
	s_branch .LBB29_974
.LBB29_964:
	s_or_saveexec_b64 s[10:11], s[10:11]
	v_mov_b32_e32 v4, 0x7e00
	s_xor_b64 exec, exec, s[10:11]
	s_cbranch_execz .LBB29_947
.LBB29_965:
	v_cmp_ne_u16_e32 vcc, 0, v3
	s_andn2_b64 s[8:9], s[8:9], exec
	s_and_b64 s[12:13], vcc, exec
	s_or_b64 s[8:9], s[8:9], s[12:13]
	v_mov_b32_e32 v4, v3
	s_or_b64 exec, exec, s[10:11]
	s_and_saveexec_b64 s[10:11], s[8:9]
	s_cbranch_execnz .LBB29_948
	s_branch .LBB29_949
.LBB29_966:
	s_mov_b64 s[2:3], -1
                                        ; implicit-def: $vgpr4
	s_branch .LBB29_971
.LBB29_967:
	s_mov_b64 s[2:3], -1
                                        ; implicit-def: $vgpr4
.LBB29_968:
	s_and_b64 vcc, exec, s[2:3]
	s_cbranch_vccz .LBB29_970
; %bb.969:
	global_load_ubyte v3, v[1:2], off
	s_mov_b32 s2, 0x7f800000
	s_waitcnt vmcnt(0)
	v_lshlrev_b32_e32 v3, 24, v3
	v_and_b32_e32 v4, 0x7f000000, v3
	v_ffbh_u32_e32 v5, v4
	v_min_u32_e32 v5, 32, v5
	v_sub_u32_e64 v5, v5, 4 clamp
	v_lshlrev_b32_e32 v7, v5, v4
	v_lshlrev_b32_e32 v5, 23, v5
	v_lshrrev_b32_e32 v7, 4, v7
	v_add_u32_e32 v6, 0x1000000, v4
	v_sub_u32_e32 v5, v7, v5
	v_ashrrev_i32_e32 v6, 8, v6
	v_add_u32_e32 v5, 0x3c000000, v5
	v_and_or_b32 v5, v6, s2, v5
	v_cmp_ne_u32_e32 vcc, 0, v4
	v_cndmask_b32_e32 v4, 0, v5, vcc
	s_brev_b32 s2, 1
	v_and_or_b32 v3, v3, s2, v4
	v_cvt_f16_f32_e32 v4, v3
.LBB29_970:
	s_mov_b64 s[2:3], 0
.LBB29_971:
	s_andn2_b64 vcc, exec, s[2:3]
	s_cbranch_vccnz .LBB29_973
; %bb.972:
	global_load_ubyte v3, v[1:2], off
	s_movk_i32 s2, 0x7f00
	s_brev_b32 s3, 16
	s_waitcnt vmcnt(0)
	v_lshlrev_b16_e32 v4, 8, v3
	v_lshlrev_b32_e32 v3, 25, v3
	v_lshrrev_b32_e32 v5, 4, v3
	v_and_or_b32 v6, v4, s2, 0.5
	v_or_b32_e32 v5, 0x70000000, v5
	v_add_f32_e32 v6, -0.5, v6
	v_mul_f32_e32 v5, 0x7800000, v5
	v_cmp_gt_u32_e32 vcc, s3, v3
	v_bfe_i32 v4, v4, 0, 16
	v_cndmask_b32_e32 v3, v5, v6, vcc
	s_brev_b32 s2, 1
	v_and_or_b32 v3, v4, s2, v3
	v_cvt_f16_f32_e32 v4, v3
.LBB29_973:
	s_mov_b64 s[2:3], 0
	s_mov_b64 s[8:9], -1
.LBB29_974:
	s_andn2_b64 vcc, exec, s[2:3]
	s_mov_b64 s[2:3], 0
	s_cbranch_vccnz .LBB29_985
; %bb.975:
	s_cmp_gt_i32 s14, 14
	s_cbranch_scc0 .LBB29_978
; %bb.976:
	s_cmp_eq_u32 s14, 15
	s_cbranch_scc0 .LBB29_981
; %bb.977:
	global_load_ushort v3, v[1:2], off
	s_mov_b64 s[0:1], 0
	s_mov_b64 s[8:9], -1
	s_waitcnt vmcnt(0)
	v_lshlrev_b32_e32 v3, 16, v3
	v_cvt_f16_f32_e32 v4, v3
	s_branch .LBB29_982
.LBB29_978:
	s_mov_b64 s[10:11], -1
                                        ; implicit-def: $vgpr4
	s_branch .LBB29_983
.LBB29_979:
	s_or_saveexec_b64 s[8:9], s[8:9]
	v_mov_b32_e32 v4, 0x7e00
	s_xor_b64 exec, exec, s[8:9]
	s_cbranch_execz .LBB29_960
.LBB29_980:
	v_cmp_ne_u16_e32 vcc, 0, v3
	s_andn2_b64 s[2:3], s[2:3], exec
	s_and_b64 s[10:11], vcc, exec
	s_or_b64 s[2:3], s[2:3], s[10:11]
	v_mov_b32_e32 v4, v3
	s_or_b64 exec, exec, s[8:9]
	s_and_saveexec_b64 s[8:9], s[2:3]
	s_cbranch_execnz .LBB29_961
	s_branch .LBB29_962
.LBB29_981:
	s_mov_b64 s[0:1], -1
                                        ; implicit-def: $vgpr4
.LBB29_982:
	s_mov_b64 s[10:11], 0
.LBB29_983:
	s_and_b64 vcc, exec, s[10:11]
	s_cbranch_vccz .LBB29_985
; %bb.984:
	s_cmp_lg_u32 s14, 11
	s_cselect_b64 s[10:11], -1, 0
	s_andn2_b64 s[0:1], s[0:1], exec
	s_and_b64 s[10:11], s[10:11], exec
	s_mov_b64 s[2:3], -1
	s_or_b64 s[0:1], s[0:1], s[10:11]
.LBB29_985:
	s_mov_b64 s[12:13], 0
.LBB29_986:
	s_and_b64 s[10:11], s[8:9], exec
	s_and_b64 s[8:9], s[12:13], exec
	s_andn2_b64 s[12:13], s[66:67], exec
	s_and_b64 s[0:1], s[0:1], exec
	s_and_b64 s[2:3], s[2:3], exec
	s_or_b64 s[12:13], s[12:13], s[0:1]
.LBB29_987:
	s_or_b64 exec, exec, s[70:71]
	s_and_b64 s[0:1], s[2:3], exec
	s_andn2_b64 s[2:3], s[66:67], exec
	s_and_b64 s[12:13], s[12:13], exec
	s_and_b64 s[10:11], s[10:11], exec
	;; [unrolled: 1-line block ×3, first 2 shown]
	s_or_b64 s[66:67], s[2:3], s[12:13]
.LBB29_988:
	s_or_b64 exec, exec, s[64:65]
	s_andn2_b64 s[2:3], s[60:61], exec
	s_and_b64 s[12:13], s[68:69], exec
	s_or_b64 s[60:61], s[2:3], s[12:13]
	s_and_b64 s[2:3], s[0:1], exec
	s_andn2_b64 s[0:1], s[58:59], exec
	s_and_b64 s[12:13], s[66:67], exec
	s_and_b64 s[10:11], s[10:11], exec
	;; [unrolled: 1-line block ×3, first 2 shown]
	s_or_b64 s[58:59], s[0:1], s[12:13]
.LBB29_989:
	s_or_b64 exec, exec, s[62:63]
	s_andn2_b64 s[0:1], s[52:53], exec
	s_and_b64 s[12:13], s[60:61], exec
	s_or_b64 s[52:53], s[0:1], s[12:13]
	s_and_b64 s[0:1], s[10:11], exec
	s_and_b64 s[10:11], s[8:9], exec
	;; [unrolled: 1-line block ×3, first 2 shown]
	s_andn2_b64 s[2:3], s[54:55], exec
	s_and_b64 s[8:9], s[58:59], exec
	s_or_b64 s[54:55], s[2:3], s[8:9]
	s_or_b64 exec, exec, s[56:57]
	s_mov_b64 s[2:3], 0
	s_and_saveexec_b64 s[8:9], s[54:55]
	s_cbranch_execz .LBB29_298
.LBB29_990:
	s_mov_b64 s[2:3], exec
	s_andn2_b64 s[60:61], s[60:61], exec
	s_trap 2
	s_or_b64 exec, exec, s[8:9]
	s_and_saveexec_b64 s[8:9], s[60:61]
	s_xor_b64 s[8:9], exec, s[8:9]
	s_cbranch_execnz .LBB29_299
.LBB29_991:
	s_or_b64 exec, exec, s[8:9]
	s_and_saveexec_b64 s[8:9], s[10:11]
	s_cbranch_execz .LBB29_1037
.LBB29_992:
	s_sext_i32_i16 s10, s74
	s_cmp_lt_i32 s10, 5
	s_cbranch_scc1 .LBB29_997
; %bb.993:
	s_cmp_lt_i32 s10, 8
	s_cbranch_scc1 .LBB29_998
; %bb.994:
	;; [unrolled: 3-line block ×3, first 2 shown]
	s_cmp_gt_i32 s10, 9
	s_cbranch_scc0 .LBB29_1000
; %bb.996:
	global_load_dwordx2 v[3:4], v[1:2], off
	s_movk_i32 s10, 0x1ff
	s_movk_i32 s11, 0xffe
	v_mov_b32_e32 v5, 0x7c00
	v_mov_b32_e32 v6, 0x7e00
	s_movk_i32 s12, 0x40f
	s_mov_b32 s13, 0x8000
	s_waitcnt vmcnt(0)
	v_and_or_b32 v3, v4, s10, v3
	v_cmp_ne_u32_e32 vcc, 0, v3
	v_lshrrev_b32_e32 v7, 8, v4
	v_bfe_u32 v8, v4, 20, 11
	v_cndmask_b32_e64 v3, 0, 1, vcc
	v_sub_u32_e32 v9, 0x3f1, v8
	v_and_or_b32 v3, v7, s11, v3
	v_add_u32_e32 v8, 0xfffffc10, v8
	v_med3_i32 v7, v9, 0, 13
	v_or_b32_e32 v9, 0x1000, v3
	v_cmp_ne_u32_e32 vcc, 0, v3
	v_lshl_or_b32 v10, v8, 12, v3
	v_cndmask_b32_e32 v3, v5, v6, vcc
	v_lshrrev_b32_e32 v6, v7, v9
	v_lshlrev_b32_e32 v7, v7, v6
	v_cmp_ne_u32_e32 vcc, v7, v9
	v_cndmask_b32_e64 v7, 0, 1, vcc
	v_or_b32_e32 v6, v6, v7
	v_cmp_gt_i32_e32 vcc, 1, v8
	v_cndmask_b32_e32 v6, v10, v6, vcc
	v_and_b32_e32 v7, 7, v6
	v_cmp_lt_i32_e32 vcc, 5, v7
	v_cndmask_b32_e64 v9, 0, 1, vcc
	v_cmp_eq_u32_e32 vcc, 3, v7
	v_cndmask_b32_e64 v7, 0, 1, vcc
	v_lshrrev_b32_e32 v6, 2, v6
	v_or_b32_e32 v7, v7, v9
	v_add_u32_e32 v6, v6, v7
	v_cmp_gt_i32_e32 vcc, 31, v8
	v_cndmask_b32_e32 v5, v5, v6, vcc
	v_cmp_eq_u32_e32 vcc, s12, v8
	v_lshrrev_b32_e32 v4, 16, v4
	v_cndmask_b32_e32 v3, v5, v3, vcc
	v_and_or_b32 v4, v4, s13, v3
	s_mov_b64 s[10:11], 0
	s_branch .LBB29_1001
.LBB29_997:
                                        ; implicit-def: $vgpr4
	s_branch .LBB29_1018
.LBB29_998:
                                        ; implicit-def: $vgpr4
	s_branch .LBB29_1007
.LBB29_999:
	s_mov_b64 s[10:11], -1
                                        ; implicit-def: $vgpr4
	s_branch .LBB29_1004
.LBB29_1000:
	s_mov_b64 s[10:11], -1
                                        ; implicit-def: $vgpr4
.LBB29_1001:
	s_andn2_b64 vcc, exec, s[10:11]
	s_cbranch_vccnz .LBB29_1003
; %bb.1002:
	global_load_dword v3, v[1:2], off
	s_waitcnt vmcnt(0)
	v_cvt_f16_f32_e32 v4, v3
.LBB29_1003:
	s_mov_b64 s[10:11], 0
.LBB29_1004:
	s_andn2_b64 vcc, exec, s[10:11]
	s_cbranch_vccnz .LBB29_1006
; %bb.1005:
	global_load_dword v4, v[1:2], off
.LBB29_1006:
	s_cbranch_execnz .LBB29_1017
.LBB29_1007:
	s_sext_i32_i16 s10, s74
	s_cmp_lt_i32 s10, 6
	s_cbranch_scc1 .LBB29_1010
; %bb.1008:
	s_cmp_gt_i32 s10, 6
	s_cbranch_scc0 .LBB29_1011
; %bb.1009:
	global_load_dwordx2 v[3:4], v[1:2], off
	s_movk_i32 s10, 0x1ff
	s_movk_i32 s11, 0xffe
	v_mov_b32_e32 v5, 0x7c00
	v_mov_b32_e32 v6, 0x7e00
	s_movk_i32 s12, 0x40f
	s_mov_b32 s13, 0x8000
	s_waitcnt vmcnt(0)
	v_and_or_b32 v3, v4, s10, v3
	v_cmp_ne_u32_e32 vcc, 0, v3
	v_lshrrev_b32_e32 v7, 8, v4
	v_bfe_u32 v8, v4, 20, 11
	v_cndmask_b32_e64 v3, 0, 1, vcc
	v_sub_u32_e32 v9, 0x3f1, v8
	v_and_or_b32 v3, v7, s11, v3
	v_add_u32_e32 v8, 0xfffffc10, v8
	v_med3_i32 v7, v9, 0, 13
	v_or_b32_e32 v9, 0x1000, v3
	v_cmp_ne_u32_e32 vcc, 0, v3
	v_lshl_or_b32 v10, v8, 12, v3
	v_cndmask_b32_e32 v3, v5, v6, vcc
	v_lshrrev_b32_e32 v6, v7, v9
	v_lshlrev_b32_e32 v7, v7, v6
	v_cmp_ne_u32_e32 vcc, v7, v9
	v_cndmask_b32_e64 v7, 0, 1, vcc
	v_or_b32_e32 v6, v6, v7
	v_cmp_gt_i32_e32 vcc, 1, v8
	v_cndmask_b32_e32 v6, v10, v6, vcc
	v_and_b32_e32 v7, 7, v6
	v_cmp_lt_i32_e32 vcc, 5, v7
	v_cndmask_b32_e64 v9, 0, 1, vcc
	v_cmp_eq_u32_e32 vcc, 3, v7
	v_cndmask_b32_e64 v7, 0, 1, vcc
	v_lshrrev_b32_e32 v6, 2, v6
	v_or_b32_e32 v7, v7, v9
	v_add_u32_e32 v6, v6, v7
	v_cmp_gt_i32_e32 vcc, 31, v8
	v_cndmask_b32_e32 v5, v5, v6, vcc
	v_cmp_eq_u32_e32 vcc, s12, v8
	v_lshrrev_b32_e32 v4, 16, v4
	v_cndmask_b32_e32 v3, v5, v3, vcc
	v_and_or_b32 v4, v4, s13, v3
	s_mov_b64 s[10:11], 0
	s_branch .LBB29_1012
.LBB29_1010:
	s_mov_b64 s[10:11], -1
                                        ; implicit-def: $vgpr4
	s_branch .LBB29_1015
.LBB29_1011:
	s_mov_b64 s[10:11], -1
                                        ; implicit-def: $vgpr4
.LBB29_1012:
	s_andn2_b64 vcc, exec, s[10:11]
	s_cbranch_vccnz .LBB29_1014
; %bb.1013:
	global_load_dword v3, v[1:2], off
	s_waitcnt vmcnt(0)
	v_cvt_f16_f32_e32 v4, v3
.LBB29_1014:
	s_mov_b64 s[10:11], 0
.LBB29_1015:
	s_andn2_b64 vcc, exec, s[10:11]
	s_cbranch_vccnz .LBB29_1017
; %bb.1016:
	global_load_ushort v4, v[1:2], off
.LBB29_1017:
	s_cbranch_execnz .LBB29_1036
.LBB29_1018:
	s_sext_i32_i16 s10, s74
	s_cmp_lt_i32 s10, 2
	s_cbranch_scc1 .LBB29_1022
; %bb.1019:
	s_cmp_lt_i32 s10, 3
	s_cbranch_scc1 .LBB29_1023
; %bb.1020:
	s_cmp_gt_i32 s10, 3
	s_cbranch_scc0 .LBB29_1024
; %bb.1021:
	global_load_dwordx2 v[3:4], v[1:2], off
	s_mov_b64 s[10:11], 0
	s_waitcnt vmcnt(0)
	v_xor_b32_e32 v6, v3, v4
	v_ffbh_i32_e32 v5, v4
	v_ashrrev_i32_e32 v6, 31, v6
	v_add_u32_e32 v5, -1, v5
	v_add_u32_e32 v6, 32, v6
	v_min_u32_e32 v5, v5, v6
	v_lshlrev_b64 v[3:4], v5, v[3:4]
	v_min_u32_e32 v3, 1, v3
	v_or_b32_e32 v3, v4, v3
	v_cvt_f32_i32_e32 v3, v3
	v_sub_u32_e32 v4, 32, v5
	v_ldexp_f32 v3, v3, v4
	v_cvt_f16_f32_e32 v4, v3
	s_branch .LBB29_1025
.LBB29_1022:
                                        ; implicit-def: $vgpr4
	s_branch .LBB29_1031
.LBB29_1023:
	s_mov_b64 s[10:11], -1
                                        ; implicit-def: $vgpr4
	s_branch .LBB29_1028
.LBB29_1024:
	s_mov_b64 s[10:11], -1
                                        ; implicit-def: $vgpr4
.LBB29_1025:
	s_andn2_b64 vcc, exec, s[10:11]
	s_cbranch_vccnz .LBB29_1027
; %bb.1026:
	global_load_dword v3, v[1:2], off
	s_waitcnt vmcnt(0)
	v_cvt_f32_i32_e32 v3, v3
	v_cvt_f16_f32_e32 v4, v3
.LBB29_1027:
	s_mov_b64 s[10:11], 0
.LBB29_1028:
	s_andn2_b64 vcc, exec, s[10:11]
	s_cbranch_vccnz .LBB29_1030
; %bb.1029:
	global_load_ushort v3, v[1:2], off
	s_waitcnt vmcnt(0)
	v_cvt_f16_i16_e32 v4, v3
.LBB29_1030:
	s_cbranch_execnz .LBB29_1036
.LBB29_1031:
	s_sext_i32_i16 s10, s74
	s_cmp_gt_i32 s10, 0
	s_cbranch_scc0 .LBB29_1033
; %bb.1032:
	global_load_sbyte v3, v[1:2], off
	s_mov_b64 s[10:11], 0
	s_waitcnt vmcnt(0)
	v_cvt_f16_i16_e32 v4, v3
	s_branch .LBB29_1034
.LBB29_1033:
	s_mov_b64 s[10:11], -1
                                        ; implicit-def: $vgpr4
.LBB29_1034:
	s_andn2_b64 vcc, exec, s[10:11]
	s_cbranch_vccnz .LBB29_1036
; %bb.1035:
	global_load_ubyte v1, v[1:2], off
	s_waitcnt vmcnt(0)
	v_cvt_f16_u16_e32 v4, v1
.LBB29_1036:
	s_or_b64 s[0:1], s[0:1], exec
.LBB29_1037:
	s_or_b64 exec, exec, s[8:9]
	s_mov_b64 s[12:13], 0
	s_mov_b64 s[10:11], 0
                                        ; implicit-def: $sgpr18
                                        ; implicit-def: $vgpr1_vgpr2
                                        ; implicit-def: $vgpr3
	s_and_saveexec_b64 s[8:9], s[0:1]
	s_cbranch_execz .LBB29_1079
; %bb.1038:
	s_waitcnt vmcnt(0)
	v_cvt_f32_f16_e32 v7, v4
	v_cmp_neq_f16_e32 vcc, 0, v4
                                        ; implicit-def: $vgpr3
	s_and_saveexec_b64 s[0:1], vcc
	s_xor_b64 s[10:11], exec, s[0:1]
	s_cbranch_execz .LBB29_1060
; %bb.1039:
	v_cmp_gt_f16_e32 vcc, 0, v4
	s_mov_b64 s[0:1], -1
	v_mov_b32_e32 v1, 0
	s_and_saveexec_b64 s[12:13], vcc
	s_cbranch_execz .LBB29_1047
; %bb.1040:
	v_trunc_f32_e32 v1, v7
	v_cmp_neq_f32_e32 vcc, v1, v7
	s_mov_b64 s[16:17], 0
	v_mov_b32_e32 v1, 0
	s_and_saveexec_b64 s[14:15], vcc
	s_cbranch_execz .LBB29_1046
; %bb.1041:
	v_cvt_f32_f16_e32 v1, v4
	s_mov_b32 s0, 0
	s_mov_b32 s17, 0xc00921fb
	;; [unrolled: 1-line block ×3, first 2 shown]
	v_cvt_f64_f32_e32 v[1:2], v1
	s_mov_b32 s1, 0x7ff00000
	v_bfrev_b32_e32 v5, 1
	s_mov_b32 s18, 0
	v_trunc_f64_e32 v[3:4], v[1:2]
	v_cmp_neq_f64_e64 vcc, |v[1:2]|, s[0:1]
	s_mov_b32 s19, 0x41d00000
                                        ; implicit-def: $vgpr8
	v_add_f64 v[3:4], v[1:2], -v[3:4]
	v_mul_f64 v[3:4], |v[3:4]|, s[16:17]
	v_cndmask_b32_e32 v2, v5, v4, vcc
	v_cndmask_b32_e32 v1, 0, v3, vcc
	v_cmp_nlt_f64_e64 s[18:19], |v[1:2]|, s[18:19]
                                        ; implicit-def: $vgpr3_vgpr4
                                        ; implicit-def: $vgpr5_vgpr6
	s_and_saveexec_b64 s[20:21], s[18:19]
	s_xor_b64 s[18:19], exec, s[20:21]
	s_cbranch_execz .LBB29_1043
; %bb.1042:
	v_trig_preop_f64 v[3:4], |v[1:2]|, 0
	s_mov_b32 s20, 0
	s_mov_b32 s21, 0x7b000000
	s_movk_i32 s17, 0xff80
	v_ldexp_f64 v[8:9], |v[1:2]|, s17
	v_cmp_ge_f64_e64 vcc, |v[1:2]|, s[20:21]
	v_trig_preop_f64 v[5:6], |v[1:2]|, 1
	v_and_b32_e32 v10, 0x7fffffff, v2
	v_trig_preop_f64 v[16:17], |v[1:2]|, 2
	v_mov_b32_e32 v27, 0x40100000
	v_mov_b32_e32 v26, 0
	s_mov_b32 s17, 0x3ff921fb
	v_cndmask_b32_e32 v9, v10, v9, vcc
	v_cndmask_b32_e32 v8, v1, v8, vcc
	v_mul_f64 v[10:11], v[3:4], v[8:9]
	v_mul_f64 v[12:13], v[5:6], v[8:9]
	;; [unrolled: 1-line block ×3, first 2 shown]
	v_fma_f64 v[3:4], v[3:4], v[8:9], -v[10:11]
	v_fma_f64 v[5:6], v[5:6], v[8:9], -v[12:13]
	;; [unrolled: 1-line block ×3, first 2 shown]
	v_add_f64 v[14:15], v[12:13], v[3:4]
	v_add_f64 v[18:19], v[14:15], -v[12:13]
	v_add_f64 v[24:25], v[10:11], v[14:15]
	v_add_f64 v[20:21], v[14:15], -v[18:19]
	v_add_f64 v[3:4], v[3:4], -v[18:19]
	v_add_f64 v[18:19], v[22:23], v[5:6]
	v_add_f64 v[10:11], v[24:25], -v[10:11]
	v_add_f64 v[12:13], v[12:13], -v[20:21]
	v_ldexp_f64 v[20:21], v[24:25], -2
	v_add_f64 v[28:29], v[18:19], -v[22:23]
	v_add_f64 v[10:11], v[14:15], -v[10:11]
	v_add_f64 v[3:4], v[3:4], v[12:13]
	v_fract_f64_e32 v[12:13], v[20:21]
	v_cmp_neq_f64_e64 vcc, |v[20:21]|, s[0:1]
	v_add_f64 v[5:6], v[5:6], -v[28:29]
	v_add_f64 v[14:15], v[18:19], v[3:4]
	v_ldexp_f64 v[12:13], v[12:13], 2
	v_add_f64 v[20:21], v[10:11], v[14:15]
	v_cndmask_b32_e32 v13, 0, v13, vcc
	v_cndmask_b32_e32 v12, 0, v12, vcc
	v_add_f64 v[30:31], v[14:15], -v[18:19]
	v_add_f64 v[24:25], v[20:21], v[12:13]
	v_add_f64 v[10:11], v[20:21], -v[10:11]
	v_add_f64 v[32:33], v[14:15], -v[30:31]
	;; [unrolled: 1-line block ×3, first 2 shown]
	v_cmp_gt_f64_e32 vcc, 0, v[24:25]
	v_add_f64 v[24:25], v[18:19], -v[28:29]
	v_add_f64 v[10:11], v[14:15], -v[10:11]
	;; [unrolled: 1-line block ×3, first 2 shown]
	v_cndmask_b32_e32 v27, 0, v27, vcc
	v_add_f64 v[12:13], v[12:13], v[26:27]
	v_add_f64 v[24:25], v[22:23], -v[24:25]
	v_add_f64 v[3:4], v[3:4], v[18:19]
	v_add_f64 v[34:35], v[20:21], v[12:13]
	;; [unrolled: 1-line block ×3, first 2 shown]
	v_cvt_i32_f64_e32 v29, v[34:35]
	v_add_f64 v[3:4], v[5:6], v[3:4]
	v_cvt_f64_i32_e32 v[27:28], v29
	v_add_f64 v[12:13], v[12:13], -v[27:28]
	v_add_f64 v[3:4], v[8:9], v[3:4]
	v_add_f64 v[5:6], v[20:21], v[12:13]
	;; [unrolled: 1-line block ×3, first 2 shown]
	v_mov_b32_e32 v11, 0x3ff00000
	v_add_f64 v[8:9], v[5:6], -v[12:13]
	v_cmp_le_f64_e32 vcc, 0.5, v[5:6]
	v_add_f64 v[9:10], v[20:21], -v[8:9]
	v_cndmask_b32_e32 v27, 0, v11, vcc
	v_add_f64 v[5:6], v[5:6], -v[26:27]
	v_addc_co_u32_e64 v8, s[0:1], 0, v29, vcc
	s_mov_b32 s0, 0x33145c07
	s_mov_b32 s1, 0x3c91a626
	v_add_f64 v[3:4], v[3:4], v[9:10]
	v_add_f64 v[9:10], v[5:6], v[3:4]
	v_mul_f64 v[11:12], v[9:10], s[16:17]
	v_add_f64 v[5:6], v[9:10], -v[5:6]
	v_fma_f64 v[13:14], v[9:10], s[16:17], -v[11:12]
	v_add_f64 v[3:4], v[3:4], -v[5:6]
	v_fma_f64 v[5:6], v[9:10], s[0:1], v[13:14]
	v_fma_f64 v[5:6], v[3:4], s[16:17], v[5:6]
	v_add_f64 v[3:4], v[11:12], v[5:6]
	v_add_f64 v[9:10], v[3:4], -v[11:12]
	v_add_f64 v[5:6], v[5:6], -v[9:10]
.LBB29_1043:
	s_andn2_saveexec_b64 s[0:1], s[18:19]
	s_cbranch_execz .LBB29_1045
; %bb.1044:
	s_mov_b32 s16, 0x6dc9c883
	s_mov_b32 s17, 0x3fe45f30
	v_mul_f64 v[3:4], |v[1:2]|, s[16:17]
	s_mov_b32 s16, 0x54442d18
	s_mov_b32 s17, 0xbff921fb
	;; [unrolled: 1-line block ×4, first 2 shown]
	v_rndne_f64_e32 v[8:9], v[3:4]
	v_fma_f64 v[3:4], v[8:9], s[16:17], |v[1:2]|
	v_mul_f64 v[5:6], v[8:9], s[18:19]
	s_mov_b32 s16, 0x252049c0
	s_mov_b32 s17, 0xb97b839a
	v_fma_f64 v[14:15], v[8:9], s[18:19], v[3:4]
	v_add_f64 v[10:11], v[3:4], v[5:6]
	s_mov_b32 s19, 0x3c91a626
	v_add_f64 v[12:13], v[3:4], -v[10:11]
	v_add_f64 v[10:11], v[10:11], -v[14:15]
	v_add_f64 v[3:4], v[12:13], v[5:6]
	v_fma_f64 v[5:6], v[8:9], s[18:19], v[5:6]
	v_add_f64 v[3:4], v[10:11], v[3:4]
	v_add_f64 v[3:4], v[3:4], -v[5:6]
	v_fma_f64 v[5:6], v[8:9], s[16:17], v[3:4]
	v_cvt_i32_f64_e32 v8, v[8:9]
	v_add_f64 v[3:4], v[14:15], v[5:6]
	v_add_f64 v[10:11], v[3:4], -v[14:15]
	v_add_f64 v[5:6], v[5:6], -v[10:11]
.LBB29_1045:
	s_or_b64 exec, exec, s[0:1]
	v_mul_f64 v[9:10], v[3:4], v[3:4]
	v_add_f64 v[11:12], v[5:6], v[5:6]
	s_mov_b32 s0, 0xc751c08c
	s_mov_b32 s1, 0x3ef5e089
	v_and_b32_e32 v8, 1, v8
	v_cmp_eq_u32_e32 vcc, 0, v8
	s_mov_b32 s18, 0x54442d18
	s_mov_b32 s19, 0xc00921fb
	v_fma_f64 v[13:14], v[3:4], v[3:4], -v[9:10]
	s_mov_b64 s[16:17], exec
	v_sub_f32_e32 v7, 1.0, v7
	v_fma_f64 v[11:12], v[3:4], v[11:12], v[13:14]
	v_add_f64 v[9:10], v[9:10], v[11:12]
	v_mov_b32_e32 v11, 0xa9a29f71
	v_mov_b32_e32 v12, 0xbf078809
	v_fma_f64 v[11:12], v[9:10], s[0:1], v[11:12]
	s_mov_b32 s0, 0x90a8aae0
	s_mov_b32 s1, 0x3f17746f
	v_fma_f64 v[11:12], v[9:10], v[11:12], s[0:1]
	s_mov_b32 s0, 0xa6fbf144
	s_mov_b32 s1, 0xbefbb44d
	;; [unrolled: 3-line block ×12, first 2 shown]
	v_fma_f64 v[11:12], v[9:10], v[11:12], s[0:1]
	s_movk_i32 s0, 0x1f8
	v_cmp_class_f64_e64 s[0:1], v[1:2], s0
	v_mul_f64 v[9:10], v[9:10], v[11:12]
	v_mul_f64 v[11:12], v[3:4], v[9:10]
	v_add_f64 v[13:14], v[3:4], v[11:12]
	v_fma_f64 v[9:10], v[3:4], v[9:10], -v[11:12]
	v_add_f64 v[3:4], v[13:14], -v[3:4]
	v_add_f64 v[5:6], v[5:6], v[9:10]
	v_add_f64 v[3:4], v[11:12], -v[3:4]
	v_add_f64 v[3:4], v[5:6], v[3:4]
	v_add_f64 v[5:6], v[13:14], v[3:4]
	v_rcp_f64_e32 v[9:10], v[5:6]
	v_fma_f64 v[11:12], -v[5:6], v[9:10], 1.0
	v_fma_f64 v[9:10], v[11:12], v[9:10], v[9:10]
	v_fma_f64 v[11:12], -v[5:6], v[9:10], 1.0
	v_fma_f64 v[9:10], v[11:12], v[9:10], v[9:10]
	v_add_f64 v[11:12], v[5:6], -v[13:14]
	v_mul_f64 v[13:14], v[5:6], v[9:10]
	v_add_f64 v[3:4], v[3:4], -v[11:12]
	v_fma_f64 v[11:12], v[9:10], v[5:6], -v[13:14]
	v_fma_f64 v[3:4], v[9:10], v[3:4], v[11:12]
	v_add_f64 v[11:12], v[13:14], v[3:4]
	v_add_f64 v[15:16], -v[11:12], 1.0
	v_add_f64 v[13:14], v[11:12], -v[13:14]
	v_add_f64 v[17:18], -v[15:16], 1.0
	v_add_f64 v[3:4], v[13:14], -v[3:4]
	v_add_f64 v[11:12], v[17:18], -v[11:12]
	v_add_f64 v[3:4], v[3:4], v[11:12]
	v_add_f64 v[3:4], v[15:16], v[3:4]
	v_mul_f64 v[3:4], v[9:10], v[3:4]
	v_add_f64 v[3:4], v[9:10], v[3:4]
	v_and_b32_e32 v9, 0x80000000, v2
	v_mov_b32_e32 v2, 0x7ff80000
	v_xor_b32_e32 v1, 0x80000000, v4
	v_cndmask_b32_e32 v3, v3, v5, vcc
	v_cndmask_b32_e32 v4, v1, v6, vcc
	v_cndmask_b32_e64 v1, 0, v3, s[0:1]
	v_xor_b32_e32 v3, v4, v9
	v_cndmask_b32_e64 v2, v2, v3, s[0:1]
	v_div_scale_f64 v[3:4], s[0:1], v[1:2], v[1:2], s[18:19]
	v_div_scale_f64 v[10:11], vcc, s[18:19], v[1:2], s[18:19]
	v_rcp_f64_e32 v[5:6], v[3:4]
	v_fma_f64 v[8:9], -v[3:4], v[5:6], 1.0
	v_fma_f64 v[5:6], v[5:6], v[8:9], v[5:6]
	v_fma_f64 v[8:9], -v[3:4], v[5:6], 1.0
	v_fma_f64 v[5:6], v[5:6], v[8:9], v[5:6]
	v_mul_f64 v[8:9], v[10:11], v[5:6]
	v_fma_f64 v[3:4], -v[3:4], v[8:9], v[10:11]
	v_div_fmas_f64 v[3:4], v[3:4], v[5:6], v[8:9]
	v_div_fixup_f64 v[1:2], v[3:4], v[1:2], s[18:19]
	v_cvt_f32_f64_e32 v1, v[1:2]
.LBB29_1046:
	s_or_b64 exec, exec, s[14:15]
	s_orn2_b64 s[0:1], s[16:17], exec
.LBB29_1047:
	s_or_b64 exec, exec, s[12:13]
	v_mov_b32_e32 v3, 0x7e00
	s_and_saveexec_b64 s[12:13], s[0:1]
	s_cbranch_execz .LBB29_1059
; %bb.1048:
	s_mov_b32 s16, 0x41200000
	v_cmp_gt_f32_e32 vcc, s16, v7
	s_and_saveexec_b64 s[0:1], vcc
	s_cbranch_execz .LBB29_1052
; %bb.1049:
	s_mov_b64 s[14:15], 0
.LBB29_1050:                            ; =>This Inner Loop Header: Depth=1
	v_div_scale_f32 v2, s[18:19], v7, v7, 1.0
	v_div_scale_f32 v3, vcc, 1.0, v7, 1.0
	v_rcp_f32_e32 v4, v2
	v_fma_f32 v5, -v2, v4, 1.0
	v_fmac_f32_e32 v4, v5, v4
	v_mul_f32_e32 v5, v3, v4
	v_fma_f32 v6, -v2, v5, v3
	v_fmac_f32_e32 v5, v6, v4
	v_fma_f32 v2, -v2, v5, v3
	v_div_fmas_f32 v2, v2, v4, v5
	v_div_fixup_f32 v2, v2, v7, 1.0
	v_add_f32_e32 v7, 1.0, v7
	v_cmp_ngt_f32_e32 vcc, s16, v7
	s_or_b64 s[14:15], vcc, s[14:15]
	v_sub_f32_e32 v1, v1, v2
	s_andn2_b64 exec, exec, s[14:15]
	s_cbranch_execnz .LBB29_1050
; %bb.1051:
	s_or_b64 exec, exec, s[14:15]
.LBB29_1052:
	s_or_b64 exec, exec, s[0:1]
	s_mov_b32 s0, 0x41200000
	v_cmp_neq_f32_e32 vcc, s0, v7
                                        ; implicit-def: $vgpr3
	s_and_saveexec_b64 s[0:1], vcc
	s_xor_b64 s[14:15], exec, s[0:1]
	s_cbranch_execz .LBB29_1056
; %bb.1053:
	v_cvt_f64_f32_e32 v[2:3], v7
	s_mov_b32 s0, 0x85d8a000
	s_mov_b32 s1, 0x43763457
	v_cmp_gt_f64_e32 vcc, s[0:1], v[2:3]
	v_mov_b32_e32 v2, 0
	s_and_saveexec_b64 s[0:1], vcc
	s_cbranch_execz .LBB29_1055
; %bb.1054:
	v_mul_f32_e32 v2, v7, v7
	v_div_scale_f32 v3, s[16:17], v2, v2, 1.0
	v_div_scale_f32 v4, vcc, 1.0, v2, 1.0
	v_mov_b32_e32 v9, 0x3b820821
	v_rcp_f32_e32 v5, v3
	v_fma_f32 v6, -v3, v5, 1.0
	v_fmac_f32_e32 v5, v6, v5
	v_mul_f32_e32 v6, v4, v5
	v_fma_f32 v8, -v3, v6, v4
	v_fmac_f32_e32 v6, v8, v5
	v_fma_f32 v3, -v3, v6, v4
	v_div_fmas_f32 v3, v3, v5, v6
	v_mov_b32_e32 v4, 0x3daaaaab
	v_mov_b32_e32 v5, 0xbcaccacd
	;; [unrolled: 1-line block ×4, first 2 shown]
	v_div_fixup_f32 v2, v3, v2, 1.0
	v_fma_f32 v3, 0, v2, v4
	v_fmac_f32_e32 v5, v2, v3
	v_fmac_f32_e32 v6, v2, v5
	;; [unrolled: 1-line block ×4, first 2 shown]
	v_mov_b32_e32 v3, 0xbc088889
	v_fmac_f32_e32 v3, v2, v9
	v_fmac_f32_e32 v4, v2, v3
	v_mul_f32_e32 v2, v2, v4
.LBB29_1055:
	s_or_b64 exec, exec, s[0:1]
	v_div_scale_f32 v3, s[0:1], v7, v7, -0.5
	v_div_scale_f32 v4, vcc, -0.5, v7, -0.5
	s_mov_b32 s0, 0x800000
	v_cmp_gt_f32_e64 s[0:1], s0, v7
	v_cndmask_b32_e64 v6, 0, 32, s[0:1]
	s_mov_b32 s16, 0x3f317217
	v_rcp_f32_e32 v5, v3
	v_fma_f32 v8, -v3, v5, 1.0
	v_fmac_f32_e32 v5, v8, v5
	v_mul_f32_e32 v8, v4, v5
	v_fma_f32 v9, -v3, v8, v4
	v_fmac_f32_e32 v8, v9, v5
	v_fma_f32 v3, -v3, v8, v4
	v_div_fmas_f32 v3, v3, v5, v8
	v_ldexp_f32 v4, v7, v6
	v_log_f32_e32 v4, v4
	v_mul_f32_e32 v5, 0x3f317217, v4
	v_fma_f32 v5, v4, s16, -v5
	v_fmac_f32_e32 v5, 0x3377d1cf, v4
	s_mov_b32 s16, 0x7f800000
	v_fmac_f32_e32 v5, 0x3f317217, v4
	v_cmp_lt_f32_e64 vcc, |v4|, s16
	v_cndmask_b32_e32 v4, v4, v5, vcc
	v_mov_b32_e32 v5, 0x41b17218
	v_cndmask_b32_e64 v5, 0, v5, s[0:1]
	v_sub_f32_e32 v4, v4, v5
	v_div_fixup_f32 v3, v3, v7, -0.5
	v_add_f32_e32 v3, v4, v3
	v_sub_f32_e32 v2, v3, v2
	v_add_f32_e32 v1, v1, v2
	v_cvt_f16_f32_e32 v3, v1
                                        ; implicit-def: $vgpr1
.LBB29_1056:
	s_andn2_saveexec_b64 s[0:1], s[14:15]
; %bb.1057:
	v_add_f32_e32 v1, 0x40101cb7, v1
	v_cvt_f16_f32_e32 v3, v1
; %bb.1058:
	s_or_b64 exec, exec, s[0:1]
.LBB29_1059:
	s_or_b64 exec, exec, s[12:13]
                                        ; implicit-def: $vgpr7
.LBB29_1060:
	s_andn2_saveexec_b64 s[0:1], s[10:11]
; %bb.1061:
	v_xor_b32_e32 v1, 0x80000000, v7
	s_movk_i32 s10, 0x8000
	v_and_b32_sdwa v1, v1, s10 dst_sel:DWORD dst_unused:UNUSED_PAD src0_sel:WORD_1 src1_sel:DWORD
	v_or_b32_e32 v3, 0x7c00, v1
; %bb.1062:
	s_or_b64 exec, exec, s[0:1]
	s_waitcnt lgkmcnt(0)
	v_mov_b32_e32 v2, s25
	s_and_b32 s18, s73, 0xff
	v_add_co_u32_e32 v1, vcc, s24, v0
	s_cmp_lt_i32 s18, 11
	v_addc_co_u32_e32 v2, vcc, 0, v2, vcc
	s_cbranch_scc1 .LBB29_1082
; %bb.1063:
	s_and_b32 s19, 0xffff, s18
	s_mov_b64 s[12:13], -1
	s_cmp_gt_i32 s19, 25
	s_mov_b64 s[0:1], s[52:53]
	s_cbranch_scc0 .LBB29_1100
; %bb.1064:
	s_mov_b64 s[10:11], -1
	s_cmp_gt_i32 s19, 28
	s_mov_b64 s[0:1], s[52:53]
	s_cbranch_scc0 .LBB29_1084
; %bb.1065:
	s_cmp_gt_i32 s19, 43
	s_mov_b64 s[0:1], s[52:53]
	s_cbranch_scc0 .LBB29_1076
; %bb.1066:
	;; [unrolled: 4-line block ×3, first 2 shown]
	s_cmp_eq_u32 s19, 46
	s_mov_b64 s[0:1], -1
	s_cbranch_scc0 .LBB29_1069
; %bb.1068:
	v_cvt_f32_f16_e32 v0, v3
	s_movk_i32 s0, 0x7fff
	v_cmp_o_f16_e32 vcc, v3, v3
	v_mov_b32_e32 v4, 0x7fc0
	v_bfe_u32 v5, v0, 16, 1
	v_add3_u32 v0, v0, v5, s0
	v_cndmask_b32_sdwa v0, v4, v0, vcc dst_sel:DWORD dst_unused:UNUSED_PAD src0_sel:DWORD src1_sel:WORD_1
	global_store_dword v[1:2], v0, off
	s_mov_b64 s[0:1], 0
.LBB29_1069:
	s_mov_b64 s[10:11], 0
.LBB29_1070:
	s_and_b64 vcc, exec, s[10:11]
	s_cbranch_vccz .LBB29_1075
; %bb.1071:
	s_cmp_eq_u32 s19, 44
	s_mov_b64 s[0:1], -1
	s_cbranch_scc0 .LBB29_1075
; %bb.1072:
	v_cvt_f32_f16_e32 v0, v3
	s_movk_i32 s0, 0xff
	v_mov_b32_e32 v5, 0xff
	v_bfe_u32 v4, v0, 23, 8
	v_cmp_ne_u32_e32 vcc, s0, v4
	s_and_saveexec_b64 s[10:11], vcc
; %bb.1073:
	s_mov_b32 s0, 0x3fffff
	v_lshrrev_b32_e32 v5, 23, v0
	v_and_b32_e32 v6, 0x400000, v0
	v_and_or_b32 v0, v0, s0, v4
	v_cmp_ne_u32_e32 vcc, 0, v6
	v_cmp_ne_u32_e64 s[0:1], 0, v0
	s_and_b64 s[0:1], vcc, s[0:1]
	v_cndmask_b32_e64 v0, 0, 1, s[0:1]
	v_add_u32_e32 v5, v5, v0
; %bb.1074:
	s_or_b64 exec, exec, s[10:11]
	s_mov_b64 s[0:1], 0
	global_store_byte v[1:2], v5, off
.LBB29_1075:
	s_mov_b64 s[10:11], 0
.LBB29_1076:
	s_and_b64 vcc, exec, s[10:11]
	s_cbranch_vccz .LBB29_1083
; %bb.1077:
	s_cmp_eq_u32 s19, 29
	s_mov_b64 s[0:1], -1
	s_cbranch_scc0 .LBB29_1083
; %bb.1078:
	v_cvt_f32_f16_e32 v0, v3
	v_mov_b32_e32 v5, 0
	s_mov_b64 s[0:1], 0
	s_mov_b64 s[10:11], 0
	v_cvt_u32_f32_e32 v4, v0
	global_store_dwordx2 v[1:2], v[4:5], off
	s_branch .LBB29_1084
.LBB29_1079:
	s_or_b64 exec, exec, s[8:9]
	s_and_saveexec_b64 s[0:1], s[52:53]
	s_cbranch_execnz .LBB29_1142
.LBB29_1080:
	s_or_b64 exec, exec, s[0:1]
	s_and_saveexec_b64 s[0:1], s[12:13]
	s_xor_b64 s[0:1], exec, s[0:1]
	s_cbranch_execz .LBB29_1143
.LBB29_1081:
	s_waitcnt vmcnt(0)
	v_and_b32_e32 v0, 0x7fff, v3
	v_cmp_ne_u16_e32 vcc, 0, v0
	v_cndmask_b32_e64 v0, 0, 1, vcc
	global_store_byte v[1:2], v0, off
	s_or_b64 exec, exec, s[0:1]
	s_and_saveexec_b64 s[0:1], s[10:11]
	s_xor_b64 s[0:1], exec, s[0:1]
	s_cbranch_execz .LBB29_1181
	s_branch .LBB29_1144
.LBB29_1082:
	s_mov_b64 s[12:13], 0
	s_mov_b64 s[10:11], -1
	s_mov_b64 s[0:1], s[52:53]
	s_branch .LBB29_1141
.LBB29_1083:
	s_mov_b64 s[10:11], 0
.LBB29_1084:
	s_and_b64 vcc, exec, s[10:11]
	s_cbranch_vccz .LBB29_1099
; %bb.1085:
	s_cmp_lt_i32 s19, 27
	s_mov_b64 s[10:11], -1
	s_cbranch_scc1 .LBB29_1091
; %bb.1086:
	s_cmp_gt_i32 s19, 27
	s_cbranch_scc0 .LBB29_1088
; %bb.1087:
	v_cvt_f32_f16_e32 v0, v3
	s_mov_b64 s[10:11], 0
	v_cvt_u32_f32_e32 v0, v0
	global_store_dword v[1:2], v0, off
.LBB29_1088:
	s_andn2_b64 vcc, exec, s[10:11]
	s_cbranch_vccnz .LBB29_1090
; %bb.1089:
	v_cvt_u16_f16_e32 v0, v3
	global_store_short v[1:2], v0, off
.LBB29_1090:
	s_mov_b64 s[10:11], 0
.LBB29_1091:
	s_andn2_b64 vcc, exec, s[10:11]
	s_cbranch_vccnz .LBB29_1099
; %bb.1092:
	v_cvt_f32_f16_e32 v0, v3
	s_mov_b32 s10, 0x43800000
	v_mov_b32_e32 v5, 0x80
	v_and_b32_e32 v4, 0x7fffffff, v0
	v_cmp_gt_u32_e32 vcc, s10, v4
	s_and_saveexec_b64 s[10:11], vcc
	s_cbranch_execz .LBB29_1098
; %bb.1093:
	s_mov_b32 s12, 0x3bffffff
	v_cmp_lt_u32_e32 vcc, s12, v4
	s_mov_b64 s[12:13], 0
                                        ; implicit-def: $vgpr4
	s_and_saveexec_b64 s[14:15], vcc
	s_xor_b64 s[14:15], exec, s[14:15]
	s_cbranch_execz .LBB29_1252
; %bb.1094:
	v_bfe_u32 v4, v0, 20, 1
	s_mov_b32 s16, 0x487ffff
	v_add3_u32 v4, v0, v4, s16
	s_mov_b64 s[12:13], exec
	v_lshrrev_b32_e32 v4, 20, v4
	s_andn2_saveexec_b64 s[14:15], s[14:15]
	s_cbranch_execnz .LBB29_1253
.LBB29_1095:
	s_or_b64 exec, exec, s[14:15]
	v_mov_b32_e32 v5, 0
	s_and_saveexec_b64 s[14:15], s[12:13]
.LBB29_1096:
	v_lshrrev_b32_e32 v0, 24, v0
	s_movk_i32 s12, 0x80
	v_and_or_b32 v5, v0, s12, v4
.LBB29_1097:
	s_or_b64 exec, exec, s[14:15]
.LBB29_1098:
	s_or_b64 exec, exec, s[10:11]
	global_store_byte v[1:2], v5, off
.LBB29_1099:
	s_mov_b64 s[12:13], 0
.LBB29_1100:
	s_mov_b64 s[10:11], 0
	s_and_b64 vcc, exec, s[12:13]
	s_cbranch_vccz .LBB29_1140
; %bb.1101:
	s_cmp_gt_i32 s19, 22
	s_mov_b64 s[12:13], -1
	s_cbranch_scc0 .LBB29_1133
; %bb.1102:
	s_cmp_lt_i32 s19, 24
	s_cbranch_scc1 .LBB29_1122
; %bb.1103:
	s_cmp_gt_i32 s19, 24
	s_cbranch_scc0 .LBB29_1111
; %bb.1104:
	v_cvt_f32_f16_e32 v0, v3
	s_mov_b32 s12, 0x47800000
	v_mov_b32_e32 v5, 0x80
	v_and_b32_e32 v4, 0x7fffffff, v0
	v_cmp_gt_u32_e32 vcc, s12, v4
	s_and_saveexec_b64 s[12:13], vcc
	s_cbranch_execz .LBB29_1110
; %bb.1105:
	s_mov_b32 s14, 0x37ffffff
	v_cmp_lt_u32_e32 vcc, s14, v4
	s_mov_b64 s[14:15], 0
                                        ; implicit-def: $vgpr4
	s_and_saveexec_b64 s[16:17], vcc
	s_xor_b64 s[16:17], exec, s[16:17]
	s_cbranch_execz .LBB29_1401
; %bb.1106:
	v_bfe_u32 v4, v0, 21, 1
	s_mov_b32 s20, 0x88fffff
	v_add3_u32 v4, v0, v4, s20
	s_mov_b64 s[14:15], exec
	v_lshrrev_b32_e32 v4, 21, v4
	s_andn2_saveexec_b64 s[16:17], s[16:17]
	s_cbranch_execnz .LBB29_1402
.LBB29_1107:
	s_or_b64 exec, exec, s[16:17]
	v_mov_b32_e32 v5, 0
	s_and_saveexec_b64 s[16:17], s[14:15]
.LBB29_1108:
	v_lshrrev_b32_e32 v0, 24, v0
	s_movk_i32 s14, 0x80
	v_and_or_b32 v5, v0, s14, v4
.LBB29_1109:
	s_or_b64 exec, exec, s[16:17]
.LBB29_1110:
	s_or_b64 exec, exec, s[12:13]
	s_mov_b64 s[12:13], 0
	global_store_byte v[1:2], v5, off
.LBB29_1111:
	s_and_b64 vcc, exec, s[12:13]
	s_cbranch_vccz .LBB29_1121
; %bb.1112:
	v_cvt_f32_f16_e32 v0, v3
	s_mov_b32 s12, 0x43f00000
                                        ; implicit-def: $vgpr4
	v_and_b32_e32 v5, 0x7fffffff, v0
	v_cmp_gt_u32_e32 vcc, s12, v5
	s_and_saveexec_b64 s[12:13], vcc
	s_xor_b64 s[12:13], exec, s[12:13]
	s_cbranch_execz .LBB29_1118
; %bb.1113:
	s_mov_b32 s14, 0x3c7fffff
	v_cmp_lt_u32_e32 vcc, s14, v5
                                        ; implicit-def: $vgpr4
	s_and_saveexec_b64 s[14:15], vcc
	s_xor_b64 s[14:15], exec, s[14:15]
; %bb.1114:
	v_bfe_u32 v4, v0, 20, 1
	s_mov_b32 s16, 0x407ffff
	v_add3_u32 v4, v0, v4, s16
	v_lshrrev_b32_e32 v5, 20, v4
	v_and_b32_e32 v4, 0xff00000, v4
	s_mov_b32 s16, 0x7f00000
	v_mov_b32_e32 v6, 0x7e
	v_cmp_ne_u32_e32 vcc, s16, v4
	v_cndmask_b32_e32 v4, v6, v5, vcc
; %bb.1115:
	s_andn2_saveexec_b64 s[14:15], s[14:15]
; %bb.1116:
	s_mov_b32 s16, 0x46800000
	v_add_f32_e64 v4, |v0|, s16
; %bb.1117:
	s_or_b64 exec, exec, s[14:15]
                                        ; implicit-def: $vgpr5
.LBB29_1118:
	s_andn2_saveexec_b64 s[12:13], s[12:13]
; %bb.1119:
	s_mov_b32 s14, 0x7f800000
	v_mov_b32_e32 v4, 0x7e
	v_mov_b32_e32 v6, 0x7f
	v_cmp_lt_u32_e32 vcc, s14, v5
	v_cndmask_b32_e32 v4, v4, v6, vcc
; %bb.1120:
	s_or_b64 exec, exec, s[12:13]
	v_lshrrev_b32_e32 v0, 24, v0
	s_movk_i32 s12, 0x80
	v_and_or_b32 v0, v0, s12, v4
	global_store_byte v[1:2], v0, off
.LBB29_1121:
	s_mov_b64 s[12:13], 0
.LBB29_1122:
	s_andn2_b64 vcc, exec, s[12:13]
	s_cbranch_vccnz .LBB29_1132
; %bb.1123:
	v_cvt_f32_f16_e32 v0, v3
	s_mov_b32 s12, 0x47800000
                                        ; implicit-def: $vgpr4
	v_and_b32_e32 v5, 0x7fffffff, v0
	v_cmp_gt_u32_e32 vcc, s12, v5
	s_and_saveexec_b64 s[12:13], vcc
	s_xor_b64 s[12:13], exec, s[12:13]
	s_cbranch_execz .LBB29_1129
; %bb.1124:
	s_mov_b32 s14, 0x387fffff
	v_cmp_lt_u32_e32 vcc, s14, v5
                                        ; implicit-def: $vgpr4
	s_and_saveexec_b64 s[14:15], vcc
	s_xor_b64 s[14:15], exec, s[14:15]
; %bb.1125:
	v_bfe_u32 v4, v0, 21, 1
	s_mov_b32 s16, 0x80fffff
	v_add3_u32 v4, v0, v4, s16
	v_lshrrev_b32_e32 v4, 21, v4
; %bb.1126:
	s_andn2_saveexec_b64 s[14:15], s[14:15]
; %bb.1127:
	s_mov_b32 s16, 0x43000000
	v_add_f32_e64 v4, |v0|, s16
; %bb.1128:
	s_or_b64 exec, exec, s[14:15]
                                        ; implicit-def: $vgpr5
.LBB29_1129:
	s_andn2_saveexec_b64 s[12:13], s[12:13]
; %bb.1130:
	s_mov_b32 s14, 0x7f800000
	v_mov_b32_e32 v4, 0x7c
	v_mov_b32_e32 v6, 0x7f
	v_cmp_lt_u32_e32 vcc, s14, v5
	v_cndmask_b32_e32 v4, v4, v6, vcc
; %bb.1131:
	s_or_b64 exec, exec, s[12:13]
	v_lshrrev_b32_e32 v0, 24, v0
	s_movk_i32 s12, 0x80
	v_and_or_b32 v0, v0, s12, v4
	global_store_byte v[1:2], v0, off
.LBB29_1132:
	s_mov_b64 s[12:13], 0
.LBB29_1133:
	s_andn2_b64 vcc, exec, s[12:13]
	s_mov_b64 s[12:13], 0
	s_cbranch_vccnz .LBB29_1141
; %bb.1134:
	s_cmp_gt_i32 s19, 14
	s_mov_b64 s[14:15], -1
	s_cbranch_scc0 .LBB29_1138
; %bb.1135:
	s_cmp_eq_u32 s19, 15
	s_mov_b64 s[0:1], -1
	s_cbranch_scc0 .LBB29_1137
; %bb.1136:
	v_cvt_f32_f16_e32 v0, v3
	s_movk_i32 s0, 0x7fff
	v_cmp_o_f16_e32 vcc, v3, v3
	v_mov_b32_e32 v4, 0x7fc0
	v_bfe_u32 v5, v0, 16, 1
	v_add3_u32 v0, v0, v5, s0
	v_cndmask_b32_sdwa v0, v4, v0, vcc dst_sel:DWORD dst_unused:UNUSED_PAD src0_sel:DWORD src1_sel:WORD_1
	global_store_short v[1:2], v0, off
	s_mov_b64 s[0:1], 0
.LBB29_1137:
	s_mov_b64 s[14:15], 0
.LBB29_1138:
	s_and_b64 vcc, exec, s[14:15]
	s_cbranch_vccz .LBB29_1141
; %bb.1139:
	s_cmp_lg_u32 s19, 11
	s_cselect_b64 s[14:15], -1, 0
	s_andn2_b64 s[0:1], s[0:1], exec
	s_and_b64 s[14:15], s[14:15], exec
	s_mov_b64 s[12:13], -1
	s_or_b64 s[0:1], s[0:1], s[14:15]
	s_branch .LBB29_1141
.LBB29_1140:
	s_mov_b64 s[12:13], 0
.LBB29_1141:
	s_andn2_b64 s[14:15], s[52:53], exec
	s_and_b64 s[0:1], s[0:1], exec
	s_and_b64 s[10:11], s[10:11], exec
	;; [unrolled: 1-line block ×3, first 2 shown]
	s_or_b64 s[52:53], s[14:15], s[0:1]
	s_or_b64 exec, exec, s[8:9]
	s_and_saveexec_b64 s[0:1], s[52:53]
	s_cbranch_execz .LBB29_1080
.LBB29_1142:
	s_or_b64 s[2:3], s[2:3], exec
	s_andn2_b64 s[12:13], s[12:13], exec
	s_trap 2
	s_or_b64 exec, exec, s[0:1]
	s_and_saveexec_b64 s[0:1], s[12:13]
	s_xor_b64 s[0:1], exec, s[0:1]
	s_cbranch_execnz .LBB29_1081
.LBB29_1143:
	s_or_b64 exec, exec, s[0:1]
	s_and_saveexec_b64 s[0:1], s[10:11]
	s_xor_b64 s[0:1], exec, s[0:1]
	s_cbranch_execz .LBB29_1181
.LBB29_1144:
	s_sext_i32_i16 s10, s18
	s_cmp_lt_i32 s10, 5
	s_mov_b64 s[8:9], -1
	s_cbranch_scc1 .LBB29_1165
; %bb.1145:
	s_cmp_lt_i32 s10, 8
	s_cbranch_scc1 .LBB29_1155
; %bb.1146:
	s_cmp_lt_i32 s10, 9
	s_cbranch_scc1 .LBB29_1152
; %bb.1147:
	s_cmp_gt_i32 s10, 9
	s_cbranch_scc0 .LBB29_1149
; %bb.1148:
	s_waitcnt vmcnt(0)
	v_cvt_f32_f16_e32 v0, v3
	v_mov_b32_e32 v6, 0
	v_mov_b32_e32 v7, v6
	s_mov_b64 s[8:9], 0
	v_cvt_f64_f32_e32 v[4:5], v0
	global_store_dwordx4 v[1:2], v[4:7], off
.LBB29_1149:
	s_andn2_b64 vcc, exec, s[8:9]
	s_cbranch_vccnz .LBB29_1151
; %bb.1150:
	s_waitcnt vmcnt(0)
	v_cvt_f32_f16_e32 v4, v3
	v_mov_b32_e32 v5, 0
	global_store_dwordx2 v[1:2], v[4:5], off
.LBB29_1151:
	s_mov_b64 s[8:9], 0
.LBB29_1152:
	s_andn2_b64 vcc, exec, s[8:9]
	s_cbranch_vccnz .LBB29_1154
; %bb.1153:
	s_waitcnt vmcnt(0)
	v_and_b32_e32 v0, 0xffff, v3
	global_store_dword v[1:2], v0, off
.LBB29_1154:
	s_mov_b64 s[8:9], 0
.LBB29_1155:
	s_andn2_b64 vcc, exec, s[8:9]
	s_cbranch_vccnz .LBB29_1164
; %bb.1156:
	s_sext_i32_i16 s10, s18
	s_cmp_lt_i32 s10, 6
	s_mov_b64 s[8:9], -1
	s_cbranch_scc1 .LBB29_1162
; %bb.1157:
	s_cmp_gt_i32 s10, 6
	s_cbranch_scc0 .LBB29_1159
; %bb.1158:
	s_waitcnt vmcnt(0)
	v_cvt_f32_f16_e32 v0, v3
	s_mov_b64 s[8:9], 0
	v_cvt_f64_f32_e32 v[4:5], v0
	global_store_dwordx2 v[1:2], v[4:5], off
.LBB29_1159:
	s_andn2_b64 vcc, exec, s[8:9]
	s_cbranch_vccnz .LBB29_1161
; %bb.1160:
	s_waitcnt vmcnt(0)
	v_cvt_f32_f16_e32 v0, v3
	global_store_dword v[1:2], v0, off
.LBB29_1161:
	s_mov_b64 s[8:9], 0
.LBB29_1162:
	s_andn2_b64 vcc, exec, s[8:9]
	s_cbranch_vccnz .LBB29_1164
; %bb.1163:
	s_waitcnt vmcnt(0)
	global_store_short v[1:2], v3, off
.LBB29_1164:
	s_mov_b64 s[8:9], 0
.LBB29_1165:
	s_andn2_b64 vcc, exec, s[8:9]
	s_cbranch_vccnz .LBB29_1181
; %bb.1166:
	s_sext_i32_i16 s10, s18
	s_cmp_lt_i32 s10, 2
	s_mov_b64 s[8:9], -1
	s_cbranch_scc1 .LBB29_1176
; %bb.1167:
	s_cmp_lt_i32 s10, 3
	s_cbranch_scc1 .LBB29_1173
; %bb.1168:
	s_cmp_gt_i32 s10, 3
	s_cbranch_scc0 .LBB29_1170
; %bb.1169:
	s_waitcnt vmcnt(0)
	v_cvt_f32_f16_e32 v0, v3
	s_mov_b64 s[8:9], 0
	v_cvt_i32_f32_e32 v4, v0
	v_ashrrev_i32_e32 v5, 31, v4
	global_store_dwordx2 v[1:2], v[4:5], off
.LBB29_1170:
	s_andn2_b64 vcc, exec, s[8:9]
	s_cbranch_vccnz .LBB29_1172
; %bb.1171:
	s_waitcnt vmcnt(0)
	v_cvt_f32_f16_e32 v0, v3
	v_cvt_i32_f32_e32 v0, v0
	global_store_dword v[1:2], v0, off
.LBB29_1172:
	s_mov_b64 s[8:9], 0
.LBB29_1173:
	s_andn2_b64 vcc, exec, s[8:9]
	s_cbranch_vccnz .LBB29_1175
; %bb.1174:
	s_waitcnt vmcnt(0)
	v_cvt_i16_f16_e32 v0, v3
	global_store_short v[1:2], v0, off
.LBB29_1175:
	s_mov_b64 s[8:9], 0
.LBB29_1176:
	s_andn2_b64 vcc, exec, s[8:9]
	s_cbranch_vccnz .LBB29_1181
; %bb.1177:
	s_sext_i32_i16 s8, s18
	s_cmp_gt_i32 s8, 0
	s_mov_b64 s[8:9], -1
	s_cbranch_scc0 .LBB29_1179
; %bb.1178:
	s_waitcnt vmcnt(0)
	v_cvt_i16_f16_e32 v0, v3
	s_mov_b64 s[8:9], 0
	global_store_byte v[1:2], v0, off
.LBB29_1179:
	s_andn2_b64 vcc, exec, s[8:9]
	s_cbranch_vccnz .LBB29_1181
; %bb.1180:
	s_waitcnt vmcnt(0)
	v_cvt_f32_f16_e32 v0, v3
	v_cvt_i32_f32_e32 v0, v0
	global_store_byte v[1:2], v0, off
.LBB29_1181:
	s_or_b64 exec, exec, s[0:1]
	s_waitcnt lgkmcnt(0)
	s_and_b64 s[28:29], s[2:3], exec
                                        ; implicit-def: $vgpr15
                                        ; implicit-def: $vgpr8
.LBB29_1182:
	s_or_saveexec_b64 s[30:31], s[42:43]
	s_mov_b64 s[0:1], 0
                                        ; implicit-def: $vgpr0_vgpr1
                                        ; implicit-def: $sgpr14
                                        ; implicit-def: $vgpr7
	s_xor_b64 exec, exec, s[30:31]
	s_cbranch_execz .LBB29_1928
; %bb.1183:
	v_cndmask_b32_e64 v0, 0, 1, s[40:41]
	v_cmp_ne_u32_e64 s[0:1], 1, v0
	s_andn2_b64 vcc, exec, s[40:41]
	s_cbranch_vccnz .LBB29_1189
; %bb.1184:
	s_cmp_lg_u32 s33, 0
	s_mov_b32 s36, 0
	s_cbranch_scc0 .LBB29_1190
; %bb.1185:
	s_min_u32 s37, s72, 15
	s_add_i32 s37, s37, 1
	s_cmp_eq_u32 s72, 2
	s_cbranch_scc1 .LBB29_1191
; %bb.1186:
	s_and_b32 s36, s37, 28
	s_add_u32 s2, s34, 0xc4
	s_addc_u32 s3, s35, 0
	v_mov_b32_e32 v13, 0
	s_mov_b32 s38, 0
	s_mov_b64 s[6:7], s[34:35]
	v_mov_b32_e32 v6, 0
	v_mov_b32_e32 v0, v8
.LBB29_1187:                            ; =>This Inner Loop Header: Depth=1
	s_load_dwordx8 s[16:23], s[6:7], 0x4
	s_load_dwordx4 s[24:27], s[6:7], 0x24
	s_load_dwordx8 s[8:15], s[2:3], 0x0
	s_add_u32 s6, s6, 48
	s_addc_u32 s7, s7, 0
	s_waitcnt lgkmcnt(0)
	v_mul_hi_u32 v1, s17, v0
	s_add_i32 s38, s38, 4
	s_add_u32 s2, s2, 32
	s_addc_u32 s3, s3, 0
	v_add_u32_e32 v1, v0, v1
	v_lshrrev_b32_e32 v1, s18, v1
	v_mul_lo_u32 v2, v1, s16
	s_waitcnt vmcnt(0)
	v_mul_hi_u32 v3, s20, v1
	s_cmp_lg_u32 s36, s38
	v_sub_u32_e32 v0, v0, v2
	v_add_u32_e32 v2, v1, v3
	v_mul_lo_u32 v3, v0, s8
	v_mul_lo_u32 v4, v0, s9
	v_lshrrev_b32_e32 v0, s21, v2
	v_mul_lo_u32 v2, v0, s19
	v_mul_hi_u32 v5, s23, v0
	v_sub_u32_e32 v1, v1, v2
	v_add_u32_e32 v2, v0, v5
	v_lshrrev_b32_e32 v2, s24, v2
	v_mul_hi_u32 v7, s26, v2
	v_mul_lo_u32 v9, v2, s22
	v_mul_lo_u32 v5, v1, s10
	;; [unrolled: 1-line block ×3, first 2 shown]
	v_sub_u32_e32 v9, v0, v9
	v_add_u32_e32 v0, v2, v7
	v_lshrrev_b32_e32 v0, s27, v0
	v_mul_lo_u32 v7, v0, s25
	v_mul_lo_u32 v10, v9, s12
	;; [unrolled: 1-line block ×3, first 2 shown]
	v_add3_u32 v3, v3, v6, v5
	v_sub_u32_e32 v2, v2, v7
	v_mul_lo_u32 v7, v2, s14
	v_mul_lo_u32 v2, v2, s15
	v_add3_u32 v1, v4, v13, v1
	v_add3_u32 v6, v10, v3, v7
	;; [unrolled: 1-line block ×3, first 2 shown]
	s_cbranch_scc1 .LBB29_1187
; %bb.1188:
	s_and_b32 s8, s37, 3
	s_cmp_eq_u32 s8, 0
	s_cbranch_scc0 .LBB29_1192
	s_branch .LBB29_1194
.LBB29_1189:
                                        ; implicit-def: $vgpr6
                                        ; implicit-def: $vgpr13
	s_branch .LBB29_1195
.LBB29_1190:
	v_mov_b32_e32 v6, 0
	v_mov_b32_e32 v13, 0
	s_branch .LBB29_1194
.LBB29_1191:
	v_mov_b32_e32 v6, 0
	v_mov_b32_e32 v13, 0
	;; [unrolled: 1-line block ×3, first 2 shown]
	s_and_b32 s8, s37, 3
	s_cmp_eq_u32 s8, 0
	s_cbranch_scc1 .LBB29_1194
.LBB29_1192:
	s_lshl_b32 s2, s36, 3
	s_add_u32 s2, s34, s2
	s_addc_u32 s3, s35, 0
	s_add_u32 s2, s2, 0xc4
	s_addc_u32 s3, s3, 0
	s_mul_i32 s6, s36, 12
	s_add_u32 s6, s34, s6
	s_addc_u32 s7, s35, 0
.LBB29_1193:                            ; =>This Inner Loop Header: Depth=1
	s_load_dwordx2 s[10:11], s[6:7], 0x4
	s_load_dword s9, s[6:7], 0xc
	s_load_dwordx2 s[12:13], s[2:3], 0x0
	s_add_u32 s6, s6, 12
	s_addc_u32 s7, s7, 0
	s_waitcnt lgkmcnt(0)
	v_mul_hi_u32 v1, s11, v0
	s_add_u32 s2, s2, 8
	s_addc_u32 s3, s3, 0
	s_add_i32 s8, s8, -1
	v_add_u32_e32 v1, v0, v1
	v_lshrrev_b32_e32 v1, s9, v1
	v_mul_lo_u32 v2, v1, s10
	s_cmp_lg_u32 s8, 0
	v_sub_u32_e32 v0, v0, v2
	v_mad_u64_u32 v[6:7], s[10:11], v0, s12, v[6:7]
	v_mad_u64_u32 v[13:14], s[10:11], v0, s13, v[13:14]
	v_mov_b32_e32 v0, v1
	s_cbranch_scc1 .LBB29_1193
.LBB29_1194:
	s_cbranch_execnz .LBB29_1197
.LBB29_1195:
	s_load_dwordx4 s[8:11], s[34:35], 0x4
	s_load_dwordx2 s[2:3], s[34:35], 0xc4
	s_cmp_lt_u32 s33, 2
	s_waitcnt lgkmcnt(0)
	v_mul_hi_u32 v0, s9, v8
	v_add_u32_e32 v0, v8, v0
	v_lshrrev_b32_e32 v0, s10, v0
	v_mul_lo_u32 v1, v0, s8
	v_sub_u32_e32 v1, v8, v1
	v_mul_lo_u32 v6, v1, s2
	v_mul_lo_u32 v13, v1, s3
	s_cbranch_scc1 .LBB29_1197
; %bb.1196:
	s_load_dwordx4 s[8:11], s[34:35], 0x10
	s_load_dwordx2 s[2:3], s[34:35], 0xcc
	s_waitcnt lgkmcnt(0)
	v_mul_hi_u32 v1, s9, v0
	v_add_u32_e32 v1, v0, v1
	v_lshrrev_b32_e32 v1, s10, v1
	v_mul_lo_u32 v1, v1, s8
	v_sub_u32_e32 v0, v0, v1
	v_mad_u64_u32 v[6:7], s[6:7], v0, s2, v[6:7]
	v_mad_u64_u32 v[13:14], s[2:3], v0, s3, v[13:14]
.LBB29_1197:
	s_and_b64 vcc, exec, s[0:1]
	v_add_u32_e32 v0, 0x80, v8
	s_cbranch_vccnz .LBB29_1203
; %bb.1198:
	s_cmp_lg_u32 s33, 0
	s_mov_b32 s36, 0
	s_cbranch_scc0 .LBB29_1204
; %bb.1199:
	s_min_u32 s37, s72, 15
	s_add_i32 s37, s37, 1
	s_cmp_eq_u32 s72, 2
	s_cbranch_scc1 .LBB29_1205
; %bb.1200:
	s_and_b32 s36, s37, 28
	s_add_u32 s2, s34, 0xc4
	s_addc_u32 s3, s35, 0
	v_mov_b32_e32 v11, 0
	s_mov_b32 s38, 0
	s_mov_b64 s[6:7], s[34:35]
	s_waitcnt vmcnt(0)
	v_mov_b32_e32 v4, 0
	v_mov_b32_e32 v1, v0
.LBB29_1201:                            ; =>This Inner Loop Header: Depth=1
	s_load_dwordx8 s[16:23], s[6:7], 0x4
	s_load_dwordx4 s[24:27], s[6:7], 0x24
	s_load_dwordx8 s[8:15], s[2:3], 0x0
	s_add_u32 s6, s6, 48
	s_addc_u32 s7, s7, 0
	s_waitcnt lgkmcnt(0)
	v_mul_hi_u32 v2, s17, v1
	s_add_i32 s38, s38, 4
	s_add_u32 s2, s2, 32
	s_addc_u32 s3, s3, 0
	v_add_u32_e32 v2, v1, v2
	v_lshrrev_b32_e32 v2, s18, v2
	v_mul_lo_u32 v3, v2, s16
	v_mul_hi_u32 v5, s20, v2
	s_cmp_lg_u32 s36, s38
	v_sub_u32_e32 v1, v1, v3
	v_add_u32_e32 v3, v2, v5
	v_mul_lo_u32 v5, v1, s8
	v_mul_lo_u32 v7, v1, s9
	v_lshrrev_b32_e32 v1, s21, v3
	v_mul_lo_u32 v3, v1, s19
	v_mul_hi_u32 v9, s23, v1
	v_sub_u32_e32 v2, v2, v3
	v_add_u32_e32 v3, v1, v9
	v_lshrrev_b32_e32 v3, s24, v3
	v_mul_hi_u32 v10, s26, v3
	v_mul_lo_u32 v12, v3, s22
	v_mul_lo_u32 v9, v2, s10
	;; [unrolled: 1-line block ×3, first 2 shown]
	v_sub_u32_e32 v12, v1, v12
	v_add_u32_e32 v1, v3, v10
	v_lshrrev_b32_e32 v1, s27, v1
	v_mul_lo_u32 v10, v1, s25
	v_mul_lo_u32 v14, v12, s12
	;; [unrolled: 1-line block ×3, first 2 shown]
	v_add3_u32 v4, v5, v4, v9
	v_sub_u32_e32 v3, v3, v10
	v_mul_lo_u32 v10, v3, s14
	v_mul_lo_u32 v3, v3, s15
	v_add3_u32 v2, v7, v11, v2
	v_add3_u32 v4, v14, v4, v10
	;; [unrolled: 1-line block ×3, first 2 shown]
	s_cbranch_scc1 .LBB29_1201
; %bb.1202:
	s_and_b32 s8, s37, 3
	s_cmp_eq_u32 s8, 0
	s_cbranch_scc0 .LBB29_1206
	s_branch .LBB29_1208
.LBB29_1203:
                                        ; implicit-def: $vgpr4
                                        ; implicit-def: $vgpr11
	s_branch .LBB29_1209
.LBB29_1204:
	s_waitcnt vmcnt(0)
	v_mov_b32_e32 v4, 0
	v_mov_b32_e32 v11, 0
	s_branch .LBB29_1208
.LBB29_1205:
	s_waitcnt vmcnt(0)
	v_mov_b32_e32 v4, 0
	v_mov_b32_e32 v11, 0
	;; [unrolled: 1-line block ×3, first 2 shown]
	s_and_b32 s8, s37, 3
	s_cmp_eq_u32 s8, 0
	s_cbranch_scc1 .LBB29_1208
.LBB29_1206:
	s_lshl_b32 s2, s36, 3
	s_add_u32 s2, s34, s2
	s_addc_u32 s3, s35, 0
	s_add_u32 s2, s2, 0xc4
	s_addc_u32 s3, s3, 0
	s_mul_i32 s6, s36, 12
	s_add_u32 s6, s34, s6
	s_addc_u32 s7, s35, 0
.LBB29_1207:                            ; =>This Inner Loop Header: Depth=1
	s_load_dwordx2 s[10:11], s[6:7], 0x4
	s_load_dword s9, s[6:7], 0xc
	s_load_dwordx2 s[12:13], s[2:3], 0x0
	s_add_u32 s6, s6, 12
	s_addc_u32 s7, s7, 0
	s_waitcnt lgkmcnt(0)
	v_mul_hi_u32 v2, s11, v1
	s_add_u32 s2, s2, 8
	s_addc_u32 s3, s3, 0
	s_add_i32 s8, s8, -1
	v_add_u32_e32 v2, v1, v2
	v_lshrrev_b32_e32 v2, s9, v2
	v_mul_lo_u32 v3, v2, s10
	s_cmp_lg_u32 s8, 0
	v_sub_u32_e32 v1, v1, v3
	v_mad_u64_u32 v[4:5], s[10:11], v1, s12, v[4:5]
	v_mad_u64_u32 v[11:12], s[10:11], v1, s13, v[11:12]
	v_mov_b32_e32 v1, v2
	s_cbranch_scc1 .LBB29_1207
.LBB29_1208:
	s_cbranch_execnz .LBB29_1211
.LBB29_1209:
	s_load_dwordx4 s[8:11], s[34:35], 0x4
	s_load_dwordx2 s[2:3], s[34:35], 0xc4
	s_cmp_lt_u32 s33, 2
	s_waitcnt lgkmcnt(0)
	v_mul_hi_u32 v1, s9, v0
	v_add_u32_e32 v1, v0, v1
	v_lshrrev_b32_e32 v1, s10, v1
	v_mul_lo_u32 v2, v1, s8
	v_sub_u32_e32 v0, v0, v2
	s_waitcnt vmcnt(0)
	v_mul_lo_u32 v4, v0, s2
	v_mul_lo_u32 v11, v0, s3
	s_cbranch_scc1 .LBB29_1211
; %bb.1210:
	s_load_dwordx4 s[8:11], s[34:35], 0x10
	s_load_dwordx2 s[2:3], s[34:35], 0xcc
	s_waitcnt lgkmcnt(0)
	v_mul_hi_u32 v0, s9, v1
	v_add_u32_e32 v0, v1, v0
	v_lshrrev_b32_e32 v0, s10, v0
	v_mul_lo_u32 v0, v0, s8
	v_sub_u32_e32 v0, v1, v0
	v_mad_u64_u32 v[4:5], s[6:7], v0, s2, v[4:5]
	v_mad_u64_u32 v[11:12], s[2:3], v0, s3, v[11:12]
.LBB29_1211:
	s_and_b64 vcc, exec, s[0:1]
	v_add_u32_e32 v0, 0x100, v8
	s_cbranch_vccnz .LBB29_1217
; %bb.1212:
	s_cmp_lg_u32 s33, 0
	s_mov_b32 s36, 0
	s_cbranch_scc0 .LBB29_1218
; %bb.1213:
	s_min_u32 s37, s72, 15
	s_add_i32 s37, s37, 1
	s_cmp_eq_u32 s72, 2
	s_cbranch_scc1 .LBB29_1219
; %bb.1214:
	s_and_b32 s36, s37, 28
	s_add_u32 s2, s34, 0xc4
	s_addc_u32 s3, s35, 0
	v_mov_b32_e32 v9, 0
	s_mov_b32 s38, 0
	s_mov_b64 s[6:7], s[34:35]
	v_mov_b32_e32 v2, 0
	v_mov_b32_e32 v1, v0
.LBB29_1215:                            ; =>This Inner Loop Header: Depth=1
	s_load_dwordx8 s[16:23], s[6:7], 0x4
	s_load_dwordx4 s[24:27], s[6:7], 0x24
	s_load_dwordx8 s[8:15], s[2:3], 0x0
	s_add_u32 s6, s6, 48
	s_addc_u32 s7, s7, 0
	s_waitcnt vmcnt(0) lgkmcnt(0)
	v_mul_hi_u32 v3, s17, v1
	s_add_i32 s38, s38, 4
	s_add_u32 s2, s2, 32
	s_addc_u32 s3, s3, 0
	v_add_u32_e32 v3, v1, v3
	v_lshrrev_b32_e32 v3, s18, v3
	v_mul_lo_u32 v5, v3, s16
	v_mul_hi_u32 v7, s20, v3
	s_cmp_lg_u32 s36, s38
	v_sub_u32_e32 v1, v1, v5
	v_add_u32_e32 v5, v3, v7
	v_mul_lo_u32 v7, v1, s8
	v_mul_lo_u32 v8, v1, s9
	v_lshrrev_b32_e32 v1, s21, v5
	v_mul_lo_u32 v5, v1, s19
	v_mul_hi_u32 v10, s23, v1
	v_sub_u32_e32 v3, v3, v5
	v_add_u32_e32 v5, v1, v10
	v_lshrrev_b32_e32 v5, s24, v5
	v_mul_hi_u32 v12, s26, v5
	v_mul_lo_u32 v14, v5, s22
	v_mul_lo_u32 v10, v3, s10
	;; [unrolled: 1-line block ×3, first 2 shown]
	v_sub_u32_e32 v14, v1, v14
	v_add_u32_e32 v1, v5, v12
	v_lshrrev_b32_e32 v1, s27, v1
	v_mul_lo_u32 v12, v1, s25
	v_mul_lo_u32 v16, v14, s12
	;; [unrolled: 1-line block ×3, first 2 shown]
	v_add3_u32 v2, v7, v2, v10
	v_sub_u32_e32 v5, v5, v12
	v_mul_lo_u32 v12, v5, s14
	v_mul_lo_u32 v5, v5, s15
	v_add3_u32 v3, v8, v9, v3
	v_add3_u32 v2, v16, v2, v12
	;; [unrolled: 1-line block ×3, first 2 shown]
	s_cbranch_scc1 .LBB29_1215
; %bb.1216:
	s_and_b32 s8, s37, 3
	s_cmp_eq_u32 s8, 0
	s_cbranch_scc0 .LBB29_1220
	s_branch .LBB29_1222
.LBB29_1217:
                                        ; implicit-def: $vgpr2
                                        ; implicit-def: $vgpr9
	s_branch .LBB29_1223
.LBB29_1218:
	v_mov_b32_e32 v2, 0
	v_mov_b32_e32 v9, 0
	s_branch .LBB29_1222
.LBB29_1219:
	v_mov_b32_e32 v2, 0
	v_mov_b32_e32 v9, 0
	;; [unrolled: 1-line block ×3, first 2 shown]
	s_and_b32 s8, s37, 3
	s_cmp_eq_u32 s8, 0
	s_cbranch_scc1 .LBB29_1222
.LBB29_1220:
	s_lshl_b32 s2, s36, 3
	s_add_u32 s2, s34, s2
	s_addc_u32 s3, s35, 0
	s_add_u32 s2, s2, 0xc4
	s_addc_u32 s3, s3, 0
	s_mul_i32 s6, s36, 12
	s_add_u32 s6, s34, s6
	s_addc_u32 s7, s35, 0
.LBB29_1221:                            ; =>This Inner Loop Header: Depth=1
	s_load_dwordx2 s[10:11], s[6:7], 0x4
	s_load_dword s9, s[6:7], 0xc
	s_load_dwordx2 s[12:13], s[2:3], 0x0
	s_add_u32 s6, s6, 12
	s_addc_u32 s7, s7, 0
	s_waitcnt vmcnt(0) lgkmcnt(0)
	v_mul_hi_u32 v3, s11, v1
	s_add_u32 s2, s2, 8
	s_addc_u32 s3, s3, 0
	s_add_i32 s8, s8, -1
	v_add_u32_e32 v3, v1, v3
	v_lshrrev_b32_e32 v5, s9, v3
	v_mul_lo_u32 v3, v5, s10
	s_cmp_lg_u32 s8, 0
	v_sub_u32_e32 v1, v1, v3
	v_mad_u64_u32 v[2:3], s[10:11], v1, s12, v[2:3]
	v_mad_u64_u32 v[9:10], s[10:11], v1, s13, v[9:10]
	v_mov_b32_e32 v1, v5
	s_cbranch_scc1 .LBB29_1221
.LBB29_1222:
	s_cbranch_execnz .LBB29_1225
.LBB29_1223:
	s_load_dwordx4 s[8:11], s[34:35], 0x4
	s_load_dwordx2 s[2:3], s[34:35], 0xc4
	s_cmp_lt_u32 s33, 2
	s_waitcnt lgkmcnt(0)
	v_mul_hi_u32 v1, s9, v0
	v_add_u32_e32 v1, v0, v1
	v_lshrrev_b32_e32 v1, s10, v1
	v_mul_lo_u32 v2, v1, s8
	v_sub_u32_e32 v0, v0, v2
	v_mul_lo_u32 v2, v0, s2
	v_mul_lo_u32 v9, v0, s3
	s_cbranch_scc1 .LBB29_1225
; %bb.1224:
	s_load_dwordx4 s[8:11], s[34:35], 0x10
	s_load_dwordx2 s[2:3], s[34:35], 0xcc
	s_waitcnt lgkmcnt(0)
	v_mul_hi_u32 v0, s9, v1
	v_add_u32_e32 v0, v1, v0
	v_lshrrev_b32_e32 v0, s10, v0
	v_mul_lo_u32 v0, v0, s8
	v_sub_u32_e32 v0, v1, v0
	s_waitcnt vmcnt(0)
	v_mad_u64_u32 v[2:3], s[6:7], v0, s2, v[2:3]
	v_mad_u64_u32 v[9:10], s[2:3], v0, s3, v[9:10]
.LBB29_1225:
	s_and_b64 vcc, exec, s[0:1]
	s_cbranch_vccnz .LBB29_1231
; %bb.1226:
	s_cmp_lg_u32 s33, 0
	s_mov_b32 s26, 0
	s_cbranch_scc0 .LBB29_1232
; %bb.1227:
	s_min_u32 s27, s72, 15
	s_add_i32 s27, s27, 1
	s_cmp_eq_u32 s72, 2
	s_cbranch_scc1 .LBB29_1233
; %bb.1228:
	s_and_b32 s26, s27, 28
	s_add_u32 s6, s34, 0xc4
	s_addc_u32 s7, s35, 0
	v_mov_b32_e32 v7, 0
	s_mov_b32 s36, 0
	s_mov_b64 s[24:25], s[34:35]
	v_mov_b32_e32 v0, 0
	v_mov_b32_e32 v1, v15
.LBB29_1229:                            ; =>This Inner Loop Header: Depth=1
	s_load_dwordx8 s[16:23], s[24:25], 0x4
	s_load_dwordx4 s[0:3], s[24:25], 0x24
	s_load_dwordx8 s[8:15], s[6:7], 0x0
	s_add_u32 s24, s24, 48
	s_addc_u32 s25, s25, 0
	s_waitcnt vmcnt(0) lgkmcnt(0)
	v_mul_hi_u32 v3, s17, v1
	s_add_i32 s36, s36, 4
	s_add_u32 s6, s6, 32
	s_addc_u32 s7, s7, 0
	v_add_u32_e32 v3, v1, v3
	v_lshrrev_b32_e32 v3, s18, v3
	v_mul_lo_u32 v5, v3, s16
	v_mul_hi_u32 v8, s20, v3
	s_cmp_lg_u32 s26, s36
	v_sub_u32_e32 v1, v1, v5
	v_add_u32_e32 v5, v3, v8
	v_mul_lo_u32 v8, v1, s8
	v_mul_lo_u32 v10, v1, s9
	v_lshrrev_b32_e32 v1, s21, v5
	v_mul_lo_u32 v5, v1, s19
	v_mul_hi_u32 v12, s23, v1
	v_sub_u32_e32 v3, v3, v5
	v_add_u32_e32 v5, v1, v12
	v_lshrrev_b32_e32 v5, s0, v5
	v_mul_hi_u32 v14, s2, v5
	v_mul_lo_u32 v16, v5, s22
	v_mul_lo_u32 v12, v3, s10
	;; [unrolled: 1-line block ×3, first 2 shown]
	v_sub_u32_e32 v16, v1, v16
	v_add_u32_e32 v1, v5, v14
	v_lshrrev_b32_e32 v1, s3, v1
	v_mul_lo_u32 v14, v1, s1
	v_mul_lo_u32 v17, v16, s12
	;; [unrolled: 1-line block ×3, first 2 shown]
	v_add3_u32 v0, v8, v0, v12
	v_sub_u32_e32 v5, v5, v14
	v_mul_lo_u32 v14, v5, s14
	v_mul_lo_u32 v5, v5, s15
	v_add3_u32 v3, v10, v7, v3
	v_add3_u32 v0, v17, v0, v14
	v_add3_u32 v7, v16, v3, v5
	s_cbranch_scc1 .LBB29_1229
; %bb.1230:
	s_and_b32 s6, s27, 3
	s_cmp_eq_u32 s6, 0
	s_cbranch_scc0 .LBB29_1234
	s_branch .LBB29_1236
.LBB29_1231:
                                        ; implicit-def: $vgpr0
                                        ; implicit-def: $vgpr7
	s_branch .LBB29_1237
.LBB29_1232:
	v_mov_b32_e32 v0, 0
	v_mov_b32_e32 v7, 0
	s_branch .LBB29_1236
.LBB29_1233:
	v_mov_b32_e32 v0, 0
	v_mov_b32_e32 v7, 0
	;; [unrolled: 1-line block ×3, first 2 shown]
	s_and_b32 s6, s27, 3
	s_cmp_eq_u32 s6, 0
	s_cbranch_scc1 .LBB29_1236
.LBB29_1234:
	s_lshl_b32 s0, s26, 3
	s_add_u32 s0, s34, s0
	s_addc_u32 s1, s35, 0
	s_add_u32 s0, s0, 0xc4
	s_addc_u32 s1, s1, 0
	s_mul_i32 s2, s26, 12
	s_add_u32 s2, s34, s2
	s_addc_u32 s3, s35, 0
.LBB29_1235:                            ; =>This Inner Loop Header: Depth=1
	s_load_dwordx2 s[8:9], s[2:3], 0x4
	s_load_dword s7, s[2:3], 0xc
	s_load_dwordx2 s[10:11], s[0:1], 0x0
	s_add_u32 s2, s2, 12
	s_addc_u32 s3, s3, 0
	s_waitcnt vmcnt(0) lgkmcnt(0)
	v_mul_hi_u32 v3, s9, v1
	s_add_u32 s0, s0, 8
	s_addc_u32 s1, s1, 0
	s_add_i32 s6, s6, -1
	v_add_u32_e32 v3, v1, v3
	v_lshrrev_b32_e32 v3, s7, v3
	v_mul_lo_u32 v5, v3, s8
	s_cmp_lg_u32 s6, 0
	v_sub_u32_e32 v5, v1, v5
	v_mad_u64_u32 v[0:1], s[8:9], v5, s10, v[0:1]
	v_mad_u64_u32 v[7:8], s[8:9], v5, s11, v[7:8]
	v_mov_b32_e32 v1, v3
	s_cbranch_scc1 .LBB29_1235
.LBB29_1236:
	s_cbranch_execnz .LBB29_1239
.LBB29_1237:
	s_load_dwordx4 s[0:3], s[34:35], 0x4
	s_load_dwordx2 s[6:7], s[34:35], 0xc4
	s_cmp_lt_u32 s33, 2
	s_waitcnt lgkmcnt(0)
	v_mul_hi_u32 v0, s1, v15
	v_add_u32_e32 v0, v15, v0
	v_lshrrev_b32_e32 v1, s2, v0
	v_mul_lo_u32 v0, v1, s0
	s_waitcnt vmcnt(0)
	v_sub_u32_e32 v3, v15, v0
	v_mul_lo_u32 v0, v3, s6
	v_mul_lo_u32 v7, v3, s7
	s_cbranch_scc1 .LBB29_1239
; %bb.1238:
	s_load_dwordx4 s[0:3], s[34:35], 0x10
	s_load_dwordx2 s[6:7], s[34:35], 0xcc
	s_waitcnt lgkmcnt(0)
	v_mul_hi_u32 v3, s1, v1
	v_add_u32_e32 v3, v1, v3
	v_lshrrev_b32_e32 v3, s2, v3
	v_mul_lo_u32 v3, v3, s0
	v_sub_u32_e32 v3, v1, v3
	v_mad_u64_u32 v[0:1], s[0:1], v3, s6, v[0:1]
	v_mad_u64_u32 v[7:8], s[0:1], v3, s7, v[7:8]
.LBB29_1239:
	s_load_dwordx4 s[8:11], s[34:35], 0x148
	s_load_dword s18, s[4:5], 0x160
	s_waitcnt lgkmcnt(0)
	v_mov_b32_e32 v1, s11
	s_bfe_u32 s14, s18, 0x80010
	v_add_co_u32_e32 v12, vcc, s10, v13
	s_cmp_lt_i32 s14, 11
	v_addc_co_u32_e32 v13, vcc, 0, v1, vcc
	s_cbranch_scc1 .LBB29_1246
; %bb.1240:
	s_and_b32 s15, 0xffff, s14
	s_cmp_gt_i32 s15, 25
	s_mov_b64 s[4:5], 0
	s_cbranch_scc0 .LBB29_1248
; %bb.1241:
	s_cmp_gt_i32 s15, 28
	s_cbranch_scc0 .LBB29_1249
; %bb.1242:
	s_cmp_gt_i32 s15, 43
	;; [unrolled: 3-line block ×3, first 2 shown]
	s_cbranch_scc0 .LBB29_1251
; %bb.1244:
	s_cmp_eq_u32 s15, 46
	s_mov_b64 s[2:3], 0
	s_cbranch_scc0 .LBB29_1254
; %bb.1245:
	global_load_dword v1, v[12:13], off
	s_mov_b64 s[0:1], 0
	s_mov_b64 s[6:7], -1
	s_waitcnt vmcnt(0)
	v_lshlrev_b32_e32 v1, 16, v1
	v_cvt_f16_f32_e32 v3, v1
	s_branch .LBB29_1255
.LBB29_1246:
	s_mov_b64 s[6:7], 0
                                        ; implicit-def: $vgpr3
	s_mov_b64 s[2:3], s[28:29]
	s_cbranch_execnz .LBB29_1318
.LBB29_1247:
	s_andn2_b64 vcc, exec, s[6:7]
	s_cbranch_vccz .LBB29_1363
	s_branch .LBB29_1925
.LBB29_1248:
	s_mov_b64 s[6:7], 0
	s_mov_b64 s[0:1], 0
                                        ; implicit-def: $vgpr3
	s_cbranch_execnz .LBB29_1283
	s_branch .LBB29_1314
.LBB29_1249:
	s_mov_b64 s[2:3], -1
	s_mov_b64 s[6:7], 0
	s_mov_b64 s[0:1], 0
                                        ; implicit-def: $vgpr3
	s_branch .LBB29_1264
.LBB29_1250:
	s_mov_b64 s[6:7], 0
	s_mov_b64 s[0:1], 0
                                        ; implicit-def: $vgpr3
	s_cbranch_execnz .LBB29_1260
	s_branch .LBB29_1263
.LBB29_1251:
	s_mov_b64 s[2:3], -1
	s_mov_b64 s[6:7], 0
	s_mov_b64 s[0:1], 0
                                        ; implicit-def: $vgpr3
	s_branch .LBB29_1255
.LBB29_1252:
	s_andn2_saveexec_b64 s[14:15], s[14:15]
	s_cbranch_execz .LBB29_1095
.LBB29_1253:
	s_mov_b32 s16, 0x46000000
	v_add_f32_e64 v4, |v0|, s16
	v_and_b32_e32 v4, 0xff, v4
	v_cmp_ne_u32_e32 vcc, 0, v4
	s_andn2_b64 s[12:13], s[12:13], exec
	s_and_b64 s[16:17], vcc, exec
	s_or_b64 s[12:13], s[12:13], s[16:17]
	s_or_b64 exec, exec, s[14:15]
	v_mov_b32_e32 v5, 0
	s_and_saveexec_b64 s[14:15], s[12:13]
	s_cbranch_execnz .LBB29_1096
	s_branch .LBB29_1097
.LBB29_1254:
	s_mov_b64 s[0:1], -1
                                        ; implicit-def: $vgpr3
	s_mov_b64 s[6:7], 0
.LBB29_1255:
	s_and_b64 vcc, exec, s[2:3]
	s_cbranch_vccz .LBB29_1258
; %bb.1256:
	s_cmp_eq_u32 s15, 44
	s_cbranch_scc0 .LBB29_1259
; %bb.1257:
	global_load_ubyte v1, v[12:13], off
	s_movk_i32 s2, 0xff
	v_mov_b32_e32 v5, 0x7e00
	s_mov_b64 s[0:1], 0
	s_mov_b64 s[6:7], -1
	s_waitcnt vmcnt(0)
	v_lshlrev_b32_e32 v3, 23, v1
	v_cvt_f16_f32_e32 v3, v3
	v_cmp_ne_u32_e32 vcc, s2, v1
	v_cndmask_b32_e32 v3, v5, v3, vcc
	v_cmp_ne_u32_e32 vcc, 0, v1
	v_cndmask_b32_e32 v3, 0, v3, vcc
.LBB29_1258:
	s_branch .LBB29_1263
.LBB29_1259:
	s_mov_b64 s[0:1], -1
                                        ; implicit-def: $vgpr3
	s_branch .LBB29_1263
.LBB29_1260:
	s_cmp_eq_u32 s15, 29
	s_cbranch_scc0 .LBB29_1262
; %bb.1261:
	global_load_dwordx2 v[14:15], v[12:13], off
	s_mov_b64 s[0:1], 0
	s_mov_b64 s[6:7], -1
	s_mov_b64 s[2:3], 0
	s_waitcnt vmcnt(0)
	v_ffbh_u32_e32 v1, v15
	v_min_u32_e32 v1, 32, v1
	v_lshlrev_b64 v[14:15], v1, v[14:15]
	v_sub_u32_e32 v1, 32, v1
	v_min_u32_e32 v3, 1, v14
	v_or_b32_e32 v3, v15, v3
	v_cvt_f32_u32_e32 v3, v3
	v_ldexp_f32 v1, v3, v1
	v_cvt_f16_f32_e32 v3, v1
	s_branch .LBB29_1264
.LBB29_1262:
	s_mov_b64 s[0:1], -1
                                        ; implicit-def: $vgpr3
.LBB29_1263:
	s_mov_b64 s[2:3], 0
.LBB29_1264:
	s_and_b64 vcc, exec, s[2:3]
	s_cbranch_vccz .LBB29_1282
; %bb.1265:
	s_cmp_lt_i32 s15, 27
	s_cbranch_scc1 .LBB29_1268
; %bb.1266:
	s_cmp_gt_i32 s15, 27
	s_cbranch_scc0 .LBB29_1269
; %bb.1267:
	global_load_dword v1, v[12:13], off
	s_mov_b64 s[2:3], 0
	s_waitcnt vmcnt(0)
	v_cvt_f32_u32_e32 v1, v1
	v_cvt_f16_f32_e32 v3, v1
	s_branch .LBB29_1270
.LBB29_1268:
	s_mov_b64 s[2:3], -1
                                        ; implicit-def: $vgpr3
	s_branch .LBB29_1273
.LBB29_1269:
	s_mov_b64 s[2:3], -1
                                        ; implicit-def: $vgpr3
.LBB29_1270:
	s_andn2_b64 vcc, exec, s[2:3]
	s_cbranch_vccnz .LBB29_1272
; %bb.1271:
	global_load_ushort v1, v[12:13], off
	s_waitcnt vmcnt(0)
	v_cvt_f16_u16_e32 v3, v1
.LBB29_1272:
	s_mov_b64 s[2:3], 0
.LBB29_1273:
	s_andn2_b64 vcc, exec, s[2:3]
	s_cbranch_vccnz .LBB29_1281
; %bb.1274:
	global_load_ubyte v1, v[12:13], off
	s_movk_i32 s2, 0x7f
	s_waitcnt vmcnt(0)
	v_cmp_lt_i16_e32 vcc, s2, v1
	s_mov_b64 s[2:3], 0
	s_and_saveexec_b64 s[6:7], vcc
	s_xor_b64 s[6:7], exec, s[6:7]
	s_cbranch_execz .LBB29_1294
; %bb.1275:
	s_movk_i32 s2, 0x80
	v_cmp_eq_u16_e32 vcc, s2, v1
	s_mov_b64 s[2:3], -1
	s_and_saveexec_b64 s[12:13], vcc
; %bb.1276:
	s_xor_b64 s[2:3], exec, -1
; %bb.1277:
	s_or_b64 exec, exec, s[12:13]
	s_and_b64 s[2:3], s[2:3], exec
	s_or_saveexec_b64 s[6:7], s[6:7]
	v_mov_b32_e32 v3, 0x7e00
	s_xor_b64 exec, exec, s[6:7]
	s_cbranch_execnz .LBB29_1295
.LBB29_1278:
	s_or_b64 exec, exec, s[6:7]
	s_and_saveexec_b64 s[6:7], s[2:3]
	s_cbranch_execz .LBB29_1280
.LBB29_1279:
	v_lshlrev_b32_e32 v3, 24, v1
	v_and_b32_e32 v1, 0xffff, v1
	v_and_b32_e32 v5, 7, v1
	v_ffbh_u32_e32 v10, v5
	v_min_u32_e32 v10, 32, v10
	v_subrev_u32_e32 v14, 28, v10
	v_bfe_u32 v8, v1, 3, 4
	v_lshlrev_b32_e32 v1, v14, v1
	v_sub_u32_e32 v10, 29, v10
	v_and_b32_e32 v1, 7, v1
	v_cmp_eq_u32_e32 vcc, 0, v8
	v_cndmask_b32_e32 v8, v8, v10, vcc
	v_cndmask_b32_e32 v1, v5, v1, vcc
	v_mov_b32_e32 v5, 0x3b800000
	v_lshlrev_b32_e32 v1, 20, v1
	v_and_b32_e32 v3, 0x80000000, v3
	v_lshl_add_u32 v5, v8, 23, v5
	v_or3_b32 v1, v3, v5, v1
	v_cvt_f16_f32_e32 v3, v1
.LBB29_1280:
	s_or_b64 exec, exec, s[6:7]
.LBB29_1281:
	s_mov_b64 s[6:7], -1
.LBB29_1282:
	s_branch .LBB29_1314
.LBB29_1283:
	s_cmp_gt_i32 s15, 22
	s_cbranch_scc0 .LBB29_1293
; %bb.1284:
	s_cmp_lt_i32 s15, 24
	s_cbranch_scc1 .LBB29_1296
; %bb.1285:
	s_cmp_gt_i32 s15, 24
	s_cbranch_scc0 .LBB29_1297
; %bb.1286:
	global_load_ubyte v1, v[12:13], off
	s_movk_i32 s2, 0x7f
	s_waitcnt vmcnt(0)
	v_cmp_lt_i16_e32 vcc, s2, v1
	s_mov_b64 s[2:3], 0
	s_and_saveexec_b64 s[4:5], vcc
	s_xor_b64 s[4:5], exec, s[4:5]
	s_cbranch_execz .LBB29_1308
; %bb.1287:
	s_movk_i32 s2, 0x80
	v_cmp_eq_u16_e32 vcc, s2, v1
	s_mov_b64 s[2:3], -1
	s_and_saveexec_b64 s[6:7], vcc
; %bb.1288:
	s_xor_b64 s[2:3], exec, -1
; %bb.1289:
	s_or_b64 exec, exec, s[6:7]
	s_and_b64 s[2:3], s[2:3], exec
	s_or_saveexec_b64 s[4:5], s[4:5]
	v_mov_b32_e32 v3, 0x7e00
	s_xor_b64 exec, exec, s[4:5]
	s_cbranch_execnz .LBB29_1309
.LBB29_1290:
	s_or_b64 exec, exec, s[4:5]
	s_and_saveexec_b64 s[4:5], s[2:3]
	s_cbranch_execz .LBB29_1292
.LBB29_1291:
	v_lshlrev_b32_e32 v3, 24, v1
	v_and_b32_e32 v1, 0xffff, v1
	v_and_b32_e32 v5, 3, v1
	v_ffbh_u32_e32 v10, v5
	v_min_u32_e32 v10, 32, v10
	v_subrev_u32_e32 v14, 29, v10
	v_bfe_u32 v8, v1, 2, 5
	v_lshlrev_b32_e32 v1, v14, v1
	v_sub_u32_e32 v10, 30, v10
	v_and_b32_e32 v1, 3, v1
	v_cmp_eq_u32_e32 vcc, 0, v8
	v_cndmask_b32_e32 v8, v8, v10, vcc
	v_cndmask_b32_e32 v1, v5, v1, vcc
	v_mov_b32_e32 v5, 0x37800000
	v_lshlrev_b32_e32 v1, 21, v1
	v_and_b32_e32 v3, 0x80000000, v3
	v_lshl_add_u32 v5, v8, 23, v5
	v_or3_b32 v1, v3, v5, v1
	v_cvt_f16_f32_e32 v3, v1
.LBB29_1292:
	s_or_b64 exec, exec, s[4:5]
	s_mov_b64 s[2:3], 0
	s_branch .LBB29_1298
.LBB29_1293:
                                        ; implicit-def: $vgpr3
	s_mov_b64 s[4:5], 0
	s_branch .LBB29_1304
.LBB29_1294:
	s_or_saveexec_b64 s[6:7], s[6:7]
	v_mov_b32_e32 v3, 0x7e00
	s_xor_b64 exec, exec, s[6:7]
	s_cbranch_execz .LBB29_1278
.LBB29_1295:
	v_cmp_ne_u16_e32 vcc, 0, v1
	s_andn2_b64 s[2:3], s[2:3], exec
	s_and_b64 s[12:13], vcc, exec
	s_or_b64 s[2:3], s[2:3], s[12:13]
	v_mov_b32_e32 v3, v1
	s_or_b64 exec, exec, s[6:7]
	s_and_saveexec_b64 s[6:7], s[2:3]
	s_cbranch_execnz .LBB29_1279
	s_branch .LBB29_1280
.LBB29_1296:
	s_mov_b64 s[2:3], -1
                                        ; implicit-def: $vgpr3
	s_branch .LBB29_1301
.LBB29_1297:
	s_mov_b64 s[2:3], -1
                                        ; implicit-def: $vgpr3
.LBB29_1298:
	s_and_b64 vcc, exec, s[2:3]
	s_cbranch_vccz .LBB29_1300
; %bb.1299:
	global_load_ubyte v1, v[12:13], off
	s_mov_b32 s2, 0x7f800000
	s_waitcnt vmcnt(0)
	v_lshlrev_b32_e32 v1, 24, v1
	v_and_b32_e32 v3, 0x7f000000, v1
	v_ffbh_u32_e32 v5, v3
	v_min_u32_e32 v5, 32, v5
	v_sub_u32_e64 v5, v5, 4 clamp
	v_lshlrev_b32_e32 v10, v5, v3
	v_lshlrev_b32_e32 v5, 23, v5
	v_lshrrev_b32_e32 v10, 4, v10
	v_add_u32_e32 v8, 0x1000000, v3
	v_sub_u32_e32 v5, v10, v5
	v_ashrrev_i32_e32 v8, 8, v8
	v_add_u32_e32 v5, 0x3c000000, v5
	v_and_or_b32 v5, v8, s2, v5
	v_cmp_ne_u32_e32 vcc, 0, v3
	v_cndmask_b32_e32 v3, 0, v5, vcc
	s_brev_b32 s2, 1
	v_and_or_b32 v1, v1, s2, v3
	v_cvt_f16_f32_e32 v3, v1
.LBB29_1300:
	s_mov_b64 s[2:3], 0
.LBB29_1301:
	s_andn2_b64 vcc, exec, s[2:3]
	s_cbranch_vccnz .LBB29_1303
; %bb.1302:
	global_load_ubyte v1, v[12:13], off
	s_movk_i32 s2, 0x7f00
	s_brev_b32 s3, 16
	s_waitcnt vmcnt(0)
	v_lshlrev_b16_e32 v3, 8, v1
	v_lshlrev_b32_e32 v1, 25, v1
	v_lshrrev_b32_e32 v5, 4, v1
	v_and_or_b32 v8, v3, s2, 0.5
	v_or_b32_e32 v5, 0x70000000, v5
	v_add_f32_e32 v8, -0.5, v8
	v_mul_f32_e32 v5, 0x7800000, v5
	v_cmp_gt_u32_e32 vcc, s3, v1
	v_bfe_i32 v3, v3, 0, 16
	v_cndmask_b32_e32 v1, v5, v8, vcc
	s_brev_b32 s2, 1
	v_and_or_b32 v1, v3, s2, v1
	v_cvt_f16_f32_e32 v3, v1
.LBB29_1303:
	s_mov_b64 s[6:7], -1
	s_mov_b64 s[4:5], 0
	s_cbranch_execnz .LBB29_1314
.LBB29_1304:
	s_cmp_gt_i32 s15, 14
	s_cbranch_scc0 .LBB29_1307
; %bb.1305:
	s_cmp_eq_u32 s15, 15
	s_cbranch_scc0 .LBB29_1310
; %bb.1306:
	global_load_ushort v1, v[12:13], off
	s_mov_b64 s[0:1], 0
	s_mov_b64 s[6:7], -1
	s_waitcnt vmcnt(0)
	v_lshlrev_b32_e32 v1, 16, v1
	v_cvt_f16_f32_e32 v3, v1
	s_branch .LBB29_1311
.LBB29_1307:
	s_mov_b64 s[2:3], -1
                                        ; implicit-def: $vgpr3
	s_branch .LBB29_1312
.LBB29_1308:
	s_or_saveexec_b64 s[4:5], s[4:5]
	v_mov_b32_e32 v3, 0x7e00
	s_xor_b64 exec, exec, s[4:5]
	s_cbranch_execz .LBB29_1290
.LBB29_1309:
	v_cmp_ne_u16_e32 vcc, 0, v1
	s_andn2_b64 s[2:3], s[2:3], exec
	s_and_b64 s[6:7], vcc, exec
	s_or_b64 s[2:3], s[2:3], s[6:7]
	v_mov_b32_e32 v3, v1
	s_or_b64 exec, exec, s[4:5]
	s_and_saveexec_b64 s[4:5], s[2:3]
	s_cbranch_execnz .LBB29_1291
	s_branch .LBB29_1292
.LBB29_1310:
	s_mov_b64 s[0:1], -1
                                        ; implicit-def: $vgpr3
.LBB29_1311:
	s_mov_b64 s[2:3], 0
.LBB29_1312:
	s_and_b64 vcc, exec, s[2:3]
	s_cbranch_vccz .LBB29_1314
; %bb.1313:
	s_cmp_lg_u32 s15, 11
	s_mov_b64 s[4:5], -1
	s_cselect_b64 s[0:1], -1, 0
.LBB29_1314:
	s_and_b64 vcc, exec, s[0:1]
	s_mov_b64 s[2:3], s[28:29]
	s_cbranch_vccnz .LBB29_1399
; %bb.1315:
	s_andn2_b64 vcc, exec, s[4:5]
	s_cbranch_vccnz .LBB29_1317
.LBB29_1316:
	global_load_ubyte v1, v[12:13], off
	s_waitcnt vmcnt(1)
	v_mov_b32_e32 v3, 0x3c00
	s_mov_b64 s[6:7], -1
	s_waitcnt vmcnt(0)
	v_cmp_ne_u16_e32 vcc, 0, v1
	v_cndmask_b32_e32 v3, 0, v3, vcc
.LBB29_1317:
	s_branch .LBB29_1247
.LBB29_1318:
	s_and_b32 s4, 0xffff, s14
	s_cmp_lt_i32 s4, 5
	s_cbranch_scc1 .LBB29_1323
; %bb.1319:
	s_cmp_lt_i32 s4, 8
	s_cbranch_scc1 .LBB29_1324
; %bb.1320:
	;; [unrolled: 3-line block ×3, first 2 shown]
	s_cmp_gt_i32 s4, 9
	s_cbranch_scc0 .LBB29_1326
; %bb.1322:
	global_load_dwordx2 v[14:15], v[12:13], off
	s_movk_i32 s0, 0x1ff
	s_movk_i32 s1, 0xffe
	v_mov_b32_e32 v1, 0x7c00
	s_waitcnt vmcnt(1)
	v_mov_b32_e32 v3, 0x7e00
	s_movk_i32 s5, 0x40f
	s_mov_b32 s6, 0x8000
	s_waitcnt vmcnt(0)
	v_and_or_b32 v5, v15, s0, v14
	v_cmp_ne_u32_e32 vcc, 0, v5
	v_lshrrev_b32_e32 v8, 8, v15
	v_bfe_u32 v10, v15, 20, 11
	v_cndmask_b32_e64 v5, 0, 1, vcc
	v_lshrrev_b32_e32 v14, 16, v15
	v_sub_u32_e32 v15, 0x3f1, v10
	v_and_or_b32 v5, v8, s1, v5
	v_add_u32_e32 v10, 0xfffffc10, v10
	v_med3_i32 v8, v15, 0, 13
	v_or_b32_e32 v15, 0x1000, v5
	v_lshl_or_b32 v16, v10, 12, v5
	v_cmp_ne_u32_e32 vcc, 0, v5
	v_lshrrev_b32_e32 v5, v8, v15
	v_lshlrev_b32_e32 v8, v8, v5
	v_cndmask_b32_e32 v3, v1, v3, vcc
	v_cmp_ne_u32_e32 vcc, v8, v15
	v_cndmask_b32_e64 v8, 0, 1, vcc
	v_or_b32_e32 v5, v5, v8
	v_cmp_gt_i32_e32 vcc, 1, v10
	v_cndmask_b32_e32 v5, v16, v5, vcc
	v_and_b32_e32 v8, 7, v5
	v_cmp_lt_i32_e32 vcc, 5, v8
	v_cndmask_b32_e64 v15, 0, 1, vcc
	v_cmp_eq_u32_e32 vcc, 3, v8
	v_cndmask_b32_e64 v8, 0, 1, vcc
	v_lshrrev_b32_e32 v5, 2, v5
	v_or_b32_e32 v8, v8, v15
	v_add_u32_e32 v5, v5, v8
	v_cmp_gt_i32_e32 vcc, 31, v10
	v_cndmask_b32_e32 v1, v1, v5, vcc
	v_cmp_eq_u32_e32 vcc, s5, v10
	v_cndmask_b32_e32 v1, v1, v3, vcc
	v_and_or_b32 v3, v14, s6, v1
	s_mov_b64 s[0:1], 0
	s_branch .LBB29_1327
.LBB29_1323:
                                        ; implicit-def: $vgpr3
	s_branch .LBB29_1344
.LBB29_1324:
                                        ; implicit-def: $vgpr3
	s_branch .LBB29_1333
.LBB29_1325:
	s_mov_b64 s[0:1], -1
                                        ; implicit-def: $vgpr3
	s_branch .LBB29_1330
.LBB29_1326:
	s_mov_b64 s[0:1], -1
                                        ; implicit-def: $vgpr3
.LBB29_1327:
	s_andn2_b64 vcc, exec, s[0:1]
	s_cbranch_vccnz .LBB29_1329
; %bb.1328:
	global_load_dword v1, v[12:13], off
	s_waitcnt vmcnt(0)
	v_cvt_f16_f32_e32 v3, v1
.LBB29_1329:
	s_mov_b64 s[0:1], 0
.LBB29_1330:
	s_andn2_b64 vcc, exec, s[0:1]
	s_cbranch_vccnz .LBB29_1332
; %bb.1331:
	global_load_dword v3, v[12:13], off
.LBB29_1332:
	s_cbranch_execnz .LBB29_1343
.LBB29_1333:
	s_cmp_lt_i32 s4, 6
	s_cbranch_scc1 .LBB29_1336
; %bb.1334:
	s_cmp_gt_i32 s4, 6
	s_cbranch_scc0 .LBB29_1337
; %bb.1335:
	global_load_dwordx2 v[14:15], v[12:13], off
	s_movk_i32 s0, 0x1ff
	s_movk_i32 s1, 0xffe
	v_mov_b32_e32 v1, 0x7c00
	s_waitcnt vmcnt(1)
	v_mov_b32_e32 v3, 0x7e00
	s_movk_i32 s5, 0x40f
	s_mov_b32 s6, 0x8000
	s_waitcnt vmcnt(0)
	v_and_or_b32 v5, v15, s0, v14
	v_cmp_ne_u32_e32 vcc, 0, v5
	v_lshrrev_b32_e32 v8, 8, v15
	v_bfe_u32 v10, v15, 20, 11
	v_cndmask_b32_e64 v5, 0, 1, vcc
	v_lshrrev_b32_e32 v14, 16, v15
	v_sub_u32_e32 v15, 0x3f1, v10
	v_and_or_b32 v5, v8, s1, v5
	v_add_u32_e32 v10, 0xfffffc10, v10
	v_med3_i32 v8, v15, 0, 13
	v_or_b32_e32 v15, 0x1000, v5
	v_lshl_or_b32 v16, v10, 12, v5
	v_cmp_ne_u32_e32 vcc, 0, v5
	v_lshrrev_b32_e32 v5, v8, v15
	v_lshlrev_b32_e32 v8, v8, v5
	v_cndmask_b32_e32 v3, v1, v3, vcc
	v_cmp_ne_u32_e32 vcc, v8, v15
	v_cndmask_b32_e64 v8, 0, 1, vcc
	v_or_b32_e32 v5, v5, v8
	v_cmp_gt_i32_e32 vcc, 1, v10
	v_cndmask_b32_e32 v5, v16, v5, vcc
	v_and_b32_e32 v8, 7, v5
	v_cmp_lt_i32_e32 vcc, 5, v8
	v_cndmask_b32_e64 v15, 0, 1, vcc
	v_cmp_eq_u32_e32 vcc, 3, v8
	v_cndmask_b32_e64 v8, 0, 1, vcc
	v_lshrrev_b32_e32 v5, 2, v5
	v_or_b32_e32 v8, v8, v15
	v_add_u32_e32 v5, v5, v8
	v_cmp_gt_i32_e32 vcc, 31, v10
	v_cndmask_b32_e32 v1, v1, v5, vcc
	v_cmp_eq_u32_e32 vcc, s5, v10
	v_cndmask_b32_e32 v1, v1, v3, vcc
	v_and_or_b32 v3, v14, s6, v1
	s_mov_b64 s[0:1], 0
	s_branch .LBB29_1338
.LBB29_1336:
	s_mov_b64 s[0:1], -1
                                        ; implicit-def: $vgpr3
	s_branch .LBB29_1341
.LBB29_1337:
	s_mov_b64 s[0:1], -1
                                        ; implicit-def: $vgpr3
.LBB29_1338:
	s_andn2_b64 vcc, exec, s[0:1]
	s_cbranch_vccnz .LBB29_1340
; %bb.1339:
	global_load_dword v1, v[12:13], off
	s_waitcnt vmcnt(0)
	v_cvt_f16_f32_e32 v3, v1
.LBB29_1340:
	s_mov_b64 s[0:1], 0
.LBB29_1341:
	s_andn2_b64 vcc, exec, s[0:1]
	s_cbranch_vccnz .LBB29_1343
; %bb.1342:
	global_load_ushort v3, v[12:13], off
.LBB29_1343:
	s_cbranch_execnz .LBB29_1362
.LBB29_1344:
	s_cmp_lt_i32 s4, 2
	s_cbranch_scc1 .LBB29_1348
; %bb.1345:
	s_cmp_lt_i32 s4, 3
	s_cbranch_scc1 .LBB29_1349
; %bb.1346:
	s_cmp_gt_i32 s4, 3
	s_cbranch_scc0 .LBB29_1350
; %bb.1347:
	global_load_dwordx2 v[14:15], v[12:13], off
	s_mov_b64 s[0:1], 0
	s_waitcnt vmcnt(0)
	v_xor_b32_e32 v3, v14, v15
	v_ffbh_i32_e32 v1, v15
	v_ashrrev_i32_e32 v3, 31, v3
	v_add_u32_e32 v1, -1, v1
	v_add_u32_e32 v3, 32, v3
	v_min_u32_e32 v1, v1, v3
	v_lshlrev_b64 v[14:15], v1, v[14:15]
	v_sub_u32_e32 v1, 32, v1
	v_min_u32_e32 v3, 1, v14
	v_or_b32_e32 v3, v15, v3
	v_cvt_f32_i32_e32 v3, v3
	v_ldexp_f32 v1, v3, v1
	v_cvt_f16_f32_e32 v3, v1
	s_branch .LBB29_1351
.LBB29_1348:
                                        ; implicit-def: $vgpr3
	s_branch .LBB29_1357
.LBB29_1349:
	s_mov_b64 s[0:1], -1
                                        ; implicit-def: $vgpr3
	s_branch .LBB29_1354
.LBB29_1350:
	s_mov_b64 s[0:1], -1
                                        ; implicit-def: $vgpr3
.LBB29_1351:
	s_andn2_b64 vcc, exec, s[0:1]
	s_cbranch_vccnz .LBB29_1353
; %bb.1352:
	global_load_dword v1, v[12:13], off
	s_waitcnt vmcnt(0)
	v_cvt_f32_i32_e32 v1, v1
	v_cvt_f16_f32_e32 v3, v1
.LBB29_1353:
	s_mov_b64 s[0:1], 0
.LBB29_1354:
	s_andn2_b64 vcc, exec, s[0:1]
	s_cbranch_vccnz .LBB29_1356
; %bb.1355:
	global_load_ushort v1, v[12:13], off
	s_waitcnt vmcnt(0)
	v_cvt_f16_i16_e32 v3, v1
.LBB29_1356:
	s_cbranch_execnz .LBB29_1362
.LBB29_1357:
	s_cmp_gt_i32 s4, 0
	s_cbranch_scc0 .LBB29_1359
; %bb.1358:
	global_load_sbyte v1, v[12:13], off
	s_mov_b64 s[0:1], 0
	s_waitcnt vmcnt(0)
	v_cvt_f16_i16_e32 v3, v1
	s_branch .LBB29_1360
.LBB29_1359:
	s_mov_b64 s[0:1], -1
                                        ; implicit-def: $vgpr3
.LBB29_1360:
	s_andn2_b64 vcc, exec, s[0:1]
	s_cbranch_vccnz .LBB29_1362
; %bb.1361:
	global_load_ubyte v1, v[12:13], off
	s_waitcnt vmcnt(0)
	v_cvt_f16_u16_e32 v3, v1
.LBB29_1362:
.LBB29_1363:
	s_waitcnt vmcnt(0)
	v_cvt_f32_f16_e32 v5, v3
	v_cmp_neq_f16_e32 vcc, 0, v3
                                        ; implicit-def: $vgpr1
	s_and_saveexec_b64 s[0:1], vcc
	s_xor_b64 s[4:5], exec, s[0:1]
	s_cbranch_execz .LBB29_1385
; %bb.1364:
	v_cmp_gt_f16_e32 vcc, 0, v3
	s_mov_b64 s[0:1], -1
	v_mov_b32_e32 v8, 0
	s_and_saveexec_b64 s[6:7], vcc
	s_cbranch_execz .LBB29_1372
; %bb.1365:
	v_trunc_f32_e32 v1, v5
	v_cmp_neq_f32_e32 vcc, v1, v5
	s_mov_b64 s[14:15], 0
	v_mov_b32_e32 v8, 0
	s_and_saveexec_b64 s[12:13], vcc
	s_cbranch_execz .LBB29_1371
; %bb.1366:
	v_cvt_f32_f16_e32 v1, v3
	s_mov_b32 s0, 0
	s_mov_b32 s15, 0xc00921fb
	;; [unrolled: 1-line block ×3, first 2 shown]
	v_cvt_f64_f32_e32 v[12:13], v1
	s_mov_b32 s1, 0x7ff00000
	v_bfrev_b32_e32 v1, 1
	s_mov_b32 s16, 0
	v_trunc_f64_e32 v[14:15], v[12:13]
	v_cmp_neq_f64_e64 vcc, |v[12:13]|, s[0:1]
	s_mov_b32 s17, 0x41d00000
                                        ; implicit-def: $vgpr16_vgpr17
	v_add_f64 v[14:15], v[12:13], -v[14:15]
	v_mul_f64 v[14:15], |v[14:15]|, s[14:15]
	v_cndmask_b32_e32 v13, v1, v15, vcc
	v_cndmask_b32_e32 v12, 0, v14, vcc
	v_cmp_nlt_f64_e64 s[16:17], |v[12:13]|, s[16:17]
                                        ; implicit-def: $vgpr1
                                        ; implicit-def: $vgpr14_vgpr15
	s_and_saveexec_b64 s[20:21], s[16:17]
	s_xor_b64 s[16:17], exec, s[20:21]
	s_cbranch_execz .LBB29_1368
; %bb.1367:
	v_trig_preop_f64 v[14:15], |v[12:13]|, 0
	s_mov_b32 s20, 0
	s_mov_b32 s21, 0x7b000000
	s_movk_i32 s15, 0xff80
	v_ldexp_f64 v[18:19], |v[12:13]|, s15
	v_cmp_ge_f64_e64 vcc, |v[12:13]|, s[20:21]
	v_trig_preop_f64 v[16:17], |v[12:13]|, 1
	v_and_b32_e32 v1, 0x7fffffff, v13
	v_trig_preop_f64 v[26:27], |v[12:13]|, 2
	v_mov_b32_e32 v36, 0
	v_mov_b32_e32 v3, 0x3ff00000
	s_mov_b32 s15, 0x3ff921fb
	v_cndmask_b32_e32 v19, v1, v19, vcc
	v_cndmask_b32_e32 v18, v12, v18, vcc
	v_mov_b32_e32 v1, 0x40100000
	v_mul_f64 v[20:21], v[14:15], v[18:19]
	v_mul_f64 v[22:23], v[16:17], v[18:19]
	;; [unrolled: 1-line block ×3, first 2 shown]
	v_fma_f64 v[14:15], v[14:15], v[18:19], -v[20:21]
	v_fma_f64 v[16:17], v[16:17], v[18:19], -v[22:23]
	;; [unrolled: 1-line block ×3, first 2 shown]
	v_add_f64 v[24:25], v[22:23], v[14:15]
	v_add_f64 v[28:29], v[24:25], -v[22:23]
	v_add_f64 v[34:35], v[20:21], v[24:25]
	v_add_f64 v[30:31], v[24:25], -v[28:29]
	v_add_f64 v[14:15], v[14:15], -v[28:29]
	v_add_f64 v[28:29], v[32:33], v[16:17]
	v_add_f64 v[20:21], v[34:35], -v[20:21]
	v_add_f64 v[22:23], v[22:23], -v[30:31]
	v_ldexp_f64 v[30:31], v[34:35], -2
	v_add_f64 v[38:39], v[28:29], -v[32:33]
	v_add_f64 v[20:21], v[24:25], -v[20:21]
	v_add_f64 v[14:15], v[14:15], v[22:23]
	v_fract_f64_e32 v[22:23], v[30:31]
	v_cmp_neq_f64_e64 vcc, |v[30:31]|, s[0:1]
	v_add_f64 v[16:17], v[16:17], -v[38:39]
	v_add_f64 v[24:25], v[28:29], v[14:15]
	v_ldexp_f64 v[22:23], v[22:23], 2
	v_add_f64 v[30:31], v[20:21], v[24:25]
	v_cndmask_b32_e32 v23, 0, v23, vcc
	v_cndmask_b32_e32 v22, 0, v22, vcc
	v_add_f64 v[40:41], v[24:25], -v[28:29]
	v_add_f64 v[34:35], v[30:31], v[22:23]
	v_add_f64 v[20:21], v[30:31], -v[20:21]
	v_add_f64 v[42:43], v[24:25], -v[40:41]
	;; [unrolled: 1-line block ×3, first 2 shown]
	v_cmp_gt_f64_e32 vcc, 0, v[34:35]
	v_add_f64 v[34:35], v[28:29], -v[38:39]
	v_add_f64 v[20:21], v[24:25], -v[20:21]
	;; [unrolled: 1-line block ×3, first 2 shown]
	v_cndmask_b32_e32 v37, 0, v1, vcc
	v_add_f64 v[22:23], v[22:23], v[36:37]
	v_add_f64 v[34:35], v[32:33], -v[34:35]
	v_add_f64 v[14:15], v[14:15], v[28:29]
	v_add_f64 v[44:45], v[30:31], v[22:23]
	v_add_f64 v[16:17], v[16:17], v[34:35]
	v_cvt_i32_f64_e32 v1, v[44:45]
	v_add_f64 v[14:15], v[16:17], v[14:15]
	v_cvt_f64_i32_e32 v[37:38], v1
	v_add_f64 v[22:23], v[22:23], -v[37:38]
	v_add_f64 v[14:15], v[18:19], v[14:15]
	v_add_f64 v[16:17], v[30:31], v[22:23]
	;; [unrolled: 1-line block ×3, first 2 shown]
	v_add_f64 v[18:19], v[16:17], -v[22:23]
	v_cmp_le_f64_e32 vcc, 0.5, v[16:17]
	v_add_f64 v[18:19], v[30:31], -v[18:19]
	v_cndmask_b32_e32 v37, 0, v3, vcc
	v_add_f64 v[16:17], v[16:17], -v[36:37]
	v_addc_co_u32_e64 v1, s[0:1], 0, v1, vcc
	s_mov_b32 s0, 0x33145c07
	s_mov_b32 s1, 0x3c91a626
	v_add_f64 v[14:15], v[14:15], v[18:19]
	v_add_f64 v[18:19], v[16:17], v[14:15]
	v_mul_f64 v[20:21], v[18:19], s[14:15]
	v_add_f64 v[16:17], v[18:19], -v[16:17]
	v_fma_f64 v[22:23], v[18:19], s[14:15], -v[20:21]
	v_add_f64 v[14:15], v[14:15], -v[16:17]
	v_fma_f64 v[16:17], v[18:19], s[0:1], v[22:23]
	v_fma_f64 v[16:17], v[14:15], s[14:15], v[16:17]
	v_add_f64 v[14:15], v[20:21], v[16:17]
	v_add_f64 v[18:19], v[14:15], -v[20:21]
	v_add_f64 v[16:17], v[16:17], -v[18:19]
.LBB29_1368:
	s_andn2_saveexec_b64 s[0:1], s[16:17]
	s_cbranch_execz .LBB29_1370
; %bb.1369:
	s_mov_b32 s14, 0x6dc9c883
	s_mov_b32 s15, 0x3fe45f30
	v_mul_f64 v[14:15], |v[12:13]|, s[14:15]
	s_mov_b32 s14, 0x54442d18
	s_mov_b32 s15, 0xbff921fb
	;; [unrolled: 1-line block ×4, first 2 shown]
	v_rndne_f64_e32 v[18:19], v[14:15]
	v_fma_f64 v[14:15], v[18:19], s[14:15], |v[12:13]|
	v_mul_f64 v[16:17], v[18:19], s[16:17]
	s_mov_b32 s14, 0x252049c0
	s_mov_b32 s15, 0xb97b839a
	v_cvt_i32_f64_e32 v1, v[18:19]
	v_fma_f64 v[24:25], v[18:19], s[16:17], v[14:15]
	v_add_f64 v[20:21], v[14:15], v[16:17]
	s_mov_b32 s17, 0x3c91a626
	v_add_f64 v[22:23], v[14:15], -v[20:21]
	v_add_f64 v[20:21], v[20:21], -v[24:25]
	v_add_f64 v[14:15], v[22:23], v[16:17]
	v_fma_f64 v[16:17], v[18:19], s[16:17], v[16:17]
	v_add_f64 v[14:15], v[20:21], v[14:15]
	v_add_f64 v[14:15], v[14:15], -v[16:17]
	v_fma_f64 v[16:17], v[18:19], s[14:15], v[14:15]
	v_add_f64 v[14:15], v[24:25], v[16:17]
	v_add_f64 v[20:21], v[14:15], -v[24:25]
	v_add_f64 v[16:17], v[16:17], -v[20:21]
.LBB29_1370:
	s_or_b64 exec, exec, s[0:1]
	v_mul_f64 v[18:19], v[14:15], v[14:15]
	v_add_f64 v[20:21], v[16:17], v[16:17]
	s_mov_b32 s0, 0xc751c08c
	s_mov_b32 s1, 0x3ef5e089
	v_and_b32_e32 v1, 1, v1
	v_cmp_eq_u32_e32 vcc, 0, v1
	v_and_b32_e32 v3, 0x80000000, v13
	v_mov_b32_e32 v8, 0x7ff80000
	v_fma_f64 v[22:23], v[14:15], v[14:15], -v[18:19]
	s_mov_b32 s16, 0x54442d18
	s_mov_b32 s17, 0xc00921fb
	s_mov_b64 s[14:15], exec
	v_sub_f32_e32 v5, 1.0, v5
	v_fma_f64 v[20:21], v[14:15], v[20:21], v[22:23]
	v_add_f64 v[18:19], v[18:19], v[20:21]
	v_mov_b32_e32 v20, 0xa9a29f71
	v_mov_b32_e32 v21, 0xbf078809
	v_fma_f64 v[20:21], v[18:19], s[0:1], v[20:21]
	s_mov_b32 s0, 0x90a8aae0
	s_mov_b32 s1, 0x3f17746f
	v_fma_f64 v[20:21], v[18:19], v[20:21], s[0:1]
	s_mov_b32 s0, 0xa6fbf144
	s_mov_b32 s1, 0xbefbb44d
	;; [unrolled: 3-line block ×12, first 2 shown]
	v_fma_f64 v[20:21], v[18:19], v[20:21], s[0:1]
	s_movk_i32 s0, 0x1f8
	v_cmp_class_f64_e64 s[0:1], v[12:13], s0
	v_mul_f64 v[18:19], v[18:19], v[20:21]
	v_mul_f64 v[20:21], v[14:15], v[18:19]
	v_add_f64 v[22:23], v[14:15], v[20:21]
	v_fma_f64 v[18:19], v[14:15], v[18:19], -v[20:21]
	v_add_f64 v[14:15], v[22:23], -v[14:15]
	v_add_f64 v[16:17], v[16:17], v[18:19]
	v_add_f64 v[14:15], v[20:21], -v[14:15]
	v_add_f64 v[14:15], v[16:17], v[14:15]
	v_add_f64 v[16:17], v[22:23], v[14:15]
	v_rcp_f64_e32 v[18:19], v[16:17]
	v_fma_f64 v[20:21], -v[16:17], v[18:19], 1.0
	v_fma_f64 v[18:19], v[20:21], v[18:19], v[18:19]
	v_fma_f64 v[20:21], -v[16:17], v[18:19], 1.0
	v_fma_f64 v[18:19], v[20:21], v[18:19], v[18:19]
	v_add_f64 v[20:21], v[16:17], -v[22:23]
	v_mul_f64 v[22:23], v[16:17], v[18:19]
	v_add_f64 v[14:15], v[14:15], -v[20:21]
	v_fma_f64 v[20:21], v[18:19], v[16:17], -v[22:23]
	v_fma_f64 v[14:15], v[18:19], v[14:15], v[20:21]
	v_add_f64 v[20:21], v[22:23], v[14:15]
	v_add_f64 v[24:25], -v[20:21], 1.0
	v_add_f64 v[22:23], v[20:21], -v[22:23]
	v_add_f64 v[26:27], -v[24:25], 1.0
	v_add_f64 v[14:15], v[22:23], -v[14:15]
	v_add_f64 v[20:21], v[26:27], -v[20:21]
	v_add_f64 v[14:15], v[14:15], v[20:21]
	v_add_f64 v[14:15], v[24:25], v[14:15]
	v_mul_f64 v[14:15], v[18:19], v[14:15]
	v_add_f64 v[14:15], v[18:19], v[14:15]
	v_xor_b32_e32 v10, 0x80000000, v15
	v_cndmask_b32_e32 v1, v14, v16, vcc
	v_cndmask_b32_e32 v10, v10, v17, vcc
	v_cndmask_b32_e64 v12, 0, v1, s[0:1]
	v_xor_b32_e32 v1, v10, v3
	v_cndmask_b32_e64 v13, v8, v1, s[0:1]
	v_div_scale_f64 v[14:15], s[0:1], v[12:13], v[12:13], s[16:17]
	v_div_scale_f64 v[20:21], vcc, s[16:17], v[12:13], s[16:17]
	v_rcp_f64_e32 v[16:17], v[14:15]
	v_fma_f64 v[18:19], -v[14:15], v[16:17], 1.0
	v_fma_f64 v[16:17], v[16:17], v[18:19], v[16:17]
	v_fma_f64 v[18:19], -v[14:15], v[16:17], 1.0
	v_fma_f64 v[16:17], v[16:17], v[18:19], v[16:17]
	v_mul_f64 v[18:19], v[20:21], v[16:17]
	v_fma_f64 v[14:15], -v[14:15], v[18:19], v[20:21]
	v_div_fmas_f64 v[14:15], v[14:15], v[16:17], v[18:19]
	v_div_fixup_f64 v[12:13], v[14:15], v[12:13], s[16:17]
	v_cvt_f32_f64_e32 v8, v[12:13]
.LBB29_1371:
	s_or_b64 exec, exec, s[12:13]
	s_orn2_b64 s[0:1], s[14:15], exec
.LBB29_1372:
	s_or_b64 exec, exec, s[6:7]
	v_mov_b32_e32 v1, 0x7e00
	s_and_saveexec_b64 s[6:7], s[0:1]
	s_cbranch_execz .LBB29_1384
; %bb.1373:
	s_mov_b32 s14, 0x41200000
	v_cmp_gt_f32_e32 vcc, s14, v5
	s_and_saveexec_b64 s[0:1], vcc
	s_cbranch_execz .LBB29_1377
; %bb.1374:
	s_mov_b64 s[12:13], 0
.LBB29_1375:                            ; =>This Inner Loop Header: Depth=1
	v_div_scale_f32 v1, s[16:17], v5, v5, 1.0
	v_div_scale_f32 v3, vcc, 1.0, v5, 1.0
	v_rcp_f32_e32 v10, v1
	v_fma_f32 v12, -v1, v10, 1.0
	v_fmac_f32_e32 v10, v12, v10
	v_mul_f32_e32 v12, v3, v10
	v_fma_f32 v13, -v1, v12, v3
	v_fmac_f32_e32 v12, v13, v10
	v_fma_f32 v1, -v1, v12, v3
	v_div_fmas_f32 v1, v1, v10, v12
	v_div_fixup_f32 v1, v1, v5, 1.0
	v_add_f32_e32 v5, 1.0, v5
	v_cmp_ngt_f32_e32 vcc, s14, v5
	s_or_b64 s[12:13], vcc, s[12:13]
	v_sub_f32_e32 v8, v8, v1
	s_andn2_b64 exec, exec, s[12:13]
	s_cbranch_execnz .LBB29_1375
; %bb.1376:
	s_or_b64 exec, exec, s[12:13]
.LBB29_1377:
	s_or_b64 exec, exec, s[0:1]
	s_mov_b32 s0, 0x41200000
	v_cmp_neq_f32_e32 vcc, s0, v5
                                        ; implicit-def: $vgpr1
	s_and_saveexec_b64 s[0:1], vcc
	s_xor_b64 s[12:13], exec, s[0:1]
	s_cbranch_execz .LBB29_1381
; %bb.1378:
	v_cvt_f64_f32_e32 v[12:13], v5
	s_mov_b32 s0, 0x85d8a000
	s_mov_b32 s1, 0x43763457
	v_mov_b32_e32 v1, 0
	v_cmp_gt_f64_e32 vcc, s[0:1], v[12:13]
	s_and_saveexec_b64 s[0:1], vcc
	s_cbranch_execz .LBB29_1380
; %bb.1379:
	v_mul_f32_e32 v1, v5, v5
	v_div_scale_f32 v3, s[14:15], v1, v1, 1.0
	v_div_scale_f32 v10, vcc, 1.0, v1, 1.0
	v_mov_b32_e32 v15, 0x3b820821
	v_rcp_f32_e32 v12, v3
	v_fma_f32 v13, -v3, v12, 1.0
	v_fmac_f32_e32 v12, v13, v12
	v_mul_f32_e32 v13, v10, v12
	v_fma_f32 v14, -v3, v13, v10
	v_fmac_f32_e32 v13, v14, v12
	v_fma_f32 v3, -v3, v13, v10
	v_div_fmas_f32 v3, v3, v12, v13
	v_mov_b32_e32 v10, 0x3daaaaab
	v_mov_b32_e32 v12, 0xbcaccacd
	v_mov_b32_e32 v13, 0x3bf83e10
	v_mov_b32_e32 v14, 0xbb888889
	v_div_fixup_f32 v1, v3, v1, 1.0
	v_fma_f32 v3, 0, v1, v10
	v_fmac_f32_e32 v12, v1, v3
	v_fmac_f32_e32 v13, v1, v12
	v_fmac_f32_e32 v14, v1, v13
	v_fmac_f32_e32 v15, v1, v14
	v_mov_b32_e32 v3, 0xbc088889
	v_fmac_f32_e32 v3, v1, v15
	v_fmac_f32_e32 v10, v1, v3
	v_mul_f32_e32 v1, v1, v10
.LBB29_1380:
	s_or_b64 exec, exec, s[0:1]
	v_div_scale_f32 v3, s[0:1], v5, v5, -0.5
	v_div_scale_f32 v10, vcc, -0.5, v5, -0.5
	s_mov_b32 s0, 0x800000
	v_cmp_gt_f32_e64 s[0:1], s0, v5
	v_cndmask_b32_e64 v13, 0, 32, s[0:1]
	s_mov_b32 s14, 0x3f317217
	v_rcp_f32_e32 v12, v3
	v_fma_f32 v14, -v3, v12, 1.0
	v_fmac_f32_e32 v12, v14, v12
	v_mul_f32_e32 v14, v10, v12
	v_fma_f32 v15, -v3, v14, v10
	v_fmac_f32_e32 v14, v15, v12
	v_fma_f32 v3, -v3, v14, v10
	v_div_fmas_f32 v3, v3, v12, v14
	v_ldexp_f32 v10, v5, v13
	v_log_f32_e32 v10, v10
	v_mul_f32_e32 v12, 0x3f317217, v10
	v_fma_f32 v12, v10, s14, -v12
	v_fmac_f32_e32 v12, 0x3377d1cf, v10
	s_mov_b32 s14, 0x7f800000
	v_fmac_f32_e32 v12, 0x3f317217, v10
	v_cmp_lt_f32_e64 vcc, |v10|, s14
	v_cndmask_b32_e32 v10, v10, v12, vcc
	v_mov_b32_e32 v12, 0x41b17218
	v_cndmask_b32_e64 v12, 0, v12, s[0:1]
	v_sub_f32_e32 v10, v10, v12
	v_div_fixup_f32 v3, v3, v5, -0.5
	v_add_f32_e32 v3, v10, v3
	v_sub_f32_e32 v1, v3, v1
	v_add_f32_e32 v1, v8, v1
	v_cvt_f16_f32_e32 v1, v1
                                        ; implicit-def: $vgpr8
.LBB29_1381:
	s_andn2_saveexec_b64 s[0:1], s[12:13]
; %bb.1382:
	v_add_f32_e32 v1, 0x40101cb7, v8
	v_cvt_f16_f32_e32 v1, v1
; %bb.1383:
	s_or_b64 exec, exec, s[0:1]
.LBB29_1384:
	s_or_b64 exec, exec, s[6:7]
                                        ; implicit-def: $vgpr5
.LBB29_1385:
	s_andn2_saveexec_b64 s[0:1], s[4:5]
; %bb.1386:
	v_xor_b32_e32 v1, 0x80000000, v5
	s_movk_i32 s4, 0x8000
	v_and_b32_sdwa v1, v1, s4 dst_sel:DWORD dst_unused:UNUSED_PAD src0_sel:WORD_1 src1_sel:DWORD
	v_or_b32_e32 v1, 0x7c00, v1
; %bb.1387:
	s_or_b64 exec, exec, s[0:1]
	s_lshr_b32 s0, s18, 16
	v_mov_b32_e32 v3, s11
	s_and_b32 s19, s0, 0xff
	v_add_co_u32_e32 v10, vcc, s10, v11
	s_cmp_lt_i32 s19, 11
	v_addc_co_u32_e32 v11, vcc, 0, v3, vcc
	s_cbranch_scc1 .LBB29_1394
; %bb.1388:
	s_and_b32 s16, 0xffff, s19
	s_cmp_gt_i32 s16, 25
	s_mov_b64 s[4:5], 0
	s_cbranch_scc0 .LBB29_1396
; %bb.1389:
	s_cmp_gt_i32 s16, 28
	s_cbranch_scc0 .LBB29_1397
; %bb.1390:
	s_cmp_gt_i32 s16, 43
	s_cbranch_scc0 .LBB29_1398
; %bb.1391:
	s_cmp_gt_i32 s16, 45
	s_cbranch_scc0 .LBB29_1400
; %bb.1392:
	s_cmp_eq_u32 s16, 46
	s_mov_b64 s[12:13], 0
	s_cbranch_scc0 .LBB29_1403
; %bb.1393:
	global_load_dword v3, v[10:11], off
	s_mov_b64 s[0:1], 0
	s_mov_b64 s[6:7], -1
	s_waitcnt vmcnt(0)
	v_lshlrev_b32_e32 v3, 16, v3
	v_cvt_f16_f32_e32 v3, v3
	s_branch .LBB29_1404
.LBB29_1394:
	s_mov_b64 s[6:7], 0
                                        ; implicit-def: $vgpr3
	s_cbranch_execnz .LBB29_1469
.LBB29_1395:
	s_andn2_b64 vcc, exec, s[6:7]
	s_cbranch_vccnz .LBB29_1925
	s_branch .LBB29_1516
.LBB29_1396:
	s_mov_b64 s[6:7], 0
	s_mov_b64 s[0:1], 0
                                        ; implicit-def: $vgpr3
	s_cbranch_execnz .LBB29_1433
	s_branch .LBB29_1465
.LBB29_1397:
	s_mov_b64 s[12:13], -1
	s_mov_b64 s[6:7], 0
	s_mov_b64 s[0:1], 0
                                        ; implicit-def: $vgpr3
	s_branch .LBB29_1414
.LBB29_1398:
	s_mov_b64 s[12:13], -1
	s_mov_b64 s[6:7], 0
	s_mov_b64 s[0:1], 0
                                        ; implicit-def: $vgpr3
	s_branch .LBB29_1409
.LBB29_1399:
	s_or_b64 s[2:3], s[28:29], exec
	s_trap 2
	s_cbranch_execz .LBB29_1316
	s_branch .LBB29_1317
.LBB29_1400:
	s_mov_b64 s[12:13], -1
	s_mov_b64 s[6:7], 0
	s_mov_b64 s[0:1], 0
                                        ; implicit-def: $vgpr3
	s_branch .LBB29_1404
.LBB29_1401:
	s_andn2_saveexec_b64 s[16:17], s[16:17]
	s_cbranch_execz .LBB29_1107
.LBB29_1402:
	s_mov_b32 s20, 0x42800000
	v_add_f32_e64 v4, |v0|, s20
	v_and_b32_e32 v4, 0xff, v4
	v_cmp_ne_u32_e32 vcc, 0, v4
	s_andn2_b64 s[14:15], s[14:15], exec
	s_and_b64 s[20:21], vcc, exec
	s_or_b64 s[14:15], s[14:15], s[20:21]
	s_or_b64 exec, exec, s[16:17]
	v_mov_b32_e32 v5, 0
	s_and_saveexec_b64 s[16:17], s[14:15]
	s_cbranch_execnz .LBB29_1108
	s_branch .LBB29_1109
.LBB29_1403:
	s_mov_b64 s[0:1], -1
                                        ; implicit-def: $vgpr3
	s_mov_b64 s[6:7], 0
.LBB29_1404:
	s_and_b64 vcc, exec, s[12:13]
	s_cbranch_vccz .LBB29_1408
; %bb.1405:
	s_cmp_eq_u32 s16, 44
	s_cbranch_scc0 .LBB29_1407
; %bb.1406:
	global_load_ubyte v3, v[10:11], off
	s_movk_i32 s6, 0xff
	v_mov_b32_e32 v8, 0x7e00
	s_mov_b64 s[0:1], 0
	s_waitcnt vmcnt(0)
	v_lshlrev_b32_e32 v5, 23, v3
	v_cvt_f16_f32_e32 v5, v5
	v_cmp_ne_u32_e32 vcc, s6, v3
	s_mov_b64 s[6:7], -1
	v_cndmask_b32_e32 v5, v8, v5, vcc
	v_cmp_ne_u32_e32 vcc, 0, v3
	v_cndmask_b32_e32 v3, 0, v5, vcc
	s_branch .LBB29_1408
.LBB29_1407:
	s_mov_b64 s[0:1], -1
                                        ; implicit-def: $vgpr3
.LBB29_1408:
	s_mov_b64 s[12:13], 0
.LBB29_1409:
	s_and_b64 vcc, exec, s[12:13]
	s_cbranch_vccz .LBB29_1413
; %bb.1410:
	s_cmp_eq_u32 s16, 29
	s_cbranch_scc0 .LBB29_1412
; %bb.1411:
	global_load_dwordx2 v[12:13], v[10:11], off
	s_mov_b64 s[0:1], 0
	s_mov_b64 s[6:7], -1
	s_mov_b64 s[12:13], 0
	s_waitcnt vmcnt(0)
	v_ffbh_u32_e32 v3, v13
	v_min_u32_e32 v3, 32, v3
	v_lshlrev_b64 v[12:13], v3, v[12:13]
	v_sub_u32_e32 v3, 32, v3
	v_min_u32_e32 v5, 1, v12
	v_or_b32_e32 v5, v13, v5
	v_cvt_f32_u32_e32 v5, v5
	v_ldexp_f32 v3, v5, v3
	v_cvt_f16_f32_e32 v3, v3
	s_branch .LBB29_1414
.LBB29_1412:
	s_mov_b64 s[0:1], -1
                                        ; implicit-def: $vgpr3
.LBB29_1413:
	s_mov_b64 s[12:13], 0
.LBB29_1414:
	s_and_b64 vcc, exec, s[12:13]
	s_cbranch_vccz .LBB29_1432
; %bb.1415:
	s_cmp_lt_i32 s16, 27
	s_cbranch_scc1 .LBB29_1418
; %bb.1416:
	s_cmp_gt_i32 s16, 27
	s_cbranch_scc0 .LBB29_1419
; %bb.1417:
	global_load_dword v3, v[10:11], off
	s_mov_b64 s[6:7], 0
	s_waitcnt vmcnt(0)
	v_cvt_f32_u32_e32 v3, v3
	v_cvt_f16_f32_e32 v3, v3
	s_branch .LBB29_1420
.LBB29_1418:
	s_mov_b64 s[6:7], -1
                                        ; implicit-def: $vgpr3
	s_branch .LBB29_1423
.LBB29_1419:
	s_mov_b64 s[6:7], -1
                                        ; implicit-def: $vgpr3
.LBB29_1420:
	s_andn2_b64 vcc, exec, s[6:7]
	s_cbranch_vccnz .LBB29_1422
; %bb.1421:
	global_load_ushort v3, v[10:11], off
	s_waitcnt vmcnt(0)
	v_cvt_f16_u16_e32 v3, v3
.LBB29_1422:
	s_mov_b64 s[6:7], 0
.LBB29_1423:
	s_andn2_b64 vcc, exec, s[6:7]
	s_cbranch_vccnz .LBB29_1431
; %bb.1424:
	global_load_ubyte v5, v[10:11], off
	s_movk_i32 s6, 0x7f
	s_waitcnt vmcnt(0)
	v_cmp_lt_i16_e32 vcc, s6, v5
	s_mov_b64 s[6:7], 0
	s_and_saveexec_b64 s[12:13], vcc
	s_xor_b64 s[12:13], exec, s[12:13]
	s_cbranch_execz .LBB29_1444
; %bb.1425:
	s_movk_i32 s6, 0x80
	v_cmp_eq_u16_e32 vcc, s6, v5
	s_mov_b64 s[6:7], -1
	s_and_saveexec_b64 s[14:15], vcc
; %bb.1426:
	s_xor_b64 s[6:7], exec, -1
; %bb.1427:
	s_or_b64 exec, exec, s[14:15]
	s_and_b64 s[6:7], s[6:7], exec
	s_or_saveexec_b64 s[12:13], s[12:13]
	v_mov_b32_e32 v3, 0x7e00
	s_xor_b64 exec, exec, s[12:13]
	s_cbranch_execnz .LBB29_1445
.LBB29_1428:
	s_or_b64 exec, exec, s[12:13]
	s_and_saveexec_b64 s[12:13], s[6:7]
	s_cbranch_execz .LBB29_1430
.LBB29_1429:
	v_lshlrev_b32_e32 v3, 24, v5
	v_and_b32_e32 v5, 0xffff, v5
	v_and_b32_e32 v8, 7, v5
	v_ffbh_u32_e32 v13, v8
	v_min_u32_e32 v13, 32, v13
	v_subrev_u32_e32 v14, 28, v13
	v_bfe_u32 v12, v5, 3, 4
	v_lshlrev_b32_e32 v5, v14, v5
	v_sub_u32_e32 v13, 29, v13
	v_and_b32_e32 v5, 7, v5
	v_cmp_eq_u32_e32 vcc, 0, v12
	v_cndmask_b32_e32 v12, v12, v13, vcc
	v_cndmask_b32_e32 v5, v8, v5, vcc
	v_mov_b32_e32 v8, 0x3b800000
	v_lshlrev_b32_e32 v5, 20, v5
	v_and_b32_e32 v3, 0x80000000, v3
	v_lshl_add_u32 v8, v12, 23, v8
	v_or3_b32 v3, v3, v8, v5
	v_cvt_f16_f32_e32 v3, v3
.LBB29_1430:
	s_or_b64 exec, exec, s[12:13]
.LBB29_1431:
	s_mov_b64 s[6:7], -1
.LBB29_1432:
	s_branch .LBB29_1465
.LBB29_1433:
	s_cmp_gt_i32 s16, 22
	s_cbranch_scc0 .LBB29_1443
; %bb.1434:
	s_cmp_lt_i32 s16, 24
	s_cbranch_scc1 .LBB29_1446
; %bb.1435:
	s_cmp_gt_i32 s16, 24
	s_cbranch_scc0 .LBB29_1447
; %bb.1436:
	global_load_ubyte v5, v[10:11], off
	s_movk_i32 s4, 0x7f
	s_waitcnt vmcnt(0)
	v_cmp_lt_i16_e32 vcc, s4, v5
	s_mov_b64 s[4:5], 0
	s_and_saveexec_b64 s[6:7], vcc
	s_xor_b64 s[6:7], exec, s[6:7]
	s_cbranch_execz .LBB29_1459
; %bb.1437:
	s_movk_i32 s4, 0x80
	v_cmp_eq_u16_e32 vcc, s4, v5
	s_mov_b64 s[4:5], -1
	s_and_saveexec_b64 s[12:13], vcc
; %bb.1438:
	s_xor_b64 s[4:5], exec, -1
; %bb.1439:
	s_or_b64 exec, exec, s[12:13]
	s_and_b64 s[4:5], s[4:5], exec
	s_or_saveexec_b64 s[6:7], s[6:7]
	v_mov_b32_e32 v3, 0x7e00
	s_xor_b64 exec, exec, s[6:7]
	s_cbranch_execnz .LBB29_1460
.LBB29_1440:
	s_or_b64 exec, exec, s[6:7]
	s_and_saveexec_b64 s[6:7], s[4:5]
	s_cbranch_execz .LBB29_1442
.LBB29_1441:
	v_lshlrev_b32_e32 v3, 24, v5
	v_and_b32_e32 v5, 0xffff, v5
	v_and_b32_e32 v8, 3, v5
	v_ffbh_u32_e32 v13, v8
	v_min_u32_e32 v13, 32, v13
	v_subrev_u32_e32 v14, 29, v13
	v_bfe_u32 v12, v5, 2, 5
	v_lshlrev_b32_e32 v5, v14, v5
	v_sub_u32_e32 v13, 30, v13
	v_and_b32_e32 v5, 3, v5
	v_cmp_eq_u32_e32 vcc, 0, v12
	v_cndmask_b32_e32 v12, v12, v13, vcc
	v_cndmask_b32_e32 v5, v8, v5, vcc
	v_mov_b32_e32 v8, 0x37800000
	v_lshlrev_b32_e32 v5, 21, v5
	v_and_b32_e32 v3, 0x80000000, v3
	v_lshl_add_u32 v8, v12, 23, v8
	v_or3_b32 v3, v3, v8, v5
	v_cvt_f16_f32_e32 v3, v3
.LBB29_1442:
	s_or_b64 exec, exec, s[6:7]
	s_mov_b64 s[4:5], 0
	s_branch .LBB29_1448
.LBB29_1443:
	s_mov_b64 s[4:5], -1
                                        ; implicit-def: $vgpr3
	s_branch .LBB29_1454
.LBB29_1444:
	s_or_saveexec_b64 s[12:13], s[12:13]
	v_mov_b32_e32 v3, 0x7e00
	s_xor_b64 exec, exec, s[12:13]
	s_cbranch_execz .LBB29_1428
.LBB29_1445:
	v_cmp_ne_u16_e32 vcc, 0, v5
	s_andn2_b64 s[6:7], s[6:7], exec
	s_and_b64 s[14:15], vcc, exec
	s_or_b64 s[6:7], s[6:7], s[14:15]
	v_mov_b32_e32 v3, v5
	s_or_b64 exec, exec, s[12:13]
	s_and_saveexec_b64 s[12:13], s[6:7]
	s_cbranch_execnz .LBB29_1429
	s_branch .LBB29_1430
.LBB29_1446:
	s_mov_b64 s[4:5], -1
                                        ; implicit-def: $vgpr3
	s_branch .LBB29_1451
.LBB29_1447:
	s_mov_b64 s[4:5], -1
                                        ; implicit-def: $vgpr3
.LBB29_1448:
	s_and_b64 vcc, exec, s[4:5]
	s_cbranch_vccz .LBB29_1450
; %bb.1449:
	global_load_ubyte v3, v[10:11], off
	s_mov_b32 s4, 0x7f800000
	s_waitcnt vmcnt(0)
	v_lshlrev_b32_e32 v3, 24, v3
	v_and_b32_e32 v5, 0x7f000000, v3
	v_ffbh_u32_e32 v8, v5
	v_min_u32_e32 v8, 32, v8
	v_sub_u32_e64 v8, v8, 4 clamp
	v_lshlrev_b32_e32 v13, v8, v5
	v_lshlrev_b32_e32 v8, 23, v8
	v_lshrrev_b32_e32 v13, 4, v13
	v_add_u32_e32 v12, 0x1000000, v5
	v_sub_u32_e32 v8, v13, v8
	v_ashrrev_i32_e32 v12, 8, v12
	v_add_u32_e32 v8, 0x3c000000, v8
	v_and_or_b32 v8, v12, s4, v8
	v_cmp_ne_u32_e32 vcc, 0, v5
	v_cndmask_b32_e32 v5, 0, v8, vcc
	s_brev_b32 s4, 1
	v_and_or_b32 v3, v3, s4, v5
	v_cvt_f16_f32_e32 v3, v3
.LBB29_1450:
	s_mov_b64 s[4:5], 0
.LBB29_1451:
	s_andn2_b64 vcc, exec, s[4:5]
	s_cbranch_vccnz .LBB29_1453
; %bb.1452:
	global_load_ubyte v3, v[10:11], off
	s_movk_i32 s4, 0x7f00
	s_brev_b32 s5, 16
	s_waitcnt vmcnt(0)
	v_lshlrev_b16_e32 v5, 8, v3
	v_lshlrev_b32_e32 v3, 25, v3
	v_lshrrev_b32_e32 v8, 4, v3
	v_and_or_b32 v12, v5, s4, 0.5
	v_or_b32_e32 v8, 0x70000000, v8
	v_add_f32_e32 v12, -0.5, v12
	v_mul_f32_e32 v8, 0x7800000, v8
	v_cmp_gt_u32_e32 vcc, s5, v3
	v_bfe_i32 v5, v5, 0, 16
	v_cndmask_b32_e32 v3, v8, v12, vcc
	s_brev_b32 s4, 1
	v_and_or_b32 v3, v5, s4, v3
	v_cvt_f16_f32_e32 v3, v3
.LBB29_1453:
	s_mov_b64 s[4:5], 0
	s_mov_b64 s[6:7], -1
.LBB29_1454:
	s_andn2_b64 vcc, exec, s[4:5]
	s_mov_b64 s[4:5], 0
	s_cbranch_vccnz .LBB29_1465
; %bb.1455:
	s_cmp_gt_i32 s16, 14
	s_cbranch_scc0 .LBB29_1458
; %bb.1456:
	s_cmp_eq_u32 s16, 15
	s_cbranch_scc0 .LBB29_1461
; %bb.1457:
	global_load_ushort v3, v[10:11], off
	s_mov_b64 s[0:1], 0
	s_mov_b64 s[6:7], -1
	s_waitcnt vmcnt(0)
	v_lshlrev_b32_e32 v3, 16, v3
	v_cvt_f16_f32_e32 v3, v3
	s_branch .LBB29_1462
.LBB29_1458:
	s_mov_b64 s[12:13], -1
                                        ; implicit-def: $vgpr3
	s_branch .LBB29_1463
.LBB29_1459:
	s_or_saveexec_b64 s[6:7], s[6:7]
	v_mov_b32_e32 v3, 0x7e00
	s_xor_b64 exec, exec, s[6:7]
	s_cbranch_execz .LBB29_1440
.LBB29_1460:
	v_cmp_ne_u16_e32 vcc, 0, v5
	s_andn2_b64 s[4:5], s[4:5], exec
	s_and_b64 s[12:13], vcc, exec
	s_or_b64 s[4:5], s[4:5], s[12:13]
	v_mov_b32_e32 v3, v5
	s_or_b64 exec, exec, s[6:7]
	s_and_saveexec_b64 s[6:7], s[4:5]
	s_cbranch_execnz .LBB29_1441
	s_branch .LBB29_1442
.LBB29_1461:
	s_mov_b64 s[0:1], -1
                                        ; implicit-def: $vgpr3
.LBB29_1462:
	s_mov_b64 s[12:13], 0
.LBB29_1463:
	s_and_b64 vcc, exec, s[12:13]
	s_cbranch_vccz .LBB29_1465
; %bb.1464:
	s_cmp_lg_u32 s16, 11
	s_mov_b64 s[4:5], -1
	s_cselect_b64 s[0:1], -1, 0
.LBB29_1465:
	s_and_b64 vcc, exec, s[0:1]
	s_cbranch_vccnz .LBB29_1552
; %bb.1466:
	s_andn2_b64 vcc, exec, s[4:5]
	s_cbranch_vccnz .LBB29_1468
.LBB29_1467:
	global_load_ubyte v3, v[10:11], off
	v_mov_b32_e32 v5, 0x3c00
	s_mov_b64 s[6:7], -1
	s_waitcnt vmcnt(0)
	v_cmp_ne_u16_e32 vcc, 0, v3
	v_cndmask_b32_e32 v3, 0, v5, vcc
.LBB29_1468:
	s_branch .LBB29_1395
.LBB29_1469:
	s_and_b32 s4, 0xffff, s19
	s_cmp_lt_i32 s4, 5
	s_cbranch_scc1 .LBB29_1474
; %bb.1470:
	s_cmp_lt_i32 s4, 8
	s_cbranch_scc1 .LBB29_1475
; %bb.1471:
	;; [unrolled: 3-line block ×3, first 2 shown]
	s_cmp_gt_i32 s4, 9
	s_cbranch_scc0 .LBB29_1477
; %bb.1473:
	global_load_dwordx2 v[12:13], v[10:11], off
	s_movk_i32 s0, 0x1ff
	s_movk_i32 s1, 0xffe
	v_mov_b32_e32 v3, 0x7c00
	v_mov_b32_e32 v5, 0x7e00
	s_movk_i32 s5, 0x40f
	s_mov_b32 s6, 0x8000
	s_waitcnt vmcnt(0)
	v_and_or_b32 v8, v13, s0, v12
	v_cmp_ne_u32_e32 vcc, 0, v8
	v_lshrrev_b32_e32 v12, 8, v13
	v_bfe_u32 v14, v13, 20, 11
	v_cndmask_b32_e64 v8, 0, 1, vcc
	v_sub_u32_e32 v15, 0x3f1, v14
	v_and_or_b32 v8, v12, s1, v8
	v_add_u32_e32 v14, 0xfffffc10, v14
	v_med3_i32 v12, v15, 0, 13
	v_or_b32_e32 v15, 0x1000, v8
	v_lshl_or_b32 v16, v14, 12, v8
	v_cmp_ne_u32_e32 vcc, 0, v8
	v_lshrrev_b32_e32 v8, v12, v15
	v_lshlrev_b32_e32 v12, v12, v8
	v_cndmask_b32_e32 v5, v3, v5, vcc
	v_cmp_ne_u32_e32 vcc, v12, v15
	v_cndmask_b32_e64 v12, 0, 1, vcc
	v_or_b32_e32 v8, v8, v12
	v_cmp_gt_i32_e32 vcc, 1, v14
	v_cndmask_b32_e32 v8, v16, v8, vcc
	v_and_b32_e32 v12, 7, v8
	v_cmp_lt_i32_e32 vcc, 5, v12
	v_cndmask_b32_e64 v15, 0, 1, vcc
	v_cmp_eq_u32_e32 vcc, 3, v12
	v_cndmask_b32_e64 v12, 0, 1, vcc
	v_lshrrev_b32_e32 v8, 2, v8
	v_or_b32_e32 v12, v12, v15
	v_add_u32_e32 v8, v8, v12
	v_cmp_gt_i32_e32 vcc, 31, v14
	v_cndmask_b32_e32 v3, v3, v8, vcc
	v_cmp_eq_u32_e32 vcc, s5, v14
	v_lshrrev_b32_e32 v13, 16, v13
	v_cndmask_b32_e32 v3, v3, v5, vcc
	v_and_or_b32 v3, v13, s6, v3
	s_mov_b64 s[0:1], 0
	s_branch .LBB29_1478
.LBB29_1474:
                                        ; implicit-def: $vgpr3
	s_branch .LBB29_1496
.LBB29_1475:
	s_mov_b64 s[0:1], -1
                                        ; implicit-def: $vgpr3
	s_branch .LBB29_1484
.LBB29_1476:
	s_mov_b64 s[0:1], -1
                                        ; implicit-def: $vgpr3
	s_branch .LBB29_1481
.LBB29_1477:
	s_mov_b64 s[0:1], -1
                                        ; implicit-def: $vgpr3
.LBB29_1478:
	s_andn2_b64 vcc, exec, s[0:1]
	s_cbranch_vccnz .LBB29_1480
; %bb.1479:
	global_load_dword v3, v[10:11], off
	s_waitcnt vmcnt(0)
	v_cvt_f16_f32_e32 v3, v3
.LBB29_1480:
	s_mov_b64 s[0:1], 0
.LBB29_1481:
	s_andn2_b64 vcc, exec, s[0:1]
	s_cbranch_vccnz .LBB29_1483
; %bb.1482:
	global_load_dword v3, v[10:11], off
.LBB29_1483:
	s_mov_b64 s[0:1], 0
.LBB29_1484:
	s_andn2_b64 vcc, exec, s[0:1]
	s_cbranch_vccnz .LBB29_1495
; %bb.1485:
	s_cmp_lt_i32 s4, 6
	s_cbranch_scc1 .LBB29_1488
; %bb.1486:
	s_cmp_gt_i32 s4, 6
	s_cbranch_scc0 .LBB29_1489
; %bb.1487:
	global_load_dwordx2 v[12:13], v[10:11], off
	s_movk_i32 s0, 0x1ff
	s_movk_i32 s1, 0xffe
	s_waitcnt vmcnt(1)
	v_mov_b32_e32 v3, 0x7c00
	v_mov_b32_e32 v5, 0x7e00
	s_movk_i32 s5, 0x40f
	s_mov_b32 s6, 0x8000
	s_waitcnt vmcnt(0)
	v_and_or_b32 v8, v13, s0, v12
	v_cmp_ne_u32_e32 vcc, 0, v8
	v_lshrrev_b32_e32 v12, 8, v13
	v_bfe_u32 v14, v13, 20, 11
	v_cndmask_b32_e64 v8, 0, 1, vcc
	v_sub_u32_e32 v15, 0x3f1, v14
	v_and_or_b32 v8, v12, s1, v8
	v_add_u32_e32 v14, 0xfffffc10, v14
	v_med3_i32 v12, v15, 0, 13
	v_or_b32_e32 v15, 0x1000, v8
	v_lshl_or_b32 v16, v14, 12, v8
	v_cmp_ne_u32_e32 vcc, 0, v8
	v_lshrrev_b32_e32 v8, v12, v15
	v_lshlrev_b32_e32 v12, v12, v8
	v_cndmask_b32_e32 v5, v3, v5, vcc
	v_cmp_ne_u32_e32 vcc, v12, v15
	v_cndmask_b32_e64 v12, 0, 1, vcc
	v_or_b32_e32 v8, v8, v12
	v_cmp_gt_i32_e32 vcc, 1, v14
	v_cndmask_b32_e32 v8, v16, v8, vcc
	v_and_b32_e32 v12, 7, v8
	v_cmp_lt_i32_e32 vcc, 5, v12
	v_cndmask_b32_e64 v15, 0, 1, vcc
	v_cmp_eq_u32_e32 vcc, 3, v12
	v_cndmask_b32_e64 v12, 0, 1, vcc
	v_lshrrev_b32_e32 v8, 2, v8
	v_or_b32_e32 v12, v12, v15
	v_add_u32_e32 v8, v8, v12
	v_cmp_gt_i32_e32 vcc, 31, v14
	v_cndmask_b32_e32 v3, v3, v8, vcc
	v_cmp_eq_u32_e32 vcc, s5, v14
	v_lshrrev_b32_e32 v13, 16, v13
	v_cndmask_b32_e32 v3, v3, v5, vcc
	v_and_or_b32 v3, v13, s6, v3
	s_mov_b64 s[0:1], 0
	s_branch .LBB29_1490
.LBB29_1488:
	s_mov_b64 s[0:1], -1
                                        ; implicit-def: $vgpr3
	s_branch .LBB29_1493
.LBB29_1489:
	s_mov_b64 s[0:1], -1
                                        ; implicit-def: $vgpr3
.LBB29_1490:
	s_andn2_b64 vcc, exec, s[0:1]
	s_cbranch_vccnz .LBB29_1492
; %bb.1491:
	global_load_dword v3, v[10:11], off
	s_waitcnt vmcnt(0)
	v_cvt_f16_f32_e32 v3, v3
.LBB29_1492:
	s_mov_b64 s[0:1], 0
.LBB29_1493:
	s_andn2_b64 vcc, exec, s[0:1]
	s_cbranch_vccnz .LBB29_1495
; %bb.1494:
	global_load_ushort v3, v[10:11], off
.LBB29_1495:
	s_cbranch_execnz .LBB29_1515
.LBB29_1496:
	s_cmp_lt_i32 s4, 2
	s_cbranch_scc1 .LBB29_1500
; %bb.1497:
	s_cmp_lt_i32 s4, 3
	s_cbranch_scc1 .LBB29_1501
; %bb.1498:
	s_cmp_gt_i32 s4, 3
	s_cbranch_scc0 .LBB29_1502
; %bb.1499:
	global_load_dwordx2 v[12:13], v[10:11], off
	s_mov_b64 s[0:1], 0
	s_waitcnt vmcnt(0)
	v_xor_b32_e32 v5, v12, v13
	v_ffbh_i32_e32 v3, v13
	v_ashrrev_i32_e32 v5, 31, v5
	v_add_u32_e32 v3, -1, v3
	v_add_u32_e32 v5, 32, v5
	v_min_u32_e32 v3, v3, v5
	v_lshlrev_b64 v[12:13], v3, v[12:13]
	v_sub_u32_e32 v3, 32, v3
	v_min_u32_e32 v5, 1, v12
	v_or_b32_e32 v5, v13, v5
	v_cvt_f32_i32_e32 v5, v5
	v_ldexp_f32 v3, v5, v3
	v_cvt_f16_f32_e32 v3, v3
	s_branch .LBB29_1503
.LBB29_1500:
	s_mov_b64 s[0:1], -1
                                        ; implicit-def: $vgpr3
	s_branch .LBB29_1509
.LBB29_1501:
	s_mov_b64 s[0:1], -1
                                        ; implicit-def: $vgpr3
	s_branch .LBB29_1506
.LBB29_1502:
	s_mov_b64 s[0:1], -1
                                        ; implicit-def: $vgpr3
.LBB29_1503:
	s_andn2_b64 vcc, exec, s[0:1]
	s_cbranch_vccnz .LBB29_1505
; %bb.1504:
	global_load_dword v3, v[10:11], off
	s_waitcnt vmcnt(0)
	v_cvt_f32_i32_e32 v3, v3
	v_cvt_f16_f32_e32 v3, v3
.LBB29_1505:
	s_mov_b64 s[0:1], 0
.LBB29_1506:
	s_andn2_b64 vcc, exec, s[0:1]
	s_cbranch_vccnz .LBB29_1508
; %bb.1507:
	global_load_ushort v3, v[10:11], off
	s_waitcnt vmcnt(0)
	v_cvt_f16_i16_e32 v3, v3
.LBB29_1508:
	s_mov_b64 s[0:1], 0
.LBB29_1509:
	s_andn2_b64 vcc, exec, s[0:1]
	s_cbranch_vccnz .LBB29_1515
; %bb.1510:
	s_cmp_gt_i32 s4, 0
	s_cbranch_scc0 .LBB29_1512
; %bb.1511:
	global_load_sbyte v3, v[10:11], off
	s_mov_b64 s[0:1], 0
	s_waitcnt vmcnt(0)
	v_cvt_f16_i16_e32 v3, v3
	s_branch .LBB29_1513
.LBB29_1512:
	s_mov_b64 s[0:1], -1
                                        ; implicit-def: $vgpr3
.LBB29_1513:
	s_andn2_b64 vcc, exec, s[0:1]
	s_cbranch_vccnz .LBB29_1515
; %bb.1514:
	global_load_ubyte v3, v[10:11], off
	s_waitcnt vmcnt(0)
	v_cvt_f16_u16_e32 v3, v3
.LBB29_1515:
.LBB29_1516:
	s_waitcnt vmcnt(0)
	v_cvt_f32_f16_e32 v5, v3
	v_cmp_neq_f16_e32 vcc, 0, v3
                                        ; implicit-def: $vgpr14
	s_and_saveexec_b64 s[0:1], vcc
	s_xor_b64 s[4:5], exec, s[0:1]
	s_cbranch_execz .LBB29_1538
; %bb.1517:
	v_cmp_gt_f16_e32 vcc, 0, v3
	s_mov_b64 s[0:1], -1
	v_mov_b32_e32 v8, 0
	s_and_saveexec_b64 s[6:7], vcc
	s_cbranch_execz .LBB29_1525
; %bb.1518:
	v_trunc_f32_e32 v8, v5
	v_cmp_neq_f32_e32 vcc, v8, v5
	s_mov_b64 s[14:15], 0
	v_mov_b32_e32 v8, 0
	s_and_saveexec_b64 s[12:13], vcc
	s_cbranch_execz .LBB29_1524
; %bb.1519:
	v_cvt_f32_f16_e32 v3, v3
	s_mov_b32 s0, 0
	s_mov_b32 s15, 0xc00921fb
	;; [unrolled: 1-line block ×3, first 2 shown]
	v_cvt_f64_f32_e32 v[10:11], v3
	s_mov_b32 s1, 0x7ff00000
	v_bfrev_b32_e32 v3, 1
	s_mov_b32 s16, 0
	v_trunc_f64_e32 v[12:13], v[10:11]
	v_cmp_neq_f64_e64 vcc, |v[10:11]|, s[0:1]
	s_mov_b32 s17, 0x41d00000
                                        ; implicit-def: $vgpr14_vgpr15
	v_add_f64 v[12:13], v[10:11], -v[12:13]
	v_mul_f64 v[12:13], |v[12:13]|, s[14:15]
	v_cndmask_b32_e32 v11, v3, v13, vcc
	v_cndmask_b32_e32 v10, 0, v12, vcc
	v_cmp_nlt_f64_e64 s[16:17], |v[10:11]|, s[16:17]
                                        ; implicit-def: $vgpr3
                                        ; implicit-def: $vgpr12_vgpr13
	s_and_saveexec_b64 s[20:21], s[16:17]
	s_xor_b64 s[16:17], exec, s[20:21]
	s_cbranch_execz .LBB29_1521
; %bb.1520:
	v_trig_preop_f64 v[12:13], |v[10:11]|, 0
	s_mov_b32 s20, 0
	s_mov_b32 s21, 0x7b000000
	s_movk_i32 s15, 0xff80
	v_ldexp_f64 v[16:17], |v[10:11]|, s15
	v_cmp_ge_f64_e64 vcc, |v[10:11]|, s[20:21]
	v_trig_preop_f64 v[14:15], |v[10:11]|, 1
	v_and_b32_e32 v3, 0x7fffffff, v11
	v_trig_preop_f64 v[24:25], |v[10:11]|, 2
	v_mov_b32_e32 v34, 0
	v_mov_b32_e32 v8, 0x3ff00000
	s_mov_b32 s15, 0x3ff921fb
	v_cndmask_b32_e32 v17, v3, v17, vcc
	v_cndmask_b32_e32 v16, v10, v16, vcc
	v_mov_b32_e32 v3, 0x40100000
	v_mul_f64 v[18:19], v[12:13], v[16:17]
	v_mul_f64 v[20:21], v[14:15], v[16:17]
	;; [unrolled: 1-line block ×3, first 2 shown]
	v_fma_f64 v[12:13], v[12:13], v[16:17], -v[18:19]
	v_fma_f64 v[14:15], v[14:15], v[16:17], -v[20:21]
	;; [unrolled: 1-line block ×3, first 2 shown]
	v_add_f64 v[22:23], v[20:21], v[12:13]
	v_add_f64 v[26:27], v[22:23], -v[20:21]
	v_add_f64 v[32:33], v[18:19], v[22:23]
	v_add_f64 v[28:29], v[22:23], -v[26:27]
	v_add_f64 v[12:13], v[12:13], -v[26:27]
	v_add_f64 v[26:27], v[30:31], v[14:15]
	v_add_f64 v[18:19], v[32:33], -v[18:19]
	v_add_f64 v[20:21], v[20:21], -v[28:29]
	v_ldexp_f64 v[28:29], v[32:33], -2
	v_add_f64 v[36:37], v[26:27], -v[30:31]
	v_add_f64 v[18:19], v[22:23], -v[18:19]
	v_add_f64 v[12:13], v[12:13], v[20:21]
	v_fract_f64_e32 v[20:21], v[28:29]
	v_cmp_neq_f64_e64 vcc, |v[28:29]|, s[0:1]
	v_add_f64 v[14:15], v[14:15], -v[36:37]
	v_add_f64 v[22:23], v[26:27], v[12:13]
	v_ldexp_f64 v[20:21], v[20:21], 2
	v_add_f64 v[28:29], v[18:19], v[22:23]
	v_cndmask_b32_e32 v21, 0, v21, vcc
	v_cndmask_b32_e32 v20, 0, v20, vcc
	v_add_f64 v[38:39], v[22:23], -v[26:27]
	v_add_f64 v[32:33], v[28:29], v[20:21]
	v_add_f64 v[18:19], v[28:29], -v[18:19]
	v_add_f64 v[40:41], v[22:23], -v[38:39]
	;; [unrolled: 1-line block ×3, first 2 shown]
	v_cmp_gt_f64_e32 vcc, 0, v[32:33]
	v_add_f64 v[32:33], v[26:27], -v[36:37]
	v_add_f64 v[18:19], v[22:23], -v[18:19]
	v_add_f64 v[26:27], v[26:27], -v[40:41]
	v_cndmask_b32_e32 v35, 0, v3, vcc
	v_add_f64 v[20:21], v[20:21], v[34:35]
	v_add_f64 v[32:33], v[30:31], -v[32:33]
	v_add_f64 v[12:13], v[12:13], v[26:27]
	v_add_f64 v[42:43], v[28:29], v[20:21]
	;; [unrolled: 1-line block ×3, first 2 shown]
	v_cvt_i32_f64_e32 v3, v[42:43]
	v_add_f64 v[12:13], v[14:15], v[12:13]
	v_cvt_f64_i32_e32 v[35:36], v3
	v_add_f64 v[20:21], v[20:21], -v[35:36]
	v_add_f64 v[12:13], v[16:17], v[12:13]
	v_add_f64 v[14:15], v[28:29], v[20:21]
	;; [unrolled: 1-line block ×3, first 2 shown]
	v_add_f64 v[16:17], v[14:15], -v[20:21]
	v_cmp_le_f64_e32 vcc, 0.5, v[14:15]
	v_add_f64 v[16:17], v[28:29], -v[16:17]
	v_cndmask_b32_e32 v35, 0, v8, vcc
	v_add_f64 v[14:15], v[14:15], -v[34:35]
	v_addc_co_u32_e64 v3, s[0:1], 0, v3, vcc
	s_mov_b32 s0, 0x33145c07
	s_mov_b32 s1, 0x3c91a626
	v_add_f64 v[12:13], v[12:13], v[16:17]
	v_add_f64 v[16:17], v[14:15], v[12:13]
	v_mul_f64 v[18:19], v[16:17], s[14:15]
	v_add_f64 v[14:15], v[16:17], -v[14:15]
	v_fma_f64 v[20:21], v[16:17], s[14:15], -v[18:19]
	v_add_f64 v[12:13], v[12:13], -v[14:15]
	v_fma_f64 v[14:15], v[16:17], s[0:1], v[20:21]
	v_fma_f64 v[14:15], v[12:13], s[14:15], v[14:15]
	v_add_f64 v[12:13], v[18:19], v[14:15]
	v_add_f64 v[16:17], v[12:13], -v[18:19]
	v_add_f64 v[14:15], v[14:15], -v[16:17]
.LBB29_1521:
	s_andn2_saveexec_b64 s[0:1], s[16:17]
	s_cbranch_execz .LBB29_1523
; %bb.1522:
	s_mov_b32 s14, 0x6dc9c883
	s_mov_b32 s15, 0x3fe45f30
	v_mul_f64 v[12:13], |v[10:11]|, s[14:15]
	s_mov_b32 s14, 0x54442d18
	s_mov_b32 s15, 0xbff921fb
	;; [unrolled: 1-line block ×4, first 2 shown]
	v_rndne_f64_e32 v[16:17], v[12:13]
	v_fma_f64 v[12:13], v[16:17], s[14:15], |v[10:11]|
	v_mul_f64 v[14:15], v[16:17], s[16:17]
	s_mov_b32 s14, 0x252049c0
	s_mov_b32 s15, 0xb97b839a
	v_cvt_i32_f64_e32 v3, v[16:17]
	v_fma_f64 v[22:23], v[16:17], s[16:17], v[12:13]
	v_add_f64 v[18:19], v[12:13], v[14:15]
	s_mov_b32 s17, 0x3c91a626
	v_add_f64 v[20:21], v[12:13], -v[18:19]
	v_add_f64 v[18:19], v[18:19], -v[22:23]
	v_add_f64 v[12:13], v[20:21], v[14:15]
	v_fma_f64 v[14:15], v[16:17], s[16:17], v[14:15]
	v_add_f64 v[12:13], v[18:19], v[12:13]
	v_add_f64 v[12:13], v[12:13], -v[14:15]
	v_fma_f64 v[14:15], v[16:17], s[14:15], v[12:13]
	v_add_f64 v[12:13], v[22:23], v[14:15]
	v_add_f64 v[18:19], v[12:13], -v[22:23]
	v_add_f64 v[14:15], v[14:15], -v[18:19]
.LBB29_1523:
	s_or_b64 exec, exec, s[0:1]
	v_mul_f64 v[16:17], v[12:13], v[12:13]
	v_add_f64 v[18:19], v[14:15], v[14:15]
	s_mov_b32 s0, 0xc751c08c
	s_mov_b32 s1, 0x3ef5e089
	v_and_b32_e32 v3, 1, v3
	v_cmp_eq_u32_e32 vcc, 0, v3
	v_and_b32_e32 v8, 0x80000000, v11
	s_mov_b32 s16, 0x54442d18
	v_fma_f64 v[20:21], v[12:13], v[12:13], -v[16:17]
	s_mov_b32 s17, 0xc00921fb
	s_mov_b64 s[14:15], exec
	v_sub_f32_e32 v5, 1.0, v5
	v_fma_f64 v[18:19], v[12:13], v[18:19], v[20:21]
	v_add_f64 v[16:17], v[16:17], v[18:19]
	v_mov_b32_e32 v18, 0xa9a29f71
	v_mov_b32_e32 v19, 0xbf078809
	v_fma_f64 v[18:19], v[16:17], s[0:1], v[18:19]
	s_mov_b32 s0, 0x90a8aae0
	s_mov_b32 s1, 0x3f17746f
	v_fma_f64 v[18:19], v[16:17], v[18:19], s[0:1]
	s_mov_b32 s0, 0xa6fbf144
	s_mov_b32 s1, 0xbefbb44d
	;; [unrolled: 3-line block ×12, first 2 shown]
	v_fma_f64 v[18:19], v[16:17], v[18:19], s[0:1]
	s_movk_i32 s0, 0x1f8
	v_cmp_class_f64_e64 s[0:1], v[10:11], s0
	v_mov_b32_e32 v11, 0x7ff80000
	v_mul_f64 v[16:17], v[16:17], v[18:19]
	v_mul_f64 v[18:19], v[12:13], v[16:17]
	v_add_f64 v[20:21], v[12:13], v[18:19]
	v_fma_f64 v[16:17], v[12:13], v[16:17], -v[18:19]
	v_add_f64 v[12:13], v[20:21], -v[12:13]
	v_add_f64 v[14:15], v[14:15], v[16:17]
	v_add_f64 v[12:13], v[18:19], -v[12:13]
	v_add_f64 v[12:13], v[14:15], v[12:13]
	v_add_f64 v[14:15], v[20:21], v[12:13]
	v_rcp_f64_e32 v[16:17], v[14:15]
	v_fma_f64 v[18:19], -v[14:15], v[16:17], 1.0
	v_fma_f64 v[16:17], v[18:19], v[16:17], v[16:17]
	v_fma_f64 v[18:19], -v[14:15], v[16:17], 1.0
	v_fma_f64 v[16:17], v[18:19], v[16:17], v[16:17]
	v_add_f64 v[18:19], v[14:15], -v[20:21]
	v_mul_f64 v[20:21], v[14:15], v[16:17]
	v_add_f64 v[12:13], v[12:13], -v[18:19]
	v_fma_f64 v[18:19], v[16:17], v[14:15], -v[20:21]
	v_fma_f64 v[12:13], v[16:17], v[12:13], v[18:19]
	v_add_f64 v[18:19], v[20:21], v[12:13]
	v_add_f64 v[22:23], -v[18:19], 1.0
	v_add_f64 v[20:21], v[18:19], -v[20:21]
	v_add_f64 v[24:25], -v[22:23], 1.0
	v_add_f64 v[12:13], v[20:21], -v[12:13]
	v_add_f64 v[18:19], v[24:25], -v[18:19]
	v_add_f64 v[12:13], v[12:13], v[18:19]
	v_add_f64 v[12:13], v[22:23], v[12:13]
	v_mul_f64 v[12:13], v[16:17], v[12:13]
	v_add_f64 v[12:13], v[16:17], v[12:13]
	v_xor_b32_e32 v10, 0x80000000, v13
	v_cndmask_b32_e32 v3, v12, v14, vcc
	v_cndmask_b32_e32 v12, v10, v15, vcc
	v_cndmask_b32_e64 v10, 0, v3, s[0:1]
	v_xor_b32_e32 v3, v12, v8
	v_cndmask_b32_e64 v11, v11, v3, s[0:1]
	v_div_scale_f64 v[12:13], s[0:1], v[10:11], v[10:11], s[16:17]
	v_div_scale_f64 v[18:19], vcc, s[16:17], v[10:11], s[16:17]
	v_rcp_f64_e32 v[14:15], v[12:13]
	v_fma_f64 v[16:17], -v[12:13], v[14:15], 1.0
	v_fma_f64 v[14:15], v[14:15], v[16:17], v[14:15]
	v_fma_f64 v[16:17], -v[12:13], v[14:15], 1.0
	v_fma_f64 v[14:15], v[14:15], v[16:17], v[14:15]
	v_mul_f64 v[16:17], v[18:19], v[14:15]
	v_fma_f64 v[12:13], -v[12:13], v[16:17], v[18:19]
	v_div_fmas_f64 v[12:13], v[12:13], v[14:15], v[16:17]
	v_div_fixup_f64 v[10:11], v[12:13], v[10:11], s[16:17]
	v_cvt_f32_f64_e32 v8, v[10:11]
.LBB29_1524:
	s_or_b64 exec, exec, s[12:13]
	s_orn2_b64 s[0:1], s[14:15], exec
.LBB29_1525:
	s_or_b64 exec, exec, s[6:7]
	v_mov_b32_e32 v14, 0x7e00
	s_and_saveexec_b64 s[6:7], s[0:1]
	s_cbranch_execz .LBB29_1537
; %bb.1526:
	s_mov_b32 s14, 0x41200000
	v_cmp_gt_f32_e32 vcc, s14, v5
	s_and_saveexec_b64 s[0:1], vcc
	s_cbranch_execz .LBB29_1530
; %bb.1527:
	s_mov_b64 s[12:13], 0
.LBB29_1528:                            ; =>This Inner Loop Header: Depth=1
	v_div_scale_f32 v3, s[16:17], v5, v5, 1.0
	v_div_scale_f32 v10, vcc, 1.0, v5, 1.0
	v_rcp_f32_e32 v11, v3
	v_fma_f32 v12, -v3, v11, 1.0
	v_fmac_f32_e32 v11, v12, v11
	v_mul_f32_e32 v12, v10, v11
	v_fma_f32 v13, -v3, v12, v10
	v_fmac_f32_e32 v12, v13, v11
	v_fma_f32 v3, -v3, v12, v10
	v_div_fmas_f32 v3, v3, v11, v12
	v_div_fixup_f32 v3, v3, v5, 1.0
	v_add_f32_e32 v5, 1.0, v5
	v_cmp_ngt_f32_e32 vcc, s14, v5
	s_or_b64 s[12:13], vcc, s[12:13]
	v_sub_f32_e32 v8, v8, v3
	s_andn2_b64 exec, exec, s[12:13]
	s_cbranch_execnz .LBB29_1528
; %bb.1529:
	s_or_b64 exec, exec, s[12:13]
.LBB29_1530:
	s_or_b64 exec, exec, s[0:1]
	s_mov_b32 s0, 0x41200000
	v_cmp_neq_f32_e32 vcc, s0, v5
                                        ; implicit-def: $vgpr14
	s_and_saveexec_b64 s[0:1], vcc
	s_xor_b64 s[12:13], exec, s[0:1]
	s_cbranch_execz .LBB29_1534
; %bb.1531:
	v_cvt_f64_f32_e32 v[10:11], v5
	s_mov_b32 s0, 0x85d8a000
	s_mov_b32 s1, 0x43763457
	v_mov_b32_e32 v3, 0
	v_cmp_gt_f64_e32 vcc, s[0:1], v[10:11]
	s_and_saveexec_b64 s[0:1], vcc
	s_cbranch_execz .LBB29_1533
; %bb.1532:
	v_mul_f32_e32 v3, v5, v5
	v_div_scale_f32 v10, s[14:15], v3, v3, 1.0
	v_div_scale_f32 v11, vcc, 1.0, v3, 1.0
	v_mov_b32_e32 v15, 0x3b820821
	v_rcp_f32_e32 v12, v10
	v_fma_f32 v13, -v10, v12, 1.0
	v_fmac_f32_e32 v12, v13, v12
	v_mul_f32_e32 v13, v11, v12
	v_fma_f32 v14, -v10, v13, v11
	v_fmac_f32_e32 v13, v14, v12
	v_fma_f32 v10, -v10, v13, v11
	v_div_fmas_f32 v10, v10, v12, v13
	v_mov_b32_e32 v11, 0x3daaaaab
	v_mov_b32_e32 v12, 0xbcaccacd
	;; [unrolled: 1-line block ×4, first 2 shown]
	v_div_fixup_f32 v3, v10, v3, 1.0
	v_fma_f32 v10, 0, v3, v11
	v_fmac_f32_e32 v12, v3, v10
	v_fmac_f32_e32 v13, v3, v12
	;; [unrolled: 1-line block ×4, first 2 shown]
	v_mov_b32_e32 v10, 0xbc088889
	v_fmac_f32_e32 v10, v3, v15
	v_fmac_f32_e32 v11, v3, v10
	v_mul_f32_e32 v3, v3, v11
.LBB29_1533:
	s_or_b64 exec, exec, s[0:1]
	v_div_scale_f32 v10, s[0:1], v5, v5, -0.5
	v_div_scale_f32 v11, vcc, -0.5, v5, -0.5
	s_mov_b32 s0, 0x800000
	v_cmp_gt_f32_e64 s[0:1], s0, v5
	v_cndmask_b32_e64 v13, 0, 32, s[0:1]
	s_mov_b32 s14, 0x3f317217
	v_rcp_f32_e32 v12, v10
	v_fma_f32 v14, -v10, v12, 1.0
	v_fmac_f32_e32 v12, v14, v12
	v_mul_f32_e32 v14, v11, v12
	v_fma_f32 v15, -v10, v14, v11
	v_fmac_f32_e32 v14, v15, v12
	v_fma_f32 v10, -v10, v14, v11
	v_div_fmas_f32 v10, v10, v12, v14
	v_ldexp_f32 v11, v5, v13
	v_log_f32_e32 v11, v11
	v_mul_f32_e32 v12, 0x3f317217, v11
	v_fma_f32 v12, v11, s14, -v12
	v_fmac_f32_e32 v12, 0x3377d1cf, v11
	s_mov_b32 s14, 0x7f800000
	v_fmac_f32_e32 v12, 0x3f317217, v11
	v_cmp_lt_f32_e64 vcc, |v11|, s14
	v_cndmask_b32_e32 v11, v11, v12, vcc
	v_mov_b32_e32 v12, 0x41b17218
	v_cndmask_b32_e64 v12, 0, v12, s[0:1]
	v_sub_f32_e32 v11, v11, v12
	v_div_fixup_f32 v5, v10, v5, -0.5
	v_add_f32_e32 v5, v11, v5
	v_sub_f32_e32 v3, v5, v3
	v_add_f32_e32 v3, v8, v3
	v_cvt_f16_f32_e32 v14, v3
                                        ; implicit-def: $vgpr8
.LBB29_1534:
	s_andn2_saveexec_b64 s[0:1], s[12:13]
; %bb.1535:
	v_add_f32_e32 v3, 0x40101cb7, v8
	v_cvt_f16_f32_e32 v14, v3
; %bb.1536:
	s_or_b64 exec, exec, s[0:1]
.LBB29_1537:
	s_or_b64 exec, exec, s[6:7]
                                        ; implicit-def: $vgpr5
.LBB29_1538:
	s_andn2_saveexec_b64 s[0:1], s[4:5]
; %bb.1539:
	v_xor_b32_e32 v3, 0x80000000, v5
	s_movk_i32 s4, 0x8000
	v_and_b32_sdwa v3, v3, s4 dst_sel:DWORD dst_unused:UNUSED_PAD src0_sel:WORD_1 src1_sel:DWORD
	v_or_b32_e32 v14, 0x7c00, v3
; %bb.1540:
	s_or_b64 exec, exec, s[0:1]
	v_mov_b32_e32 v3, s11
	v_add_co_u32_e32 v8, vcc, s10, v9
	s_cmp_lt_i32 s19, 11
	v_addc_co_u32_e32 v9, vcc, 0, v3, vcc
	s_cbranch_scc1 .LBB29_1547
; %bb.1541:
	s_and_b32 s16, 0xffff, s19
	s_cmp_gt_i32 s16, 25
	s_mov_b64 s[4:5], 0
	s_cbranch_scc0 .LBB29_1549
; %bb.1542:
	s_cmp_gt_i32 s16, 28
	s_cbranch_scc0 .LBB29_1550
; %bb.1543:
	s_cmp_gt_i32 s16, 43
	;; [unrolled: 3-line block ×3, first 2 shown]
	s_cbranch_scc0 .LBB29_1553
; %bb.1545:
	s_cmp_eq_u32 s16, 46
	s_mov_b64 s[12:13], 0
	s_cbranch_scc0 .LBB29_1554
; %bb.1546:
	global_load_dword v3, v[8:9], off
	s_mov_b64 s[0:1], 0
	s_mov_b64 s[6:7], -1
	s_waitcnt vmcnt(0)
	v_lshlrev_b32_e32 v3, 16, v3
	v_cvt_f16_f32_e32 v3, v3
	s_branch .LBB29_1555
.LBB29_1547:
	s_mov_b64 s[6:7], 0
                                        ; implicit-def: $vgpr3
	s_cbranch_execnz .LBB29_1621
.LBB29_1548:
	s_andn2_b64 vcc, exec, s[6:7]
	s_cbranch_vccnz .LBB29_1925
	s_branch .LBB29_1669
.LBB29_1549:
	s_mov_b64 s[12:13], -1
	s_mov_b64 s[6:7], 0
	s_mov_b64 s[0:1], 0
                                        ; implicit-def: $vgpr3
	s_branch .LBB29_1584
.LBB29_1550:
	s_mov_b64 s[12:13], -1
	s_mov_b64 s[6:7], 0
	s_mov_b64 s[0:1], 0
                                        ; implicit-def: $vgpr3
	s_branch .LBB29_1565
.LBB29_1551:
	s_mov_b64 s[12:13], -1
	s_mov_b64 s[6:7], 0
	s_mov_b64 s[0:1], 0
                                        ; implicit-def: $vgpr3
	s_branch .LBB29_1560
.LBB29_1552:
	s_trap 2
	s_or_b64 s[2:3], s[2:3], exec
	s_cbranch_execz .LBB29_1467
	s_branch .LBB29_1468
.LBB29_1553:
	s_mov_b64 s[12:13], -1
	s_mov_b64 s[6:7], 0
	s_mov_b64 s[0:1], 0
                                        ; implicit-def: $vgpr3
	s_branch .LBB29_1555
.LBB29_1554:
	s_mov_b64 s[0:1], -1
                                        ; implicit-def: $vgpr3
	s_mov_b64 s[6:7], 0
.LBB29_1555:
	s_and_b64 vcc, exec, s[12:13]
	s_cbranch_vccz .LBB29_1559
; %bb.1556:
	s_cmp_eq_u32 s16, 44
	s_cbranch_scc0 .LBB29_1558
; %bb.1557:
	global_load_ubyte v3, v[8:9], off
	s_movk_i32 s6, 0xff
	v_mov_b32_e32 v10, 0x7e00
	s_mov_b64 s[0:1], 0
	s_waitcnt vmcnt(0)
	v_lshlrev_b32_e32 v5, 23, v3
	v_cvt_f16_f32_e32 v5, v5
	v_cmp_ne_u32_e32 vcc, s6, v3
	s_mov_b64 s[6:7], -1
	v_cndmask_b32_e32 v5, v10, v5, vcc
	v_cmp_ne_u32_e32 vcc, 0, v3
	v_cndmask_b32_e32 v3, 0, v5, vcc
	s_branch .LBB29_1559
.LBB29_1558:
	s_mov_b64 s[0:1], -1
                                        ; implicit-def: $vgpr3
.LBB29_1559:
	s_mov_b64 s[12:13], 0
.LBB29_1560:
	s_and_b64 vcc, exec, s[12:13]
	s_cbranch_vccz .LBB29_1564
; %bb.1561:
	s_cmp_eq_u32 s16, 29
	s_cbranch_scc0 .LBB29_1563
; %bb.1562:
	global_load_dwordx2 v[10:11], v[8:9], off
	s_mov_b64 s[0:1], 0
	s_mov_b64 s[6:7], -1
	s_mov_b64 s[12:13], 0
	s_waitcnt vmcnt(0)
	v_ffbh_u32_e32 v3, v11
	v_min_u32_e32 v3, 32, v3
	v_lshlrev_b64 v[10:11], v3, v[10:11]
	v_sub_u32_e32 v3, 32, v3
	v_min_u32_e32 v5, 1, v10
	v_or_b32_e32 v5, v11, v5
	v_cvt_f32_u32_e32 v5, v5
	v_ldexp_f32 v3, v5, v3
	v_cvt_f16_f32_e32 v3, v3
	s_branch .LBB29_1565
.LBB29_1563:
	s_mov_b64 s[0:1], -1
                                        ; implicit-def: $vgpr3
.LBB29_1564:
	s_mov_b64 s[12:13], 0
.LBB29_1565:
	s_and_b64 vcc, exec, s[12:13]
	s_cbranch_vccz .LBB29_1583
; %bb.1566:
	s_cmp_lt_i32 s16, 27
	s_cbranch_scc1 .LBB29_1569
; %bb.1567:
	s_cmp_gt_i32 s16, 27
	s_cbranch_scc0 .LBB29_1570
; %bb.1568:
	global_load_dword v3, v[8:9], off
	s_mov_b64 s[6:7], 0
	s_waitcnt vmcnt(0)
	v_cvt_f32_u32_e32 v3, v3
	v_cvt_f16_f32_e32 v3, v3
	s_branch .LBB29_1571
.LBB29_1569:
	s_mov_b64 s[6:7], -1
                                        ; implicit-def: $vgpr3
	s_branch .LBB29_1574
.LBB29_1570:
	s_mov_b64 s[6:7], -1
                                        ; implicit-def: $vgpr3
.LBB29_1571:
	s_andn2_b64 vcc, exec, s[6:7]
	s_cbranch_vccnz .LBB29_1573
; %bb.1572:
	global_load_ushort v3, v[8:9], off
	s_waitcnt vmcnt(0)
	v_cvt_f16_u16_e32 v3, v3
.LBB29_1573:
	s_mov_b64 s[6:7], 0
.LBB29_1574:
	s_andn2_b64 vcc, exec, s[6:7]
	s_cbranch_vccnz .LBB29_1582
; %bb.1575:
	global_load_ubyte v5, v[8:9], off
	s_movk_i32 s6, 0x7f
	s_waitcnt vmcnt(0)
	v_cmp_lt_i16_e32 vcc, s6, v5
	s_mov_b64 s[6:7], 0
	s_and_saveexec_b64 s[12:13], vcc
	s_xor_b64 s[12:13], exec, s[12:13]
	s_cbranch_execz .LBB29_1596
; %bb.1576:
	s_movk_i32 s6, 0x80
	v_cmp_eq_u16_e32 vcc, s6, v5
	s_mov_b64 s[6:7], -1
	s_and_saveexec_b64 s[14:15], vcc
; %bb.1577:
	s_xor_b64 s[6:7], exec, -1
; %bb.1578:
	s_or_b64 exec, exec, s[14:15]
	s_and_b64 s[6:7], s[6:7], exec
	s_or_saveexec_b64 s[12:13], s[12:13]
	v_mov_b32_e32 v3, 0x7e00
	s_xor_b64 exec, exec, s[12:13]
	s_cbranch_execnz .LBB29_1597
.LBB29_1579:
	s_or_b64 exec, exec, s[12:13]
	s_and_saveexec_b64 s[12:13], s[6:7]
	s_cbranch_execz .LBB29_1581
.LBB29_1580:
	v_lshlrev_b32_e32 v3, 24, v5
	v_and_b32_e32 v5, 0xffff, v5
	v_and_b32_e32 v10, 7, v5
	v_ffbh_u32_e32 v12, v10
	v_min_u32_e32 v12, 32, v12
	v_subrev_u32_e32 v13, 28, v12
	v_bfe_u32 v11, v5, 3, 4
	v_lshlrev_b32_e32 v5, v13, v5
	v_sub_u32_e32 v12, 29, v12
	v_and_b32_e32 v5, 7, v5
	v_cmp_eq_u32_e32 vcc, 0, v11
	v_cndmask_b32_e32 v11, v11, v12, vcc
	v_cndmask_b32_e32 v5, v10, v5, vcc
	v_mov_b32_e32 v10, 0x3b800000
	v_lshlrev_b32_e32 v5, 20, v5
	v_and_b32_e32 v3, 0x80000000, v3
	v_lshl_add_u32 v10, v11, 23, v10
	v_or3_b32 v3, v3, v10, v5
	v_cvt_f16_f32_e32 v3, v3
.LBB29_1581:
	s_or_b64 exec, exec, s[12:13]
.LBB29_1582:
	s_mov_b64 s[6:7], -1
.LBB29_1583:
	s_mov_b64 s[12:13], 0
.LBB29_1584:
	s_and_b64 vcc, exec, s[12:13]
	s_cbranch_vccz .LBB29_1617
; %bb.1585:
	s_cmp_gt_i32 s16, 22
	s_cbranch_scc0 .LBB29_1595
; %bb.1586:
	s_cmp_lt_i32 s16, 24
	s_cbranch_scc1 .LBB29_1598
; %bb.1587:
	s_cmp_gt_i32 s16, 24
	s_cbranch_scc0 .LBB29_1599
; %bb.1588:
	global_load_ubyte v5, v[8:9], off
	s_movk_i32 s4, 0x7f
	s_waitcnt vmcnt(0)
	v_cmp_lt_i16_e32 vcc, s4, v5
	s_mov_b64 s[4:5], 0
	s_and_saveexec_b64 s[6:7], vcc
	s_xor_b64 s[6:7], exec, s[6:7]
	s_cbranch_execz .LBB29_1611
; %bb.1589:
	s_movk_i32 s4, 0x80
	v_cmp_eq_u16_e32 vcc, s4, v5
	s_mov_b64 s[4:5], -1
	s_and_saveexec_b64 s[12:13], vcc
; %bb.1590:
	s_xor_b64 s[4:5], exec, -1
; %bb.1591:
	s_or_b64 exec, exec, s[12:13]
	s_and_b64 s[4:5], s[4:5], exec
	s_or_saveexec_b64 s[6:7], s[6:7]
	v_mov_b32_e32 v3, 0x7e00
	s_xor_b64 exec, exec, s[6:7]
	s_cbranch_execnz .LBB29_1612
.LBB29_1592:
	s_or_b64 exec, exec, s[6:7]
	s_and_saveexec_b64 s[6:7], s[4:5]
	s_cbranch_execz .LBB29_1594
.LBB29_1593:
	v_lshlrev_b32_e32 v3, 24, v5
	v_and_b32_e32 v5, 0xffff, v5
	v_and_b32_e32 v10, 3, v5
	v_ffbh_u32_e32 v12, v10
	v_min_u32_e32 v12, 32, v12
	v_subrev_u32_e32 v13, 29, v12
	v_bfe_u32 v11, v5, 2, 5
	v_lshlrev_b32_e32 v5, v13, v5
	v_sub_u32_e32 v12, 30, v12
	v_and_b32_e32 v5, 3, v5
	v_cmp_eq_u32_e32 vcc, 0, v11
	v_cndmask_b32_e32 v11, v11, v12, vcc
	v_cndmask_b32_e32 v5, v10, v5, vcc
	v_mov_b32_e32 v10, 0x37800000
	v_lshlrev_b32_e32 v5, 21, v5
	v_and_b32_e32 v3, 0x80000000, v3
	v_lshl_add_u32 v10, v11, 23, v10
	v_or3_b32 v3, v3, v10, v5
	v_cvt_f16_f32_e32 v3, v3
.LBB29_1594:
	s_or_b64 exec, exec, s[6:7]
	s_mov_b64 s[4:5], 0
	s_branch .LBB29_1600
.LBB29_1595:
	s_mov_b64 s[4:5], -1
                                        ; implicit-def: $vgpr3
	s_branch .LBB29_1606
.LBB29_1596:
	s_or_saveexec_b64 s[12:13], s[12:13]
	v_mov_b32_e32 v3, 0x7e00
	s_xor_b64 exec, exec, s[12:13]
	s_cbranch_execz .LBB29_1579
.LBB29_1597:
	v_cmp_ne_u16_e32 vcc, 0, v5
	s_andn2_b64 s[6:7], s[6:7], exec
	s_and_b64 s[14:15], vcc, exec
	s_or_b64 s[6:7], s[6:7], s[14:15]
	v_mov_b32_e32 v3, v5
	s_or_b64 exec, exec, s[12:13]
	s_and_saveexec_b64 s[12:13], s[6:7]
	s_cbranch_execnz .LBB29_1580
	s_branch .LBB29_1581
.LBB29_1598:
	s_mov_b64 s[4:5], -1
                                        ; implicit-def: $vgpr3
	s_branch .LBB29_1603
.LBB29_1599:
	s_mov_b64 s[4:5], -1
                                        ; implicit-def: $vgpr3
.LBB29_1600:
	s_and_b64 vcc, exec, s[4:5]
	s_cbranch_vccz .LBB29_1602
; %bb.1601:
	global_load_ubyte v3, v[8:9], off
	s_mov_b32 s4, 0x7f800000
	s_waitcnt vmcnt(0)
	v_lshlrev_b32_e32 v3, 24, v3
	v_and_b32_e32 v5, 0x7f000000, v3
	v_ffbh_u32_e32 v10, v5
	v_min_u32_e32 v10, 32, v10
	v_sub_u32_e64 v10, v10, 4 clamp
	v_lshlrev_b32_e32 v12, v10, v5
	v_lshlrev_b32_e32 v10, 23, v10
	v_lshrrev_b32_e32 v12, 4, v12
	v_add_u32_e32 v11, 0x1000000, v5
	v_sub_u32_e32 v10, v12, v10
	v_ashrrev_i32_e32 v11, 8, v11
	v_add_u32_e32 v10, 0x3c000000, v10
	v_and_or_b32 v10, v11, s4, v10
	v_cmp_ne_u32_e32 vcc, 0, v5
	v_cndmask_b32_e32 v5, 0, v10, vcc
	s_brev_b32 s4, 1
	v_and_or_b32 v3, v3, s4, v5
	v_cvt_f16_f32_e32 v3, v3
.LBB29_1602:
	s_mov_b64 s[4:5], 0
.LBB29_1603:
	s_andn2_b64 vcc, exec, s[4:5]
	s_cbranch_vccnz .LBB29_1605
; %bb.1604:
	global_load_ubyte v3, v[8:9], off
	s_movk_i32 s4, 0x7f00
	s_brev_b32 s5, 16
	s_waitcnt vmcnt(0)
	v_lshlrev_b16_e32 v5, 8, v3
	v_lshlrev_b32_e32 v3, 25, v3
	v_lshrrev_b32_e32 v10, 4, v3
	v_and_or_b32 v11, v5, s4, 0.5
	v_or_b32_e32 v10, 0x70000000, v10
	v_add_f32_e32 v11, -0.5, v11
	v_mul_f32_e32 v10, 0x7800000, v10
	v_cmp_gt_u32_e32 vcc, s5, v3
	v_bfe_i32 v5, v5, 0, 16
	v_cndmask_b32_e32 v3, v10, v11, vcc
	s_brev_b32 s4, 1
	v_and_or_b32 v3, v5, s4, v3
	v_cvt_f16_f32_e32 v3, v3
.LBB29_1605:
	s_mov_b64 s[4:5], 0
	s_mov_b64 s[6:7], -1
.LBB29_1606:
	s_andn2_b64 vcc, exec, s[4:5]
	s_mov_b64 s[4:5], 0
	s_cbranch_vccnz .LBB29_1617
; %bb.1607:
	s_cmp_gt_i32 s16, 14
	s_cbranch_scc0 .LBB29_1610
; %bb.1608:
	s_cmp_eq_u32 s16, 15
	s_cbranch_scc0 .LBB29_1613
; %bb.1609:
	global_load_ushort v3, v[8:9], off
	s_mov_b64 s[0:1], 0
	s_mov_b64 s[6:7], -1
	s_waitcnt vmcnt(0)
	v_lshlrev_b32_e32 v3, 16, v3
	v_cvt_f16_f32_e32 v3, v3
	s_branch .LBB29_1614
.LBB29_1610:
	s_mov_b64 s[12:13], -1
                                        ; implicit-def: $vgpr3
	s_branch .LBB29_1615
.LBB29_1611:
	s_or_saveexec_b64 s[6:7], s[6:7]
	v_mov_b32_e32 v3, 0x7e00
	s_xor_b64 exec, exec, s[6:7]
	s_cbranch_execz .LBB29_1592
.LBB29_1612:
	v_cmp_ne_u16_e32 vcc, 0, v5
	s_andn2_b64 s[4:5], s[4:5], exec
	s_and_b64 s[12:13], vcc, exec
	s_or_b64 s[4:5], s[4:5], s[12:13]
	v_mov_b32_e32 v3, v5
	s_or_b64 exec, exec, s[6:7]
	s_and_saveexec_b64 s[6:7], s[4:5]
	s_cbranch_execnz .LBB29_1593
	s_branch .LBB29_1594
.LBB29_1613:
	s_mov_b64 s[0:1], -1
                                        ; implicit-def: $vgpr3
.LBB29_1614:
	s_mov_b64 s[12:13], 0
.LBB29_1615:
	s_and_b64 vcc, exec, s[12:13]
	s_cbranch_vccz .LBB29_1617
; %bb.1616:
	s_cmp_lg_u32 s16, 11
	s_mov_b64 s[4:5], -1
	s_cselect_b64 s[0:1], -1, 0
.LBB29_1617:
	s_and_b64 vcc, exec, s[0:1]
	s_cbranch_vccnz .LBB29_1704
; %bb.1618:
	s_andn2_b64 vcc, exec, s[4:5]
	s_cbranch_vccnz .LBB29_1620
.LBB29_1619:
	global_load_ubyte v3, v[8:9], off
	v_mov_b32_e32 v5, 0x3c00
	s_mov_b64 s[6:7], -1
	s_waitcnt vmcnt(0)
	v_cmp_ne_u16_e32 vcc, 0, v3
	v_cndmask_b32_e32 v3, 0, v5, vcc
.LBB29_1620:
	s_branch .LBB29_1548
.LBB29_1621:
	s_and_b32 s4, 0xffff, s19
	s_cmp_lt_i32 s4, 5
	s_cbranch_scc1 .LBB29_1626
; %bb.1622:
	s_cmp_lt_i32 s4, 8
	s_cbranch_scc1 .LBB29_1627
; %bb.1623:
	;; [unrolled: 3-line block ×3, first 2 shown]
	s_cmp_gt_i32 s4, 9
	s_cbranch_scc0 .LBB29_1629
; %bb.1625:
	global_load_dwordx2 v[10:11], v[8:9], off
	s_movk_i32 s0, 0x1ff
	s_movk_i32 s1, 0xffe
	v_mov_b32_e32 v3, 0x7c00
	v_mov_b32_e32 v5, 0x7e00
	s_movk_i32 s5, 0x40f
	s_mov_b32 s6, 0x8000
	s_waitcnt vmcnt(0)
	v_and_or_b32 v10, v11, s0, v10
	v_cmp_ne_u32_e32 vcc, 0, v10
	v_lshrrev_b32_e32 v12, 8, v11
	v_bfe_u32 v13, v11, 20, 11
	v_cndmask_b32_e64 v10, 0, 1, vcc
	v_sub_u32_e32 v15, 0x3f1, v13
	v_and_or_b32 v10, v12, s1, v10
	v_add_u32_e32 v13, 0xfffffc10, v13
	v_med3_i32 v12, v15, 0, 13
	v_or_b32_e32 v15, 0x1000, v10
	v_lshl_or_b32 v16, v13, 12, v10
	v_cmp_ne_u32_e32 vcc, 0, v10
	v_lshrrev_b32_e32 v10, v12, v15
	v_lshlrev_b32_e32 v12, v12, v10
	v_cndmask_b32_e32 v5, v3, v5, vcc
	v_cmp_ne_u32_e32 vcc, v12, v15
	v_cndmask_b32_e64 v12, 0, 1, vcc
	v_or_b32_e32 v10, v10, v12
	v_cmp_gt_i32_e32 vcc, 1, v13
	v_cndmask_b32_e32 v10, v16, v10, vcc
	v_and_b32_e32 v12, 7, v10
	v_cmp_lt_i32_e32 vcc, 5, v12
	v_cndmask_b32_e64 v15, 0, 1, vcc
	v_cmp_eq_u32_e32 vcc, 3, v12
	v_cndmask_b32_e64 v12, 0, 1, vcc
	v_lshrrev_b32_e32 v10, 2, v10
	v_or_b32_e32 v12, v12, v15
	v_add_u32_e32 v10, v10, v12
	v_cmp_gt_i32_e32 vcc, 31, v13
	v_cndmask_b32_e32 v3, v3, v10, vcc
	v_cmp_eq_u32_e32 vcc, s5, v13
	v_lshrrev_b32_e32 v11, 16, v11
	v_cndmask_b32_e32 v3, v3, v5, vcc
	v_and_or_b32 v3, v11, s6, v3
	s_mov_b64 s[0:1], 0
	s_branch .LBB29_1630
.LBB29_1626:
	s_mov_b64 s[0:1], -1
                                        ; implicit-def: $vgpr3
	s_branch .LBB29_1648
.LBB29_1627:
	s_mov_b64 s[0:1], -1
                                        ; implicit-def: $vgpr3
	s_branch .LBB29_1636
.LBB29_1628:
	s_mov_b64 s[0:1], -1
                                        ; implicit-def: $vgpr3
	s_branch .LBB29_1633
.LBB29_1629:
	s_mov_b64 s[0:1], -1
                                        ; implicit-def: $vgpr3
.LBB29_1630:
	s_andn2_b64 vcc, exec, s[0:1]
	s_cbranch_vccnz .LBB29_1632
; %bb.1631:
	global_load_dword v3, v[8:9], off
	s_waitcnt vmcnt(0)
	v_cvt_f16_f32_e32 v3, v3
.LBB29_1632:
	s_mov_b64 s[0:1], 0
.LBB29_1633:
	s_andn2_b64 vcc, exec, s[0:1]
	s_cbranch_vccnz .LBB29_1635
; %bb.1634:
	global_load_dword v3, v[8:9], off
.LBB29_1635:
	s_mov_b64 s[0:1], 0
.LBB29_1636:
	s_andn2_b64 vcc, exec, s[0:1]
	s_cbranch_vccnz .LBB29_1647
; %bb.1637:
	s_cmp_lt_i32 s4, 6
	s_cbranch_scc1 .LBB29_1640
; %bb.1638:
	s_cmp_gt_i32 s4, 6
	s_cbranch_scc0 .LBB29_1641
; %bb.1639:
	global_load_dwordx2 v[10:11], v[8:9], off
	s_movk_i32 s0, 0x1ff
	s_movk_i32 s1, 0xffe
	s_waitcnt vmcnt(1)
	v_mov_b32_e32 v3, 0x7c00
	v_mov_b32_e32 v5, 0x7e00
	s_movk_i32 s5, 0x40f
	s_mov_b32 s6, 0x8000
	s_waitcnt vmcnt(0)
	v_and_or_b32 v10, v11, s0, v10
	v_cmp_ne_u32_e32 vcc, 0, v10
	v_lshrrev_b32_e32 v12, 8, v11
	v_bfe_u32 v13, v11, 20, 11
	v_cndmask_b32_e64 v10, 0, 1, vcc
	v_sub_u32_e32 v15, 0x3f1, v13
	v_and_or_b32 v10, v12, s1, v10
	v_add_u32_e32 v13, 0xfffffc10, v13
	v_med3_i32 v12, v15, 0, 13
	v_or_b32_e32 v15, 0x1000, v10
	v_lshl_or_b32 v16, v13, 12, v10
	v_cmp_ne_u32_e32 vcc, 0, v10
	v_lshrrev_b32_e32 v10, v12, v15
	v_lshlrev_b32_e32 v12, v12, v10
	v_cndmask_b32_e32 v5, v3, v5, vcc
	v_cmp_ne_u32_e32 vcc, v12, v15
	v_cndmask_b32_e64 v12, 0, 1, vcc
	v_or_b32_e32 v10, v10, v12
	v_cmp_gt_i32_e32 vcc, 1, v13
	v_cndmask_b32_e32 v10, v16, v10, vcc
	v_and_b32_e32 v12, 7, v10
	v_cmp_lt_i32_e32 vcc, 5, v12
	v_cndmask_b32_e64 v15, 0, 1, vcc
	v_cmp_eq_u32_e32 vcc, 3, v12
	v_cndmask_b32_e64 v12, 0, 1, vcc
	v_lshrrev_b32_e32 v10, 2, v10
	v_or_b32_e32 v12, v12, v15
	v_add_u32_e32 v10, v10, v12
	v_cmp_gt_i32_e32 vcc, 31, v13
	v_cndmask_b32_e32 v3, v3, v10, vcc
	v_cmp_eq_u32_e32 vcc, s5, v13
	v_lshrrev_b32_e32 v11, 16, v11
	v_cndmask_b32_e32 v3, v3, v5, vcc
	v_and_or_b32 v3, v11, s6, v3
	s_mov_b64 s[0:1], 0
	s_branch .LBB29_1642
.LBB29_1640:
	s_mov_b64 s[0:1], -1
                                        ; implicit-def: $vgpr3
	s_branch .LBB29_1645
.LBB29_1641:
	s_mov_b64 s[0:1], -1
                                        ; implicit-def: $vgpr3
.LBB29_1642:
	s_andn2_b64 vcc, exec, s[0:1]
	s_cbranch_vccnz .LBB29_1644
; %bb.1643:
	global_load_dword v3, v[8:9], off
	s_waitcnt vmcnt(0)
	v_cvt_f16_f32_e32 v3, v3
.LBB29_1644:
	s_mov_b64 s[0:1], 0
.LBB29_1645:
	s_andn2_b64 vcc, exec, s[0:1]
	s_cbranch_vccnz .LBB29_1647
; %bb.1646:
	global_load_ushort v3, v[8:9], off
.LBB29_1647:
	s_mov_b64 s[0:1], 0
.LBB29_1648:
	s_andn2_b64 vcc, exec, s[0:1]
	s_cbranch_vccnz .LBB29_1668
; %bb.1649:
	s_cmp_lt_i32 s4, 2
	s_cbranch_scc1 .LBB29_1653
; %bb.1650:
	s_cmp_lt_i32 s4, 3
	s_cbranch_scc1 .LBB29_1654
; %bb.1651:
	s_cmp_gt_i32 s4, 3
	s_cbranch_scc0 .LBB29_1655
; %bb.1652:
	global_load_dwordx2 v[10:11], v[8:9], off
	s_mov_b64 s[0:1], 0
	s_waitcnt vmcnt(0)
	v_xor_b32_e32 v5, v10, v11
	v_ffbh_i32_e32 v3, v11
	v_ashrrev_i32_e32 v5, 31, v5
	v_add_u32_e32 v3, -1, v3
	v_add_u32_e32 v5, 32, v5
	v_min_u32_e32 v3, v3, v5
	v_lshlrev_b64 v[10:11], v3, v[10:11]
	v_sub_u32_e32 v3, 32, v3
	v_min_u32_e32 v5, 1, v10
	v_or_b32_e32 v5, v11, v5
	v_cvt_f32_i32_e32 v5, v5
	v_ldexp_f32 v3, v5, v3
	v_cvt_f16_f32_e32 v3, v3
	s_branch .LBB29_1656
.LBB29_1653:
	s_mov_b64 s[0:1], -1
                                        ; implicit-def: $vgpr3
	s_branch .LBB29_1662
.LBB29_1654:
	s_mov_b64 s[0:1], -1
                                        ; implicit-def: $vgpr3
	s_branch .LBB29_1659
.LBB29_1655:
	s_mov_b64 s[0:1], -1
                                        ; implicit-def: $vgpr3
.LBB29_1656:
	s_andn2_b64 vcc, exec, s[0:1]
	s_cbranch_vccnz .LBB29_1658
; %bb.1657:
	global_load_dword v3, v[8:9], off
	s_waitcnt vmcnt(0)
	v_cvt_f32_i32_e32 v3, v3
	v_cvt_f16_f32_e32 v3, v3
.LBB29_1658:
	s_mov_b64 s[0:1], 0
.LBB29_1659:
	s_andn2_b64 vcc, exec, s[0:1]
	s_cbranch_vccnz .LBB29_1661
; %bb.1660:
	global_load_ushort v3, v[8:9], off
	s_waitcnt vmcnt(0)
	v_cvt_f16_i16_e32 v3, v3
.LBB29_1661:
	s_mov_b64 s[0:1], 0
.LBB29_1662:
	s_andn2_b64 vcc, exec, s[0:1]
	s_cbranch_vccnz .LBB29_1668
; %bb.1663:
	s_cmp_gt_i32 s4, 0
	s_cbranch_scc0 .LBB29_1665
; %bb.1664:
	global_load_sbyte v3, v[8:9], off
	s_mov_b64 s[0:1], 0
	s_waitcnt vmcnt(0)
	v_cvt_f16_i16_e32 v3, v3
	s_branch .LBB29_1666
.LBB29_1665:
	s_mov_b64 s[0:1], -1
                                        ; implicit-def: $vgpr3
.LBB29_1666:
	s_andn2_b64 vcc, exec, s[0:1]
	s_cbranch_vccnz .LBB29_1668
; %bb.1667:
	global_load_ubyte v3, v[8:9], off
	s_waitcnt vmcnt(0)
	v_cvt_f16_u16_e32 v3, v3
.LBB29_1668:
.LBB29_1669:
	s_waitcnt vmcnt(0)
	v_cvt_f32_f16_e32 v5, v3
	v_cmp_neq_f16_e32 vcc, 0, v3
                                        ; implicit-def: $vgpr13
	s_and_saveexec_b64 s[0:1], vcc
	s_xor_b64 s[4:5], exec, s[0:1]
	s_cbranch_execz .LBB29_1691
; %bb.1670:
	v_cmp_gt_f16_e32 vcc, 0, v3
	s_mov_b64 s[0:1], -1
	v_mov_b32_e32 v8, 0
	s_and_saveexec_b64 s[6:7], vcc
	s_cbranch_execz .LBB29_1678
; %bb.1671:
	v_trunc_f32_e32 v8, v5
	v_cmp_neq_f32_e32 vcc, v8, v5
	s_mov_b64 s[14:15], 0
	v_mov_b32_e32 v8, 0
	s_and_saveexec_b64 s[12:13], vcc
	s_cbranch_execz .LBB29_1677
; %bb.1672:
	v_cvt_f32_f16_e32 v3, v3
	s_mov_b32 s16, 0
	s_mov_b32 s1, 0xc00921fb
	s_mov_b32 s0, 0x54442d18
	v_cvt_f64_f32_e32 v[8:9], v3
	s_mov_b32 s17, 0x7ff00000
	v_bfrev_b32_e32 v3, 1
	s_mov_b32 s14, 0
	v_trunc_f64_e32 v[10:11], v[8:9]
	v_cmp_neq_f64_e64 vcc, |v[8:9]|, s[16:17]
	s_mov_b32 s15, 0x41d00000
                                        ; implicit-def: $vgpr12_vgpr13
	v_add_f64 v[10:11], v[8:9], -v[10:11]
	v_mul_f64 v[10:11], |v[10:11]|, s[0:1]
	v_cndmask_b32_e32 v9, v3, v11, vcc
	v_cndmask_b32_e32 v8, 0, v10, vcc
	v_cmp_nlt_f64_e64 s[14:15], |v[8:9]|, s[14:15]
                                        ; implicit-def: $vgpr3
                                        ; implicit-def: $vgpr10_vgpr11
	s_and_saveexec_b64 s[20:21], s[14:15]
	s_xor_b64 s[14:15], exec, s[20:21]
	s_cbranch_execz .LBB29_1674
; %bb.1673:
	v_trig_preop_f64 v[10:11], |v[8:9]|, 0
	s_mov_b32 s20, 0
	s_mov_b32 s21, 0x7b000000
	s_movk_i32 s1, 0xff80
	v_ldexp_f64 v[15:16], |v[8:9]|, s1
	v_cmp_ge_f64_e64 vcc, |v[8:9]|, s[20:21]
	v_trig_preop_f64 v[12:13], |v[8:9]|, 1
	v_and_b32_e32 v3, 0x7fffffff, v9
	v_trig_preop_f64 v[23:24], |v[8:9]|, 2
	v_mov_b32_e32 v33, 0
	s_mov_b32 s1, 0x3ff921fb
	v_cndmask_b32_e32 v16, v3, v16, vcc
	v_cndmask_b32_e32 v15, v8, v15, vcc
	v_mov_b32_e32 v3, 0x40100000
	v_mul_f64 v[17:18], v[10:11], v[15:16]
	v_mul_f64 v[19:20], v[12:13], v[15:16]
	;; [unrolled: 1-line block ×3, first 2 shown]
	v_fma_f64 v[10:11], v[10:11], v[15:16], -v[17:18]
	v_fma_f64 v[12:13], v[12:13], v[15:16], -v[19:20]
	v_fma_f64 v[15:16], v[23:24], v[15:16], -v[29:30]
	v_add_f64 v[21:22], v[19:20], v[10:11]
	v_add_f64 v[25:26], v[21:22], -v[19:20]
	v_add_f64 v[31:32], v[17:18], v[21:22]
	v_add_f64 v[27:28], v[21:22], -v[25:26]
	v_add_f64 v[10:11], v[10:11], -v[25:26]
	v_add_f64 v[25:26], v[29:30], v[12:13]
	v_add_f64 v[17:18], v[31:32], -v[17:18]
	v_add_f64 v[19:20], v[19:20], -v[27:28]
	v_ldexp_f64 v[27:28], v[31:32], -2
	v_add_f64 v[35:36], v[25:26], -v[29:30]
	v_add_f64 v[17:18], v[21:22], -v[17:18]
	v_add_f64 v[10:11], v[10:11], v[19:20]
	v_fract_f64_e32 v[19:20], v[27:28]
	v_cmp_neq_f64_e64 vcc, |v[27:28]|, s[16:17]
	v_add_f64 v[12:13], v[12:13], -v[35:36]
	s_mov_b32 s16, 0x33145c07
	s_mov_b32 s17, 0x3c91a626
	v_add_f64 v[21:22], v[25:26], v[10:11]
	v_ldexp_f64 v[19:20], v[19:20], 2
	v_add_f64 v[27:28], v[17:18], v[21:22]
	v_cndmask_b32_e32 v20, 0, v20, vcc
	v_cndmask_b32_e32 v19, 0, v19, vcc
	v_add_f64 v[37:38], v[21:22], -v[25:26]
	v_add_f64 v[31:32], v[27:28], v[19:20]
	v_add_f64 v[17:18], v[27:28], -v[17:18]
	v_add_f64 v[39:40], v[21:22], -v[37:38]
	;; [unrolled: 1-line block ×3, first 2 shown]
	v_cmp_gt_f64_e32 vcc, 0, v[31:32]
	v_add_f64 v[31:32], v[25:26], -v[35:36]
	v_add_f64 v[17:18], v[21:22], -v[17:18]
	;; [unrolled: 1-line block ×3, first 2 shown]
	v_cndmask_b32_e32 v34, 0, v3, vcc
	v_add_f64 v[19:20], v[19:20], v[33:34]
	v_add_f64 v[31:32], v[29:30], -v[31:32]
	v_add_f64 v[10:11], v[10:11], v[25:26]
	v_add_f64 v[41:42], v[27:28], v[19:20]
	;; [unrolled: 1-line block ×3, first 2 shown]
	v_cvt_i32_f64_e32 v3, v[41:42]
	v_add_f64 v[10:11], v[12:13], v[10:11]
	v_cvt_f64_i32_e32 v[34:35], v3
	v_add_f64 v[19:20], v[19:20], -v[34:35]
	v_add_f64 v[10:11], v[15:16], v[10:11]
	v_add_f64 v[12:13], v[27:28], v[19:20]
	;; [unrolled: 1-line block ×3, first 2 shown]
	v_mov_b32_e32 v17, 0x3ff00000
	v_add_f64 v[15:16], v[12:13], -v[19:20]
	v_cmp_le_f64_e32 vcc, 0.5, v[12:13]
	v_add_f64 v[15:16], v[27:28], -v[15:16]
	v_cndmask_b32_e32 v34, 0, v17, vcc
	v_add_f64 v[12:13], v[12:13], -v[33:34]
	v_addc_co_u32_e32 v3, vcc, 0, v3, vcc
	v_add_f64 v[10:11], v[10:11], v[15:16]
	v_add_f64 v[15:16], v[12:13], v[10:11]
	v_mul_f64 v[17:18], v[15:16], s[0:1]
	v_add_f64 v[12:13], v[15:16], -v[12:13]
	v_fma_f64 v[19:20], v[15:16], s[0:1], -v[17:18]
	v_add_f64 v[10:11], v[10:11], -v[12:13]
	v_fma_f64 v[12:13], v[15:16], s[16:17], v[19:20]
	v_fma_f64 v[12:13], v[10:11], s[0:1], v[12:13]
	v_add_f64 v[10:11], v[17:18], v[12:13]
	v_add_f64 v[15:16], v[10:11], -v[17:18]
	v_add_f64 v[12:13], v[12:13], -v[15:16]
.LBB29_1674:
	s_andn2_saveexec_b64 s[0:1], s[14:15]
	s_cbranch_execz .LBB29_1676
; %bb.1675:
	s_mov_b32 s14, 0x6dc9c883
	s_mov_b32 s15, 0x3fe45f30
	v_mul_f64 v[10:11], |v[8:9]|, s[14:15]
	s_mov_b32 s14, 0x54442d18
	s_mov_b32 s15, 0xbff921fb
	;; [unrolled: 1-line block ×4, first 2 shown]
	v_rndne_f64_e32 v[15:16], v[10:11]
	v_fma_f64 v[10:11], v[15:16], s[14:15], |v[8:9]|
	v_mul_f64 v[12:13], v[15:16], s[16:17]
	s_mov_b32 s14, 0x252049c0
	s_mov_b32 s15, 0xb97b839a
	v_cvt_i32_f64_e32 v3, v[15:16]
	v_fma_f64 v[21:22], v[15:16], s[16:17], v[10:11]
	v_add_f64 v[17:18], v[10:11], v[12:13]
	s_mov_b32 s17, 0x3c91a626
	v_add_f64 v[19:20], v[10:11], -v[17:18]
	v_add_f64 v[17:18], v[17:18], -v[21:22]
	v_add_f64 v[10:11], v[19:20], v[12:13]
	v_fma_f64 v[12:13], v[15:16], s[16:17], v[12:13]
	v_add_f64 v[10:11], v[17:18], v[10:11]
	v_add_f64 v[10:11], v[10:11], -v[12:13]
	v_fma_f64 v[12:13], v[15:16], s[14:15], v[10:11]
	v_add_f64 v[10:11], v[21:22], v[12:13]
	v_add_f64 v[17:18], v[10:11], -v[21:22]
	v_add_f64 v[12:13], v[12:13], -v[17:18]
.LBB29_1676:
	s_or_b64 exec, exec, s[0:1]
	v_mul_f64 v[15:16], v[10:11], v[10:11]
	v_add_f64 v[17:18], v[12:13], v[12:13]
	s_mov_b32 s0, 0xc751c08c
	s_mov_b32 s1, 0x3ef5e089
	v_and_b32_e32 v3, 1, v3
	v_cmp_eq_u32_e32 vcc, 0, v3
	s_mov_b32 s16, 0x54442d18
	s_mov_b32 s17, 0xc00921fb
	v_fma_f64 v[19:20], v[10:11], v[10:11], -v[15:16]
	s_mov_b64 s[14:15], exec
	v_sub_f32_e32 v5, 1.0, v5
	v_fma_f64 v[17:18], v[10:11], v[17:18], v[19:20]
	v_add_f64 v[15:16], v[15:16], v[17:18]
	v_mov_b32_e32 v17, 0xa9a29f71
	v_mov_b32_e32 v18, 0xbf078809
	v_fma_f64 v[17:18], v[15:16], s[0:1], v[17:18]
	s_mov_b32 s0, 0x90a8aae0
	s_mov_b32 s1, 0x3f17746f
	v_fma_f64 v[17:18], v[15:16], v[17:18], s[0:1]
	s_mov_b32 s0, 0xa6fbf144
	s_mov_b32 s1, 0xbefbb44d
	;; [unrolled: 3-line block ×12, first 2 shown]
	v_fma_f64 v[17:18], v[15:16], v[17:18], s[0:1]
	s_movk_i32 s0, 0x1f8
	v_cmp_class_f64_e64 s[0:1], v[8:9], s0
	v_mul_f64 v[15:16], v[15:16], v[17:18]
	v_mul_f64 v[17:18], v[10:11], v[15:16]
	v_add_f64 v[19:20], v[10:11], v[17:18]
	v_fma_f64 v[15:16], v[10:11], v[15:16], -v[17:18]
	v_add_f64 v[10:11], v[19:20], -v[10:11]
	v_add_f64 v[12:13], v[12:13], v[15:16]
	v_add_f64 v[10:11], v[17:18], -v[10:11]
	v_add_f64 v[10:11], v[12:13], v[10:11]
	v_add_f64 v[12:13], v[19:20], v[10:11]
	v_rcp_f64_e32 v[15:16], v[12:13]
	v_fma_f64 v[17:18], -v[12:13], v[15:16], 1.0
	v_fma_f64 v[15:16], v[17:18], v[15:16], v[15:16]
	v_fma_f64 v[17:18], -v[12:13], v[15:16], 1.0
	v_fma_f64 v[15:16], v[17:18], v[15:16], v[15:16]
	v_add_f64 v[17:18], v[12:13], -v[19:20]
	v_mul_f64 v[19:20], v[12:13], v[15:16]
	v_add_f64 v[10:11], v[10:11], -v[17:18]
	v_fma_f64 v[17:18], v[15:16], v[12:13], -v[19:20]
	v_fma_f64 v[10:11], v[15:16], v[10:11], v[17:18]
	v_add_f64 v[17:18], v[19:20], v[10:11]
	v_add_f64 v[21:22], -v[17:18], 1.0
	v_add_f64 v[19:20], v[17:18], -v[19:20]
	v_add_f64 v[23:24], -v[21:22], 1.0
	v_add_f64 v[10:11], v[19:20], -v[10:11]
	v_add_f64 v[17:18], v[23:24], -v[17:18]
	v_add_f64 v[10:11], v[10:11], v[17:18]
	v_add_f64 v[10:11], v[21:22], v[10:11]
	v_mul_f64 v[10:11], v[15:16], v[10:11]
	v_add_f64 v[10:11], v[15:16], v[10:11]
	v_and_b32_e32 v15, 0x80000000, v9
	v_mov_b32_e32 v9, 0x7ff80000
	v_xor_b32_e32 v8, 0x80000000, v11
	v_cndmask_b32_e32 v3, v10, v12, vcc
	v_cndmask_b32_e32 v10, v8, v13, vcc
	v_cndmask_b32_e64 v8, 0, v3, s[0:1]
	v_xor_b32_e32 v3, v10, v15
	v_cndmask_b32_e64 v9, v9, v3, s[0:1]
	v_div_scale_f64 v[10:11], s[0:1], v[8:9], v[8:9], s[16:17]
	v_div_scale_f64 v[17:18], vcc, s[16:17], v[8:9], s[16:17]
	v_rcp_f64_e32 v[12:13], v[10:11]
	v_fma_f64 v[15:16], -v[10:11], v[12:13], 1.0
	v_fma_f64 v[12:13], v[12:13], v[15:16], v[12:13]
	v_fma_f64 v[15:16], -v[10:11], v[12:13], 1.0
	v_fma_f64 v[12:13], v[12:13], v[15:16], v[12:13]
	v_mul_f64 v[15:16], v[17:18], v[12:13]
	v_fma_f64 v[10:11], -v[10:11], v[15:16], v[17:18]
	v_div_fmas_f64 v[10:11], v[10:11], v[12:13], v[15:16]
	v_div_fixup_f64 v[8:9], v[10:11], v[8:9], s[16:17]
	v_cvt_f32_f64_e32 v8, v[8:9]
.LBB29_1677:
	s_or_b64 exec, exec, s[12:13]
	s_orn2_b64 s[0:1], s[14:15], exec
.LBB29_1678:
	s_or_b64 exec, exec, s[6:7]
	v_mov_b32_e32 v13, 0x7e00
	s_and_saveexec_b64 s[6:7], s[0:1]
	s_cbranch_execz .LBB29_1690
; %bb.1679:
	s_mov_b32 s14, 0x41200000
	v_cmp_gt_f32_e32 vcc, s14, v5
	s_and_saveexec_b64 s[0:1], vcc
	s_cbranch_execz .LBB29_1683
; %bb.1680:
	s_mov_b64 s[12:13], 0
.LBB29_1681:                            ; =>This Inner Loop Header: Depth=1
	v_div_scale_f32 v3, s[16:17], v5, v5, 1.0
	v_div_scale_f32 v9, vcc, 1.0, v5, 1.0
	v_rcp_f32_e32 v10, v3
	v_fma_f32 v11, -v3, v10, 1.0
	v_fmac_f32_e32 v10, v11, v10
	v_mul_f32_e32 v11, v9, v10
	v_fma_f32 v12, -v3, v11, v9
	v_fmac_f32_e32 v11, v12, v10
	v_fma_f32 v3, -v3, v11, v9
	v_div_fmas_f32 v3, v3, v10, v11
	v_div_fixup_f32 v3, v3, v5, 1.0
	v_add_f32_e32 v5, 1.0, v5
	v_cmp_ngt_f32_e32 vcc, s14, v5
	s_or_b64 s[12:13], vcc, s[12:13]
	v_sub_f32_e32 v8, v8, v3
	s_andn2_b64 exec, exec, s[12:13]
	s_cbranch_execnz .LBB29_1681
; %bb.1682:
	s_or_b64 exec, exec, s[12:13]
.LBB29_1683:
	s_or_b64 exec, exec, s[0:1]
	s_mov_b32 s0, 0x41200000
	v_cmp_neq_f32_e32 vcc, s0, v5
                                        ; implicit-def: $vgpr13
	s_and_saveexec_b64 s[0:1], vcc
	s_xor_b64 s[12:13], exec, s[0:1]
	s_cbranch_execz .LBB29_1687
; %bb.1684:
	v_cvt_f64_f32_e32 v[9:10], v5
	s_mov_b32 s0, 0x85d8a000
	s_mov_b32 s1, 0x43763457
	v_mov_b32_e32 v3, 0
	v_cmp_gt_f64_e32 vcc, s[0:1], v[9:10]
	s_and_saveexec_b64 s[0:1], vcc
	s_cbranch_execz .LBB29_1686
; %bb.1685:
	v_mul_f32_e32 v3, v5, v5
	v_div_scale_f32 v9, s[14:15], v3, v3, 1.0
	v_div_scale_f32 v10, vcc, 1.0, v3, 1.0
	v_mov_b32_e32 v15, 0x3b820821
	v_rcp_f32_e32 v11, v9
	v_fma_f32 v12, -v9, v11, 1.0
	v_fmac_f32_e32 v11, v12, v11
	v_mul_f32_e32 v12, v10, v11
	v_fma_f32 v13, -v9, v12, v10
	v_fmac_f32_e32 v12, v13, v11
	v_fma_f32 v9, -v9, v12, v10
	v_div_fmas_f32 v9, v9, v11, v12
	v_mov_b32_e32 v10, 0x3daaaaab
	v_mov_b32_e32 v11, 0xbcaccacd
	;; [unrolled: 1-line block ×4, first 2 shown]
	v_div_fixup_f32 v3, v9, v3, 1.0
	v_fma_f32 v9, 0, v3, v10
	v_fmac_f32_e32 v11, v3, v9
	v_fmac_f32_e32 v12, v3, v11
	;; [unrolled: 1-line block ×4, first 2 shown]
	v_mov_b32_e32 v9, 0xbc088889
	v_fmac_f32_e32 v9, v3, v15
	v_fmac_f32_e32 v10, v3, v9
	v_mul_f32_e32 v3, v3, v10
.LBB29_1686:
	s_or_b64 exec, exec, s[0:1]
	v_div_scale_f32 v9, s[0:1], v5, v5, -0.5
	v_div_scale_f32 v10, vcc, -0.5, v5, -0.5
	s_mov_b32 s0, 0x800000
	v_cmp_gt_f32_e64 s[0:1], s0, v5
	v_cndmask_b32_e64 v12, 0, 32, s[0:1]
	s_mov_b32 s14, 0x3f317217
	v_rcp_f32_e32 v11, v9
	v_fma_f32 v13, -v9, v11, 1.0
	v_fmac_f32_e32 v11, v13, v11
	v_mul_f32_e32 v13, v10, v11
	v_fma_f32 v15, -v9, v13, v10
	v_fmac_f32_e32 v13, v15, v11
	v_fma_f32 v9, -v9, v13, v10
	v_div_fmas_f32 v9, v9, v11, v13
	v_ldexp_f32 v10, v5, v12
	v_log_f32_e32 v10, v10
	v_mul_f32_e32 v11, 0x3f317217, v10
	v_fma_f32 v11, v10, s14, -v11
	v_fmac_f32_e32 v11, 0x3377d1cf, v10
	s_mov_b32 s14, 0x7f800000
	v_fmac_f32_e32 v11, 0x3f317217, v10
	v_cmp_lt_f32_e64 vcc, |v10|, s14
	v_cndmask_b32_e32 v10, v10, v11, vcc
	v_mov_b32_e32 v11, 0x41b17218
	v_cndmask_b32_e64 v11, 0, v11, s[0:1]
	v_sub_f32_e32 v10, v10, v11
	v_div_fixup_f32 v5, v9, v5, -0.5
	v_add_f32_e32 v5, v10, v5
	v_sub_f32_e32 v3, v5, v3
	v_add_f32_e32 v3, v8, v3
	v_cvt_f16_f32_e32 v13, v3
                                        ; implicit-def: $vgpr8
.LBB29_1687:
	s_andn2_saveexec_b64 s[0:1], s[12:13]
; %bb.1688:
	v_add_f32_e32 v3, 0x40101cb7, v8
	v_cvt_f16_f32_e32 v13, v3
; %bb.1689:
	s_or_b64 exec, exec, s[0:1]
.LBB29_1690:
	s_or_b64 exec, exec, s[6:7]
                                        ; implicit-def: $vgpr5
.LBB29_1691:
	s_andn2_saveexec_b64 s[0:1], s[4:5]
; %bb.1692:
	v_xor_b32_e32 v3, 0x80000000, v5
	s_movk_i32 s4, 0x8000
	v_and_b32_sdwa v3, v3, s4 dst_sel:DWORD dst_unused:UNUSED_PAD src0_sel:WORD_1 src1_sel:DWORD
	v_or_b32_e32 v13, 0x7c00, v3
; %bb.1693:
	s_or_b64 exec, exec, s[0:1]
	v_mov_b32_e32 v3, s11
	v_add_co_u32_e32 v7, vcc, s10, v7
	s_cmp_lt_i32 s19, 11
	v_addc_co_u32_e32 v8, vcc, 0, v3, vcc
	s_cbranch_scc1 .LBB29_1700
; %bb.1694:
	s_and_b32 s14, 0xffff, s19
	s_cmp_gt_i32 s14, 25
	s_mov_b64 s[4:5], 0
	s_cbranch_scc0 .LBB29_1701
; %bb.1695:
	s_cmp_gt_i32 s14, 28
	s_cbranch_scc0 .LBB29_1702
; %bb.1696:
	s_cmp_gt_i32 s14, 43
	;; [unrolled: 3-line block ×3, first 2 shown]
	s_cbranch_scc0 .LBB29_1705
; %bb.1698:
	s_cmp_eq_u32 s14, 46
	s_mov_b64 s[10:11], 0
	s_cbranch_scc0 .LBB29_1706
; %bb.1699:
	global_load_dword v3, v[7:8], off
	s_mov_b64 s[0:1], 0
	s_mov_b64 s[6:7], -1
	s_waitcnt vmcnt(0)
	v_lshlrev_b32_e32 v3, 16, v3
	v_cvt_f16_f32_e32 v3, v3
	s_branch .LBB29_1707
.LBB29_1700:
	s_mov_b64 s[0:1], -1
	s_mov_b64 s[6:7], 0
                                        ; implicit-def: $vgpr3
	s_branch .LBB29_1773
.LBB29_1701:
	s_mov_b64 s[10:11], -1
	s_mov_b64 s[6:7], 0
	s_mov_b64 s[0:1], 0
                                        ; implicit-def: $vgpr3
	s_branch .LBB29_1736
.LBB29_1702:
	s_mov_b64 s[10:11], -1
	s_mov_b64 s[6:7], 0
	s_mov_b64 s[0:1], 0
                                        ; implicit-def: $vgpr3
	s_branch .LBB29_1717
.LBB29_1703:
	s_mov_b64 s[10:11], -1
	s_mov_b64 s[6:7], 0
	s_mov_b64 s[0:1], 0
                                        ; implicit-def: $vgpr3
	s_branch .LBB29_1712
.LBB29_1704:
	s_trap 2
	s_or_b64 s[2:3], s[2:3], exec
	s_cbranch_execz .LBB29_1619
	s_branch .LBB29_1620
.LBB29_1705:
	s_mov_b64 s[10:11], -1
	s_mov_b64 s[6:7], 0
	s_mov_b64 s[0:1], 0
                                        ; implicit-def: $vgpr3
	s_branch .LBB29_1707
.LBB29_1706:
	s_mov_b64 s[0:1], -1
                                        ; implicit-def: $vgpr3
	s_mov_b64 s[6:7], 0
.LBB29_1707:
	s_and_b64 vcc, exec, s[10:11]
	s_cbranch_vccz .LBB29_1711
; %bb.1708:
	s_cmp_eq_u32 s14, 44
	s_cbranch_scc0 .LBB29_1710
; %bb.1709:
	global_load_ubyte v3, v[7:8], off
	s_movk_i32 s6, 0xff
	v_mov_b32_e32 v9, 0x7e00
	s_mov_b64 s[0:1], 0
	s_waitcnt vmcnt(0)
	v_lshlrev_b32_e32 v5, 23, v3
	v_cvt_f16_f32_e32 v5, v5
	v_cmp_ne_u32_e32 vcc, s6, v3
	s_mov_b64 s[6:7], -1
	v_cndmask_b32_e32 v5, v9, v5, vcc
	v_cmp_ne_u32_e32 vcc, 0, v3
	v_cndmask_b32_e32 v3, 0, v5, vcc
	s_branch .LBB29_1711
.LBB29_1710:
	s_mov_b64 s[0:1], -1
                                        ; implicit-def: $vgpr3
.LBB29_1711:
	s_mov_b64 s[10:11], 0
.LBB29_1712:
	s_and_b64 vcc, exec, s[10:11]
	s_cbranch_vccz .LBB29_1716
; %bb.1713:
	s_cmp_eq_u32 s14, 29
	s_cbranch_scc0 .LBB29_1715
; %bb.1714:
	global_load_dwordx2 v[9:10], v[7:8], off
	s_mov_b64 s[0:1], 0
	s_mov_b64 s[6:7], -1
	s_mov_b64 s[10:11], 0
	s_waitcnt vmcnt(0)
	v_ffbh_u32_e32 v3, v10
	v_min_u32_e32 v3, 32, v3
	v_lshlrev_b64 v[9:10], v3, v[9:10]
	v_sub_u32_e32 v3, 32, v3
	v_min_u32_e32 v5, 1, v9
	v_or_b32_e32 v5, v10, v5
	v_cvt_f32_u32_e32 v5, v5
	v_ldexp_f32 v3, v5, v3
	v_cvt_f16_f32_e32 v3, v3
	s_branch .LBB29_1717
.LBB29_1715:
	s_mov_b64 s[0:1], -1
                                        ; implicit-def: $vgpr3
.LBB29_1716:
	s_mov_b64 s[10:11], 0
.LBB29_1717:
	s_and_b64 vcc, exec, s[10:11]
	s_cbranch_vccz .LBB29_1735
; %bb.1718:
	s_cmp_lt_i32 s14, 27
	s_cbranch_scc1 .LBB29_1721
; %bb.1719:
	s_cmp_gt_i32 s14, 27
	s_cbranch_scc0 .LBB29_1722
; %bb.1720:
	global_load_dword v3, v[7:8], off
	s_mov_b64 s[6:7], 0
	s_waitcnt vmcnt(0)
	v_cvt_f32_u32_e32 v3, v3
	v_cvt_f16_f32_e32 v3, v3
	s_branch .LBB29_1723
.LBB29_1721:
	s_mov_b64 s[6:7], -1
                                        ; implicit-def: $vgpr3
	s_branch .LBB29_1726
.LBB29_1722:
	s_mov_b64 s[6:7], -1
                                        ; implicit-def: $vgpr3
.LBB29_1723:
	s_andn2_b64 vcc, exec, s[6:7]
	s_cbranch_vccnz .LBB29_1725
; %bb.1724:
	global_load_ushort v3, v[7:8], off
	s_waitcnt vmcnt(0)
	v_cvt_f16_u16_e32 v3, v3
.LBB29_1725:
	s_mov_b64 s[6:7], 0
.LBB29_1726:
	s_andn2_b64 vcc, exec, s[6:7]
	s_cbranch_vccnz .LBB29_1734
; %bb.1727:
	global_load_ubyte v5, v[7:8], off
	s_movk_i32 s6, 0x7f
	s_waitcnt vmcnt(0)
	v_cmp_lt_i16_e32 vcc, s6, v5
	s_mov_b64 s[6:7], 0
	s_and_saveexec_b64 s[10:11], vcc
	s_xor_b64 s[10:11], exec, s[10:11]
	s_cbranch_execz .LBB29_1748
; %bb.1728:
	s_movk_i32 s6, 0x80
	v_cmp_eq_u16_e32 vcc, s6, v5
	s_mov_b64 s[6:7], -1
	s_and_saveexec_b64 s[12:13], vcc
; %bb.1729:
	s_xor_b64 s[6:7], exec, -1
; %bb.1730:
	s_or_b64 exec, exec, s[12:13]
	s_and_b64 s[6:7], s[6:7], exec
	s_or_saveexec_b64 s[10:11], s[10:11]
	v_mov_b32_e32 v3, 0x7e00
	s_xor_b64 exec, exec, s[10:11]
	s_cbranch_execnz .LBB29_1749
.LBB29_1731:
	s_or_b64 exec, exec, s[10:11]
	s_and_saveexec_b64 s[10:11], s[6:7]
	s_cbranch_execz .LBB29_1733
.LBB29_1732:
	v_lshlrev_b32_e32 v3, 24, v5
	v_and_b32_e32 v5, 0xffff, v5
	v_and_b32_e32 v9, 7, v5
	v_ffbh_u32_e32 v11, v9
	v_min_u32_e32 v11, 32, v11
	v_subrev_u32_e32 v12, 28, v11
	v_bfe_u32 v10, v5, 3, 4
	v_lshlrev_b32_e32 v5, v12, v5
	v_sub_u32_e32 v11, 29, v11
	v_and_b32_e32 v5, 7, v5
	v_cmp_eq_u32_e32 vcc, 0, v10
	v_cndmask_b32_e32 v10, v10, v11, vcc
	v_cndmask_b32_e32 v5, v9, v5, vcc
	v_mov_b32_e32 v9, 0x3b800000
	v_lshlrev_b32_e32 v5, 20, v5
	v_and_b32_e32 v3, 0x80000000, v3
	v_lshl_add_u32 v9, v10, 23, v9
	v_or3_b32 v3, v3, v9, v5
	v_cvt_f16_f32_e32 v3, v3
.LBB29_1733:
	s_or_b64 exec, exec, s[10:11]
.LBB29_1734:
	s_mov_b64 s[6:7], -1
.LBB29_1735:
	s_mov_b64 s[10:11], 0
.LBB29_1736:
	s_and_b64 vcc, exec, s[10:11]
	s_cbranch_vccz .LBB29_1769
; %bb.1737:
	s_cmp_gt_i32 s14, 22
	s_cbranch_scc0 .LBB29_1747
; %bb.1738:
	s_cmp_lt_i32 s14, 24
	s_cbranch_scc1 .LBB29_1750
; %bb.1739:
	s_cmp_gt_i32 s14, 24
	s_cbranch_scc0 .LBB29_1751
; %bb.1740:
	global_load_ubyte v5, v[7:8], off
	s_movk_i32 s4, 0x7f
	s_waitcnt vmcnt(0)
	v_cmp_lt_i16_e32 vcc, s4, v5
	s_mov_b64 s[4:5], 0
	s_and_saveexec_b64 s[6:7], vcc
	s_xor_b64 s[6:7], exec, s[6:7]
	s_cbranch_execz .LBB29_1763
; %bb.1741:
	s_movk_i32 s4, 0x80
	v_cmp_eq_u16_e32 vcc, s4, v5
	s_mov_b64 s[4:5], -1
	s_and_saveexec_b64 s[10:11], vcc
; %bb.1742:
	s_xor_b64 s[4:5], exec, -1
; %bb.1743:
	s_or_b64 exec, exec, s[10:11]
	s_and_b64 s[4:5], s[4:5], exec
	s_or_saveexec_b64 s[6:7], s[6:7]
	v_mov_b32_e32 v3, 0x7e00
	s_xor_b64 exec, exec, s[6:7]
	s_cbranch_execnz .LBB29_1764
.LBB29_1744:
	s_or_b64 exec, exec, s[6:7]
	s_and_saveexec_b64 s[6:7], s[4:5]
	s_cbranch_execz .LBB29_1746
.LBB29_1745:
	v_lshlrev_b32_e32 v3, 24, v5
	v_and_b32_e32 v5, 0xffff, v5
	v_and_b32_e32 v9, 3, v5
	v_ffbh_u32_e32 v11, v9
	v_min_u32_e32 v11, 32, v11
	v_subrev_u32_e32 v12, 29, v11
	v_bfe_u32 v10, v5, 2, 5
	v_lshlrev_b32_e32 v5, v12, v5
	v_sub_u32_e32 v11, 30, v11
	v_and_b32_e32 v5, 3, v5
	v_cmp_eq_u32_e32 vcc, 0, v10
	v_cndmask_b32_e32 v10, v10, v11, vcc
	v_cndmask_b32_e32 v5, v9, v5, vcc
	v_mov_b32_e32 v9, 0x37800000
	v_lshlrev_b32_e32 v5, 21, v5
	v_and_b32_e32 v3, 0x80000000, v3
	v_lshl_add_u32 v9, v10, 23, v9
	v_or3_b32 v3, v3, v9, v5
	v_cvt_f16_f32_e32 v3, v3
.LBB29_1746:
	s_or_b64 exec, exec, s[6:7]
	s_mov_b64 s[4:5], 0
	s_branch .LBB29_1752
.LBB29_1747:
	s_mov_b64 s[4:5], -1
                                        ; implicit-def: $vgpr3
	s_branch .LBB29_1758
.LBB29_1748:
	s_or_saveexec_b64 s[10:11], s[10:11]
	v_mov_b32_e32 v3, 0x7e00
	s_xor_b64 exec, exec, s[10:11]
	s_cbranch_execz .LBB29_1731
.LBB29_1749:
	v_cmp_ne_u16_e32 vcc, 0, v5
	s_andn2_b64 s[6:7], s[6:7], exec
	s_and_b64 s[12:13], vcc, exec
	s_or_b64 s[6:7], s[6:7], s[12:13]
	v_mov_b32_e32 v3, v5
	s_or_b64 exec, exec, s[10:11]
	s_and_saveexec_b64 s[10:11], s[6:7]
	s_cbranch_execnz .LBB29_1732
	s_branch .LBB29_1733
.LBB29_1750:
	s_mov_b64 s[4:5], -1
                                        ; implicit-def: $vgpr3
	s_branch .LBB29_1755
.LBB29_1751:
	s_mov_b64 s[4:5], -1
                                        ; implicit-def: $vgpr3
.LBB29_1752:
	s_and_b64 vcc, exec, s[4:5]
	s_cbranch_vccz .LBB29_1754
; %bb.1753:
	global_load_ubyte v3, v[7:8], off
	s_mov_b32 s4, 0x7f800000
	s_waitcnt vmcnt(0)
	v_lshlrev_b32_e32 v3, 24, v3
	v_and_b32_e32 v5, 0x7f000000, v3
	v_ffbh_u32_e32 v9, v5
	v_min_u32_e32 v9, 32, v9
	v_sub_u32_e64 v9, v9, 4 clamp
	v_lshlrev_b32_e32 v11, v9, v5
	v_lshlrev_b32_e32 v9, 23, v9
	v_lshrrev_b32_e32 v11, 4, v11
	v_add_u32_e32 v10, 0x1000000, v5
	v_sub_u32_e32 v9, v11, v9
	v_ashrrev_i32_e32 v10, 8, v10
	v_add_u32_e32 v9, 0x3c000000, v9
	v_and_or_b32 v9, v10, s4, v9
	v_cmp_ne_u32_e32 vcc, 0, v5
	v_cndmask_b32_e32 v5, 0, v9, vcc
	s_brev_b32 s4, 1
	v_and_or_b32 v3, v3, s4, v5
	v_cvt_f16_f32_e32 v3, v3
.LBB29_1754:
	s_mov_b64 s[4:5], 0
.LBB29_1755:
	s_andn2_b64 vcc, exec, s[4:5]
	s_cbranch_vccnz .LBB29_1757
; %bb.1756:
	global_load_ubyte v3, v[7:8], off
	s_movk_i32 s4, 0x7f00
	s_brev_b32 s5, 16
	s_waitcnt vmcnt(0)
	v_lshlrev_b16_e32 v5, 8, v3
	v_lshlrev_b32_e32 v3, 25, v3
	v_lshrrev_b32_e32 v9, 4, v3
	v_and_or_b32 v10, v5, s4, 0.5
	v_or_b32_e32 v9, 0x70000000, v9
	v_add_f32_e32 v10, -0.5, v10
	v_mul_f32_e32 v9, 0x7800000, v9
	v_cmp_gt_u32_e32 vcc, s5, v3
	v_bfe_i32 v5, v5, 0, 16
	v_cndmask_b32_e32 v3, v9, v10, vcc
	s_brev_b32 s4, 1
	v_and_or_b32 v3, v5, s4, v3
	v_cvt_f16_f32_e32 v3, v3
.LBB29_1757:
	s_mov_b64 s[4:5], 0
	s_mov_b64 s[6:7], -1
.LBB29_1758:
	s_andn2_b64 vcc, exec, s[4:5]
	s_mov_b64 s[4:5], 0
	s_cbranch_vccnz .LBB29_1769
; %bb.1759:
	s_cmp_gt_i32 s14, 14
	s_cbranch_scc0 .LBB29_1762
; %bb.1760:
	s_cmp_eq_u32 s14, 15
	s_cbranch_scc0 .LBB29_1765
; %bb.1761:
	global_load_ushort v3, v[7:8], off
	s_mov_b64 s[0:1], 0
	s_mov_b64 s[6:7], -1
	s_waitcnt vmcnt(0)
	v_lshlrev_b32_e32 v3, 16, v3
	v_cvt_f16_f32_e32 v3, v3
	s_branch .LBB29_1766
.LBB29_1762:
	s_mov_b64 s[10:11], -1
                                        ; implicit-def: $vgpr3
	s_branch .LBB29_1767
.LBB29_1763:
	s_or_saveexec_b64 s[6:7], s[6:7]
	v_mov_b32_e32 v3, 0x7e00
	s_xor_b64 exec, exec, s[6:7]
	s_cbranch_execz .LBB29_1744
.LBB29_1764:
	v_cmp_ne_u16_e32 vcc, 0, v5
	s_andn2_b64 s[4:5], s[4:5], exec
	s_and_b64 s[10:11], vcc, exec
	s_or_b64 s[4:5], s[4:5], s[10:11]
	v_mov_b32_e32 v3, v5
	s_or_b64 exec, exec, s[6:7]
	s_and_saveexec_b64 s[6:7], s[4:5]
	s_cbranch_execnz .LBB29_1745
	s_branch .LBB29_1746
.LBB29_1765:
	s_mov_b64 s[0:1], -1
                                        ; implicit-def: $vgpr3
.LBB29_1766:
	s_mov_b64 s[10:11], 0
.LBB29_1767:
	s_and_b64 vcc, exec, s[10:11]
	s_cbranch_vccz .LBB29_1769
; %bb.1768:
	s_cmp_lg_u32 s14, 11
	s_mov_b64 s[4:5], -1
	s_cselect_b64 s[0:1], -1, 0
.LBB29_1769:
	s_and_b64 vcc, exec, s[0:1]
	s_cbranch_vccnz .LBB29_2328
; %bb.1770:
	s_andn2_b64 vcc, exec, s[4:5]
	s_cbranch_vccnz .LBB29_1772
.LBB29_1771:
	global_load_ubyte v3, v[7:8], off
	v_mov_b32_e32 v5, 0x3c00
	s_mov_b64 s[6:7], -1
	s_waitcnt vmcnt(0)
	v_cmp_ne_u16_e32 vcc, 0, v3
	v_cndmask_b32_e32 v3, 0, v5, vcc
.LBB29_1772:
	s_mov_b64 s[0:1], 0
.LBB29_1773:
	s_and_b64 vcc, exec, s[0:1]
	s_cbranch_vccz .LBB29_1822
; %bb.1774:
	s_and_b32 s4, 0xffff, s19
	s_cmp_lt_i32 s4, 5
	s_cbranch_scc1 .LBB29_1779
; %bb.1775:
	s_cmp_lt_i32 s4, 8
	s_cbranch_scc1 .LBB29_1780
; %bb.1776:
	;; [unrolled: 3-line block ×3, first 2 shown]
	s_cmp_gt_i32 s4, 9
	s_cbranch_scc0 .LBB29_1782
; %bb.1778:
	global_load_dwordx2 v[9:10], v[7:8], off
	s_movk_i32 s0, 0x1ff
	s_movk_i32 s1, 0xffe
	v_mov_b32_e32 v3, 0x7c00
	v_mov_b32_e32 v5, 0x7e00
	s_movk_i32 s5, 0x40f
	s_mov_b32 s6, 0x8000
	s_waitcnt vmcnt(0)
	v_and_or_b32 v9, v10, s0, v9
	v_cmp_ne_u32_e32 vcc, 0, v9
	v_lshrrev_b32_e32 v11, 8, v10
	v_bfe_u32 v12, v10, 20, 11
	v_cndmask_b32_e64 v9, 0, 1, vcc
	v_sub_u32_e32 v15, 0x3f1, v12
	v_and_or_b32 v9, v11, s1, v9
	v_add_u32_e32 v12, 0xfffffc10, v12
	v_med3_i32 v11, v15, 0, 13
	v_or_b32_e32 v15, 0x1000, v9
	v_lshl_or_b32 v16, v12, 12, v9
	v_cmp_ne_u32_e32 vcc, 0, v9
	v_lshrrev_b32_e32 v9, v11, v15
	v_lshlrev_b32_e32 v11, v11, v9
	v_cndmask_b32_e32 v5, v3, v5, vcc
	v_cmp_ne_u32_e32 vcc, v11, v15
	v_cndmask_b32_e64 v11, 0, 1, vcc
	v_or_b32_e32 v9, v9, v11
	v_cmp_gt_i32_e32 vcc, 1, v12
	v_cndmask_b32_e32 v9, v16, v9, vcc
	v_and_b32_e32 v11, 7, v9
	v_cmp_lt_i32_e32 vcc, 5, v11
	v_cndmask_b32_e64 v15, 0, 1, vcc
	v_cmp_eq_u32_e32 vcc, 3, v11
	v_cndmask_b32_e64 v11, 0, 1, vcc
	v_lshrrev_b32_e32 v9, 2, v9
	v_or_b32_e32 v11, v11, v15
	v_add_u32_e32 v9, v9, v11
	v_cmp_gt_i32_e32 vcc, 31, v12
	v_cndmask_b32_e32 v3, v3, v9, vcc
	v_cmp_eq_u32_e32 vcc, s5, v12
	v_lshrrev_b32_e32 v10, 16, v10
	v_cndmask_b32_e32 v3, v3, v5, vcc
	v_and_or_b32 v3, v10, s6, v3
	s_mov_b64 s[0:1], 0
	s_branch .LBB29_1783
.LBB29_1779:
	s_mov_b64 s[0:1], -1
                                        ; implicit-def: $vgpr3
	s_branch .LBB29_1801
.LBB29_1780:
	s_mov_b64 s[0:1], -1
                                        ; implicit-def: $vgpr3
	s_branch .LBB29_1789
.LBB29_1781:
	s_mov_b64 s[0:1], -1
                                        ; implicit-def: $vgpr3
	s_branch .LBB29_1786
.LBB29_1782:
	s_mov_b64 s[0:1], -1
                                        ; implicit-def: $vgpr3
.LBB29_1783:
	s_andn2_b64 vcc, exec, s[0:1]
	s_cbranch_vccnz .LBB29_1785
; %bb.1784:
	global_load_dword v3, v[7:8], off
	s_waitcnt vmcnt(0)
	v_cvt_f16_f32_e32 v3, v3
.LBB29_1785:
	s_mov_b64 s[0:1], 0
.LBB29_1786:
	s_andn2_b64 vcc, exec, s[0:1]
	s_cbranch_vccnz .LBB29_1788
; %bb.1787:
	global_load_dword v3, v[7:8], off
.LBB29_1788:
	s_mov_b64 s[0:1], 0
.LBB29_1789:
	s_andn2_b64 vcc, exec, s[0:1]
	s_cbranch_vccnz .LBB29_1800
; %bb.1790:
	s_cmp_lt_i32 s4, 6
	s_cbranch_scc1 .LBB29_1793
; %bb.1791:
	s_cmp_gt_i32 s4, 6
	s_cbranch_scc0 .LBB29_1794
; %bb.1792:
	global_load_dwordx2 v[9:10], v[7:8], off
	s_movk_i32 s0, 0x1ff
	s_movk_i32 s1, 0xffe
	s_waitcnt vmcnt(1)
	v_mov_b32_e32 v3, 0x7c00
	v_mov_b32_e32 v5, 0x7e00
	s_movk_i32 s5, 0x40f
	s_mov_b32 s6, 0x8000
	s_waitcnt vmcnt(0)
	v_and_or_b32 v9, v10, s0, v9
	v_cmp_ne_u32_e32 vcc, 0, v9
	v_lshrrev_b32_e32 v11, 8, v10
	v_bfe_u32 v12, v10, 20, 11
	v_cndmask_b32_e64 v9, 0, 1, vcc
	v_sub_u32_e32 v15, 0x3f1, v12
	v_and_or_b32 v9, v11, s1, v9
	v_add_u32_e32 v12, 0xfffffc10, v12
	v_med3_i32 v11, v15, 0, 13
	v_or_b32_e32 v15, 0x1000, v9
	v_lshl_or_b32 v16, v12, 12, v9
	v_cmp_ne_u32_e32 vcc, 0, v9
	v_lshrrev_b32_e32 v9, v11, v15
	v_lshlrev_b32_e32 v11, v11, v9
	v_cndmask_b32_e32 v5, v3, v5, vcc
	v_cmp_ne_u32_e32 vcc, v11, v15
	v_cndmask_b32_e64 v11, 0, 1, vcc
	v_or_b32_e32 v9, v9, v11
	v_cmp_gt_i32_e32 vcc, 1, v12
	v_cndmask_b32_e32 v9, v16, v9, vcc
	v_and_b32_e32 v11, 7, v9
	v_cmp_lt_i32_e32 vcc, 5, v11
	v_cndmask_b32_e64 v15, 0, 1, vcc
	v_cmp_eq_u32_e32 vcc, 3, v11
	v_cndmask_b32_e64 v11, 0, 1, vcc
	v_lshrrev_b32_e32 v9, 2, v9
	v_or_b32_e32 v11, v11, v15
	v_add_u32_e32 v9, v9, v11
	v_cmp_gt_i32_e32 vcc, 31, v12
	v_cndmask_b32_e32 v3, v3, v9, vcc
	v_cmp_eq_u32_e32 vcc, s5, v12
	v_lshrrev_b32_e32 v10, 16, v10
	v_cndmask_b32_e32 v3, v3, v5, vcc
	v_and_or_b32 v3, v10, s6, v3
	s_mov_b64 s[0:1], 0
	s_branch .LBB29_1795
.LBB29_1793:
	s_mov_b64 s[0:1], -1
                                        ; implicit-def: $vgpr3
	s_branch .LBB29_1798
.LBB29_1794:
	s_mov_b64 s[0:1], -1
                                        ; implicit-def: $vgpr3
.LBB29_1795:
	s_andn2_b64 vcc, exec, s[0:1]
	s_cbranch_vccnz .LBB29_1797
; %bb.1796:
	global_load_dword v3, v[7:8], off
	s_waitcnt vmcnt(0)
	v_cvt_f16_f32_e32 v3, v3
.LBB29_1797:
	s_mov_b64 s[0:1], 0
.LBB29_1798:
	s_andn2_b64 vcc, exec, s[0:1]
	s_cbranch_vccnz .LBB29_1800
; %bb.1799:
	global_load_ushort v3, v[7:8], off
.LBB29_1800:
	s_mov_b64 s[0:1], 0
.LBB29_1801:
	s_andn2_b64 vcc, exec, s[0:1]
	s_cbranch_vccnz .LBB29_1821
; %bb.1802:
	s_cmp_lt_i32 s4, 2
	s_cbranch_scc1 .LBB29_1806
; %bb.1803:
	s_cmp_lt_i32 s4, 3
	s_cbranch_scc1 .LBB29_1807
; %bb.1804:
	s_cmp_gt_i32 s4, 3
	s_cbranch_scc0 .LBB29_1808
; %bb.1805:
	global_load_dwordx2 v[9:10], v[7:8], off
	s_mov_b64 s[0:1], 0
	s_waitcnt vmcnt(0)
	v_xor_b32_e32 v5, v9, v10
	v_ffbh_i32_e32 v3, v10
	v_ashrrev_i32_e32 v5, 31, v5
	v_add_u32_e32 v3, -1, v3
	v_add_u32_e32 v5, 32, v5
	v_min_u32_e32 v3, v3, v5
	v_lshlrev_b64 v[9:10], v3, v[9:10]
	v_sub_u32_e32 v3, 32, v3
	v_min_u32_e32 v5, 1, v9
	v_or_b32_e32 v5, v10, v5
	v_cvt_f32_i32_e32 v5, v5
	v_ldexp_f32 v3, v5, v3
	v_cvt_f16_f32_e32 v3, v3
	s_branch .LBB29_1809
.LBB29_1806:
	s_mov_b64 s[0:1], -1
                                        ; implicit-def: $vgpr3
	s_branch .LBB29_1815
.LBB29_1807:
	s_mov_b64 s[0:1], -1
                                        ; implicit-def: $vgpr3
	s_branch .LBB29_1812
.LBB29_1808:
	s_mov_b64 s[0:1], -1
                                        ; implicit-def: $vgpr3
.LBB29_1809:
	s_andn2_b64 vcc, exec, s[0:1]
	s_cbranch_vccnz .LBB29_1811
; %bb.1810:
	global_load_dword v3, v[7:8], off
	s_waitcnt vmcnt(0)
	v_cvt_f32_i32_e32 v3, v3
	v_cvt_f16_f32_e32 v3, v3
.LBB29_1811:
	s_mov_b64 s[0:1], 0
.LBB29_1812:
	s_andn2_b64 vcc, exec, s[0:1]
	s_cbranch_vccnz .LBB29_1814
; %bb.1813:
	global_load_ushort v3, v[7:8], off
	s_waitcnt vmcnt(0)
	v_cvt_f16_i16_e32 v3, v3
.LBB29_1814:
	s_mov_b64 s[0:1], 0
.LBB29_1815:
	s_andn2_b64 vcc, exec, s[0:1]
	s_cbranch_vccnz .LBB29_1821
; %bb.1816:
	s_cmp_gt_i32 s4, 0
	s_cbranch_scc0 .LBB29_1818
; %bb.1817:
	global_load_sbyte v3, v[7:8], off
	s_mov_b64 s[0:1], 0
	s_waitcnt vmcnt(0)
	v_cvt_f16_i16_e32 v3, v3
	s_branch .LBB29_1819
.LBB29_1818:
	s_mov_b64 s[0:1], -1
                                        ; implicit-def: $vgpr3
.LBB29_1819:
	s_andn2_b64 vcc, exec, s[0:1]
	s_cbranch_vccnz .LBB29_1821
; %bb.1820:
	global_load_ubyte v3, v[7:8], off
	s_waitcnt vmcnt(0)
	v_cvt_f16_u16_e32 v3, v3
.LBB29_1821:
	s_mov_b64 s[6:7], -1
.LBB29_1822:
	s_andn2_b64 vcc, exec, s[6:7]
	s_cbranch_vccnz .LBB29_1925
; %bb.1823:
	s_waitcnt vmcnt(0)
	v_cvt_f32_f16_e32 v5, v3
	v_cmp_neq_f16_e32 vcc, 0, v3
                                        ; implicit-def: $vgpr7
	s_and_saveexec_b64 s[0:1], vcc
	s_xor_b64 s[4:5], exec, s[0:1]
	s_cbranch_execz .LBB29_1845
; %bb.1824:
	v_cmp_gt_f16_e32 vcc, 0, v3
	s_mov_b64 s[0:1], -1
	v_mov_b32_e32 v8, 0
	s_and_saveexec_b64 s[6:7], vcc
	s_cbranch_execz .LBB29_1832
; %bb.1825:
	v_trunc_f32_e32 v7, v5
	v_cmp_neq_f32_e32 vcc, v7, v5
	s_mov_b64 s[12:13], 0
	v_mov_b32_e32 v8, 0
	s_and_saveexec_b64 s[10:11], vcc
	s_cbranch_execz .LBB29_1831
; %bb.1826:
	v_cvt_f32_f16_e32 v3, v3
	s_mov_b32 s14, 0
	s_mov_b32 s1, 0xc00921fb
	;; [unrolled: 1-line block ×3, first 2 shown]
	v_cvt_f64_f32_e32 v[7:8], v3
	s_mov_b32 s15, 0x7ff00000
	v_bfrev_b32_e32 v3, 1
	s_mov_b32 s12, 0
	v_trunc_f64_e32 v[9:10], v[7:8]
	v_cmp_neq_f64_e64 vcc, |v[7:8]|, s[14:15]
	s_mov_b32 s13, 0x41d00000
                                        ; implicit-def: $vgpr11_vgpr12
	v_add_f64 v[9:10], v[7:8], -v[9:10]
	v_mul_f64 v[9:10], |v[9:10]|, s[0:1]
	v_cndmask_b32_e32 v8, v3, v10, vcc
	v_cndmask_b32_e32 v7, 0, v9, vcc
	v_cmp_nlt_f64_e64 s[12:13], |v[7:8]|, s[12:13]
                                        ; implicit-def: $vgpr3
                                        ; implicit-def: $vgpr9_vgpr10
	s_and_saveexec_b64 s[16:17], s[12:13]
	s_xor_b64 s[12:13], exec, s[16:17]
	s_cbranch_execz .LBB29_1828
; %bb.1827:
	v_trig_preop_f64 v[9:10], |v[7:8]|, 0
	s_mov_b32 s16, 0
	s_mov_b32 s17, 0x7b000000
	s_movk_i32 s1, 0xff80
	v_ldexp_f64 v[15:16], |v[7:8]|, s1
	v_cmp_ge_f64_e64 vcc, |v[7:8]|, s[16:17]
	v_trig_preop_f64 v[11:12], |v[7:8]|, 1
	v_and_b32_e32 v3, 0x7fffffff, v8
	v_trig_preop_f64 v[23:24], |v[7:8]|, 2
	v_mov_b32_e32 v33, 0
	s_mov_b32 s1, 0x3ff921fb
	v_cndmask_b32_e32 v16, v3, v16, vcc
	v_cndmask_b32_e32 v15, v7, v15, vcc
	v_mov_b32_e32 v3, 0x40100000
	v_mul_f64 v[17:18], v[9:10], v[15:16]
	v_mul_f64 v[19:20], v[11:12], v[15:16]
	;; [unrolled: 1-line block ×3, first 2 shown]
	v_fma_f64 v[9:10], v[9:10], v[15:16], -v[17:18]
	v_fma_f64 v[11:12], v[11:12], v[15:16], -v[19:20]
	;; [unrolled: 1-line block ×3, first 2 shown]
	v_add_f64 v[21:22], v[19:20], v[9:10]
	v_add_f64 v[25:26], v[21:22], -v[19:20]
	v_add_f64 v[31:32], v[17:18], v[21:22]
	v_add_f64 v[27:28], v[21:22], -v[25:26]
	v_add_f64 v[9:10], v[9:10], -v[25:26]
	v_add_f64 v[25:26], v[29:30], v[11:12]
	v_add_f64 v[17:18], v[31:32], -v[17:18]
	v_add_f64 v[19:20], v[19:20], -v[27:28]
	v_ldexp_f64 v[27:28], v[31:32], -2
	v_add_f64 v[35:36], v[25:26], -v[29:30]
	v_add_f64 v[17:18], v[21:22], -v[17:18]
	v_add_f64 v[9:10], v[9:10], v[19:20]
	v_fract_f64_e32 v[19:20], v[27:28]
	v_cmp_neq_f64_e64 vcc, |v[27:28]|, s[14:15]
	v_add_f64 v[11:12], v[11:12], -v[35:36]
	s_mov_b32 s14, 0x33145c07
	s_mov_b32 s15, 0x3c91a626
	v_add_f64 v[21:22], v[25:26], v[9:10]
	v_ldexp_f64 v[19:20], v[19:20], 2
	v_add_f64 v[27:28], v[17:18], v[21:22]
	v_cndmask_b32_e32 v20, 0, v20, vcc
	v_cndmask_b32_e32 v19, 0, v19, vcc
	v_add_f64 v[37:38], v[21:22], -v[25:26]
	v_add_f64 v[31:32], v[27:28], v[19:20]
	v_add_f64 v[17:18], v[27:28], -v[17:18]
	v_add_f64 v[39:40], v[21:22], -v[37:38]
	;; [unrolled: 1-line block ×3, first 2 shown]
	v_cmp_gt_f64_e32 vcc, 0, v[31:32]
	v_add_f64 v[31:32], v[25:26], -v[35:36]
	v_add_f64 v[17:18], v[21:22], -v[17:18]
	;; [unrolled: 1-line block ×3, first 2 shown]
	v_cndmask_b32_e32 v34, 0, v3, vcc
	v_add_f64 v[19:20], v[19:20], v[33:34]
	v_add_f64 v[31:32], v[29:30], -v[31:32]
	v_add_f64 v[9:10], v[9:10], v[25:26]
	v_add_f64 v[41:42], v[27:28], v[19:20]
	;; [unrolled: 1-line block ×3, first 2 shown]
	v_cvt_i32_f64_e32 v3, v[41:42]
	v_add_f64 v[9:10], v[11:12], v[9:10]
	v_cvt_f64_i32_e32 v[34:35], v3
	v_add_f64 v[19:20], v[19:20], -v[34:35]
	v_add_f64 v[9:10], v[15:16], v[9:10]
	v_add_f64 v[11:12], v[27:28], v[19:20]
	;; [unrolled: 1-line block ×3, first 2 shown]
	v_mov_b32_e32 v17, 0x3ff00000
	v_add_f64 v[15:16], v[11:12], -v[19:20]
	v_cmp_le_f64_e32 vcc, 0.5, v[11:12]
	v_add_f64 v[15:16], v[27:28], -v[15:16]
	v_cndmask_b32_e32 v34, 0, v17, vcc
	v_add_f64 v[11:12], v[11:12], -v[33:34]
	v_addc_co_u32_e32 v3, vcc, 0, v3, vcc
	v_add_f64 v[9:10], v[9:10], v[15:16]
	v_add_f64 v[15:16], v[11:12], v[9:10]
	v_mul_f64 v[17:18], v[15:16], s[0:1]
	v_add_f64 v[11:12], v[15:16], -v[11:12]
	v_fma_f64 v[19:20], v[15:16], s[0:1], -v[17:18]
	v_add_f64 v[9:10], v[9:10], -v[11:12]
	v_fma_f64 v[11:12], v[15:16], s[14:15], v[19:20]
	v_fma_f64 v[11:12], v[9:10], s[0:1], v[11:12]
	v_add_f64 v[9:10], v[17:18], v[11:12]
	v_add_f64 v[15:16], v[9:10], -v[17:18]
	v_add_f64 v[11:12], v[11:12], -v[15:16]
.LBB29_1828:
	s_andn2_saveexec_b64 s[0:1], s[12:13]
	s_cbranch_execz .LBB29_1830
; %bb.1829:
	s_mov_b32 s12, 0x6dc9c883
	s_mov_b32 s13, 0x3fe45f30
	v_mul_f64 v[9:10], |v[7:8]|, s[12:13]
	s_mov_b32 s12, 0x54442d18
	s_mov_b32 s13, 0xbff921fb
	;; [unrolled: 1-line block ×4, first 2 shown]
	v_rndne_f64_e32 v[15:16], v[9:10]
	v_fma_f64 v[9:10], v[15:16], s[12:13], |v[7:8]|
	v_mul_f64 v[11:12], v[15:16], s[14:15]
	s_mov_b32 s12, 0x252049c0
	s_mov_b32 s13, 0xb97b839a
	v_cvt_i32_f64_e32 v3, v[15:16]
	v_fma_f64 v[21:22], v[15:16], s[14:15], v[9:10]
	v_add_f64 v[17:18], v[9:10], v[11:12]
	s_mov_b32 s15, 0x3c91a626
	v_add_f64 v[19:20], v[9:10], -v[17:18]
	v_add_f64 v[17:18], v[17:18], -v[21:22]
	v_add_f64 v[9:10], v[19:20], v[11:12]
	v_fma_f64 v[11:12], v[15:16], s[14:15], v[11:12]
	v_add_f64 v[9:10], v[17:18], v[9:10]
	v_add_f64 v[9:10], v[9:10], -v[11:12]
	v_fma_f64 v[11:12], v[15:16], s[12:13], v[9:10]
	v_add_f64 v[9:10], v[21:22], v[11:12]
	v_add_f64 v[17:18], v[9:10], -v[21:22]
	v_add_f64 v[11:12], v[11:12], -v[17:18]
.LBB29_1830:
	s_or_b64 exec, exec, s[0:1]
	v_mul_f64 v[15:16], v[9:10], v[9:10]
	v_add_f64 v[17:18], v[11:12], v[11:12]
	s_mov_b32 s0, 0xc751c08c
	s_mov_b32 s1, 0x3ef5e089
	v_and_b32_e32 v3, 1, v3
	v_cmp_eq_u32_e32 vcc, 0, v3
	s_mov_b32 s14, 0x54442d18
	s_mov_b32 s15, 0xc00921fb
	v_fma_f64 v[19:20], v[9:10], v[9:10], -v[15:16]
	s_mov_b64 s[12:13], exec
	v_sub_f32_e32 v5, 1.0, v5
	v_fma_f64 v[17:18], v[9:10], v[17:18], v[19:20]
	v_add_f64 v[15:16], v[15:16], v[17:18]
	v_mov_b32_e32 v17, 0xa9a29f71
	v_mov_b32_e32 v18, 0xbf078809
	v_fma_f64 v[17:18], v[15:16], s[0:1], v[17:18]
	s_mov_b32 s0, 0x90a8aae0
	s_mov_b32 s1, 0x3f17746f
	v_fma_f64 v[17:18], v[15:16], v[17:18], s[0:1]
	s_mov_b32 s0, 0xa6fbf144
	s_mov_b32 s1, 0xbefbb44d
	v_fma_f64 v[17:18], v[15:16], v[17:18], s[0:1]
	s_mov_b32 s0, 0xa7943acf
	s_mov_b32 s1, 0x3f21e634
	v_fma_f64 v[17:18], v[15:16], v[17:18], s[0:1]
	s_mov_b32 s0, 0xdeb68feb
	s_mov_b32 s1, 0x3f2d250f
	v_fma_f64 v[17:18], v[15:16], v[17:18], s[0:1]
	s_mov_b32 s0, 0xb58c4d95
	s_mov_b32 s1, 0x3f437fd9
	v_fma_f64 v[17:18], v[15:16], v[17:18], s[0:1]
	s_mov_b32 s0, 0x15120e2c
	s_mov_b32 s1, 0x3f57d5af
	v_fma_f64 v[17:18], v[15:16], v[17:18], s[0:1]
	s_mov_b32 s0, 0xe09491df
	s_mov_b32 s1, 0x3f6d6d93
	v_fma_f64 v[17:18], v[15:16], v[17:18], s[0:1]
	s_mov_b32 s0, 0x2033784d
	s_mov_b32 s1, 0x3f8226e1
	v_fma_f64 v[17:18], v[15:16], v[17:18], s[0:1]
	s_mov_b32 s0, 0x9ac36ae2
	s_mov_b32 s1, 0x3f9664f4
	v_fma_f64 v[17:18], v[15:16], v[17:18], s[0:1]
	s_mov_b32 s0, 0x1b451c21
	s_mov_b32 s1, 0x3faba1ba
	v_fma_f64 v[17:18], v[15:16], v[17:18], s[0:1]
	s_mov_b32 s0, 0x111185b7
	s_mov_b32 s1, 0x3fc11111
	v_fma_f64 v[17:18], v[15:16], v[17:18], s[0:1]
	s_mov_b32 s0, 0x555554ee
	s_mov_b32 s1, 0x3fd55555
	v_fma_f64 v[17:18], v[15:16], v[17:18], s[0:1]
	s_movk_i32 s0, 0x1f8
	v_cmp_class_f64_e64 s[0:1], v[7:8], s0
	v_mul_f64 v[15:16], v[15:16], v[17:18]
	v_mul_f64 v[17:18], v[9:10], v[15:16]
	v_add_f64 v[19:20], v[9:10], v[17:18]
	v_fma_f64 v[15:16], v[9:10], v[15:16], -v[17:18]
	v_add_f64 v[9:10], v[19:20], -v[9:10]
	v_add_f64 v[11:12], v[11:12], v[15:16]
	v_add_f64 v[9:10], v[17:18], -v[9:10]
	v_add_f64 v[9:10], v[11:12], v[9:10]
	v_add_f64 v[11:12], v[19:20], v[9:10]
	v_rcp_f64_e32 v[15:16], v[11:12]
	v_fma_f64 v[17:18], -v[11:12], v[15:16], 1.0
	v_fma_f64 v[15:16], v[17:18], v[15:16], v[15:16]
	v_fma_f64 v[17:18], -v[11:12], v[15:16], 1.0
	v_fma_f64 v[15:16], v[17:18], v[15:16], v[15:16]
	v_add_f64 v[17:18], v[11:12], -v[19:20]
	v_mul_f64 v[19:20], v[11:12], v[15:16]
	v_add_f64 v[9:10], v[9:10], -v[17:18]
	v_fma_f64 v[17:18], v[15:16], v[11:12], -v[19:20]
	v_fma_f64 v[9:10], v[15:16], v[9:10], v[17:18]
	v_add_f64 v[17:18], v[19:20], v[9:10]
	v_add_f64 v[21:22], -v[17:18], 1.0
	v_add_f64 v[19:20], v[17:18], -v[19:20]
	v_add_f64 v[23:24], -v[21:22], 1.0
	v_add_f64 v[9:10], v[19:20], -v[9:10]
	v_add_f64 v[17:18], v[23:24], -v[17:18]
	v_add_f64 v[9:10], v[9:10], v[17:18]
	v_add_f64 v[9:10], v[21:22], v[9:10]
	v_mul_f64 v[9:10], v[15:16], v[9:10]
	v_add_f64 v[9:10], v[15:16], v[9:10]
	v_and_b32_e32 v15, 0x80000000, v8
	v_mov_b32_e32 v8, 0x7ff80000
	v_xor_b32_e32 v7, 0x80000000, v10
	v_cndmask_b32_e32 v3, v9, v11, vcc
	v_cndmask_b32_e32 v9, v7, v12, vcc
	v_cndmask_b32_e64 v7, 0, v3, s[0:1]
	v_xor_b32_e32 v3, v9, v15
	v_cndmask_b32_e64 v8, v8, v3, s[0:1]
	v_div_scale_f64 v[9:10], s[0:1], v[7:8], v[7:8], s[14:15]
	v_div_scale_f64 v[17:18], vcc, s[14:15], v[7:8], s[14:15]
	v_rcp_f64_e32 v[11:12], v[9:10]
	v_fma_f64 v[15:16], -v[9:10], v[11:12], 1.0
	v_fma_f64 v[11:12], v[11:12], v[15:16], v[11:12]
	v_fma_f64 v[15:16], -v[9:10], v[11:12], 1.0
	v_fma_f64 v[11:12], v[11:12], v[15:16], v[11:12]
	v_mul_f64 v[15:16], v[17:18], v[11:12]
	v_fma_f64 v[9:10], -v[9:10], v[15:16], v[17:18]
	v_div_fmas_f64 v[9:10], v[9:10], v[11:12], v[15:16]
	v_div_fixup_f64 v[7:8], v[9:10], v[7:8], s[14:15]
	v_cvt_f32_f64_e32 v8, v[7:8]
.LBB29_1831:
	s_or_b64 exec, exec, s[10:11]
	s_orn2_b64 s[0:1], s[12:13], exec
.LBB29_1832:
	s_or_b64 exec, exec, s[6:7]
	v_mov_b32_e32 v7, 0x7e00
	s_and_saveexec_b64 s[6:7], s[0:1]
	s_cbranch_execz .LBB29_1844
; %bb.1833:
	s_mov_b32 s12, 0x41200000
	v_cmp_gt_f32_e32 vcc, s12, v5
	s_and_saveexec_b64 s[0:1], vcc
	s_cbranch_execz .LBB29_1837
; %bb.1834:
	s_mov_b64 s[10:11], 0
.LBB29_1835:                            ; =>This Inner Loop Header: Depth=1
	v_div_scale_f32 v3, s[14:15], v5, v5, 1.0
	v_div_scale_f32 v7, vcc, 1.0, v5, 1.0
	v_rcp_f32_e32 v9, v3
	v_fma_f32 v10, -v3, v9, 1.0
	v_fmac_f32_e32 v9, v10, v9
	v_mul_f32_e32 v10, v7, v9
	v_fma_f32 v11, -v3, v10, v7
	v_fmac_f32_e32 v10, v11, v9
	v_fma_f32 v3, -v3, v10, v7
	v_div_fmas_f32 v3, v3, v9, v10
	v_div_fixup_f32 v3, v3, v5, 1.0
	v_add_f32_e32 v5, 1.0, v5
	v_cmp_ngt_f32_e32 vcc, s12, v5
	s_or_b64 s[10:11], vcc, s[10:11]
	v_sub_f32_e32 v8, v8, v3
	s_andn2_b64 exec, exec, s[10:11]
	s_cbranch_execnz .LBB29_1835
; %bb.1836:
	s_or_b64 exec, exec, s[10:11]
.LBB29_1837:
	s_or_b64 exec, exec, s[0:1]
	s_mov_b32 s0, 0x41200000
	v_cmp_neq_f32_e32 vcc, s0, v5
                                        ; implicit-def: $vgpr7
	s_and_saveexec_b64 s[0:1], vcc
	s_xor_b64 s[10:11], exec, s[0:1]
	s_cbranch_execz .LBB29_1841
; %bb.1838:
	v_cvt_f64_f32_e32 v[9:10], v5
	s_mov_b32 s0, 0x85d8a000
	s_mov_b32 s1, 0x43763457
	v_mov_b32_e32 v3, 0
	v_cmp_gt_f64_e32 vcc, s[0:1], v[9:10]
	s_and_saveexec_b64 s[0:1], vcc
	s_cbranch_execz .LBB29_1840
; %bb.1839:
	v_mul_f32_e32 v3, v5, v5
	v_div_scale_f32 v7, s[12:13], v3, v3, 1.0
	v_div_scale_f32 v9, vcc, 1.0, v3, 1.0
	v_mov_b32_e32 v15, 0x3b820821
	v_rcp_f32_e32 v10, v7
	v_fma_f32 v11, -v7, v10, 1.0
	v_fmac_f32_e32 v10, v11, v10
	v_mul_f32_e32 v11, v9, v10
	v_fma_f32 v12, -v7, v11, v9
	v_fmac_f32_e32 v11, v12, v10
	v_fma_f32 v7, -v7, v11, v9
	v_div_fmas_f32 v7, v7, v10, v11
	v_mov_b32_e32 v9, 0x3daaaaab
	v_mov_b32_e32 v10, 0xbcaccacd
	;; [unrolled: 1-line block ×4, first 2 shown]
	v_div_fixup_f32 v3, v7, v3, 1.0
	v_fma_f32 v7, 0, v3, v9
	v_fmac_f32_e32 v10, v3, v7
	v_fmac_f32_e32 v11, v3, v10
	;; [unrolled: 1-line block ×4, first 2 shown]
	v_mov_b32_e32 v7, 0xbc088889
	v_fmac_f32_e32 v7, v3, v15
	v_fmac_f32_e32 v9, v3, v7
	v_mul_f32_e32 v3, v3, v9
.LBB29_1840:
	s_or_b64 exec, exec, s[0:1]
	v_div_scale_f32 v7, s[0:1], v5, v5, -0.5
	v_div_scale_f32 v9, vcc, -0.5, v5, -0.5
	s_mov_b32 s0, 0x800000
	v_cmp_gt_f32_e64 s[0:1], s0, v5
	v_cndmask_b32_e64 v11, 0, 32, s[0:1]
	s_mov_b32 s12, 0x3f317217
	v_rcp_f32_e32 v10, v7
	v_fma_f32 v12, -v7, v10, 1.0
	v_fmac_f32_e32 v10, v12, v10
	v_mul_f32_e32 v12, v9, v10
	v_fma_f32 v15, -v7, v12, v9
	v_fmac_f32_e32 v12, v15, v10
	v_fma_f32 v7, -v7, v12, v9
	v_div_fmas_f32 v7, v7, v10, v12
	v_ldexp_f32 v9, v5, v11
	v_log_f32_e32 v9, v9
	v_mul_f32_e32 v10, 0x3f317217, v9
	v_fma_f32 v10, v9, s12, -v10
	v_fmac_f32_e32 v10, 0x3377d1cf, v9
	s_mov_b32 s12, 0x7f800000
	v_fmac_f32_e32 v10, 0x3f317217, v9
	v_cmp_lt_f32_e64 vcc, |v9|, s12
	v_cndmask_b32_e32 v9, v9, v10, vcc
	v_mov_b32_e32 v10, 0x41b17218
	v_cndmask_b32_e64 v10, 0, v10, s[0:1]
	v_sub_f32_e32 v9, v9, v10
	v_div_fixup_f32 v5, v7, v5, -0.5
	v_add_f32_e32 v5, v9, v5
	v_sub_f32_e32 v3, v5, v3
	v_add_f32_e32 v3, v8, v3
	v_cvt_f16_f32_e32 v7, v3
                                        ; implicit-def: $vgpr8
.LBB29_1841:
	s_andn2_saveexec_b64 s[0:1], s[10:11]
; %bb.1842:
	v_add_f32_e32 v3, 0x40101cb7, v8
	v_cvt_f16_f32_e32 v7, v3
; %bb.1843:
	s_or_b64 exec, exec, s[0:1]
.LBB29_1844:
	s_or_b64 exec, exec, s[6:7]
                                        ; implicit-def: $vgpr5
.LBB29_1845:
	s_andn2_saveexec_b64 s[0:1], s[4:5]
; %bb.1846:
	v_xor_b32_e32 v3, 0x80000000, v5
	s_movk_i32 s4, 0x8000
	v_and_b32_sdwa v3, v3, s4 dst_sel:DWORD dst_unused:UNUSED_PAD src0_sel:WORD_1 src1_sel:DWORD
	v_or_b32_e32 v7, 0x7c00, v3
; %bb.1847:
	s_or_b64 exec, exec, s[0:1]
	s_bfe_u32 s14, s18, 0x80008
	v_mov_b32_e32 v3, s9
	v_add_co_u32_e32 v5, vcc, s8, v6
	s_cmp_lt_i32 s14, 11
	v_addc_co_u32_e32 v6, vcc, 0, v3, vcc
	s_cbranch_scc1 .LBB29_1971
; %bb.1848:
	s_and_b32 s15, 0xffff, s14
	s_mov_b64 s[10:11], -1
	s_mov_b64 s[4:5], 0
	s_cmp_gt_i32 s15, 25
	s_mov_b64 s[6:7], 0
	s_mov_b64 s[0:1], 0
	s_cbranch_scc0 .LBB29_1881
; %bb.1849:
	s_cmp_gt_i32 s15, 28
	s_cbranch_scc0 .LBB29_1864
; %bb.1850:
	s_cmp_gt_i32 s15, 43
	;; [unrolled: 3-line block ×3, first 2 shown]
	s_cbranch_scc0 .LBB29_1854
; %bb.1852:
	s_mov_b64 s[0:1], -1
	s_mov_b64 s[10:11], 0
	s_cmp_eq_u32 s15, 46
	s_cbranch_scc0 .LBB29_1854
; %bb.1853:
	v_cvt_f32_f16_e32 v3, v1
	s_movk_i32 s0, 0x7fff
	v_cmp_o_f16_e32 vcc, v1, v1
	v_mov_b32_e32 v8, 0x7fc0
	v_bfe_u32 v9, v3, 16, 1
	v_add3_u32 v3, v3, v9, s0
	v_cndmask_b32_sdwa v3, v8, v3, vcc dst_sel:DWORD dst_unused:UNUSED_PAD src0_sel:DWORD src1_sel:WORD_1
	global_store_dword v[5:6], v3, off
	s_mov_b64 s[0:1], 0
	s_mov_b64 s[6:7], -1
.LBB29_1854:
	s_and_b64 vcc, exec, s[10:11]
	s_cbranch_vccz .LBB29_1859
; %bb.1855:
	s_cmp_eq_u32 s15, 44
	s_mov_b64 s[0:1], -1
	s_cbranch_scc0 .LBB29_1859
; %bb.1856:
	v_cvt_f32_f16_e32 v3, v1
	s_movk_i32 s0, 0xff
	v_mov_b32_e32 v9, 0xff
	v_bfe_u32 v8, v3, 23, 8
	v_cmp_ne_u32_e32 vcc, s0, v8
	s_and_saveexec_b64 s[6:7], vcc
; %bb.1857:
	s_mov_b32 s0, 0x3fffff
	v_lshrrev_b32_e32 v9, 23, v3
	v_and_b32_e32 v10, 0x400000, v3
	v_and_or_b32 v3, v3, s0, v8
	v_cmp_ne_u32_e32 vcc, 0, v10
	v_cmp_ne_u32_e64 s[0:1], 0, v3
	s_and_b64 s[0:1], vcc, s[0:1]
	v_cndmask_b32_e64 v3, 0, 1, s[0:1]
	v_add_u32_e32 v9, v9, v3
; %bb.1858:
	s_or_b64 exec, exec, s[6:7]
	s_mov_b64 s[0:1], 0
	s_mov_b64 s[6:7], -1
	global_store_byte v[5:6], v9, off
.LBB29_1859:
	s_mov_b64 s[10:11], 0
.LBB29_1860:
	s_and_b64 vcc, exec, s[10:11]
	s_cbranch_vccz .LBB29_1863
; %bb.1861:
	s_cmp_eq_u32 s15, 29
	s_mov_b64 s[0:1], -1
	s_cbranch_scc0 .LBB29_1863
; %bb.1862:
	v_cvt_f32_f16_e32 v3, v1
	v_mov_b32_e32 v9, 0
	s_mov_b64 s[0:1], 0
	s_mov_b64 s[6:7], -1
	v_cvt_u32_f32_e32 v8, v3
	global_store_dwordx2 v[5:6], v[8:9], off
.LBB29_1863:
	s_mov_b64 s[10:11], 0
.LBB29_1864:
	s_and_b64 vcc, exec, s[10:11]
	s_cbranch_vccz .LBB29_1880
; %bb.1865:
	s_cmp_lt_i32 s15, 27
	s_mov_b64 s[6:7], -1
	s_cbranch_scc1 .LBB29_1871
; %bb.1866:
	s_cmp_gt_i32 s15, 27
	s_cbranch_scc0 .LBB29_1868
; %bb.1867:
	v_cvt_f32_f16_e32 v3, v1
	s_mov_b64 s[6:7], 0
	v_cvt_u32_f32_e32 v3, v3
	global_store_dword v[5:6], v3, off
.LBB29_1868:
	s_andn2_b64 vcc, exec, s[6:7]
	s_cbranch_vccnz .LBB29_1870
; %bb.1869:
	v_cvt_u16_f16_e32 v3, v1
	global_store_short v[5:6], v3, off
.LBB29_1870:
	s_mov_b64 s[6:7], 0
.LBB29_1871:
	s_andn2_b64 vcc, exec, s[6:7]
	s_cbranch_vccnz .LBB29_1879
; %bb.1872:
	v_cvt_f32_f16_e32 v3, v1
	s_mov_b32 s6, 0x43800000
	v_mov_b32_e32 v9, 0x80
	v_and_b32_e32 v8, 0x7fffffff, v3
	v_cmp_gt_u32_e32 vcc, s6, v8
	s_and_saveexec_b64 s[6:7], vcc
	s_cbranch_execz .LBB29_1878
; %bb.1873:
	s_mov_b32 s10, 0x3bffffff
	v_cmp_lt_u32_e32 vcc, s10, v8
	s_mov_b64 s[10:11], 0
                                        ; implicit-def: $vgpr8
	s_and_saveexec_b64 s[12:13], vcc
	s_xor_b64 s[12:13], exec, s[12:13]
	s_cbranch_execz .LBB29_2329
; %bb.1874:
	v_bfe_u32 v8, v3, 20, 1
	s_mov_b32 s16, 0x487ffff
	v_add3_u32 v8, v3, v8, s16
	s_mov_b64 s[10:11], exec
	v_lshrrev_b32_e32 v8, 20, v8
	s_andn2_saveexec_b64 s[12:13], s[12:13]
	s_cbranch_execnz .LBB29_2330
.LBB29_1875:
	s_or_b64 exec, exec, s[12:13]
	v_mov_b32_e32 v9, 0
	s_and_saveexec_b64 s[12:13], s[10:11]
.LBB29_1876:
	v_lshrrev_b32_e32 v3, 24, v3
	s_movk_i32 s10, 0x80
	v_and_or_b32 v9, v3, s10, v8
.LBB29_1877:
	s_or_b64 exec, exec, s[12:13]
.LBB29_1878:
	s_or_b64 exec, exec, s[6:7]
	global_store_byte v[5:6], v9, off
.LBB29_1879:
	s_mov_b64 s[6:7], -1
.LBB29_1880:
	s_mov_b64 s[10:11], 0
.LBB29_1881:
	s_and_b64 vcc, exec, s[10:11]
	s_cbranch_vccz .LBB29_1921
; %bb.1882:
	s_cmp_gt_i32 s15, 22
	s_mov_b64 s[4:5], -1
	s_cbranch_scc0 .LBB29_1914
; %bb.1883:
	s_cmp_lt_i32 s15, 24
	s_cbranch_scc1 .LBB29_1903
; %bb.1884:
	s_cmp_gt_i32 s15, 24
	s_cbranch_scc0 .LBB29_1892
; %bb.1885:
	v_cvt_f32_f16_e32 v3, v1
	s_mov_b32 s4, 0x47800000
	v_mov_b32_e32 v9, 0x80
	v_and_b32_e32 v8, 0x7fffffff, v3
	v_cmp_gt_u32_e32 vcc, s4, v8
	s_and_saveexec_b64 s[4:5], vcc
	s_cbranch_execz .LBB29_1891
; %bb.1886:
	s_mov_b32 s6, 0x37ffffff
	v_cmp_lt_u32_e32 vcc, s6, v8
	s_mov_b64 s[6:7], 0
                                        ; implicit-def: $vgpr8
	s_and_saveexec_b64 s[10:11], vcc
	s_xor_b64 s[10:11], exec, s[10:11]
	s_cbranch_execz .LBB29_2332
; %bb.1887:
	v_bfe_u32 v8, v3, 21, 1
	s_mov_b32 s12, 0x88fffff
	v_add3_u32 v8, v3, v8, s12
	s_mov_b64 s[6:7], exec
	v_lshrrev_b32_e32 v8, 21, v8
	s_andn2_saveexec_b64 s[10:11], s[10:11]
	s_cbranch_execnz .LBB29_2333
.LBB29_1888:
	s_or_b64 exec, exec, s[10:11]
	v_mov_b32_e32 v9, 0
	s_and_saveexec_b64 s[10:11], s[6:7]
.LBB29_1889:
	v_lshrrev_b32_e32 v3, 24, v3
	s_movk_i32 s6, 0x80
	v_and_or_b32 v9, v3, s6, v8
.LBB29_1890:
	s_or_b64 exec, exec, s[10:11]
.LBB29_1891:
	s_or_b64 exec, exec, s[4:5]
	s_mov_b64 s[4:5], 0
	global_store_byte v[5:6], v9, off
.LBB29_1892:
	s_and_b64 vcc, exec, s[4:5]
	s_cbranch_vccz .LBB29_1902
; %bb.1893:
	v_cvt_f32_f16_e32 v3, v1
	s_mov_b32 s4, 0x43f00000
                                        ; implicit-def: $vgpr8
	v_and_b32_e32 v9, 0x7fffffff, v3
	v_cmp_gt_u32_e32 vcc, s4, v9
	s_and_saveexec_b64 s[4:5], vcc
	s_xor_b64 s[4:5], exec, s[4:5]
	s_cbranch_execz .LBB29_1899
; %bb.1894:
	s_mov_b32 s6, 0x3c7fffff
	v_cmp_lt_u32_e32 vcc, s6, v9
                                        ; implicit-def: $vgpr8
	s_and_saveexec_b64 s[6:7], vcc
	s_xor_b64 s[6:7], exec, s[6:7]
; %bb.1895:
	v_bfe_u32 v8, v3, 20, 1
	s_mov_b32 s10, 0x407ffff
	v_add3_u32 v8, v3, v8, s10
	v_lshrrev_b32_e32 v9, 20, v8
	v_and_b32_e32 v8, 0xff00000, v8
	s_mov_b32 s10, 0x7f00000
	v_mov_b32_e32 v10, 0x7e
	v_cmp_ne_u32_e32 vcc, s10, v8
	v_cndmask_b32_e32 v8, v10, v9, vcc
; %bb.1896:
	s_andn2_saveexec_b64 s[6:7], s[6:7]
; %bb.1897:
	s_mov_b32 s10, 0x46800000
	v_add_f32_e64 v8, |v3|, s10
; %bb.1898:
	s_or_b64 exec, exec, s[6:7]
                                        ; implicit-def: $vgpr9
.LBB29_1899:
	s_andn2_saveexec_b64 s[4:5], s[4:5]
; %bb.1900:
	s_mov_b32 s6, 0x7f800000
	v_mov_b32_e32 v8, 0x7e
	v_mov_b32_e32 v10, 0x7f
	v_cmp_lt_u32_e32 vcc, s6, v9
	v_cndmask_b32_e32 v8, v8, v10, vcc
; %bb.1901:
	s_or_b64 exec, exec, s[4:5]
	v_lshrrev_b32_e32 v3, 24, v3
	s_movk_i32 s4, 0x80
	v_and_or_b32 v3, v3, s4, v8
	global_store_byte v[5:6], v3, off
.LBB29_1902:
	s_mov_b64 s[4:5], 0
.LBB29_1903:
	s_andn2_b64 vcc, exec, s[4:5]
	s_cbranch_vccnz .LBB29_1913
; %bb.1904:
	v_cvt_f32_f16_e32 v3, v1
	s_mov_b32 s4, 0x47800000
                                        ; implicit-def: $vgpr8
	v_and_b32_e32 v9, 0x7fffffff, v3
	v_cmp_gt_u32_e32 vcc, s4, v9
	s_and_saveexec_b64 s[4:5], vcc
	s_xor_b64 s[4:5], exec, s[4:5]
	s_cbranch_execz .LBB29_1910
; %bb.1905:
	s_mov_b32 s6, 0x387fffff
	v_cmp_lt_u32_e32 vcc, s6, v9
                                        ; implicit-def: $vgpr8
	s_and_saveexec_b64 s[6:7], vcc
	s_xor_b64 s[6:7], exec, s[6:7]
; %bb.1906:
	v_bfe_u32 v8, v3, 21, 1
	s_mov_b32 s10, 0x80fffff
	v_add3_u32 v8, v3, v8, s10
	v_lshrrev_b32_e32 v8, 21, v8
; %bb.1907:
	s_andn2_saveexec_b64 s[6:7], s[6:7]
; %bb.1908:
	s_mov_b32 s10, 0x43000000
	v_add_f32_e64 v8, |v3|, s10
; %bb.1909:
	s_or_b64 exec, exec, s[6:7]
                                        ; implicit-def: $vgpr9
.LBB29_1910:
	s_andn2_saveexec_b64 s[4:5], s[4:5]
; %bb.1911:
	s_mov_b32 s6, 0x7f800000
	v_mov_b32_e32 v8, 0x7c
	v_mov_b32_e32 v10, 0x7f
	v_cmp_lt_u32_e32 vcc, s6, v9
	v_cndmask_b32_e32 v8, v8, v10, vcc
; %bb.1912:
	s_or_b64 exec, exec, s[4:5]
	v_lshrrev_b32_e32 v3, 24, v3
	s_movk_i32 s4, 0x80
	v_and_or_b32 v3, v3, s4, v8
	global_store_byte v[5:6], v3, off
.LBB29_1913:
	s_mov_b64 s[4:5], 0
	s_mov_b64 s[6:7], -1
.LBB29_1914:
	s_andn2_b64 vcc, exec, s[4:5]
	s_mov_b64 s[4:5], 0
	s_cbranch_vccnz .LBB29_1921
; %bb.1915:
	s_cmp_gt_i32 s15, 14
	s_mov_b64 s[10:11], -1
	s_cbranch_scc0 .LBB29_1919
; %bb.1916:
	s_cmp_eq_u32 s15, 15
	s_mov_b64 s[0:1], -1
	s_cbranch_scc0 .LBB29_1918
; %bb.1917:
	v_cvt_f32_f16_e32 v3, v1
	s_movk_i32 s0, 0x7fff
	v_cmp_o_f16_e32 vcc, v1, v1
	v_mov_b32_e32 v8, 0x7fc0
	v_bfe_u32 v9, v3, 16, 1
	v_add3_u32 v3, v3, v9, s0
	v_cndmask_b32_sdwa v3, v8, v3, vcc dst_sel:DWORD dst_unused:UNUSED_PAD src0_sel:DWORD src1_sel:WORD_1
	global_store_short v[5:6], v3, off
	s_mov_b64 s[0:1], 0
	s_mov_b64 s[6:7], -1
.LBB29_1918:
	s_mov_b64 s[10:11], 0
.LBB29_1919:
	s_and_b64 vcc, exec, s[10:11]
	s_cbranch_vccz .LBB29_1921
; %bb.1920:
	s_cmp_lg_u32 s15, 11
	s_mov_b64 s[4:5], -1
	s_cselect_b64 s[0:1], -1, 0
.LBB29_1921:
	s_and_b64 vcc, exec, s[0:1]
	s_cbranch_vccnz .LBB29_2331
; %bb.1922:
	s_andn2_b64 vcc, exec, s[4:5]
	s_cbranch_vccnz .LBB29_1924
.LBB29_1923:
	v_and_b32_e32 v3, 0x7fff, v1
	v_cmp_ne_u16_e32 vcc, 0, v3
	v_cndmask_b32_e64 v3, 0, 1, vcc
	s_mov_b64 s[6:7], -1
	global_store_byte v[5:6], v3, off
.LBB29_1924:
	s_mov_b64 s[0:1], 0
	s_branch .LBB29_1972
.LBB29_1925:
	s_mov_b64 s[0:1], 0
                                        ; implicit-def: $vgpr0_vgpr1
                                        ; implicit-def: $sgpr14
                                        ; implicit-def: $vgpr7
.LBB29_1926:
	s_mov_b64 s[4:5], 0
.LBB29_1927:
	s_and_b64 s[6:7], s[4:5], exec
	s_andn2_b64 s[4:5], s[28:29], exec
	s_and_b64 s[2:3], s[2:3], exec
	s_and_b64 s[0:1], s[0:1], exec
	s_or_b64 s[28:29], s[4:5], s[2:3]
.LBB29_1928:
	s_or_b64 exec, exec, s[30:31]
	s_and_saveexec_b64 s[2:3], s[28:29]
	s_cbranch_execz .LBB29_1931
; %bb.1929:
	; divergent unreachable
	s_or_b64 exec, exec, s[2:3]
	s_and_saveexec_b64 s[2:3], s[6:7]
	s_xor_b64 s[2:3], exec, s[2:3]
	s_cbranch_execnz .LBB29_1932
.LBB29_1930:
	s_or_b64 exec, exec, s[2:3]
	s_and_saveexec_b64 s[2:3], s[0:1]
	s_cbranch_execnz .LBB29_1933
	s_branch .LBB29_1970
.LBB29_1931:
	s_or_b64 exec, exec, s[2:3]
	s_and_saveexec_b64 s[2:3], s[6:7]
	s_xor_b64 s[2:3], exec, s[2:3]
	s_cbranch_execz .LBB29_1930
.LBB29_1932:
	v_and_b32_e32 v2, 0x7fff, v7
	v_cmp_ne_u16_e32 vcc, 0, v2
	v_cndmask_b32_e64 v2, 0, 1, vcc
	global_store_byte v[0:1], v2, off
	s_or_b64 exec, exec, s[2:3]
	s_and_saveexec_b64 s[2:3], s[0:1]
	s_cbranch_execz .LBB29_1970
.LBB29_1933:
	s_sext_i32_i16 s2, s14
	s_cmp_lt_i32 s2, 5
	s_mov_b64 s[0:1], -1
	s_cbranch_scc1 .LBB29_1954
; %bb.1934:
	s_cmp_lt_i32 s2, 8
	s_cbranch_scc1 .LBB29_1944
; %bb.1935:
	s_cmp_lt_i32 s2, 9
	s_cbranch_scc1 .LBB29_1941
; %bb.1936:
	s_cmp_gt_i32 s2, 9
	s_cbranch_scc0 .LBB29_1938
; %bb.1937:
	v_cvt_f32_f16_e32 v2, v7
	s_waitcnt vmcnt(0)
	v_mov_b32_e32 v4, 0
	v_mov_b32_e32 v5, v4
	s_mov_b64 s[0:1], 0
	v_cvt_f64_f32_e32 v[2:3], v2
	global_store_dwordx4 v[0:1], v[2:5], off
.LBB29_1938:
	s_andn2_b64 vcc, exec, s[0:1]
	s_cbranch_vccnz .LBB29_1940
; %bb.1939:
	v_cvt_f32_f16_e32 v2, v7
	s_waitcnt vmcnt(0)
	v_mov_b32_e32 v3, 0
	global_store_dwordx2 v[0:1], v[2:3], off
.LBB29_1940:
	s_mov_b64 s[0:1], 0
.LBB29_1941:
	s_andn2_b64 vcc, exec, s[0:1]
	s_cbranch_vccnz .LBB29_1943
; %bb.1942:
	v_and_b32_e32 v2, 0xffff, v7
	global_store_dword v[0:1], v2, off
.LBB29_1943:
	s_mov_b64 s[0:1], 0
.LBB29_1944:
	s_andn2_b64 vcc, exec, s[0:1]
	s_cbranch_vccnz .LBB29_1953
; %bb.1945:
	s_sext_i32_i16 s2, s14
	s_cmp_lt_i32 s2, 6
	s_mov_b64 s[0:1], -1
	s_cbranch_scc1 .LBB29_1951
; %bb.1946:
	s_cmp_gt_i32 s2, 6
	s_cbranch_scc0 .LBB29_1948
; %bb.1947:
	v_cvt_f32_f16_e32 v2, v7
	s_mov_b64 s[0:1], 0
	s_waitcnt vmcnt(0)
	v_cvt_f64_f32_e32 v[2:3], v2
	global_store_dwordx2 v[0:1], v[2:3], off
.LBB29_1948:
	s_andn2_b64 vcc, exec, s[0:1]
	s_cbranch_vccnz .LBB29_1950
; %bb.1949:
	v_cvt_f32_f16_e32 v2, v7
	global_store_dword v[0:1], v2, off
.LBB29_1950:
	s_mov_b64 s[0:1], 0
.LBB29_1951:
	s_andn2_b64 vcc, exec, s[0:1]
	s_cbranch_vccnz .LBB29_1953
; %bb.1952:
	global_store_short v[0:1], v7, off
.LBB29_1953:
	s_mov_b64 s[0:1], 0
.LBB29_1954:
	s_andn2_b64 vcc, exec, s[0:1]
	s_cbranch_vccnz .LBB29_1970
; %bb.1955:
	s_sext_i32_i16 s2, s14
	s_cmp_lt_i32 s2, 2
	s_mov_b64 s[0:1], -1
	s_cbranch_scc1 .LBB29_1965
; %bb.1956:
	s_cmp_lt_i32 s2, 3
	s_cbranch_scc1 .LBB29_1962
; %bb.1957:
	s_cmp_gt_i32 s2, 3
	s_cbranch_scc0 .LBB29_1959
; %bb.1958:
	v_cvt_f32_f16_e32 v2, v7
	s_mov_b64 s[0:1], 0
	v_cvt_i32_f32_e32 v2, v2
	s_waitcnt vmcnt(0)
	v_ashrrev_i32_e32 v3, 31, v2
	global_store_dwordx2 v[0:1], v[2:3], off
.LBB29_1959:
	s_andn2_b64 vcc, exec, s[0:1]
	s_cbranch_vccnz .LBB29_1961
; %bb.1960:
	v_cvt_f32_f16_e32 v2, v7
	v_cvt_i32_f32_e32 v2, v2
	global_store_dword v[0:1], v2, off
.LBB29_1961:
	s_mov_b64 s[0:1], 0
.LBB29_1962:
	s_andn2_b64 vcc, exec, s[0:1]
	s_cbranch_vccnz .LBB29_1964
; %bb.1963:
	v_cvt_i16_f16_e32 v2, v7
	global_store_short v[0:1], v2, off
.LBB29_1964:
	s_mov_b64 s[0:1], 0
.LBB29_1965:
	s_andn2_b64 vcc, exec, s[0:1]
	s_cbranch_vccnz .LBB29_1970
; %bb.1966:
	s_sext_i32_i16 s0, s14
	s_cmp_gt_i32 s0, 0
	s_mov_b64 s[0:1], -1
	s_cbranch_scc0 .LBB29_1968
; %bb.1967:
	v_cvt_i16_f16_e32 v2, v7
	global_store_byte v[0:1], v2, off
	s_mov_b64 s[0:1], 0
.LBB29_1968:
	s_andn2_b64 vcc, exec, s[0:1]
	s_cbranch_vccnz .LBB29_1970
; %bb.1969:
	v_cvt_f32_f16_e32 v2, v7
	v_cvt_i32_f32_e32 v2, v2
	global_store_byte v[0:1], v2, off
	s_endpgm
.LBB29_1970:
	s_endpgm
.LBB29_1971:
	s_mov_b64 s[0:1], -1
	s_mov_b64 s[6:7], 0
.LBB29_1972:
	s_and_b64 vcc, exec, s[0:1]
	s_cbranch_vccz .LBB29_2011
; %bb.1973:
	s_and_b32 s4, 0xffff, s14
	s_cmp_lt_i32 s4, 5
	s_mov_b64 s[0:1], -1
	s_cbranch_scc1 .LBB29_1994
; %bb.1974:
	s_cmp_lt_i32 s4, 8
	s_cbranch_scc1 .LBB29_1984
; %bb.1975:
	s_cmp_lt_i32 s4, 9
	s_cbranch_scc1 .LBB29_1981
; %bb.1976:
	s_cmp_gt_i32 s4, 9
	s_cbranch_scc0 .LBB29_1978
; %bb.1977:
	v_cvt_f32_f16_e32 v3, v1
	v_mov_b32_e32 v10, 0
	v_mov_b32_e32 v11, v10
	s_mov_b64 s[0:1], 0
	v_cvt_f64_f32_e32 v[8:9], v3
	global_store_dwordx4 v[5:6], v[8:11], off
.LBB29_1978:
	s_andn2_b64 vcc, exec, s[0:1]
	s_cbranch_vccnz .LBB29_1980
; %bb.1979:
	v_cvt_f32_f16_e32 v8, v1
	v_mov_b32_e32 v9, 0
	global_store_dwordx2 v[5:6], v[8:9], off
.LBB29_1980:
	s_mov_b64 s[0:1], 0
.LBB29_1981:
	s_andn2_b64 vcc, exec, s[0:1]
	s_cbranch_vccnz .LBB29_1983
; %bb.1982:
	v_and_b32_e32 v3, 0xffff, v1
	global_store_dword v[5:6], v3, off
.LBB29_1983:
	s_mov_b64 s[0:1], 0
.LBB29_1984:
	s_andn2_b64 vcc, exec, s[0:1]
	s_cbranch_vccnz .LBB29_1993
; %bb.1985:
	s_cmp_lt_i32 s4, 6
	s_mov_b64 s[0:1], -1
	s_cbranch_scc1 .LBB29_1991
; %bb.1986:
	s_cmp_gt_i32 s4, 6
	s_cbranch_scc0 .LBB29_1988
; %bb.1987:
	v_cvt_f32_f16_e32 v3, v1
	s_mov_b64 s[0:1], 0
	v_cvt_f64_f32_e32 v[8:9], v3
	global_store_dwordx2 v[5:6], v[8:9], off
.LBB29_1988:
	s_andn2_b64 vcc, exec, s[0:1]
	s_cbranch_vccnz .LBB29_1990
; %bb.1989:
	v_cvt_f32_f16_e32 v3, v1
	global_store_dword v[5:6], v3, off
.LBB29_1990:
	s_mov_b64 s[0:1], 0
.LBB29_1991:
	s_andn2_b64 vcc, exec, s[0:1]
	s_cbranch_vccnz .LBB29_1993
; %bb.1992:
	global_store_short v[5:6], v1, off
.LBB29_1993:
	s_mov_b64 s[0:1], 0
.LBB29_1994:
	s_andn2_b64 vcc, exec, s[0:1]
	s_cbranch_vccnz .LBB29_2010
; %bb.1995:
	s_cmp_lt_i32 s4, 2
	s_mov_b64 s[0:1], -1
	s_cbranch_scc1 .LBB29_2005
; %bb.1996:
	s_cmp_lt_i32 s4, 3
	s_cbranch_scc1 .LBB29_2002
; %bb.1997:
	s_cmp_gt_i32 s4, 3
	s_cbranch_scc0 .LBB29_1999
; %bb.1998:
	v_cvt_f32_f16_e32 v3, v1
	s_mov_b64 s[0:1], 0
	v_cvt_i32_f32_e32 v8, v3
	v_ashrrev_i32_e32 v9, 31, v8
	global_store_dwordx2 v[5:6], v[8:9], off
.LBB29_1999:
	s_andn2_b64 vcc, exec, s[0:1]
	s_cbranch_vccnz .LBB29_2001
; %bb.2000:
	v_cvt_f32_f16_e32 v3, v1
	v_cvt_i32_f32_e32 v3, v3
	global_store_dword v[5:6], v3, off
.LBB29_2001:
	s_mov_b64 s[0:1], 0
.LBB29_2002:
	s_andn2_b64 vcc, exec, s[0:1]
	s_cbranch_vccnz .LBB29_2004
; %bb.2003:
	v_cvt_i16_f16_e32 v3, v1
	global_store_short v[5:6], v3, off
.LBB29_2004:
	s_mov_b64 s[0:1], 0
.LBB29_2005:
	s_andn2_b64 vcc, exec, s[0:1]
	s_cbranch_vccnz .LBB29_2010
; %bb.2006:
	s_cmp_gt_i32 s4, 0
	s_mov_b64 s[0:1], -1
	s_cbranch_scc0 .LBB29_2008
; %bb.2007:
	v_cvt_i16_f16_e32 v3, v1
	global_store_byte v[5:6], v3, off
	s_mov_b64 s[0:1], 0
.LBB29_2008:
	s_andn2_b64 vcc, exec, s[0:1]
	s_cbranch_vccnz .LBB29_2010
; %bb.2009:
	v_cvt_f32_f16_e32 v1, v1
	v_cvt_i32_f32_e32 v1, v1
	global_store_byte v[5:6], v1, off
.LBB29_2010:
	s_mov_b64 s[6:7], -1
.LBB29_2011:
	s_andn2_b64 vcc, exec, s[6:7]
	s_cbranch_vccnz .LBB29_2326
; %bb.2012:
	s_lshr_b32 s0, s18, 8
	s_and_b32 s14, s0, 0xff
	v_mov_b32_e32 v1, s9
	v_add_co_u32_e32 v3, vcc, s8, v4
	s_cmp_lt_i32 s14, 11
	v_addc_co_u32_e32 v4, vcc, 0, v1, vcc
	s_cbranch_scc1 .LBB29_2090
; %bb.2013:
	s_and_b32 s15, 0xffff, s14
	s_mov_b64 s[10:11], -1
	s_mov_b64 s[4:5], 0
	s_cmp_gt_i32 s15, 25
	s_mov_b64 s[6:7], 0
	s_mov_b64 s[0:1], 0
	s_cbranch_scc0 .LBB29_2046
; %bb.2014:
	s_cmp_gt_i32 s15, 28
	s_cbranch_scc0 .LBB29_2029
; %bb.2015:
	s_cmp_gt_i32 s15, 43
	;; [unrolled: 3-line block ×3, first 2 shown]
	s_cbranch_scc0 .LBB29_2019
; %bb.2017:
	s_mov_b64 s[0:1], -1
	s_mov_b64 s[10:11], 0
	s_cmp_eq_u32 s15, 46
	s_cbranch_scc0 .LBB29_2019
; %bb.2018:
	v_cvt_f32_f16_e32 v1, v14
	s_movk_i32 s0, 0x7fff
	v_cmp_o_f16_e32 vcc, v14, v14
	v_mov_b32_e32 v5, 0x7fc0
	v_bfe_u32 v6, v1, 16, 1
	v_add3_u32 v1, v1, v6, s0
	v_cndmask_b32_sdwa v1, v5, v1, vcc dst_sel:DWORD dst_unused:UNUSED_PAD src0_sel:DWORD src1_sel:WORD_1
	global_store_dword v[3:4], v1, off
	s_mov_b64 s[0:1], 0
	s_mov_b64 s[6:7], -1
.LBB29_2019:
	s_and_b64 vcc, exec, s[10:11]
	s_cbranch_vccz .LBB29_2024
; %bb.2020:
	s_cmp_eq_u32 s15, 44
	s_mov_b64 s[0:1], -1
	s_cbranch_scc0 .LBB29_2024
; %bb.2021:
	v_cvt_f32_f16_e32 v1, v14
	s_movk_i32 s0, 0xff
	v_mov_b32_e32 v6, 0xff
	v_bfe_u32 v5, v1, 23, 8
	v_cmp_ne_u32_e32 vcc, s0, v5
	s_and_saveexec_b64 s[6:7], vcc
; %bb.2022:
	s_mov_b32 s0, 0x3fffff
	v_lshrrev_b32_e32 v6, 23, v1
	v_and_b32_e32 v8, 0x400000, v1
	v_and_or_b32 v1, v1, s0, v5
	v_cmp_ne_u32_e32 vcc, 0, v8
	v_cmp_ne_u32_e64 s[0:1], 0, v1
	s_and_b64 s[0:1], vcc, s[0:1]
	v_cndmask_b32_e64 v1, 0, 1, s[0:1]
	v_add_u32_e32 v6, v6, v1
; %bb.2023:
	s_or_b64 exec, exec, s[6:7]
	s_mov_b64 s[0:1], 0
	s_mov_b64 s[6:7], -1
	global_store_byte v[3:4], v6, off
.LBB29_2024:
	s_mov_b64 s[10:11], 0
.LBB29_2025:
	s_and_b64 vcc, exec, s[10:11]
	s_cbranch_vccz .LBB29_2028
; %bb.2026:
	s_cmp_eq_u32 s15, 29
	s_mov_b64 s[0:1], -1
	s_cbranch_scc0 .LBB29_2028
; %bb.2027:
	v_cvt_f32_f16_e32 v1, v14
	v_mov_b32_e32 v6, 0
	s_mov_b64 s[0:1], 0
	s_mov_b64 s[6:7], -1
	v_cvt_u32_f32_e32 v5, v1
	global_store_dwordx2 v[3:4], v[5:6], off
.LBB29_2028:
	s_mov_b64 s[10:11], 0
.LBB29_2029:
	s_and_b64 vcc, exec, s[10:11]
	s_cbranch_vccz .LBB29_2045
; %bb.2030:
	s_cmp_lt_i32 s15, 27
	s_mov_b64 s[6:7], -1
	s_cbranch_scc1 .LBB29_2036
; %bb.2031:
	s_cmp_gt_i32 s15, 27
	s_cbranch_scc0 .LBB29_2033
; %bb.2032:
	v_cvt_f32_f16_e32 v1, v14
	s_mov_b64 s[6:7], 0
	v_cvt_u32_f32_e32 v1, v1
	global_store_dword v[3:4], v1, off
.LBB29_2033:
	s_andn2_b64 vcc, exec, s[6:7]
	s_cbranch_vccnz .LBB29_2035
; %bb.2034:
	v_cvt_u16_f16_e32 v1, v14
	global_store_short v[3:4], v1, off
.LBB29_2035:
	s_mov_b64 s[6:7], 0
.LBB29_2036:
	s_andn2_b64 vcc, exec, s[6:7]
	s_cbranch_vccnz .LBB29_2044
; %bb.2037:
	v_cvt_f32_f16_e32 v1, v14
	s_mov_b32 s6, 0x43800000
	v_mov_b32_e32 v6, 0x80
	v_and_b32_e32 v5, 0x7fffffff, v1
	v_cmp_gt_u32_e32 vcc, s6, v5
	s_and_saveexec_b64 s[6:7], vcc
	s_cbranch_execz .LBB29_2043
; %bb.2038:
	s_mov_b32 s10, 0x3bffffff
	v_cmp_lt_u32_e32 vcc, s10, v5
	s_mov_b64 s[10:11], 0
                                        ; implicit-def: $vgpr5
	s_and_saveexec_b64 s[12:13], vcc
	s_xor_b64 s[12:13], exec, s[12:13]
	s_cbranch_execz .LBB29_2334
; %bb.2039:
	v_bfe_u32 v5, v1, 20, 1
	s_mov_b32 s16, 0x487ffff
	v_add3_u32 v5, v1, v5, s16
	s_mov_b64 s[10:11], exec
	v_lshrrev_b32_e32 v5, 20, v5
	s_andn2_saveexec_b64 s[12:13], s[12:13]
	s_cbranch_execnz .LBB29_2335
.LBB29_2040:
	s_or_b64 exec, exec, s[12:13]
	v_mov_b32_e32 v6, 0
	s_and_saveexec_b64 s[12:13], s[10:11]
.LBB29_2041:
	v_lshrrev_b32_e32 v1, 24, v1
	s_movk_i32 s10, 0x80
	v_and_or_b32 v6, v1, s10, v5
.LBB29_2042:
	s_or_b64 exec, exec, s[12:13]
.LBB29_2043:
	s_or_b64 exec, exec, s[6:7]
	global_store_byte v[3:4], v6, off
.LBB29_2044:
	s_mov_b64 s[6:7], -1
.LBB29_2045:
	s_mov_b64 s[10:11], 0
.LBB29_2046:
	s_and_b64 vcc, exec, s[10:11]
	s_cbranch_vccz .LBB29_2086
; %bb.2047:
	s_cmp_gt_i32 s15, 22
	s_mov_b64 s[4:5], -1
	s_cbranch_scc0 .LBB29_2079
; %bb.2048:
	s_cmp_lt_i32 s15, 24
	s_cbranch_scc1 .LBB29_2068
; %bb.2049:
	s_cmp_gt_i32 s15, 24
	s_cbranch_scc0 .LBB29_2057
; %bb.2050:
	v_cvt_f32_f16_e32 v1, v14
	s_mov_b32 s4, 0x47800000
	v_mov_b32_e32 v6, 0x80
	v_and_b32_e32 v5, 0x7fffffff, v1
	v_cmp_gt_u32_e32 vcc, s4, v5
	s_and_saveexec_b64 s[4:5], vcc
	s_cbranch_execz .LBB29_2056
; %bb.2051:
	s_mov_b32 s6, 0x37ffffff
	v_cmp_lt_u32_e32 vcc, s6, v5
	s_mov_b64 s[6:7], 0
                                        ; implicit-def: $vgpr5
	s_and_saveexec_b64 s[10:11], vcc
	s_xor_b64 s[10:11], exec, s[10:11]
	s_cbranch_execz .LBB29_2337
; %bb.2052:
	v_bfe_u32 v5, v1, 21, 1
	s_mov_b32 s12, 0x88fffff
	v_add3_u32 v5, v1, v5, s12
	s_mov_b64 s[6:7], exec
	v_lshrrev_b32_e32 v5, 21, v5
	s_andn2_saveexec_b64 s[10:11], s[10:11]
	s_cbranch_execnz .LBB29_2338
.LBB29_2053:
	s_or_b64 exec, exec, s[10:11]
	v_mov_b32_e32 v6, 0
	s_and_saveexec_b64 s[10:11], s[6:7]
.LBB29_2054:
	v_lshrrev_b32_e32 v1, 24, v1
	s_movk_i32 s6, 0x80
	v_and_or_b32 v6, v1, s6, v5
.LBB29_2055:
	s_or_b64 exec, exec, s[10:11]
.LBB29_2056:
	s_or_b64 exec, exec, s[4:5]
	s_mov_b64 s[4:5], 0
	global_store_byte v[3:4], v6, off
.LBB29_2057:
	s_and_b64 vcc, exec, s[4:5]
	s_cbranch_vccz .LBB29_2067
; %bb.2058:
	v_cvt_f32_f16_e32 v1, v14
	s_mov_b32 s4, 0x43f00000
                                        ; implicit-def: $vgpr5
	v_and_b32_e32 v6, 0x7fffffff, v1
	v_cmp_gt_u32_e32 vcc, s4, v6
	s_and_saveexec_b64 s[4:5], vcc
	s_xor_b64 s[4:5], exec, s[4:5]
	s_cbranch_execz .LBB29_2064
; %bb.2059:
	s_mov_b32 s6, 0x3c7fffff
	v_cmp_lt_u32_e32 vcc, s6, v6
                                        ; implicit-def: $vgpr5
	s_and_saveexec_b64 s[6:7], vcc
	s_xor_b64 s[6:7], exec, s[6:7]
; %bb.2060:
	v_bfe_u32 v5, v1, 20, 1
	s_mov_b32 s10, 0x407ffff
	v_add3_u32 v5, v1, v5, s10
	v_lshrrev_b32_e32 v6, 20, v5
	v_and_b32_e32 v5, 0xff00000, v5
	s_mov_b32 s10, 0x7f00000
	v_mov_b32_e32 v8, 0x7e
	v_cmp_ne_u32_e32 vcc, s10, v5
	v_cndmask_b32_e32 v5, v8, v6, vcc
; %bb.2061:
	s_andn2_saveexec_b64 s[6:7], s[6:7]
; %bb.2062:
	s_mov_b32 s10, 0x46800000
	v_add_f32_e64 v5, |v1|, s10
; %bb.2063:
	s_or_b64 exec, exec, s[6:7]
                                        ; implicit-def: $vgpr6
.LBB29_2064:
	s_andn2_saveexec_b64 s[4:5], s[4:5]
; %bb.2065:
	s_mov_b32 s6, 0x7f800000
	v_mov_b32_e32 v5, 0x7e
	v_mov_b32_e32 v8, 0x7f
	v_cmp_lt_u32_e32 vcc, s6, v6
	v_cndmask_b32_e32 v5, v5, v8, vcc
; %bb.2066:
	s_or_b64 exec, exec, s[4:5]
	v_lshrrev_b32_e32 v1, 24, v1
	s_movk_i32 s4, 0x80
	v_and_or_b32 v1, v1, s4, v5
	global_store_byte v[3:4], v1, off
.LBB29_2067:
	s_mov_b64 s[4:5], 0
.LBB29_2068:
	s_andn2_b64 vcc, exec, s[4:5]
	s_cbranch_vccnz .LBB29_2078
; %bb.2069:
	v_cvt_f32_f16_e32 v1, v14
	s_mov_b32 s4, 0x47800000
                                        ; implicit-def: $vgpr5
	v_and_b32_e32 v6, 0x7fffffff, v1
	v_cmp_gt_u32_e32 vcc, s4, v6
	s_and_saveexec_b64 s[4:5], vcc
	s_xor_b64 s[4:5], exec, s[4:5]
	s_cbranch_execz .LBB29_2075
; %bb.2070:
	s_mov_b32 s6, 0x387fffff
	v_cmp_lt_u32_e32 vcc, s6, v6
                                        ; implicit-def: $vgpr5
	s_and_saveexec_b64 s[6:7], vcc
	s_xor_b64 s[6:7], exec, s[6:7]
; %bb.2071:
	v_bfe_u32 v5, v1, 21, 1
	s_mov_b32 s10, 0x80fffff
	v_add3_u32 v5, v1, v5, s10
	v_lshrrev_b32_e32 v5, 21, v5
; %bb.2072:
	s_andn2_saveexec_b64 s[6:7], s[6:7]
; %bb.2073:
	s_mov_b32 s10, 0x43000000
	v_add_f32_e64 v5, |v1|, s10
; %bb.2074:
	s_or_b64 exec, exec, s[6:7]
                                        ; implicit-def: $vgpr6
.LBB29_2075:
	s_andn2_saveexec_b64 s[4:5], s[4:5]
; %bb.2076:
	s_mov_b32 s6, 0x7f800000
	v_mov_b32_e32 v5, 0x7c
	v_mov_b32_e32 v8, 0x7f
	v_cmp_lt_u32_e32 vcc, s6, v6
	v_cndmask_b32_e32 v5, v5, v8, vcc
; %bb.2077:
	s_or_b64 exec, exec, s[4:5]
	v_lshrrev_b32_e32 v1, 24, v1
	s_movk_i32 s4, 0x80
	v_and_or_b32 v1, v1, s4, v5
	global_store_byte v[3:4], v1, off
.LBB29_2078:
	s_mov_b64 s[4:5], 0
	s_mov_b64 s[6:7], -1
.LBB29_2079:
	s_andn2_b64 vcc, exec, s[4:5]
	s_mov_b64 s[4:5], 0
	s_cbranch_vccnz .LBB29_2086
; %bb.2080:
	s_cmp_gt_i32 s15, 14
	s_mov_b64 s[10:11], -1
	s_cbranch_scc0 .LBB29_2084
; %bb.2081:
	s_cmp_eq_u32 s15, 15
	s_mov_b64 s[0:1], -1
	s_cbranch_scc0 .LBB29_2083
; %bb.2082:
	v_cvt_f32_f16_e32 v1, v14
	s_movk_i32 s0, 0x7fff
	v_cmp_o_f16_e32 vcc, v14, v14
	v_mov_b32_e32 v5, 0x7fc0
	v_bfe_u32 v6, v1, 16, 1
	v_add3_u32 v1, v1, v6, s0
	v_cndmask_b32_sdwa v1, v5, v1, vcc dst_sel:DWORD dst_unused:UNUSED_PAD src0_sel:DWORD src1_sel:WORD_1
	global_store_short v[3:4], v1, off
	s_mov_b64 s[0:1], 0
	s_mov_b64 s[6:7], -1
.LBB29_2083:
	s_mov_b64 s[10:11], 0
.LBB29_2084:
	s_and_b64 vcc, exec, s[10:11]
	s_cbranch_vccz .LBB29_2086
; %bb.2085:
	s_cmp_lg_u32 s15, 11
	s_mov_b64 s[4:5], -1
	s_cselect_b64 s[0:1], -1, 0
.LBB29_2086:
	s_and_b64 vcc, exec, s[0:1]
	s_cbranch_vccnz .LBB29_2336
; %bb.2087:
	s_andn2_b64 vcc, exec, s[4:5]
	s_cbranch_vccnz .LBB29_2089
.LBB29_2088:
	v_and_b32_e32 v1, 0x7fff, v14
	v_cmp_ne_u16_e32 vcc, 0, v1
	v_cndmask_b32_e64 v1, 0, 1, vcc
	s_mov_b64 s[6:7], -1
	global_store_byte v[3:4], v1, off
.LBB29_2089:
	s_mov_b64 s[0:1], 0
	s_branch .LBB29_2091
.LBB29_2090:
	s_mov_b64 s[0:1], -1
	s_mov_b64 s[6:7], 0
.LBB29_2091:
	s_and_b64 vcc, exec, s[0:1]
	s_cbranch_vccz .LBB29_2130
; %bb.2092:
	s_and_b32 s4, 0xffff, s14
	s_cmp_lt_i32 s4, 5
	s_mov_b64 s[0:1], -1
	s_cbranch_scc1 .LBB29_2113
; %bb.2093:
	s_cmp_lt_i32 s4, 8
	s_cbranch_scc1 .LBB29_2103
; %bb.2094:
	s_cmp_lt_i32 s4, 9
	s_cbranch_scc1 .LBB29_2100
; %bb.2095:
	s_cmp_gt_i32 s4, 9
	s_cbranch_scc0 .LBB29_2097
; %bb.2096:
	v_cvt_f32_f16_e32 v1, v14
	v_mov_b32_e32 v10, 0
	v_mov_b32_e32 v11, v10
	s_mov_b64 s[0:1], 0
	v_cvt_f64_f32_e32 v[8:9], v1
	global_store_dwordx4 v[3:4], v[8:11], off
.LBB29_2097:
	s_andn2_b64 vcc, exec, s[0:1]
	s_cbranch_vccnz .LBB29_2099
; %bb.2098:
	v_cvt_f32_f16_e32 v5, v14
	v_mov_b32_e32 v6, 0
	global_store_dwordx2 v[3:4], v[5:6], off
.LBB29_2099:
	s_mov_b64 s[0:1], 0
.LBB29_2100:
	s_andn2_b64 vcc, exec, s[0:1]
	s_cbranch_vccnz .LBB29_2102
; %bb.2101:
	v_and_b32_e32 v1, 0xffff, v14
	global_store_dword v[3:4], v1, off
.LBB29_2102:
	s_mov_b64 s[0:1], 0
.LBB29_2103:
	s_andn2_b64 vcc, exec, s[0:1]
	s_cbranch_vccnz .LBB29_2112
; %bb.2104:
	s_cmp_lt_i32 s4, 6
	s_mov_b64 s[0:1], -1
	s_cbranch_scc1 .LBB29_2110
; %bb.2105:
	s_cmp_gt_i32 s4, 6
	s_cbranch_scc0 .LBB29_2107
; %bb.2106:
	v_cvt_f32_f16_e32 v1, v14
	s_mov_b64 s[0:1], 0
	v_cvt_f64_f32_e32 v[5:6], v1
	global_store_dwordx2 v[3:4], v[5:6], off
.LBB29_2107:
	s_andn2_b64 vcc, exec, s[0:1]
	s_cbranch_vccnz .LBB29_2109
; %bb.2108:
	v_cvt_f32_f16_e32 v1, v14
	global_store_dword v[3:4], v1, off
.LBB29_2109:
	s_mov_b64 s[0:1], 0
.LBB29_2110:
	s_andn2_b64 vcc, exec, s[0:1]
	s_cbranch_vccnz .LBB29_2112
; %bb.2111:
	global_store_short v[3:4], v14, off
.LBB29_2112:
	s_mov_b64 s[0:1], 0
.LBB29_2113:
	s_andn2_b64 vcc, exec, s[0:1]
	s_cbranch_vccnz .LBB29_2129
; %bb.2114:
	s_cmp_lt_i32 s4, 2
	s_mov_b64 s[0:1], -1
	s_cbranch_scc1 .LBB29_2124
; %bb.2115:
	s_cmp_lt_i32 s4, 3
	s_cbranch_scc1 .LBB29_2121
; %bb.2116:
	s_cmp_gt_i32 s4, 3
	s_cbranch_scc0 .LBB29_2118
; %bb.2117:
	v_cvt_f32_f16_e32 v1, v14
	s_mov_b64 s[0:1], 0
	v_cvt_i32_f32_e32 v5, v1
	v_ashrrev_i32_e32 v6, 31, v5
	global_store_dwordx2 v[3:4], v[5:6], off
.LBB29_2118:
	s_andn2_b64 vcc, exec, s[0:1]
	s_cbranch_vccnz .LBB29_2120
; %bb.2119:
	v_cvt_f32_f16_e32 v1, v14
	v_cvt_i32_f32_e32 v1, v1
	global_store_dword v[3:4], v1, off
.LBB29_2120:
	s_mov_b64 s[0:1], 0
.LBB29_2121:
	s_andn2_b64 vcc, exec, s[0:1]
	s_cbranch_vccnz .LBB29_2123
; %bb.2122:
	v_cvt_i16_f16_e32 v1, v14
	global_store_short v[3:4], v1, off
.LBB29_2123:
	s_mov_b64 s[0:1], 0
.LBB29_2124:
	s_andn2_b64 vcc, exec, s[0:1]
	s_cbranch_vccnz .LBB29_2129
; %bb.2125:
	s_cmp_gt_i32 s4, 0
	s_mov_b64 s[0:1], -1
	s_cbranch_scc0 .LBB29_2127
; %bb.2126:
	v_cvt_i16_f16_e32 v1, v14
	global_store_byte v[3:4], v1, off
	s_mov_b64 s[0:1], 0
.LBB29_2127:
	s_andn2_b64 vcc, exec, s[0:1]
	s_cbranch_vccnz .LBB29_2129
; %bb.2128:
	v_cvt_f32_f16_e32 v1, v14
	v_cvt_i32_f32_e32 v1, v1
	global_store_byte v[3:4], v1, off
.LBB29_2129:
	s_mov_b64 s[6:7], -1
.LBB29_2130:
	s_andn2_b64 vcc, exec, s[6:7]
	s_cbranch_vccnz .LBB29_2326
; %bb.2131:
	v_mov_b32_e32 v3, s9
	v_add_co_u32_e32 v1, vcc, s8, v2
	s_cmp_lt_i32 s14, 11
	v_addc_co_u32_e32 v2, vcc, 0, v3, vcc
	s_cbranch_scc1 .LBB29_2209
; %bb.2132:
	s_and_b32 s15, 0xffff, s14
	s_mov_b64 s[10:11], -1
	s_mov_b64 s[4:5], 0
	s_cmp_gt_i32 s15, 25
	s_mov_b64 s[6:7], 0
	s_mov_b64 s[0:1], 0
	s_cbranch_scc0 .LBB29_2165
; %bb.2133:
	s_cmp_gt_i32 s15, 28
	s_cbranch_scc0 .LBB29_2148
; %bb.2134:
	s_cmp_gt_i32 s15, 43
	;; [unrolled: 3-line block ×3, first 2 shown]
	s_cbranch_scc0 .LBB29_2138
; %bb.2136:
	s_mov_b64 s[0:1], -1
	s_mov_b64 s[10:11], 0
	s_cmp_eq_u32 s15, 46
	s_cbranch_scc0 .LBB29_2138
; %bb.2137:
	v_cvt_f32_f16_e32 v3, v13
	s_movk_i32 s0, 0x7fff
	v_cmp_o_f16_e32 vcc, v13, v13
	v_mov_b32_e32 v4, 0x7fc0
	v_bfe_u32 v5, v3, 16, 1
	v_add3_u32 v3, v3, v5, s0
	v_cndmask_b32_sdwa v3, v4, v3, vcc dst_sel:DWORD dst_unused:UNUSED_PAD src0_sel:DWORD src1_sel:WORD_1
	global_store_dword v[1:2], v3, off
	s_mov_b64 s[0:1], 0
	s_mov_b64 s[6:7], -1
.LBB29_2138:
	s_and_b64 vcc, exec, s[10:11]
	s_cbranch_vccz .LBB29_2143
; %bb.2139:
	s_cmp_eq_u32 s15, 44
	s_mov_b64 s[0:1], -1
	s_cbranch_scc0 .LBB29_2143
; %bb.2140:
	v_cvt_f32_f16_e32 v3, v13
	s_movk_i32 s0, 0xff
	v_mov_b32_e32 v5, 0xff
	v_bfe_u32 v4, v3, 23, 8
	v_cmp_ne_u32_e32 vcc, s0, v4
	s_and_saveexec_b64 s[6:7], vcc
; %bb.2141:
	s_mov_b32 s0, 0x3fffff
	v_lshrrev_b32_e32 v5, 23, v3
	v_and_b32_e32 v6, 0x400000, v3
	v_and_or_b32 v3, v3, s0, v4
	v_cmp_ne_u32_e32 vcc, 0, v6
	v_cmp_ne_u32_e64 s[0:1], 0, v3
	s_and_b64 s[0:1], vcc, s[0:1]
	v_cndmask_b32_e64 v3, 0, 1, s[0:1]
	v_add_u32_e32 v5, v5, v3
; %bb.2142:
	s_or_b64 exec, exec, s[6:7]
	s_mov_b64 s[0:1], 0
	s_mov_b64 s[6:7], -1
	global_store_byte v[1:2], v5, off
.LBB29_2143:
	s_mov_b64 s[10:11], 0
.LBB29_2144:
	s_and_b64 vcc, exec, s[10:11]
	s_cbranch_vccz .LBB29_2147
; %bb.2145:
	s_cmp_eq_u32 s15, 29
	s_mov_b64 s[0:1], -1
	s_cbranch_scc0 .LBB29_2147
; %bb.2146:
	v_cvt_f32_f16_e32 v3, v13
	v_mov_b32_e32 v4, 0
	s_mov_b64 s[0:1], 0
	s_mov_b64 s[6:7], -1
	v_cvt_u32_f32_e32 v3, v3
	global_store_dwordx2 v[1:2], v[3:4], off
.LBB29_2147:
	s_mov_b64 s[10:11], 0
.LBB29_2148:
	s_and_b64 vcc, exec, s[10:11]
	s_cbranch_vccz .LBB29_2164
; %bb.2149:
	s_cmp_lt_i32 s15, 27
	s_mov_b64 s[6:7], -1
	s_cbranch_scc1 .LBB29_2155
; %bb.2150:
	s_cmp_gt_i32 s15, 27
	s_cbranch_scc0 .LBB29_2152
; %bb.2151:
	v_cvt_f32_f16_e32 v3, v13
	s_mov_b64 s[6:7], 0
	v_cvt_u32_f32_e32 v3, v3
	global_store_dword v[1:2], v3, off
.LBB29_2152:
	s_andn2_b64 vcc, exec, s[6:7]
	s_cbranch_vccnz .LBB29_2154
; %bb.2153:
	v_cvt_u16_f16_e32 v3, v13
	global_store_short v[1:2], v3, off
.LBB29_2154:
	s_mov_b64 s[6:7], 0
.LBB29_2155:
	s_andn2_b64 vcc, exec, s[6:7]
	s_cbranch_vccnz .LBB29_2163
; %bb.2156:
	v_cvt_f32_f16_e32 v3, v13
	s_mov_b32 s6, 0x43800000
	v_mov_b32_e32 v5, 0x80
	v_and_b32_e32 v4, 0x7fffffff, v3
	v_cmp_gt_u32_e32 vcc, s6, v4
	s_and_saveexec_b64 s[6:7], vcc
	s_cbranch_execz .LBB29_2162
; %bb.2157:
	s_mov_b32 s10, 0x3bffffff
	v_cmp_lt_u32_e32 vcc, s10, v4
	s_mov_b64 s[10:11], 0
                                        ; implicit-def: $vgpr4
	s_and_saveexec_b64 s[12:13], vcc
	s_xor_b64 s[12:13], exec, s[12:13]
	s_cbranch_execz .LBB29_2339
; %bb.2158:
	v_bfe_u32 v4, v3, 20, 1
	s_mov_b32 s16, 0x487ffff
	v_add3_u32 v4, v3, v4, s16
	s_mov_b64 s[10:11], exec
	v_lshrrev_b32_e32 v4, 20, v4
	s_andn2_saveexec_b64 s[12:13], s[12:13]
	s_cbranch_execnz .LBB29_2340
.LBB29_2159:
	s_or_b64 exec, exec, s[12:13]
	v_mov_b32_e32 v5, 0
	s_and_saveexec_b64 s[12:13], s[10:11]
.LBB29_2160:
	v_lshrrev_b32_e32 v3, 24, v3
	s_movk_i32 s10, 0x80
	v_and_or_b32 v5, v3, s10, v4
.LBB29_2161:
	s_or_b64 exec, exec, s[12:13]
.LBB29_2162:
	s_or_b64 exec, exec, s[6:7]
	global_store_byte v[1:2], v5, off
.LBB29_2163:
	s_mov_b64 s[6:7], -1
.LBB29_2164:
	s_mov_b64 s[10:11], 0
.LBB29_2165:
	s_and_b64 vcc, exec, s[10:11]
	s_cbranch_vccz .LBB29_2205
; %bb.2166:
	s_cmp_gt_i32 s15, 22
	s_mov_b64 s[4:5], -1
	s_cbranch_scc0 .LBB29_2198
; %bb.2167:
	s_cmp_lt_i32 s15, 24
	s_cbranch_scc1 .LBB29_2187
; %bb.2168:
	s_cmp_gt_i32 s15, 24
	s_cbranch_scc0 .LBB29_2176
; %bb.2169:
	v_cvt_f32_f16_e32 v3, v13
	s_mov_b32 s4, 0x47800000
	v_mov_b32_e32 v5, 0x80
	v_and_b32_e32 v4, 0x7fffffff, v3
	v_cmp_gt_u32_e32 vcc, s4, v4
	s_and_saveexec_b64 s[4:5], vcc
	s_cbranch_execz .LBB29_2175
; %bb.2170:
	s_mov_b32 s6, 0x37ffffff
	v_cmp_lt_u32_e32 vcc, s6, v4
	s_mov_b64 s[6:7], 0
                                        ; implicit-def: $vgpr4
	s_and_saveexec_b64 s[10:11], vcc
	s_xor_b64 s[10:11], exec, s[10:11]
	s_cbranch_execz .LBB29_2342
; %bb.2171:
	v_bfe_u32 v4, v3, 21, 1
	s_mov_b32 s12, 0x88fffff
	v_add3_u32 v4, v3, v4, s12
	s_mov_b64 s[6:7], exec
	v_lshrrev_b32_e32 v4, 21, v4
	s_andn2_saveexec_b64 s[10:11], s[10:11]
	s_cbranch_execnz .LBB29_2343
.LBB29_2172:
	s_or_b64 exec, exec, s[10:11]
	v_mov_b32_e32 v5, 0
	s_and_saveexec_b64 s[10:11], s[6:7]
.LBB29_2173:
	v_lshrrev_b32_e32 v3, 24, v3
	s_movk_i32 s6, 0x80
	v_and_or_b32 v5, v3, s6, v4
.LBB29_2174:
	s_or_b64 exec, exec, s[10:11]
.LBB29_2175:
	s_or_b64 exec, exec, s[4:5]
	s_mov_b64 s[4:5], 0
	global_store_byte v[1:2], v5, off
.LBB29_2176:
	s_and_b64 vcc, exec, s[4:5]
	s_cbranch_vccz .LBB29_2186
; %bb.2177:
	v_cvt_f32_f16_e32 v3, v13
	s_mov_b32 s4, 0x43f00000
                                        ; implicit-def: $vgpr4
	v_and_b32_e32 v5, 0x7fffffff, v3
	v_cmp_gt_u32_e32 vcc, s4, v5
	s_and_saveexec_b64 s[4:5], vcc
	s_xor_b64 s[4:5], exec, s[4:5]
	s_cbranch_execz .LBB29_2183
; %bb.2178:
	s_mov_b32 s6, 0x3c7fffff
	v_cmp_lt_u32_e32 vcc, s6, v5
                                        ; implicit-def: $vgpr4
	s_and_saveexec_b64 s[6:7], vcc
	s_xor_b64 s[6:7], exec, s[6:7]
; %bb.2179:
	v_bfe_u32 v4, v3, 20, 1
	s_mov_b32 s10, 0x407ffff
	v_add3_u32 v4, v3, v4, s10
	v_lshrrev_b32_e32 v5, 20, v4
	v_and_b32_e32 v4, 0xff00000, v4
	s_mov_b32 s10, 0x7f00000
	v_mov_b32_e32 v6, 0x7e
	v_cmp_ne_u32_e32 vcc, s10, v4
	v_cndmask_b32_e32 v4, v6, v5, vcc
; %bb.2180:
	s_andn2_saveexec_b64 s[6:7], s[6:7]
; %bb.2181:
	s_mov_b32 s10, 0x46800000
	v_add_f32_e64 v4, |v3|, s10
; %bb.2182:
	s_or_b64 exec, exec, s[6:7]
                                        ; implicit-def: $vgpr5
.LBB29_2183:
	s_andn2_saveexec_b64 s[4:5], s[4:5]
; %bb.2184:
	s_mov_b32 s6, 0x7f800000
	v_mov_b32_e32 v4, 0x7e
	v_mov_b32_e32 v6, 0x7f
	v_cmp_lt_u32_e32 vcc, s6, v5
	v_cndmask_b32_e32 v4, v4, v6, vcc
; %bb.2185:
	s_or_b64 exec, exec, s[4:5]
	v_lshrrev_b32_e32 v3, 24, v3
	s_movk_i32 s4, 0x80
	v_and_or_b32 v3, v3, s4, v4
	global_store_byte v[1:2], v3, off
.LBB29_2186:
	s_mov_b64 s[4:5], 0
.LBB29_2187:
	s_andn2_b64 vcc, exec, s[4:5]
	s_cbranch_vccnz .LBB29_2197
; %bb.2188:
	v_cvt_f32_f16_e32 v3, v13
	s_mov_b32 s4, 0x47800000
                                        ; implicit-def: $vgpr4
	v_and_b32_e32 v5, 0x7fffffff, v3
	v_cmp_gt_u32_e32 vcc, s4, v5
	s_and_saveexec_b64 s[4:5], vcc
	s_xor_b64 s[4:5], exec, s[4:5]
	s_cbranch_execz .LBB29_2194
; %bb.2189:
	s_mov_b32 s6, 0x387fffff
	v_cmp_lt_u32_e32 vcc, s6, v5
                                        ; implicit-def: $vgpr4
	s_and_saveexec_b64 s[6:7], vcc
	s_xor_b64 s[6:7], exec, s[6:7]
; %bb.2190:
	v_bfe_u32 v4, v3, 21, 1
	s_mov_b32 s10, 0x80fffff
	v_add3_u32 v4, v3, v4, s10
	v_lshrrev_b32_e32 v4, 21, v4
; %bb.2191:
	s_andn2_saveexec_b64 s[6:7], s[6:7]
; %bb.2192:
	s_mov_b32 s10, 0x43000000
	v_add_f32_e64 v4, |v3|, s10
; %bb.2193:
	s_or_b64 exec, exec, s[6:7]
                                        ; implicit-def: $vgpr5
.LBB29_2194:
	s_andn2_saveexec_b64 s[4:5], s[4:5]
; %bb.2195:
	s_mov_b32 s6, 0x7f800000
	v_mov_b32_e32 v4, 0x7c
	v_mov_b32_e32 v6, 0x7f
	v_cmp_lt_u32_e32 vcc, s6, v5
	v_cndmask_b32_e32 v4, v4, v6, vcc
; %bb.2196:
	s_or_b64 exec, exec, s[4:5]
	v_lshrrev_b32_e32 v3, 24, v3
	s_movk_i32 s4, 0x80
	v_and_or_b32 v3, v3, s4, v4
	global_store_byte v[1:2], v3, off
.LBB29_2197:
	s_mov_b64 s[4:5], 0
	s_mov_b64 s[6:7], -1
.LBB29_2198:
	s_andn2_b64 vcc, exec, s[4:5]
	s_mov_b64 s[4:5], 0
	s_cbranch_vccnz .LBB29_2205
; %bb.2199:
	s_cmp_gt_i32 s15, 14
	s_mov_b64 s[10:11], -1
	s_cbranch_scc0 .LBB29_2203
; %bb.2200:
	s_cmp_eq_u32 s15, 15
	s_mov_b64 s[0:1], -1
	s_cbranch_scc0 .LBB29_2202
; %bb.2201:
	v_cvt_f32_f16_e32 v3, v13
	s_movk_i32 s0, 0x7fff
	v_cmp_o_f16_e32 vcc, v13, v13
	v_mov_b32_e32 v4, 0x7fc0
	v_bfe_u32 v5, v3, 16, 1
	v_add3_u32 v3, v3, v5, s0
	v_cndmask_b32_sdwa v3, v4, v3, vcc dst_sel:DWORD dst_unused:UNUSED_PAD src0_sel:DWORD src1_sel:WORD_1
	global_store_short v[1:2], v3, off
	s_mov_b64 s[0:1], 0
	s_mov_b64 s[6:7], -1
.LBB29_2202:
	s_mov_b64 s[10:11], 0
.LBB29_2203:
	s_and_b64 vcc, exec, s[10:11]
	s_cbranch_vccz .LBB29_2205
; %bb.2204:
	s_cmp_lg_u32 s15, 11
	s_mov_b64 s[4:5], -1
	s_cselect_b64 s[0:1], -1, 0
.LBB29_2205:
	s_and_b64 vcc, exec, s[0:1]
	s_cbranch_vccnz .LBB29_2341
; %bb.2206:
	s_andn2_b64 vcc, exec, s[4:5]
	s_cbranch_vccnz .LBB29_2208
.LBB29_2207:
	v_and_b32_e32 v3, 0x7fff, v13
	v_cmp_ne_u16_e32 vcc, 0, v3
	v_cndmask_b32_e64 v3, 0, 1, vcc
	s_mov_b64 s[6:7], -1
	global_store_byte v[1:2], v3, off
.LBB29_2208:
	s_mov_b64 s[0:1], 0
	s_branch .LBB29_2210
.LBB29_2209:
	s_mov_b64 s[0:1], -1
	s_mov_b64 s[6:7], 0
.LBB29_2210:
	s_and_b64 vcc, exec, s[0:1]
	s_cbranch_vccz .LBB29_2249
; %bb.2211:
	s_and_b32 s4, 0xffff, s14
	s_cmp_lt_i32 s4, 5
	s_mov_b64 s[0:1], -1
	s_cbranch_scc1 .LBB29_2232
; %bb.2212:
	s_cmp_lt_i32 s4, 8
	s_cbranch_scc1 .LBB29_2222
; %bb.2213:
	s_cmp_lt_i32 s4, 9
	s_cbranch_scc1 .LBB29_2219
; %bb.2214:
	s_cmp_gt_i32 s4, 9
	s_cbranch_scc0 .LBB29_2216
; %bb.2215:
	v_cvt_f32_f16_e32 v3, v13
	v_mov_b32_e32 v5, 0
	v_mov_b32_e32 v6, v5
	s_mov_b64 s[0:1], 0
	v_cvt_f64_f32_e32 v[3:4], v3
	global_store_dwordx4 v[1:2], v[3:6], off
.LBB29_2216:
	s_andn2_b64 vcc, exec, s[0:1]
	s_cbranch_vccnz .LBB29_2218
; %bb.2217:
	v_cvt_f32_f16_e32 v3, v13
	v_mov_b32_e32 v4, 0
	global_store_dwordx2 v[1:2], v[3:4], off
.LBB29_2218:
	s_mov_b64 s[0:1], 0
.LBB29_2219:
	s_andn2_b64 vcc, exec, s[0:1]
	s_cbranch_vccnz .LBB29_2221
; %bb.2220:
	v_and_b32_e32 v3, 0xffff, v13
	global_store_dword v[1:2], v3, off
.LBB29_2221:
	s_mov_b64 s[0:1], 0
.LBB29_2222:
	s_andn2_b64 vcc, exec, s[0:1]
	s_cbranch_vccnz .LBB29_2231
; %bb.2223:
	s_cmp_lt_i32 s4, 6
	s_mov_b64 s[0:1], -1
	s_cbranch_scc1 .LBB29_2229
; %bb.2224:
	s_cmp_gt_i32 s4, 6
	s_cbranch_scc0 .LBB29_2226
; %bb.2225:
	v_cvt_f32_f16_e32 v3, v13
	s_mov_b64 s[0:1], 0
	v_cvt_f64_f32_e32 v[3:4], v3
	global_store_dwordx2 v[1:2], v[3:4], off
.LBB29_2226:
	s_andn2_b64 vcc, exec, s[0:1]
	s_cbranch_vccnz .LBB29_2228
; %bb.2227:
	v_cvt_f32_f16_e32 v3, v13
	global_store_dword v[1:2], v3, off
.LBB29_2228:
	s_mov_b64 s[0:1], 0
.LBB29_2229:
	s_andn2_b64 vcc, exec, s[0:1]
	s_cbranch_vccnz .LBB29_2231
; %bb.2230:
	global_store_short v[1:2], v13, off
.LBB29_2231:
	s_mov_b64 s[0:1], 0
.LBB29_2232:
	s_andn2_b64 vcc, exec, s[0:1]
	s_cbranch_vccnz .LBB29_2248
; %bb.2233:
	s_cmp_lt_i32 s4, 2
	s_mov_b64 s[0:1], -1
	s_cbranch_scc1 .LBB29_2243
; %bb.2234:
	s_cmp_lt_i32 s4, 3
	s_cbranch_scc1 .LBB29_2240
; %bb.2235:
	s_cmp_gt_i32 s4, 3
	s_cbranch_scc0 .LBB29_2237
; %bb.2236:
	v_cvt_f32_f16_e32 v3, v13
	s_mov_b64 s[0:1], 0
	v_cvt_i32_f32_e32 v3, v3
	v_ashrrev_i32_e32 v4, 31, v3
	global_store_dwordx2 v[1:2], v[3:4], off
.LBB29_2237:
	s_andn2_b64 vcc, exec, s[0:1]
	s_cbranch_vccnz .LBB29_2239
; %bb.2238:
	v_cvt_f32_f16_e32 v3, v13
	v_cvt_i32_f32_e32 v3, v3
	global_store_dword v[1:2], v3, off
.LBB29_2239:
	s_mov_b64 s[0:1], 0
.LBB29_2240:
	s_andn2_b64 vcc, exec, s[0:1]
	s_cbranch_vccnz .LBB29_2242
; %bb.2241:
	v_cvt_i16_f16_e32 v3, v13
	global_store_short v[1:2], v3, off
.LBB29_2242:
	s_mov_b64 s[0:1], 0
.LBB29_2243:
	s_andn2_b64 vcc, exec, s[0:1]
	s_cbranch_vccnz .LBB29_2248
; %bb.2244:
	s_cmp_gt_i32 s4, 0
	s_mov_b64 s[0:1], -1
	s_cbranch_scc0 .LBB29_2246
; %bb.2245:
	v_cvt_i16_f16_e32 v3, v13
	global_store_byte v[1:2], v3, off
	s_mov_b64 s[0:1], 0
.LBB29_2246:
	s_andn2_b64 vcc, exec, s[0:1]
	s_cbranch_vccnz .LBB29_2248
; %bb.2247:
	v_cvt_f32_f16_e32 v3, v13
	v_cvt_i32_f32_e32 v3, v3
	global_store_byte v[1:2], v3, off
.LBB29_2248:
	s_mov_b64 s[6:7], -1
.LBB29_2249:
	s_andn2_b64 vcc, exec, s[6:7]
	s_cbranch_vccnz .LBB29_2326
; %bb.2250:
	v_mov_b32_e32 v1, s9
	v_add_co_u32_e32 v0, vcc, s8, v0
	s_cmp_lt_i32 s14, 11
	v_addc_co_u32_e32 v1, vcc, 0, v1, vcc
	s_cbranch_scc1 .LBB29_2327
; %bb.2251:
	s_and_b32 s12, 0xffff, s14
	s_mov_b64 s[6:7], -1
	s_mov_b64 s[4:5], 0
	s_cmp_gt_i32 s12, 25
	s_mov_b64 s[0:1], 0
	s_cbranch_scc0 .LBB29_2284
; %bb.2252:
	s_cmp_gt_i32 s12, 28
	s_cbranch_scc0 .LBB29_2268
; %bb.2253:
	s_cmp_gt_i32 s12, 43
	;; [unrolled: 3-line block ×3, first 2 shown]
	s_cbranch_scc0 .LBB29_2258
; %bb.2255:
	s_cmp_eq_u32 s12, 46
	s_mov_b64 s[0:1], -1
	s_cbranch_scc0 .LBB29_2257
; %bb.2256:
	v_cvt_f32_f16_e32 v2, v7
	s_movk_i32 s0, 0x7fff
	v_cmp_o_f16_e32 vcc, v7, v7
	v_mov_b32_e32 v3, 0x7fc0
	v_bfe_u32 v4, v2, 16, 1
	v_add3_u32 v2, v2, v4, s0
	v_cndmask_b32_sdwa v2, v3, v2, vcc dst_sel:DWORD dst_unused:UNUSED_PAD src0_sel:DWORD src1_sel:WORD_1
	global_store_dword v[0:1], v2, off
	s_mov_b64 s[0:1], 0
.LBB29_2257:
	s_mov_b64 s[6:7], 0
.LBB29_2258:
	s_and_b64 vcc, exec, s[6:7]
	s_cbranch_vccz .LBB29_2263
; %bb.2259:
	s_cmp_eq_u32 s12, 44
	s_mov_b64 s[0:1], -1
	s_cbranch_scc0 .LBB29_2263
; %bb.2260:
	v_cvt_f32_f16_e32 v2, v7
	s_movk_i32 s0, 0xff
	v_mov_b32_e32 v4, 0xff
	v_bfe_u32 v3, v2, 23, 8
	v_cmp_ne_u32_e32 vcc, s0, v3
	s_and_saveexec_b64 s[6:7], vcc
; %bb.2261:
	s_mov_b32 s0, 0x3fffff
	v_lshrrev_b32_e32 v4, 23, v2
	v_and_b32_e32 v5, 0x400000, v2
	v_and_or_b32 v2, v2, s0, v3
	v_cmp_ne_u32_e32 vcc, 0, v5
	v_cmp_ne_u32_e64 s[0:1], 0, v2
	s_and_b64 s[0:1], vcc, s[0:1]
	v_cndmask_b32_e64 v2, 0, 1, s[0:1]
	v_add_u32_e32 v4, v4, v2
; %bb.2262:
	s_or_b64 exec, exec, s[6:7]
	s_mov_b64 s[0:1], 0
	global_store_byte v[0:1], v4, off
.LBB29_2263:
	s_mov_b64 s[6:7], 0
.LBB29_2264:
	s_and_b64 vcc, exec, s[6:7]
	s_cbranch_vccz .LBB29_2267
; %bb.2265:
	s_cmp_eq_u32 s12, 29
	s_mov_b64 s[0:1], -1
	s_cbranch_scc0 .LBB29_2267
; %bb.2266:
	v_cvt_f32_f16_e32 v2, v7
	v_mov_b32_e32 v3, 0
	s_mov_b64 s[0:1], 0
	v_cvt_u32_f32_e32 v2, v2
	global_store_dwordx2 v[0:1], v[2:3], off
.LBB29_2267:
	s_mov_b64 s[6:7], 0
.LBB29_2268:
	s_and_b64 vcc, exec, s[6:7]
	s_cbranch_vccz .LBB29_2283
; %bb.2269:
	s_cmp_lt_i32 s12, 27
	s_mov_b64 s[6:7], -1
	s_cbranch_scc1 .LBB29_2275
; %bb.2270:
	s_cmp_gt_i32 s12, 27
	s_cbranch_scc0 .LBB29_2272
; %bb.2271:
	v_cvt_f32_f16_e32 v2, v7
	s_mov_b64 s[6:7], 0
	v_cvt_u32_f32_e32 v2, v2
	global_store_dword v[0:1], v2, off
.LBB29_2272:
	s_andn2_b64 vcc, exec, s[6:7]
	s_cbranch_vccnz .LBB29_2274
; %bb.2273:
	v_cvt_u16_f16_e32 v2, v7
	global_store_short v[0:1], v2, off
.LBB29_2274:
	s_mov_b64 s[6:7], 0
.LBB29_2275:
	s_andn2_b64 vcc, exec, s[6:7]
	s_cbranch_vccnz .LBB29_2283
; %bb.2276:
	v_cvt_f32_f16_e32 v2, v7
	s_mov_b32 s6, 0x43800000
	v_mov_b32_e32 v4, 0x80
	v_and_b32_e32 v3, 0x7fffffff, v2
	v_cmp_gt_u32_e32 vcc, s6, v3
	s_and_saveexec_b64 s[6:7], vcc
	s_cbranch_execz .LBB29_2282
; %bb.2277:
	s_mov_b32 s8, 0x3bffffff
	v_cmp_lt_u32_e32 vcc, s8, v3
	s_mov_b64 s[8:9], 0
                                        ; implicit-def: $vgpr3
	s_and_saveexec_b64 s[10:11], vcc
	s_xor_b64 s[10:11], exec, s[10:11]
	s_cbranch_execz .LBB29_2344
; %bb.2278:
	v_bfe_u32 v3, v2, 20, 1
	s_mov_b32 s13, 0x487ffff
	v_add3_u32 v3, v2, v3, s13
	s_mov_b64 s[8:9], exec
	v_lshrrev_b32_e32 v3, 20, v3
	s_andn2_saveexec_b64 s[10:11], s[10:11]
	s_cbranch_execnz .LBB29_2345
.LBB29_2279:
	s_or_b64 exec, exec, s[10:11]
	v_mov_b32_e32 v4, 0
	s_and_saveexec_b64 s[10:11], s[8:9]
.LBB29_2280:
	v_lshrrev_b32_e32 v2, 24, v2
	s_movk_i32 s8, 0x80
	v_and_or_b32 v4, v2, s8, v3
.LBB29_2281:
	s_or_b64 exec, exec, s[10:11]
.LBB29_2282:
	s_or_b64 exec, exec, s[6:7]
	global_store_byte v[0:1], v4, off
.LBB29_2283:
	s_mov_b64 s[6:7], 0
.LBB29_2284:
	s_and_b64 vcc, exec, s[6:7]
	s_cbranch_vccz .LBB29_2324
; %bb.2285:
	s_cmp_gt_i32 s12, 22
	s_mov_b64 s[4:5], -1
	s_cbranch_scc0 .LBB29_2317
; %bb.2286:
	s_cmp_lt_i32 s12, 24
	s_cbranch_scc1 .LBB29_2306
; %bb.2287:
	s_cmp_gt_i32 s12, 24
	s_cbranch_scc0 .LBB29_2295
; %bb.2288:
	v_cvt_f32_f16_e32 v2, v7
	s_mov_b32 s4, 0x47800000
	v_mov_b32_e32 v4, 0x80
	v_and_b32_e32 v3, 0x7fffffff, v2
	v_cmp_gt_u32_e32 vcc, s4, v3
	s_and_saveexec_b64 s[4:5], vcc
	s_cbranch_execz .LBB29_2294
; %bb.2289:
	s_mov_b32 s6, 0x37ffffff
	v_cmp_lt_u32_e32 vcc, s6, v3
	s_mov_b64 s[6:7], 0
                                        ; implicit-def: $vgpr3
	s_and_saveexec_b64 s[8:9], vcc
	s_xor_b64 s[8:9], exec, s[8:9]
	s_cbranch_execz .LBB29_2347
; %bb.2290:
	v_bfe_u32 v3, v2, 21, 1
	s_mov_b32 s10, 0x88fffff
	v_add3_u32 v3, v2, v3, s10
	s_mov_b64 s[6:7], exec
	v_lshrrev_b32_e32 v3, 21, v3
	s_andn2_saveexec_b64 s[8:9], s[8:9]
	s_cbranch_execnz .LBB29_2348
.LBB29_2291:
	s_or_b64 exec, exec, s[8:9]
	v_mov_b32_e32 v4, 0
	s_and_saveexec_b64 s[8:9], s[6:7]
.LBB29_2292:
	v_lshrrev_b32_e32 v2, 24, v2
	s_movk_i32 s6, 0x80
	v_and_or_b32 v4, v2, s6, v3
.LBB29_2293:
	s_or_b64 exec, exec, s[8:9]
.LBB29_2294:
	s_or_b64 exec, exec, s[4:5]
	s_mov_b64 s[4:5], 0
	global_store_byte v[0:1], v4, off
.LBB29_2295:
	s_and_b64 vcc, exec, s[4:5]
	s_cbranch_vccz .LBB29_2305
; %bb.2296:
	v_cvt_f32_f16_e32 v2, v7
	s_mov_b32 s4, 0x43f00000
                                        ; implicit-def: $vgpr3
	v_and_b32_e32 v4, 0x7fffffff, v2
	v_cmp_gt_u32_e32 vcc, s4, v4
	s_and_saveexec_b64 s[4:5], vcc
	s_xor_b64 s[4:5], exec, s[4:5]
	s_cbranch_execz .LBB29_2302
; %bb.2297:
	s_mov_b32 s6, 0x3c7fffff
	v_cmp_lt_u32_e32 vcc, s6, v4
                                        ; implicit-def: $vgpr3
	s_and_saveexec_b64 s[6:7], vcc
	s_xor_b64 s[6:7], exec, s[6:7]
; %bb.2298:
	v_bfe_u32 v3, v2, 20, 1
	s_mov_b32 s8, 0x407ffff
	v_add3_u32 v3, v2, v3, s8
	v_lshrrev_b32_e32 v4, 20, v3
	v_and_b32_e32 v3, 0xff00000, v3
	s_mov_b32 s8, 0x7f00000
	v_mov_b32_e32 v5, 0x7e
	v_cmp_ne_u32_e32 vcc, s8, v3
	v_cndmask_b32_e32 v3, v5, v4, vcc
; %bb.2299:
	s_andn2_saveexec_b64 s[6:7], s[6:7]
; %bb.2300:
	s_mov_b32 s8, 0x46800000
	v_add_f32_e64 v3, |v2|, s8
; %bb.2301:
	s_or_b64 exec, exec, s[6:7]
                                        ; implicit-def: $vgpr4
.LBB29_2302:
	s_andn2_saveexec_b64 s[4:5], s[4:5]
; %bb.2303:
	s_mov_b32 s6, 0x7f800000
	v_mov_b32_e32 v3, 0x7e
	v_mov_b32_e32 v5, 0x7f
	v_cmp_lt_u32_e32 vcc, s6, v4
	v_cndmask_b32_e32 v3, v3, v5, vcc
; %bb.2304:
	s_or_b64 exec, exec, s[4:5]
	v_lshrrev_b32_e32 v2, 24, v2
	s_movk_i32 s4, 0x80
	v_and_or_b32 v2, v2, s4, v3
	global_store_byte v[0:1], v2, off
.LBB29_2305:
	s_mov_b64 s[4:5], 0
.LBB29_2306:
	s_andn2_b64 vcc, exec, s[4:5]
	s_cbranch_vccnz .LBB29_2316
; %bb.2307:
	v_cvt_f32_f16_e32 v2, v7
	s_mov_b32 s4, 0x47800000
                                        ; implicit-def: $vgpr3
	v_and_b32_e32 v4, 0x7fffffff, v2
	v_cmp_gt_u32_e32 vcc, s4, v4
	s_and_saveexec_b64 s[4:5], vcc
	s_xor_b64 s[4:5], exec, s[4:5]
	s_cbranch_execz .LBB29_2313
; %bb.2308:
	s_mov_b32 s6, 0x387fffff
	v_cmp_lt_u32_e32 vcc, s6, v4
                                        ; implicit-def: $vgpr3
	s_and_saveexec_b64 s[6:7], vcc
	s_xor_b64 s[6:7], exec, s[6:7]
; %bb.2309:
	v_bfe_u32 v3, v2, 21, 1
	s_mov_b32 s8, 0x80fffff
	v_add3_u32 v3, v2, v3, s8
	v_lshrrev_b32_e32 v3, 21, v3
; %bb.2310:
	s_andn2_saveexec_b64 s[6:7], s[6:7]
; %bb.2311:
	s_mov_b32 s8, 0x43000000
	v_add_f32_e64 v3, |v2|, s8
; %bb.2312:
	s_or_b64 exec, exec, s[6:7]
                                        ; implicit-def: $vgpr4
.LBB29_2313:
	s_andn2_saveexec_b64 s[4:5], s[4:5]
; %bb.2314:
	s_mov_b32 s6, 0x7f800000
	v_mov_b32_e32 v3, 0x7c
	v_mov_b32_e32 v5, 0x7f
	v_cmp_lt_u32_e32 vcc, s6, v4
	v_cndmask_b32_e32 v3, v3, v5, vcc
; %bb.2315:
	s_or_b64 exec, exec, s[4:5]
	v_lshrrev_b32_e32 v2, 24, v2
	s_movk_i32 s4, 0x80
	v_and_or_b32 v2, v2, s4, v3
	global_store_byte v[0:1], v2, off
.LBB29_2316:
	s_mov_b64 s[4:5], 0
.LBB29_2317:
	s_andn2_b64 vcc, exec, s[4:5]
	s_mov_b64 s[4:5], 0
	s_cbranch_vccnz .LBB29_2324
; %bb.2318:
	s_cmp_gt_i32 s12, 14
	s_mov_b64 s[6:7], -1
	s_cbranch_scc0 .LBB29_2322
; %bb.2319:
	s_cmp_eq_u32 s12, 15
	s_mov_b64 s[0:1], -1
	s_cbranch_scc0 .LBB29_2321
; %bb.2320:
	v_cvt_f32_f16_e32 v2, v7
	s_movk_i32 s0, 0x7fff
	v_cmp_o_f16_e32 vcc, v7, v7
	v_mov_b32_e32 v3, 0x7fc0
	v_bfe_u32 v4, v2, 16, 1
	v_add3_u32 v2, v2, v4, s0
	v_cndmask_b32_sdwa v2, v3, v2, vcc dst_sel:DWORD dst_unused:UNUSED_PAD src0_sel:DWORD src1_sel:WORD_1
	global_store_short v[0:1], v2, off
	s_mov_b64 s[0:1], 0
.LBB29_2321:
	s_mov_b64 s[6:7], 0
.LBB29_2322:
	s_and_b64 vcc, exec, s[6:7]
	s_cbranch_vccz .LBB29_2324
; %bb.2323:
	s_cmp_lg_u32 s12, 11
	s_mov_b64 s[4:5], -1
	s_cselect_b64 s[0:1], -1, 0
.LBB29_2324:
	s_and_b64 vcc, exec, s[0:1]
	s_cbranch_vccnz .LBB29_2346
.LBB29_2325:
	s_mov_b64 s[0:1], 0
	s_branch .LBB29_1927
.LBB29_2326:
	s_mov_b64 s[0:1], 0
                                        ; implicit-def: $vgpr0_vgpr1
                                        ; implicit-def: $sgpr14
	s_branch .LBB29_1926
.LBB29_2327:
	s_mov_b64 s[4:5], 0
	s_mov_b64 s[0:1], -1
	s_branch .LBB29_1927
.LBB29_2328:
	s_trap 2
	s_or_b64 s[2:3], s[2:3], exec
	s_cbranch_execz .LBB29_1771
	s_branch .LBB29_1772
.LBB29_2329:
	s_andn2_saveexec_b64 s[12:13], s[12:13]
	s_cbranch_execz .LBB29_1875
.LBB29_2330:
	s_mov_b32 s16, 0x46000000
	v_add_f32_e64 v8, |v3|, s16
	v_and_b32_e32 v8, 0xff, v8
	v_cmp_ne_u32_e32 vcc, 0, v8
	s_andn2_b64 s[10:11], s[10:11], exec
	s_and_b64 s[16:17], vcc, exec
	s_or_b64 s[10:11], s[10:11], s[16:17]
	s_or_b64 exec, exec, s[12:13]
	v_mov_b32_e32 v9, 0
	s_and_saveexec_b64 s[12:13], s[10:11]
	s_cbranch_execnz .LBB29_1876
	s_branch .LBB29_1877
.LBB29_2331:
	s_trap 2
	s_or_b64 s[2:3], s[2:3], exec
	s_cbranch_execz .LBB29_1923
	s_branch .LBB29_1924
.LBB29_2332:
	s_andn2_saveexec_b64 s[10:11], s[10:11]
	s_cbranch_execz .LBB29_1888
.LBB29_2333:
	s_mov_b32 s12, 0x42800000
	v_add_f32_e64 v8, |v3|, s12
	v_and_b32_e32 v8, 0xff, v8
	v_cmp_ne_u32_e32 vcc, 0, v8
	s_andn2_b64 s[6:7], s[6:7], exec
	s_and_b64 s[12:13], vcc, exec
	s_or_b64 s[6:7], s[6:7], s[12:13]
	s_or_b64 exec, exec, s[10:11]
	v_mov_b32_e32 v9, 0
	s_and_saveexec_b64 s[10:11], s[6:7]
	s_cbranch_execnz .LBB29_1889
	s_branch .LBB29_1890
.LBB29_2334:
	s_andn2_saveexec_b64 s[12:13], s[12:13]
	s_cbranch_execz .LBB29_2040
.LBB29_2335:
	s_mov_b32 s16, 0x46000000
	v_add_f32_e64 v5, |v1|, s16
	v_and_b32_e32 v5, 0xff, v5
	v_cmp_ne_u32_e32 vcc, 0, v5
	s_andn2_b64 s[10:11], s[10:11], exec
	s_and_b64 s[16:17], vcc, exec
	s_or_b64 s[10:11], s[10:11], s[16:17]
	s_or_b64 exec, exec, s[12:13]
	v_mov_b32_e32 v6, 0
	s_and_saveexec_b64 s[12:13], s[10:11]
	s_cbranch_execnz .LBB29_2041
	s_branch .LBB29_2042
.LBB29_2336:
	s_trap 2
	s_or_b64 s[2:3], s[2:3], exec
	s_cbranch_execz .LBB29_2088
	s_branch .LBB29_2089
.LBB29_2337:
	s_andn2_saveexec_b64 s[10:11], s[10:11]
	s_cbranch_execz .LBB29_2053
.LBB29_2338:
	s_mov_b32 s12, 0x42800000
	v_add_f32_e64 v5, |v1|, s12
	v_and_b32_e32 v5, 0xff, v5
	v_cmp_ne_u32_e32 vcc, 0, v5
	s_andn2_b64 s[6:7], s[6:7], exec
	s_and_b64 s[12:13], vcc, exec
	s_or_b64 s[6:7], s[6:7], s[12:13]
	s_or_b64 exec, exec, s[10:11]
	v_mov_b32_e32 v6, 0
	s_and_saveexec_b64 s[10:11], s[6:7]
	s_cbranch_execnz .LBB29_2054
	s_branch .LBB29_2055
.LBB29_2339:
	s_andn2_saveexec_b64 s[12:13], s[12:13]
	s_cbranch_execz .LBB29_2159
.LBB29_2340:
	s_mov_b32 s16, 0x46000000
	v_add_f32_e64 v4, |v3|, s16
	v_and_b32_e32 v4, 0xff, v4
	v_cmp_ne_u32_e32 vcc, 0, v4
	s_andn2_b64 s[10:11], s[10:11], exec
	s_and_b64 s[16:17], vcc, exec
	s_or_b64 s[10:11], s[10:11], s[16:17]
	s_or_b64 exec, exec, s[12:13]
	v_mov_b32_e32 v5, 0
	s_and_saveexec_b64 s[12:13], s[10:11]
	s_cbranch_execnz .LBB29_2160
	s_branch .LBB29_2161
.LBB29_2341:
	s_trap 2
	s_or_b64 s[2:3], s[2:3], exec
	s_cbranch_execz .LBB29_2207
	s_branch .LBB29_2208
.LBB29_2342:
	s_andn2_saveexec_b64 s[10:11], s[10:11]
	s_cbranch_execz .LBB29_2172
.LBB29_2343:
	s_mov_b32 s12, 0x42800000
	v_add_f32_e64 v4, |v3|, s12
	v_and_b32_e32 v4, 0xff, v4
	v_cmp_ne_u32_e32 vcc, 0, v4
	s_andn2_b64 s[6:7], s[6:7], exec
	s_and_b64 s[12:13], vcc, exec
	s_or_b64 s[6:7], s[6:7], s[12:13]
	s_or_b64 exec, exec, s[10:11]
	v_mov_b32_e32 v5, 0
	s_and_saveexec_b64 s[10:11], s[6:7]
	s_cbranch_execnz .LBB29_2173
	s_branch .LBB29_2174
.LBB29_2344:
	s_andn2_saveexec_b64 s[10:11], s[10:11]
	s_cbranch_execz .LBB29_2279
.LBB29_2345:
	s_mov_b32 s13, 0x46000000
	v_add_f32_e64 v3, |v2|, s13
	v_and_b32_e32 v3, 0xff, v3
	v_cmp_ne_u32_e32 vcc, 0, v3
	s_andn2_b64 s[8:9], s[8:9], exec
	s_and_b64 s[16:17], vcc, exec
	s_or_b64 s[8:9], s[8:9], s[16:17]
	s_or_b64 exec, exec, s[10:11]
	v_mov_b32_e32 v4, 0
	s_and_saveexec_b64 s[10:11], s[8:9]
	s_cbranch_execnz .LBB29_2280
	s_branch .LBB29_2281
.LBB29_2346:
	s_mov_b64 s[4:5], 0
	s_or_b64 s[2:3], s[2:3], exec
	s_trap 2
	s_branch .LBB29_2325
.LBB29_2347:
	s_andn2_saveexec_b64 s[8:9], s[8:9]
	s_cbranch_execz .LBB29_2291
.LBB29_2348:
	s_mov_b32 s10, 0x42800000
	v_add_f32_e64 v3, |v2|, s10
	v_and_b32_e32 v3, 0xff, v3
	v_cmp_ne_u32_e32 vcc, 0, v3
	s_andn2_b64 s[6:7], s[6:7], exec
	s_and_b64 s[10:11], vcc, exec
	s_or_b64 s[6:7], s[6:7], s[10:11]
	s_or_b64 exec, exec, s[8:9]
	v_mov_b32_e32 v4, 0
	s_and_saveexec_b64 s[8:9], s[6:7]
	s_cbranch_execnz .LBB29_2292
	s_branch .LBB29_2293
	.section	.rodata,"a",@progbits
	.p2align	6, 0x0
	.amdhsa_kernel _ZN2at6native32elementwise_kernel_manual_unrollILi128ELi4EZNS0_15gpu_kernel_implIZZZNS0_19digamma_kernel_cudaERNS_18TensorIteratorBaseEENKUlvE_clEvENKUlvE1_clEvEUlN3c104HalfEE_EEvS4_RKT_EUlibE0_EEviT1_
		.amdhsa_group_segment_fixed_size 0
		.amdhsa_private_segment_fixed_size 0
		.amdhsa_kernarg_size 360
		.amdhsa_user_sgpr_count 6
		.amdhsa_user_sgpr_private_segment_buffer 1
		.amdhsa_user_sgpr_dispatch_ptr 0
		.amdhsa_user_sgpr_queue_ptr 0
		.amdhsa_user_sgpr_kernarg_segment_ptr 1
		.amdhsa_user_sgpr_dispatch_id 0
		.amdhsa_user_sgpr_flat_scratch_init 0
		.amdhsa_user_sgpr_private_segment_size 0
		.amdhsa_uses_dynamic_stack 0
		.amdhsa_system_sgpr_private_segment_wavefront_offset 0
		.amdhsa_system_sgpr_workgroup_id_x 1
		.amdhsa_system_sgpr_workgroup_id_y 0
		.amdhsa_system_sgpr_workgroup_id_z 0
		.amdhsa_system_sgpr_workgroup_info 0
		.amdhsa_system_vgpr_workitem_id 0
		.amdhsa_next_free_vgpr 46
		.amdhsa_next_free_sgpr 78
		.amdhsa_reserve_vcc 1
		.amdhsa_reserve_flat_scratch 0
		.amdhsa_float_round_mode_32 0
		.amdhsa_float_round_mode_16_64 0
		.amdhsa_float_denorm_mode_32 3
		.amdhsa_float_denorm_mode_16_64 3
		.amdhsa_dx10_clamp 1
		.amdhsa_ieee_mode 1
		.amdhsa_fp16_overflow 0
		.amdhsa_exception_fp_ieee_invalid_op 0
		.amdhsa_exception_fp_denorm_src 0
		.amdhsa_exception_fp_ieee_div_zero 0
		.amdhsa_exception_fp_ieee_overflow 0
		.amdhsa_exception_fp_ieee_underflow 0
		.amdhsa_exception_fp_ieee_inexact 0
		.amdhsa_exception_int_div_zero 0
	.end_amdhsa_kernel
	.section	.text._ZN2at6native32elementwise_kernel_manual_unrollILi128ELi4EZNS0_15gpu_kernel_implIZZZNS0_19digamma_kernel_cudaERNS_18TensorIteratorBaseEENKUlvE_clEvENKUlvE1_clEvEUlN3c104HalfEE_EEvS4_RKT_EUlibE0_EEviT1_,"axG",@progbits,_ZN2at6native32elementwise_kernel_manual_unrollILi128ELi4EZNS0_15gpu_kernel_implIZZZNS0_19digamma_kernel_cudaERNS_18TensorIteratorBaseEENKUlvE_clEvENKUlvE1_clEvEUlN3c104HalfEE_EEvS4_RKT_EUlibE0_EEviT1_,comdat
.Lfunc_end29:
	.size	_ZN2at6native32elementwise_kernel_manual_unrollILi128ELi4EZNS0_15gpu_kernel_implIZZZNS0_19digamma_kernel_cudaERNS_18TensorIteratorBaseEENKUlvE_clEvENKUlvE1_clEvEUlN3c104HalfEE_EEvS4_RKT_EUlibE0_EEviT1_, .Lfunc_end29-_ZN2at6native32elementwise_kernel_manual_unrollILi128ELi4EZNS0_15gpu_kernel_implIZZZNS0_19digamma_kernel_cudaERNS_18TensorIteratorBaseEENKUlvE_clEvENKUlvE1_clEvEUlN3c104HalfEE_EEvS4_RKT_EUlibE0_EEviT1_
                                        ; -- End function
	.set _ZN2at6native32elementwise_kernel_manual_unrollILi128ELi4EZNS0_15gpu_kernel_implIZZZNS0_19digamma_kernel_cudaERNS_18TensorIteratorBaseEENKUlvE_clEvENKUlvE1_clEvEUlN3c104HalfEE_EEvS4_RKT_EUlibE0_EEviT1_.num_vgpr, 46
	.set _ZN2at6native32elementwise_kernel_manual_unrollILi128ELi4EZNS0_15gpu_kernel_implIZZZNS0_19digamma_kernel_cudaERNS_18TensorIteratorBaseEENKUlvE_clEvENKUlvE1_clEvEUlN3c104HalfEE_EEvS4_RKT_EUlibE0_EEviT1_.num_agpr, 0
	.set _ZN2at6native32elementwise_kernel_manual_unrollILi128ELi4EZNS0_15gpu_kernel_implIZZZNS0_19digamma_kernel_cudaERNS_18TensorIteratorBaseEENKUlvE_clEvENKUlvE1_clEvEUlN3c104HalfEE_EEvS4_RKT_EUlibE0_EEviT1_.numbered_sgpr, 78
	.set _ZN2at6native32elementwise_kernel_manual_unrollILi128ELi4EZNS0_15gpu_kernel_implIZZZNS0_19digamma_kernel_cudaERNS_18TensorIteratorBaseEENKUlvE_clEvENKUlvE1_clEvEUlN3c104HalfEE_EEvS4_RKT_EUlibE0_EEviT1_.num_named_barrier, 0
	.set _ZN2at6native32elementwise_kernel_manual_unrollILi128ELi4EZNS0_15gpu_kernel_implIZZZNS0_19digamma_kernel_cudaERNS_18TensorIteratorBaseEENKUlvE_clEvENKUlvE1_clEvEUlN3c104HalfEE_EEvS4_RKT_EUlibE0_EEviT1_.private_seg_size, 0
	.set _ZN2at6native32elementwise_kernel_manual_unrollILi128ELi4EZNS0_15gpu_kernel_implIZZZNS0_19digamma_kernel_cudaERNS_18TensorIteratorBaseEENKUlvE_clEvENKUlvE1_clEvEUlN3c104HalfEE_EEvS4_RKT_EUlibE0_EEviT1_.uses_vcc, 1
	.set _ZN2at6native32elementwise_kernel_manual_unrollILi128ELi4EZNS0_15gpu_kernel_implIZZZNS0_19digamma_kernel_cudaERNS_18TensorIteratorBaseEENKUlvE_clEvENKUlvE1_clEvEUlN3c104HalfEE_EEvS4_RKT_EUlibE0_EEviT1_.uses_flat_scratch, 0
	.set _ZN2at6native32elementwise_kernel_manual_unrollILi128ELi4EZNS0_15gpu_kernel_implIZZZNS0_19digamma_kernel_cudaERNS_18TensorIteratorBaseEENKUlvE_clEvENKUlvE1_clEvEUlN3c104HalfEE_EEvS4_RKT_EUlibE0_EEviT1_.has_dyn_sized_stack, 0
	.set _ZN2at6native32elementwise_kernel_manual_unrollILi128ELi4EZNS0_15gpu_kernel_implIZZZNS0_19digamma_kernel_cudaERNS_18TensorIteratorBaseEENKUlvE_clEvENKUlvE1_clEvEUlN3c104HalfEE_EEvS4_RKT_EUlibE0_EEviT1_.has_recursion, 0
	.set _ZN2at6native32elementwise_kernel_manual_unrollILi128ELi4EZNS0_15gpu_kernel_implIZZZNS0_19digamma_kernel_cudaERNS_18TensorIteratorBaseEENKUlvE_clEvENKUlvE1_clEvEUlN3c104HalfEE_EEvS4_RKT_EUlibE0_EEviT1_.has_indirect_call, 0
	.section	.AMDGPU.csdata,"",@progbits
; Kernel info:
; codeLenInByte = 60160
; TotalNumSgprs: 82
; NumVgprs: 46
; ScratchSize: 0
; MemoryBound: 0
; FloatMode: 240
; IeeeMode: 1
; LDSByteSize: 0 bytes/workgroup (compile time only)
; SGPRBlocks: 10
; VGPRBlocks: 11
; NumSGPRsForWavesPerEU: 82
; NumVGPRsForWavesPerEU: 46
; Occupancy: 5
; WaveLimiterHint : 1
; COMPUTE_PGM_RSRC2:SCRATCH_EN: 0
; COMPUTE_PGM_RSRC2:USER_SGPR: 6
; COMPUTE_PGM_RSRC2:TRAP_HANDLER: 0
; COMPUTE_PGM_RSRC2:TGID_X_EN: 1
; COMPUTE_PGM_RSRC2:TGID_Y_EN: 0
; COMPUTE_PGM_RSRC2:TGID_Z_EN: 0
; COMPUTE_PGM_RSRC2:TIDIG_COMP_CNT: 0
	.text
	.p2align	2                               ; -- Begin function _ZN2at6native25elementwise_kernel_helperILb0EZZZNS0_19digamma_kernel_cudaERNS_18TensorIteratorBaseEENKUlvE_clEvENKUlvE2_clEvEUlN3c108BFloat16EE_NS0_6memory8policies11unroll_baseILi256ESt5arrayIPcLm2EE23TrivialOffsetCalculatorILi1EjESG_NS9_15LoadWithoutCastENS9_16StoreWithoutCastELi8ELi1EEEEEvT0_T1_
	.type	_ZN2at6native25elementwise_kernel_helperILb0EZZZNS0_19digamma_kernel_cudaERNS_18TensorIteratorBaseEENKUlvE_clEvENKUlvE2_clEvEUlN3c108BFloat16EE_NS0_6memory8policies11unroll_baseILi256ESt5arrayIPcLm2EE23TrivialOffsetCalculatorILi1EjESG_NS9_15LoadWithoutCastENS9_16StoreWithoutCastELi8ELi1EEEEEvT0_T1_,@function
_ZN2at6native25elementwise_kernel_helperILb0EZZZNS0_19digamma_kernel_cudaERNS_18TensorIteratorBaseEENKUlvE_clEvENKUlvE2_clEvEUlN3c108BFloat16EE_NS0_6memory8policies11unroll_baseILi256ESt5arrayIPcLm2EE23TrivialOffsetCalculatorILi1EjESG_NS9_15LoadWithoutCastENS9_16StoreWithoutCastELi8ELi1EEEEEvT0_T1_: ; @_ZN2at6native25elementwise_kernel_helperILb0EZZZNS0_19digamma_kernel_cudaERNS_18TensorIteratorBaseEENKUlvE_clEvENKUlvE2_clEvEUlN3c108BFloat16EE_NS0_6memory8policies11unroll_baseILi256ESt5arrayIPcLm2EE23TrivialOffsetCalculatorILi1EjESG_NS9_15LoadWithoutCastENS9_16StoreWithoutCastELi8ELi1EEEEEvT0_T1_
; %bb.0:
	s_waitcnt vmcnt(0) expcnt(0) lgkmcnt(0)
	v_and_b32_e32 v10, 0x3ff, v31
	s_lshl_b32 s20, s12, 11
	v_cmp_lt_i32_e64 s[4:5], v10, v4
	v_mov_b32_e32 v17, 0
	v_or_b32_e32 v5, s20, v10
	v_mov_b32_e32 v13, 0
	v_mov_b32_e32 v6, v10
	s_and_saveexec_b64 s[6:7], s[4:5]
	s_cbranch_execz .LBB30_2
; %bb.1:
	v_mov_b32_e32 v6, 0
	v_lshlrev_b64 v[6:7], 1, v[5:6]
	v_add_co_u32_e32 v6, vcc, v2, v6
	v_addc_co_u32_e32 v7, vcc, v3, v7, vcc
	flat_load_ushort v7, v[6:7]
	v_add_u32_e32 v6, 0x100, v10
	s_waitcnt vmcnt(0) lgkmcnt(0)
	v_lshlrev_b32_e32 v13, 16, v7
.LBB30_2:
	s_or_b64 exec, exec, s[6:7]
	v_cmp_lt_i32_e32 vcc, v6, v4
	s_and_saveexec_b64 s[6:7], vcc
	s_cbranch_execz .LBB30_4
; %bb.3:
	v_add_u32_e32 v7, s20, v6
	v_mov_b32_e32 v8, 0
	v_lshlrev_b64 v[7:8], 1, v[7:8]
	v_add_u32_e32 v6, 0x100, v6
	v_add_co_u32_e32 v7, vcc, v2, v7
	v_addc_co_u32_e32 v8, vcc, v3, v8, vcc
	flat_load_ushort v7, v[7:8]
	s_waitcnt vmcnt(0) lgkmcnt(0)
	v_lshlrev_b32_e32 v17, 16, v7
.LBB30_4:
	s_or_b64 exec, exec, s[6:7]
	v_cmp_lt_i32_e32 vcc, v6, v4
	v_mov_b32_e32 v20, 0
	v_mov_b32_e32 v19, 0
	s_and_saveexec_b64 s[6:7], vcc
	s_cbranch_execz .LBB30_6
; %bb.5:
	v_add_u32_e32 v7, s20, v6
	v_mov_b32_e32 v8, 0
	v_lshlrev_b64 v[7:8], 1, v[7:8]
	v_add_u32_e32 v6, 0x100, v6
	v_add_co_u32_e32 v7, vcc, v2, v7
	v_addc_co_u32_e32 v8, vcc, v3, v8, vcc
	flat_load_ushort v7, v[7:8]
	s_waitcnt vmcnt(0) lgkmcnt(0)
	v_lshlrev_b32_e32 v19, 16, v7
.LBB30_6:
	s_or_b64 exec, exec, s[6:7]
	v_cmp_lt_i32_e32 vcc, v6, v4
	s_and_saveexec_b64 s[6:7], vcc
	s_cbranch_execz .LBB30_8
; %bb.7:
	v_add_u32_e32 v7, s20, v6
	v_mov_b32_e32 v8, 0
	v_lshlrev_b64 v[7:8], 1, v[7:8]
	v_add_u32_e32 v6, 0x100, v6
	v_add_co_u32_e32 v7, vcc, v2, v7
	v_addc_co_u32_e32 v8, vcc, v3, v8, vcc
	flat_load_ushort v7, v[7:8]
	s_waitcnt vmcnt(0) lgkmcnt(0)
	v_lshlrev_b32_e32 v20, 16, v7
.LBB30_8:
	s_or_b64 exec, exec, s[6:7]
	v_cmp_lt_i32_e32 vcc, v6, v4
	v_mov_b32_e32 v16, 0
	v_mov_b32_e32 v18, 0
	s_and_saveexec_b64 s[6:7], vcc
	s_cbranch_execz .LBB30_10
; %bb.9:
	v_add_u32_e32 v7, s20, v6
	v_mov_b32_e32 v8, 0
	v_lshlrev_b64 v[7:8], 1, v[7:8]
	v_add_u32_e32 v6, 0x100, v6
	v_add_co_u32_e32 v7, vcc, v2, v7
	v_addc_co_u32_e32 v8, vcc, v3, v8, vcc
	flat_load_ushort v7, v[7:8]
	s_waitcnt vmcnt(0) lgkmcnt(0)
	v_lshlrev_b32_e32 v18, 16, v7
.LBB30_10:
	s_or_b64 exec, exec, s[6:7]
	v_cmp_lt_i32_e32 vcc, v6, v4
	s_and_saveexec_b64 s[6:7], vcc
	s_cbranch_execz .LBB30_12
; %bb.11:
	v_add_u32_e32 v7, s20, v6
	v_mov_b32_e32 v8, 0
	v_lshlrev_b64 v[7:8], 1, v[7:8]
	v_add_u32_e32 v6, 0x100, v6
	v_add_co_u32_e32 v7, vcc, v2, v7
	v_addc_co_u32_e32 v8, vcc, v3, v8, vcc
	flat_load_ushort v7, v[7:8]
	s_waitcnt vmcnt(0) lgkmcnt(0)
	v_lshlrev_b32_e32 v16, 16, v7
.LBB30_12:
	s_or_b64 exec, exec, s[6:7]
	v_cmp_lt_i32_e32 vcc, v6, v4
	v_mov_b32_e32 v11, 0
	v_mov_b32_e32 v14, 0
	s_and_saveexec_b64 s[6:7], vcc
	s_cbranch_execnz .LBB30_15
; %bb.13:
	s_or_b64 exec, exec, s[6:7]
	v_cmp_lt_i32_e32 vcc, v6, v4
	s_and_saveexec_b64 s[6:7], vcc
	s_cbranch_execnz .LBB30_16
.LBB30_14:
	s_or_b64 exec, exec, s[6:7]
                                        ; implicit-def: $vgpr12
	s_and_saveexec_b64 s[8:9], s[4:5]
	s_cbranch_execnz .LBB30_17
	s_branch .LBB30_42
.LBB30_15:
	v_add_u32_e32 v7, s20, v6
	v_mov_b32_e32 v8, 0
	v_lshlrev_b64 v[7:8], 1, v[7:8]
	v_add_u32_e32 v6, 0x100, v6
	v_add_co_u32_e32 v7, vcc, v2, v7
	v_addc_co_u32_e32 v8, vcc, v3, v8, vcc
	flat_load_ushort v7, v[7:8]
	s_waitcnt vmcnt(0) lgkmcnt(0)
	v_lshlrev_b32_e32 v14, 16, v7
	s_or_b64 exec, exec, s[6:7]
	v_cmp_lt_i32_e32 vcc, v6, v4
	s_and_saveexec_b64 s[6:7], vcc
	s_cbranch_execz .LBB30_14
.LBB30_16:
	v_add_u32_e32 v6, s20, v6
	v_mov_b32_e32 v7, 0
	v_lshlrev_b64 v[6:7], 1, v[6:7]
	v_add_co_u32_e32 v2, vcc, v2, v6
	v_addc_co_u32_e32 v3, vcc, v3, v7, vcc
	flat_load_ushort v2, v[2:3]
	s_waitcnt vmcnt(0) lgkmcnt(0)
	v_lshlrev_b32_e32 v11, 16, v2
	s_or_b64 exec, exec, s[6:7]
                                        ; implicit-def: $vgpr12
	s_and_saveexec_b64 s[8:9], s[4:5]
	s_cbranch_execz .LBB30_42
.LBB30_17:
	v_cmp_neq_f32_e32 vcc, 0, v13
                                        ; implicit-def: $vgpr12
	s_and_saveexec_b64 s[6:7], vcc
	s_xor_b64 s[10:11], exec, s[6:7]
	s_cbranch_execz .LBB30_39
; %bb.18:
	v_mov_b32_e32 v2, 0
	v_cmp_gt_f32_e32 vcc, 0, v13
	s_mov_b64 s[14:15], -1
	s_and_saveexec_b64 s[12:13], vcc
	s_cbranch_execz .LBB30_26
; %bb.19:
	v_trunc_f32_e32 v2, v13
	v_cmp_neq_f32_e32 vcc, v2, v13
	s_mov_b64 s[16:17], 0
	v_mov_b32_e32 v2, 0
	s_and_saveexec_b64 s[14:15], vcc
	s_cbranch_execz .LBB30_25
; %bb.20:
	v_cvt_f64_f32_e32 v[2:3], v13
	s_mov_b32 s6, 0
	s_mov_b32 s17, 0xc00921fb
	;; [unrolled: 1-line block ×3, first 2 shown]
	v_trunc_f64_e32 v[6:7], v[2:3]
	s_mov_b32 s7, 0x7ff00000
	v_cmp_neq_f64_e64 vcc, |v[2:3]|, s[6:7]
	v_bfrev_b32_e32 v8, 1
	s_mov_b32 s18, 0
	s_mov_b32 s19, 0x41d00000
                                        ; implicit-def: $vgpr12
	v_add_f64 v[6:7], v[2:3], -v[6:7]
	v_mul_f64 v[6:7], |v[6:7]|, s[16:17]
	v_cndmask_b32_e32 v3, v8, v7, vcc
	v_cndmask_b32_e32 v2, 0, v6, vcc
	v_cmp_nlt_f64_e64 s[18:19], |v[2:3]|, s[18:19]
                                        ; implicit-def: $vgpr6_vgpr7
                                        ; implicit-def: $vgpr8_vgpr9
	s_and_saveexec_b64 s[22:23], s[18:19]
	s_xor_b64 s[18:19], exec, s[22:23]
	s_cbranch_execz .LBB30_22
; %bb.21:
	v_trig_preop_f64 v[6:7], |v[2:3]|, 0
	s_mov_b32 s22, 0
	s_mov_b32 s23, 0x7b000000
	s_movk_i32 s17, 0xff80
	v_ldexp_f64 v[21:22], |v[2:3]|, s17
	v_cmp_ge_f64_e64 vcc, |v[2:3]|, s[22:23]
	v_trig_preop_f64 v[8:9], |v[2:3]|, 1
	v_and_b32_e32 v12, 0x7fffffff, v3
	v_trig_preop_f64 v[29:30], |v[2:3]|, 2
	v_mov_b32_e32 v48, 0
	v_mov_b32_e32 v15, 0x3ff00000
	s_mov_b32 s17, 0x3ff921fb
	v_cndmask_b32_e32 v22, v12, v22, vcc
	v_cndmask_b32_e32 v21, v2, v21, vcc
	v_mov_b32_e32 v12, 0x40100000
	v_mul_f64 v[23:24], v[6:7], v[21:22]
	v_mul_f64 v[25:26], v[8:9], v[21:22]
	v_mul_f64 v[35:36], v[29:30], v[21:22]
	v_fma_f64 v[6:7], v[6:7], v[21:22], -v[23:24]
	v_fma_f64 v[8:9], v[8:9], v[21:22], -v[25:26]
	;; [unrolled: 1-line block ×3, first 2 shown]
	v_add_f64 v[27:28], v[25:26], v[6:7]
	v_add_f64 v[31:32], v[27:28], -v[25:26]
	v_add_f64 v[37:38], v[23:24], v[27:28]
	v_add_f64 v[33:34], v[27:28], -v[31:32]
	v_add_f64 v[6:7], v[6:7], -v[31:32]
	v_add_f64 v[31:32], v[35:36], v[8:9]
	v_add_f64 v[23:24], v[37:38], -v[23:24]
	v_add_f64 v[25:26], v[25:26], -v[33:34]
	v_ldexp_f64 v[33:34], v[37:38], -2
	v_add_f64 v[50:51], v[31:32], -v[35:36]
	v_add_f64 v[23:24], v[27:28], -v[23:24]
	v_add_f64 v[6:7], v[6:7], v[25:26]
	v_fract_f64_e32 v[25:26], v[33:34]
	v_cmp_neq_f64_e64 vcc, |v[33:34]|, s[6:7]
	v_add_f64 v[8:9], v[8:9], -v[50:51]
	v_add_f64 v[27:28], v[31:32], v[6:7]
	v_ldexp_f64 v[25:26], v[25:26], 2
	v_add_f64 v[33:34], v[23:24], v[27:28]
	v_cndmask_b32_e32 v26, 0, v26, vcc
	v_cndmask_b32_e32 v25, 0, v25, vcc
	v_add_f64 v[52:53], v[27:28], -v[31:32]
	v_add_f64 v[37:38], v[33:34], v[25:26]
	v_add_f64 v[23:24], v[33:34], -v[23:24]
	v_add_f64 v[54:55], v[27:28], -v[52:53]
	;; [unrolled: 1-line block ×3, first 2 shown]
	v_cmp_gt_f64_e32 vcc, 0, v[37:38]
	v_add_f64 v[37:38], v[31:32], -v[50:51]
	v_add_f64 v[23:24], v[27:28], -v[23:24]
	;; [unrolled: 1-line block ×3, first 2 shown]
	v_cndmask_b32_e32 v49, 0, v12, vcc
	v_add_f64 v[25:26], v[25:26], v[48:49]
	v_add_f64 v[37:38], v[35:36], -v[37:38]
	v_add_f64 v[6:7], v[6:7], v[31:32]
	v_add_f64 v[64:65], v[33:34], v[25:26]
	;; [unrolled: 1-line block ×3, first 2 shown]
	v_cvt_i32_f64_e32 v12, v[64:65]
	v_add_f64 v[6:7], v[8:9], v[6:7]
	v_cvt_f64_i32_e32 v[49:50], v12
	v_add_f64 v[25:26], v[25:26], -v[49:50]
	v_add_f64 v[6:7], v[21:22], v[6:7]
	v_add_f64 v[8:9], v[33:34], v[25:26]
	;; [unrolled: 1-line block ×3, first 2 shown]
	v_add_f64 v[21:22], v[8:9], -v[25:26]
	v_cmp_le_f64_e32 vcc, 0.5, v[8:9]
	v_add_f64 v[21:22], v[33:34], -v[21:22]
	v_cndmask_b32_e32 v49, 0, v15, vcc
	v_add_f64 v[8:9], v[8:9], -v[48:49]
	v_addc_co_u32_e64 v12, s[6:7], 0, v12, vcc
	s_mov_b32 s6, 0x33145c07
	s_mov_b32 s7, 0x3c91a626
	v_add_f64 v[6:7], v[6:7], v[21:22]
	v_add_f64 v[21:22], v[8:9], v[6:7]
	v_mul_f64 v[23:24], v[21:22], s[16:17]
	v_add_f64 v[8:9], v[21:22], -v[8:9]
	v_fma_f64 v[25:26], v[21:22], s[16:17], -v[23:24]
	v_add_f64 v[6:7], v[6:7], -v[8:9]
	v_fma_f64 v[8:9], v[21:22], s[6:7], v[25:26]
	v_fma_f64 v[8:9], v[6:7], s[16:17], v[8:9]
	v_add_f64 v[6:7], v[23:24], v[8:9]
	v_add_f64 v[21:22], v[6:7], -v[23:24]
	v_add_f64 v[8:9], v[8:9], -v[21:22]
.LBB30_22:
	s_andn2_saveexec_b64 s[6:7], s[18:19]
	s_cbranch_execz .LBB30_24
; %bb.23:
	s_mov_b32 s16, 0x6dc9c883
	s_mov_b32 s17, 0x3fe45f30
	v_mul_f64 v[6:7], |v[2:3]|, s[16:17]
	s_mov_b32 s16, 0x54442d18
	s_mov_b32 s17, 0xbff921fb
	;; [unrolled: 1-line block ×4, first 2 shown]
	v_rndne_f64_e32 v[21:22], v[6:7]
	v_fma_f64 v[6:7], v[21:22], s[16:17], |v[2:3]|
	v_mul_f64 v[8:9], v[21:22], s[18:19]
	s_mov_b32 s16, 0x252049c0
	s_mov_b32 s17, 0xb97b839a
	v_cvt_i32_f64_e32 v12, v[21:22]
	v_fma_f64 v[27:28], v[21:22], s[18:19], v[6:7]
	v_add_f64 v[23:24], v[6:7], v[8:9]
	s_mov_b32 s19, 0x3c91a626
	v_add_f64 v[25:26], v[6:7], -v[23:24]
	v_add_f64 v[23:24], v[23:24], -v[27:28]
	v_add_f64 v[6:7], v[25:26], v[8:9]
	v_fma_f64 v[8:9], v[21:22], s[18:19], v[8:9]
	v_add_f64 v[6:7], v[23:24], v[6:7]
	v_add_f64 v[6:7], v[6:7], -v[8:9]
	v_fma_f64 v[8:9], v[21:22], s[16:17], v[6:7]
	v_add_f64 v[6:7], v[27:28], v[8:9]
	v_add_f64 v[23:24], v[6:7], -v[27:28]
	v_add_f64 v[8:9], v[8:9], -v[23:24]
.LBB30_24:
	s_or_b64 exec, exec, s[6:7]
	v_mul_f64 v[21:22], v[6:7], v[6:7]
	v_add_f64 v[23:24], v[8:9], v[8:9]
	s_mov_b32 s6, 0xc751c08c
	s_mov_b32 s7, 0x3ef5e089
	v_and_b32_e32 v12, 1, v12
	v_cmp_eq_u32_e32 vcc, 0, v12
	v_and_b32_e32 v15, 0x80000000, v3
	s_mov_b32 s18, 0x54442d18
	v_fma_f64 v[25:26], v[6:7], v[6:7], -v[21:22]
	s_mov_b32 s19, 0xc00921fb
	s_mov_b64 s[16:17], exec
	v_sub_f32_e32 v13, 1.0, v13
	v_fma_f64 v[23:24], v[6:7], v[23:24], v[25:26]
	v_add_f64 v[21:22], v[21:22], v[23:24]
	v_mov_b32_e32 v23, 0xa9a29f71
	v_mov_b32_e32 v24, 0xbf078809
	v_fma_f64 v[23:24], v[21:22], s[6:7], v[23:24]
	s_mov_b32 s6, 0x90a8aae0
	s_mov_b32 s7, 0x3f17746f
	v_fma_f64 v[23:24], v[21:22], v[23:24], s[6:7]
	s_mov_b32 s6, 0xa6fbf144
	s_mov_b32 s7, 0xbefbb44d
	v_fma_f64 v[23:24], v[21:22], v[23:24], s[6:7]
	s_mov_b32 s6, 0xa7943acf
	s_mov_b32 s7, 0x3f21e634
	v_fma_f64 v[23:24], v[21:22], v[23:24], s[6:7]
	s_mov_b32 s6, 0xdeb68feb
	s_mov_b32 s7, 0x3f2d250f
	v_fma_f64 v[23:24], v[21:22], v[23:24], s[6:7]
	s_mov_b32 s6, 0xb58c4d95
	s_mov_b32 s7, 0x3f437fd9
	v_fma_f64 v[23:24], v[21:22], v[23:24], s[6:7]
	s_mov_b32 s6, 0x15120e2c
	s_mov_b32 s7, 0x3f57d5af
	v_fma_f64 v[23:24], v[21:22], v[23:24], s[6:7]
	s_mov_b32 s6, 0xe09491df
	s_mov_b32 s7, 0x3f6d6d93
	v_fma_f64 v[23:24], v[21:22], v[23:24], s[6:7]
	s_mov_b32 s6, 0x2033784d
	s_mov_b32 s7, 0x3f8226e1
	v_fma_f64 v[23:24], v[21:22], v[23:24], s[6:7]
	s_mov_b32 s6, 0x9ac36ae2
	s_mov_b32 s7, 0x3f9664f4
	v_fma_f64 v[23:24], v[21:22], v[23:24], s[6:7]
	s_mov_b32 s6, 0x1b451c21
	s_mov_b32 s7, 0x3faba1ba
	v_fma_f64 v[23:24], v[21:22], v[23:24], s[6:7]
	s_mov_b32 s6, 0x111185b7
	s_mov_b32 s7, 0x3fc11111
	v_fma_f64 v[23:24], v[21:22], v[23:24], s[6:7]
	s_mov_b32 s6, 0x555554ee
	s_mov_b32 s7, 0x3fd55555
	v_fma_f64 v[23:24], v[21:22], v[23:24], s[6:7]
	s_movk_i32 s6, 0x1f8
	v_cmp_class_f64_e64 s[6:7], v[2:3], s6
	v_mov_b32_e32 v3, 0x7ff80000
	v_mul_f64 v[21:22], v[21:22], v[23:24]
	v_mul_f64 v[23:24], v[6:7], v[21:22]
	v_add_f64 v[25:26], v[6:7], v[23:24]
	v_fma_f64 v[21:22], v[6:7], v[21:22], -v[23:24]
	v_add_f64 v[6:7], v[25:26], -v[6:7]
	v_add_f64 v[8:9], v[8:9], v[21:22]
	v_add_f64 v[6:7], v[23:24], -v[6:7]
	v_add_f64 v[6:7], v[8:9], v[6:7]
	v_add_f64 v[8:9], v[25:26], v[6:7]
	v_rcp_f64_e32 v[21:22], v[8:9]
	v_fma_f64 v[23:24], -v[8:9], v[21:22], 1.0
	v_fma_f64 v[21:22], v[23:24], v[21:22], v[21:22]
	v_fma_f64 v[23:24], -v[8:9], v[21:22], 1.0
	v_fma_f64 v[21:22], v[23:24], v[21:22], v[21:22]
	v_add_f64 v[23:24], v[8:9], -v[25:26]
	v_mul_f64 v[25:26], v[8:9], v[21:22]
	v_add_f64 v[6:7], v[6:7], -v[23:24]
	v_fma_f64 v[23:24], v[21:22], v[8:9], -v[25:26]
	v_fma_f64 v[6:7], v[21:22], v[6:7], v[23:24]
	v_add_f64 v[23:24], v[25:26], v[6:7]
	v_add_f64 v[27:28], -v[23:24], 1.0
	v_add_f64 v[25:26], v[23:24], -v[25:26]
	v_add_f64 v[29:30], -v[27:28], 1.0
	v_add_f64 v[6:7], v[25:26], -v[6:7]
	v_add_f64 v[23:24], v[29:30], -v[23:24]
	v_add_f64 v[6:7], v[6:7], v[23:24]
	v_add_f64 v[6:7], v[27:28], v[6:7]
	v_mul_f64 v[6:7], v[21:22], v[6:7]
	v_add_f64 v[6:7], v[21:22], v[6:7]
	v_xor_b32_e32 v2, 0x80000000, v7
	v_cndmask_b32_e32 v6, v6, v8, vcc
	v_cndmask_b32_e32 v7, v2, v9, vcc
	v_cndmask_b32_e64 v2, 0, v6, s[6:7]
	v_xor_b32_e32 v6, v7, v15
	v_cndmask_b32_e64 v3, v3, v6, s[6:7]
	v_div_scale_f64 v[6:7], s[6:7], v[2:3], v[2:3], s[18:19]
	v_div_scale_f64 v[23:24], vcc, s[18:19], v[2:3], s[18:19]
	v_rcp_f64_e32 v[8:9], v[6:7]
	v_fma_f64 v[21:22], -v[6:7], v[8:9], 1.0
	v_fma_f64 v[8:9], v[8:9], v[21:22], v[8:9]
	v_fma_f64 v[21:22], -v[6:7], v[8:9], 1.0
	v_fma_f64 v[8:9], v[8:9], v[21:22], v[8:9]
	v_mul_f64 v[21:22], v[23:24], v[8:9]
	v_fma_f64 v[6:7], -v[6:7], v[21:22], v[23:24]
	v_div_fmas_f64 v[6:7], v[6:7], v[8:9], v[21:22]
	v_div_fixup_f64 v[2:3], v[6:7], v[2:3], s[18:19]
	v_cvt_f32_f64_e32 v2, v[2:3]
.LBB30_25:
	s_or_b64 exec, exec, s[14:15]
	s_orn2_b64 s[14:15], s[16:17], exec
.LBB30_26:
	s_or_b64 exec, exec, s[12:13]
	v_mov_b32_e32 v12, 0x7fc0
	s_and_saveexec_b64 s[6:7], s[14:15]
	s_cbranch_execz .LBB30_38
; %bb.27:
	s_mov_b32 s16, 0x41200000
	v_cmp_gt_f32_e32 vcc, s16, v13
	s_and_saveexec_b64 s[12:13], vcc
	s_cbranch_execz .LBB30_31
; %bb.28:
	s_mov_b64 s[14:15], 0
.LBB30_29:                              ; =>This Inner Loop Header: Depth=1
	v_div_scale_f32 v3, s[18:19], v13, v13, 1.0
	v_div_scale_f32 v6, vcc, 1.0, v13, 1.0
	v_rcp_f32_e32 v7, v3
	v_fma_f32 v8, -v3, v7, 1.0
	v_fmac_f32_e32 v7, v8, v7
	v_mul_f32_e32 v8, v6, v7
	v_fma_f32 v9, -v3, v8, v6
	v_fmac_f32_e32 v8, v9, v7
	v_fma_f32 v3, -v3, v8, v6
	v_div_fmas_f32 v3, v3, v7, v8
	v_div_fixup_f32 v3, v3, v13, 1.0
	v_add_f32_e32 v13, 1.0, v13
	v_cmp_ngt_f32_e32 vcc, s16, v13
	s_or_b64 s[14:15], vcc, s[14:15]
	v_sub_f32_e32 v2, v2, v3
	s_andn2_b64 exec, exec, s[14:15]
	s_cbranch_execnz .LBB30_29
; %bb.30:
	s_or_b64 exec, exec, s[14:15]
.LBB30_31:
	s_or_b64 exec, exec, s[12:13]
	s_mov_b32 s12, 0x41200000
	v_cmp_neq_f32_e32 vcc, s12, v13
                                        ; implicit-def: $vgpr12
	s_and_saveexec_b64 s[12:13], vcc
	s_xor_b64 s[12:13], exec, s[12:13]
	s_cbranch_execz .LBB30_35
; %bb.32:
	v_cvt_f64_f32_e32 v[6:7], v13
	s_mov_b32 s14, 0x85d8a000
	s_mov_b32 s15, 0x43763457
	v_mov_b32_e32 v3, 0
	v_cmp_gt_f64_e32 vcc, s[14:15], v[6:7]
	s_and_saveexec_b64 s[14:15], vcc
	s_cbranch_execz .LBB30_34
; %bb.33:
	v_mul_f32_e32 v3, v13, v13
	v_div_scale_f32 v6, s[16:17], v3, v3, 1.0
	v_div_scale_f32 v7, vcc, 1.0, v3, 1.0
	v_mov_b32_e32 v15, 0x3b820821
	v_rcp_f32_e32 v8, v6
	v_fma_f32 v9, -v6, v8, 1.0
	v_fmac_f32_e32 v8, v9, v8
	v_mul_f32_e32 v9, v7, v8
	v_fma_f32 v12, -v6, v9, v7
	v_fmac_f32_e32 v9, v12, v8
	v_fma_f32 v6, -v6, v9, v7
	v_div_fmas_f32 v6, v6, v8, v9
	v_mov_b32_e32 v7, 0x3daaaaab
	v_mov_b32_e32 v8, 0xbcaccacd
	;; [unrolled: 1-line block ×4, first 2 shown]
	v_div_fixup_f32 v3, v6, v3, 1.0
	v_fma_f32 v6, 0, v3, v7
	v_fmac_f32_e32 v8, v3, v6
	v_fmac_f32_e32 v9, v3, v8
	;; [unrolled: 1-line block ×4, first 2 shown]
	v_mov_b32_e32 v6, 0xbc088889
	v_fmac_f32_e32 v6, v3, v15
	v_fmac_f32_e32 v7, v3, v6
	v_mul_f32_e32 v3, v3, v7
.LBB30_34:
	s_or_b64 exec, exec, s[14:15]
	v_div_scale_f32 v6, s[14:15], v13, v13, -0.5
	v_div_scale_f32 v7, vcc, -0.5, v13, -0.5
	s_mov_b32 s14, 0x800000
	s_mov_b32 s15, 0x3f317217
	;; [unrolled: 1-line block ×3, first 2 shown]
	v_rcp_f32_e32 v8, v6
	v_fma_f32 v9, -v6, v8, 1.0
	v_fmac_f32_e32 v8, v9, v8
	v_mul_f32_e32 v9, v7, v8
	v_fma_f32 v12, -v6, v9, v7
	v_fmac_f32_e32 v9, v12, v8
	v_fma_f32 v6, -v6, v9, v7
	v_div_fmas_f32 v6, v6, v8, v9
	v_cmp_gt_f32_e32 vcc, s14, v13
	v_cndmask_b32_e64 v8, 0, 32, vcc
	v_ldexp_f32 v8, v13, v8
	v_log_f32_e32 v8, v8
	v_mov_b32_e32 v7, 0x41b17218
	v_cndmask_b32_e32 v7, 0, v7, vcc
	s_movk_i32 s14, 0x7fff
	v_mul_f32_e32 v12, 0x3f317217, v8
	v_fma_f32 v12, v8, s15, -v12
	v_fmac_f32_e32 v12, 0x3377d1cf, v8
	v_fmac_f32_e32 v12, 0x3f317217, v8
	v_cmp_lt_f32_e64 vcc, |v8|, s16
	v_cndmask_b32_e32 v8, v8, v12, vcc
	v_sub_f32_e32 v7, v8, v7
	v_mov_b32_e32 v9, 0x7fc0
	v_div_fixup_f32 v6, v6, v13, -0.5
	v_add_f32_e32 v6, v7, v6
	v_sub_f32_e32 v3, v6, v3
	v_add_f32_e32 v2, v2, v3
	v_bfe_u32 v3, v2, 16, 1
	v_cmp_o_f32_e32 vcc, v2, v2
	v_add3_u32 v2, v2, v3, s14
	v_cndmask_b32_sdwa v12, v9, v2, vcc dst_sel:DWORD dst_unused:UNUSED_PAD src0_sel:DWORD src1_sel:WORD_1
                                        ; implicit-def: $vgpr2
.LBB30_35:
	s_andn2_saveexec_b64 s[12:13], s[12:13]
; %bb.36:
	v_add_f32_e32 v2, 0x40101cb7, v2
	v_bfe_u32 v3, v2, 16, 1
	s_movk_i32 s14, 0x7fff
	v_add3_u32 v3, v2, v3, s14
	v_cmp_o_f32_e32 vcc, v2, v2
	v_mov_b32_e32 v2, 0x7fc0
	v_cndmask_b32_sdwa v12, v2, v3, vcc dst_sel:DWORD dst_unused:UNUSED_PAD src0_sel:DWORD src1_sel:WORD_1
; %bb.37:
	s_or_b64 exec, exec, s[12:13]
.LBB30_38:
	s_or_b64 exec, exec, s[6:7]
                                        ; implicit-def: $vgpr13
.LBB30_39:
	s_andn2_saveexec_b64 s[6:7], s[10:11]
; %bb.40:
	v_xor_b32_e32 v2, 0x80000000, v13
	v_and_b32_e32 v2, 0x80000000, v2
	v_or_b32_e32 v2, 0x7f800000, v2
	v_lshrrev_b32_e32 v12, 16, v2
; %bb.41:
	s_or_b64 exec, exec, s[6:7]
.LBB30_42:
	s_or_b64 exec, exec, s[8:9]
	v_add_u32_e32 v13, 0x100, v10
	v_cmp_lt_i32_e32 vcc, v13, v4
                                        ; implicit-def: $vgpr15
	s_and_saveexec_b64 s[8:9], vcc
	s_cbranch_execz .LBB30_68
; %bb.43:
	v_cmp_neq_f32_e32 vcc, 0, v17
                                        ; implicit-def: $vgpr15
	s_and_saveexec_b64 s[6:7], vcc
	s_xor_b64 s[10:11], exec, s[6:7]
	s_cbranch_execz .LBB30_65
; %bb.44:
	v_mov_b32_e32 v2, 0
	v_cmp_gt_f32_e32 vcc, 0, v17
	s_mov_b64 s[14:15], -1
	s_and_saveexec_b64 s[12:13], vcc
	s_cbranch_execz .LBB30_52
; %bb.45:
	v_trunc_f32_e32 v2, v17
	v_cmp_neq_f32_e32 vcc, v2, v17
	s_mov_b64 s[16:17], 0
	v_mov_b32_e32 v2, 0
	s_and_saveexec_b64 s[14:15], vcc
	s_cbranch_execz .LBB30_51
; %bb.46:
	v_cvt_f64_f32_e32 v[2:3], v17
	s_mov_b32 s18, 0
	s_mov_b32 s7, 0xc00921fb
	;; [unrolled: 1-line block ×3, first 2 shown]
	v_trunc_f64_e32 v[6:7], v[2:3]
	s_mov_b32 s19, 0x7ff00000
	v_cmp_neq_f64_e64 vcc, |v[2:3]|, s[18:19]
	v_bfrev_b32_e32 v8, 1
	s_mov_b32 s16, 0
	s_mov_b32 s17, 0x41d00000
                                        ; implicit-def: $vgpr15
	v_add_f64 v[6:7], v[2:3], -v[6:7]
	v_mul_f64 v[6:7], |v[6:7]|, s[6:7]
	v_cndmask_b32_e32 v3, v8, v7, vcc
	v_cndmask_b32_e32 v2, 0, v6, vcc
	v_cmp_nlt_f64_e64 s[16:17], |v[2:3]|, s[16:17]
                                        ; implicit-def: $vgpr6_vgpr7
                                        ; implicit-def: $vgpr8_vgpr9
	s_and_saveexec_b64 s[22:23], s[16:17]
	s_xor_b64 s[16:17], exec, s[22:23]
	s_cbranch_execz .LBB30_48
; %bb.47:
	v_trig_preop_f64 v[6:7], |v[2:3]|, 0
	s_mov_b32 s22, 0
	s_mov_b32 s23, 0x7b000000
	s_movk_i32 s7, 0xff80
	v_cmp_ge_f64_e64 vcc, |v[2:3]|, s[22:23]
	v_ldexp_f64 v[8:9], |v[2:3]|, s7
	v_trig_preop_f64 v[21:22], |v[2:3]|, 1
	v_and_b32_e32 v15, 0x7fffffff, v3
	v_trig_preop_f64 v[29:30], |v[2:3]|, 2
	s_mov_b32 s7, 0x3ff921fb
	v_cndmask_b32_e32 v9, v15, v9, vcc
	v_cndmask_b32_e32 v8, v2, v8, vcc
	v_mov_b32_e32 v15, 0x40100000
	v_mul_f64 v[23:24], v[6:7], v[8:9]
	v_mul_f64 v[25:26], v[21:22], v[8:9]
	;; [unrolled: 1-line block ×3, first 2 shown]
	v_fma_f64 v[6:7], v[6:7], v[8:9], -v[23:24]
	v_fma_f64 v[21:22], v[21:22], v[8:9], -v[25:26]
	;; [unrolled: 1-line block ×3, first 2 shown]
	v_add_f64 v[27:28], v[25:26], v[6:7]
	v_add_f64 v[31:32], v[27:28], -v[25:26]
	v_add_f64 v[37:38], v[23:24], v[27:28]
	v_add_f64 v[33:34], v[27:28], -v[31:32]
	v_add_f64 v[6:7], v[6:7], -v[31:32]
	v_add_f64 v[31:32], v[35:36], v[21:22]
	v_add_f64 v[23:24], v[37:38], -v[23:24]
	v_add_f64 v[25:26], v[25:26], -v[33:34]
	v_ldexp_f64 v[33:34], v[37:38], -2
	v_add_f64 v[50:51], v[31:32], -v[35:36]
	v_add_f64 v[23:24], v[27:28], -v[23:24]
	v_add_f64 v[6:7], v[6:7], v[25:26]
	v_fract_f64_e32 v[25:26], v[33:34]
	v_cmp_neq_f64_e64 vcc, |v[33:34]|, s[18:19]
	v_add_f64 v[21:22], v[21:22], -v[50:51]
	s_mov_b32 s18, 0x33145c07
	s_mov_b32 s19, 0x3c91a626
	v_add_f64 v[27:28], v[31:32], v[6:7]
	v_ldexp_f64 v[25:26], v[25:26], 2
	v_add_f64 v[33:34], v[23:24], v[27:28]
	v_cndmask_b32_e32 v26, 0, v26, vcc
	v_cndmask_b32_e32 v25, 0, v25, vcc
	v_add_f64 v[48:49], v[27:28], -v[31:32]
	v_add_f64 v[37:38], v[33:34], v[25:26]
	v_add_f64 v[23:24], v[33:34], -v[23:24]
	v_add_f64 v[6:7], v[6:7], -v[48:49]
	;; [unrolled: 1-line block ×3, first 2 shown]
	v_cmp_gt_f64_e32 vcc, 0, v[37:38]
	v_mov_b32_e32 v37, 0
	v_add_f64 v[23:24], v[27:28], -v[23:24]
	v_cndmask_b32_e32 v38, 0, v15, vcc
	v_add_f64 v[25:26], v[25:26], v[37:38]
	v_add_f64 v[38:39], v[31:32], -v[50:51]
	v_add_f64 v[31:32], v[31:32], -v[48:49]
	v_add_f64 v[48:49], v[33:34], v[25:26]
	v_add_f64 v[38:39], v[35:36], -v[38:39]
	v_add_f64 v[6:7], v[6:7], v[31:32]
	v_cvt_i32_f64_e32 v15, v[48:49]
	v_add_f64 v[21:22], v[21:22], v[38:39]
	v_cvt_f64_i32_e32 v[48:49], v15
	v_add_f64 v[25:26], v[25:26], -v[48:49]
	v_add_f64 v[6:7], v[21:22], v[6:7]
	v_add_f64 v[21:22], v[33:34], v[25:26]
	;; [unrolled: 1-line block ×3, first 2 shown]
	v_add_f64 v[8:9], v[21:22], -v[25:26]
	v_cmp_le_f64_e32 vcc, 0.5, v[21:22]
	v_add_f64 v[6:7], v[23:24], v[6:7]
	v_mov_b32_e32 v23, 0x3ff00000
	v_add_f64 v[8:9], v[33:34], -v[8:9]
	v_cndmask_b32_e32 v38, 0, v23, vcc
	v_addc_co_u32_e32 v15, vcc, 0, v15, vcc
	v_add_f64 v[6:7], v[6:7], v[8:9]
	v_add_f64 v[8:9], v[21:22], -v[37:38]
	v_add_f64 v[21:22], v[8:9], v[6:7]
	v_mul_f64 v[23:24], v[21:22], s[6:7]
	v_add_f64 v[8:9], v[21:22], -v[8:9]
	v_fma_f64 v[25:26], v[21:22], s[6:7], -v[23:24]
	v_add_f64 v[6:7], v[6:7], -v[8:9]
	v_fma_f64 v[8:9], v[21:22], s[18:19], v[25:26]
	v_fma_f64 v[8:9], v[6:7], s[6:7], v[8:9]
	v_add_f64 v[6:7], v[23:24], v[8:9]
	v_add_f64 v[21:22], v[6:7], -v[23:24]
	v_add_f64 v[8:9], v[8:9], -v[21:22]
.LBB30_48:
	s_andn2_saveexec_b64 s[6:7], s[16:17]
	s_cbranch_execz .LBB30_50
; %bb.49:
	s_mov_b32 s16, 0x6dc9c883
	s_mov_b32 s17, 0x3fe45f30
	v_mul_f64 v[6:7], |v[2:3]|, s[16:17]
	s_mov_b32 s16, 0x54442d18
	s_mov_b32 s17, 0xbff921fb
	;; [unrolled: 1-line block ×4, first 2 shown]
	v_rndne_f64_e32 v[21:22], v[6:7]
	v_fma_f64 v[6:7], v[21:22], s[16:17], |v[2:3]|
	v_mul_f64 v[8:9], v[21:22], s[18:19]
	s_mov_b32 s16, 0x252049c0
	s_mov_b32 s17, 0xb97b839a
	v_cvt_i32_f64_e32 v15, v[21:22]
	v_fma_f64 v[27:28], v[21:22], s[18:19], v[6:7]
	v_add_f64 v[23:24], v[6:7], v[8:9]
	s_mov_b32 s19, 0x3c91a626
	v_add_f64 v[25:26], v[6:7], -v[23:24]
	v_add_f64 v[23:24], v[23:24], -v[27:28]
	v_add_f64 v[6:7], v[25:26], v[8:9]
	v_fma_f64 v[8:9], v[21:22], s[18:19], v[8:9]
	v_add_f64 v[6:7], v[23:24], v[6:7]
	v_add_f64 v[6:7], v[6:7], -v[8:9]
	v_fma_f64 v[8:9], v[21:22], s[16:17], v[6:7]
	v_add_f64 v[6:7], v[27:28], v[8:9]
	v_add_f64 v[23:24], v[6:7], -v[27:28]
	v_add_f64 v[8:9], v[8:9], -v[23:24]
.LBB30_50:
	s_or_b64 exec, exec, s[6:7]
	v_mul_f64 v[21:22], v[6:7], v[6:7]
	v_add_f64 v[23:24], v[8:9], v[8:9]
	s_mov_b32 s6, 0xc751c08c
	s_mov_b32 s7, 0x3ef5e089
	v_and_b32_e32 v15, 1, v15
	v_cmp_eq_u32_e32 vcc, 0, v15
	s_mov_b32 s18, 0x54442d18
	s_mov_b32 s19, 0xc00921fb
	v_fma_f64 v[25:26], v[6:7], v[6:7], -v[21:22]
	s_mov_b64 s[16:17], exec
	v_sub_f32_e32 v17, 1.0, v17
	v_fma_f64 v[23:24], v[6:7], v[23:24], v[25:26]
	v_add_f64 v[21:22], v[21:22], v[23:24]
	v_mov_b32_e32 v23, 0xa9a29f71
	v_mov_b32_e32 v24, 0xbf078809
	v_fma_f64 v[23:24], v[21:22], s[6:7], v[23:24]
	s_mov_b32 s6, 0x90a8aae0
	s_mov_b32 s7, 0x3f17746f
	v_fma_f64 v[23:24], v[21:22], v[23:24], s[6:7]
	s_mov_b32 s6, 0xa6fbf144
	s_mov_b32 s7, 0xbefbb44d
	;; [unrolled: 3-line block ×12, first 2 shown]
	v_fma_f64 v[23:24], v[21:22], v[23:24], s[6:7]
	s_movk_i32 s6, 0x1f8
	v_cmp_class_f64_e64 s[6:7], v[2:3], s6
	v_mul_f64 v[21:22], v[21:22], v[23:24]
	v_mul_f64 v[23:24], v[6:7], v[21:22]
	v_add_f64 v[25:26], v[6:7], v[23:24]
	v_fma_f64 v[21:22], v[6:7], v[21:22], -v[23:24]
	v_add_f64 v[6:7], v[25:26], -v[6:7]
	v_add_f64 v[8:9], v[8:9], v[21:22]
	v_add_f64 v[6:7], v[23:24], -v[6:7]
	v_add_f64 v[6:7], v[8:9], v[6:7]
	v_add_f64 v[8:9], v[25:26], v[6:7]
	v_rcp_f64_e32 v[21:22], v[8:9]
	v_fma_f64 v[23:24], -v[8:9], v[21:22], 1.0
	v_fma_f64 v[21:22], v[23:24], v[21:22], v[21:22]
	v_fma_f64 v[23:24], -v[8:9], v[21:22], 1.0
	v_fma_f64 v[21:22], v[23:24], v[21:22], v[21:22]
	v_add_f64 v[23:24], v[8:9], -v[25:26]
	v_mul_f64 v[25:26], v[8:9], v[21:22]
	v_add_f64 v[6:7], v[6:7], -v[23:24]
	v_fma_f64 v[23:24], v[21:22], v[8:9], -v[25:26]
	v_fma_f64 v[6:7], v[21:22], v[6:7], v[23:24]
	v_add_f64 v[23:24], v[25:26], v[6:7]
	v_add_f64 v[27:28], -v[23:24], 1.0
	v_add_f64 v[25:26], v[23:24], -v[25:26]
	v_add_f64 v[29:30], -v[27:28], 1.0
	v_add_f64 v[6:7], v[25:26], -v[6:7]
	v_add_f64 v[23:24], v[29:30], -v[23:24]
	v_add_f64 v[6:7], v[6:7], v[23:24]
	v_add_f64 v[6:7], v[27:28], v[6:7]
	v_mul_f64 v[6:7], v[21:22], v[6:7]
	v_add_f64 v[6:7], v[21:22], v[6:7]
	v_and_b32_e32 v21, 0x80000000, v3
	v_mov_b32_e32 v3, 0x7ff80000
	v_xor_b32_e32 v2, 0x80000000, v7
	v_cndmask_b32_e32 v6, v6, v8, vcc
	v_cndmask_b32_e32 v7, v2, v9, vcc
	v_cndmask_b32_e64 v2, 0, v6, s[6:7]
	v_xor_b32_e32 v6, v7, v21
	v_cndmask_b32_e64 v3, v3, v6, s[6:7]
	v_div_scale_f64 v[6:7], s[6:7], v[2:3], v[2:3], s[18:19]
	v_div_scale_f64 v[23:24], vcc, s[18:19], v[2:3], s[18:19]
	v_rcp_f64_e32 v[8:9], v[6:7]
	v_fma_f64 v[21:22], -v[6:7], v[8:9], 1.0
	v_fma_f64 v[8:9], v[8:9], v[21:22], v[8:9]
	v_fma_f64 v[21:22], -v[6:7], v[8:9], 1.0
	v_fma_f64 v[8:9], v[8:9], v[21:22], v[8:9]
	v_mul_f64 v[21:22], v[23:24], v[8:9]
	v_fma_f64 v[6:7], -v[6:7], v[21:22], v[23:24]
	v_div_fmas_f64 v[6:7], v[6:7], v[8:9], v[21:22]
	v_div_fixup_f64 v[2:3], v[6:7], v[2:3], s[18:19]
	v_cvt_f32_f64_e32 v2, v[2:3]
.LBB30_51:
	s_or_b64 exec, exec, s[14:15]
	s_orn2_b64 s[14:15], s[16:17], exec
.LBB30_52:
	s_or_b64 exec, exec, s[12:13]
	v_mov_b32_e32 v15, 0x7fc0
	s_and_saveexec_b64 s[6:7], s[14:15]
	s_cbranch_execz .LBB30_64
; %bb.53:
	s_mov_b32 s16, 0x41200000
	v_cmp_gt_f32_e32 vcc, s16, v17
	s_and_saveexec_b64 s[12:13], vcc
	s_cbranch_execz .LBB30_57
; %bb.54:
	s_mov_b64 s[14:15], 0
.LBB30_55:                              ; =>This Inner Loop Header: Depth=1
	v_div_scale_f32 v3, s[18:19], v17, v17, 1.0
	v_div_scale_f32 v6, vcc, 1.0, v17, 1.0
	v_rcp_f32_e32 v7, v3
	v_fma_f32 v8, -v3, v7, 1.0
	v_fmac_f32_e32 v7, v8, v7
	v_mul_f32_e32 v8, v6, v7
	v_fma_f32 v9, -v3, v8, v6
	v_fmac_f32_e32 v8, v9, v7
	v_fma_f32 v3, -v3, v8, v6
	v_div_fmas_f32 v3, v3, v7, v8
	v_div_fixup_f32 v3, v3, v17, 1.0
	v_add_f32_e32 v17, 1.0, v17
	v_cmp_ngt_f32_e32 vcc, s16, v17
	s_or_b64 s[14:15], vcc, s[14:15]
	v_sub_f32_e32 v2, v2, v3
	s_andn2_b64 exec, exec, s[14:15]
	s_cbranch_execnz .LBB30_55
; %bb.56:
	s_or_b64 exec, exec, s[14:15]
.LBB30_57:
	s_or_b64 exec, exec, s[12:13]
	s_mov_b32 s12, 0x41200000
	v_cmp_neq_f32_e32 vcc, s12, v17
                                        ; implicit-def: $vgpr15
	s_and_saveexec_b64 s[12:13], vcc
	s_xor_b64 s[12:13], exec, s[12:13]
	s_cbranch_execz .LBB30_61
; %bb.58:
	v_cvt_f64_f32_e32 v[6:7], v17
	s_mov_b32 s14, 0x85d8a000
	s_mov_b32 s15, 0x43763457
	v_mov_b32_e32 v3, 0
	v_cmp_gt_f64_e32 vcc, s[14:15], v[6:7]
	s_and_saveexec_b64 s[14:15], vcc
	s_cbranch_execz .LBB30_60
; %bb.59:
	v_mul_f32_e32 v3, v17, v17
	v_div_scale_f32 v6, s[16:17], v3, v3, 1.0
	v_div_scale_f32 v7, vcc, 1.0, v3, 1.0
	v_mov_b32_e32 v21, 0x3b820821
	v_rcp_f32_e32 v8, v6
	v_fma_f32 v9, -v6, v8, 1.0
	v_fmac_f32_e32 v8, v9, v8
	v_mul_f32_e32 v9, v7, v8
	v_fma_f32 v15, -v6, v9, v7
	v_fmac_f32_e32 v9, v15, v8
	v_fma_f32 v6, -v6, v9, v7
	v_div_fmas_f32 v6, v6, v8, v9
	v_mov_b32_e32 v7, 0x3daaaaab
	v_mov_b32_e32 v8, 0xbcaccacd
	;; [unrolled: 1-line block ×4, first 2 shown]
	v_div_fixup_f32 v3, v6, v3, 1.0
	v_fma_f32 v6, 0, v3, v7
	v_fmac_f32_e32 v8, v3, v6
	v_fmac_f32_e32 v9, v3, v8
	;; [unrolled: 1-line block ×4, first 2 shown]
	v_mov_b32_e32 v6, 0xbc088889
	v_fmac_f32_e32 v6, v3, v21
	v_fmac_f32_e32 v7, v3, v6
	v_mul_f32_e32 v3, v3, v7
.LBB30_60:
	s_or_b64 exec, exec, s[14:15]
	v_div_scale_f32 v6, s[14:15], v17, v17, -0.5
	v_div_scale_f32 v7, vcc, -0.5, v17, -0.5
	s_mov_b32 s14, 0x800000
	s_mov_b32 s15, 0x3f317217
	s_mov_b32 s16, 0x7f800000
	v_rcp_f32_e32 v8, v6
	v_fma_f32 v9, -v6, v8, 1.0
	v_fmac_f32_e32 v8, v9, v8
	v_mul_f32_e32 v9, v7, v8
	v_fma_f32 v15, -v6, v9, v7
	v_fmac_f32_e32 v9, v15, v8
	v_fma_f32 v6, -v6, v9, v7
	v_div_fmas_f32 v6, v6, v8, v9
	v_cmp_gt_f32_e32 vcc, s14, v17
	v_cndmask_b32_e64 v8, 0, 32, vcc
	v_ldexp_f32 v8, v17, v8
	v_log_f32_e32 v8, v8
	v_mov_b32_e32 v7, 0x41b17218
	v_cndmask_b32_e32 v7, 0, v7, vcc
	s_movk_i32 s14, 0x7fff
	v_mul_f32_e32 v15, 0x3f317217, v8
	v_fma_f32 v15, v8, s15, -v15
	v_fmac_f32_e32 v15, 0x3377d1cf, v8
	v_fmac_f32_e32 v15, 0x3f317217, v8
	v_cmp_lt_f32_e64 vcc, |v8|, s16
	v_cndmask_b32_e32 v8, v8, v15, vcc
	v_sub_f32_e32 v7, v8, v7
	v_mov_b32_e32 v9, 0x7fc0
	v_div_fixup_f32 v6, v6, v17, -0.5
	v_add_f32_e32 v6, v7, v6
	v_sub_f32_e32 v3, v6, v3
	v_add_f32_e32 v2, v2, v3
	v_bfe_u32 v3, v2, 16, 1
	v_cmp_o_f32_e32 vcc, v2, v2
	v_add3_u32 v2, v2, v3, s14
	v_cndmask_b32_sdwa v15, v9, v2, vcc dst_sel:DWORD dst_unused:UNUSED_PAD src0_sel:DWORD src1_sel:WORD_1
                                        ; implicit-def: $vgpr2
.LBB30_61:
	s_andn2_saveexec_b64 s[12:13], s[12:13]
; %bb.62:
	v_add_f32_e32 v2, 0x40101cb7, v2
	v_bfe_u32 v3, v2, 16, 1
	s_movk_i32 s14, 0x7fff
	v_add3_u32 v3, v2, v3, s14
	v_cmp_o_f32_e32 vcc, v2, v2
	v_mov_b32_e32 v2, 0x7fc0
	v_cndmask_b32_sdwa v15, v2, v3, vcc dst_sel:DWORD dst_unused:UNUSED_PAD src0_sel:DWORD src1_sel:WORD_1
; %bb.63:
	s_or_b64 exec, exec, s[12:13]
.LBB30_64:
	s_or_b64 exec, exec, s[6:7]
                                        ; implicit-def: $vgpr17
.LBB30_65:
	s_andn2_saveexec_b64 s[6:7], s[10:11]
; %bb.66:
	v_xor_b32_e32 v2, 0x80000000, v17
	v_and_b32_e32 v2, 0x80000000, v2
	v_or_b32_e32 v2, 0x7f800000, v2
	v_lshrrev_b32_e32 v15, 16, v2
; %bb.67:
	s_or_b64 exec, exec, s[6:7]
.LBB30_68:
	s_or_b64 exec, exec, s[8:9]
	v_add_u32_e32 v2, 0x200, v10
	v_cmp_lt_i32_e32 vcc, v2, v4
                                        ; implicit-def: $vgpr17
	s_and_saveexec_b64 s[8:9], vcc
	s_cbranch_execz .LBB30_94
; %bb.69:
	v_cmp_neq_f32_e32 vcc, 0, v19
                                        ; implicit-def: $vgpr17
	s_and_saveexec_b64 s[6:7], vcc
	s_xor_b64 s[10:11], exec, s[6:7]
	s_cbranch_execz .LBB30_91
; %bb.70:
	v_mov_b32_e32 v2, 0
	v_cmp_gt_f32_e32 vcc, 0, v19
	s_mov_b64 s[14:15], -1
	s_and_saveexec_b64 s[12:13], vcc
	s_cbranch_execz .LBB30_78
; %bb.71:
	v_trunc_f32_e32 v2, v19
	v_cmp_neq_f32_e32 vcc, v2, v19
	s_mov_b64 s[16:17], 0
	v_mov_b32_e32 v2, 0
	s_and_saveexec_b64 s[14:15], vcc
	s_cbranch_execz .LBB30_77
; %bb.72:
	v_cvt_f64_f32_e32 v[2:3], v19
	s_mov_b32 s6, 0
	s_mov_b32 s17, 0xc00921fb
	;; [unrolled: 1-line block ×3, first 2 shown]
	v_trunc_f64_e32 v[6:7], v[2:3]
	s_mov_b32 s7, 0x7ff00000
	v_cmp_neq_f64_e64 vcc, |v[2:3]|, s[6:7]
	v_bfrev_b32_e32 v8, 1
	s_mov_b32 s18, 0
	s_mov_b32 s19, 0x41d00000
                                        ; implicit-def: $vgpr17
	v_add_f64 v[6:7], v[2:3], -v[6:7]
	v_mul_f64 v[6:7], |v[6:7]|, s[16:17]
	v_cndmask_b32_e32 v3, v8, v7, vcc
	v_cndmask_b32_e32 v2, 0, v6, vcc
	v_cmp_nlt_f64_e64 s[18:19], |v[2:3]|, s[18:19]
                                        ; implicit-def: $vgpr6_vgpr7
                                        ; implicit-def: $vgpr8_vgpr9
	s_and_saveexec_b64 s[22:23], s[18:19]
	s_xor_b64 s[18:19], exec, s[22:23]
	s_cbranch_execz .LBB30_74
; %bb.73:
	v_trig_preop_f64 v[6:7], |v[2:3]|, 0
	s_mov_b32 s22, 0
	s_mov_b32 s23, 0x7b000000
	s_movk_i32 s17, 0xff80
	v_cmp_ge_f64_e64 vcc, |v[2:3]|, s[22:23]
	v_ldexp_f64 v[21:22], |v[2:3]|, s17
	v_trig_preop_f64 v[8:9], |v[2:3]|, 1
	v_and_b32_e32 v17, 0x7fffffff, v3
	s_mov_b32 s17, 0x3ff921fb
	v_cndmask_b32_e32 v22, v17, v22, vcc
	v_cndmask_b32_e32 v21, v2, v21, vcc
	v_mov_b32_e32 v17, 0x40100000
	v_mul_f64 v[25:26], v[6:7], v[21:22]
	v_mul_f64 v[23:24], v[8:9], v[21:22]
	v_fma_f64 v[6:7], v[6:7], v[21:22], -v[25:26]
	v_fma_f64 v[8:9], v[8:9], v[21:22], -v[23:24]
	v_add_f64 v[27:28], v[23:24], v[6:7]
	v_add_f64 v[35:36], v[27:28], -v[23:24]
	v_add_f64 v[29:30], v[25:26], v[27:28]
	v_add_f64 v[6:7], v[6:7], -v[35:36]
	v_add_f64 v[35:36], v[27:28], -v[35:36]
	v_ldexp_f64 v[31:32], v[29:30], -2
	v_add_f64 v[25:26], v[29:30], -v[25:26]
	v_add_f64 v[35:36], v[23:24], -v[35:36]
	v_trig_preop_f64 v[23:24], |v[2:3]|, 2
	v_fract_f64_e32 v[33:34], v[31:32]
	v_add_f64 v[25:26], v[27:28], -v[25:26]
	v_cmp_neq_f64_e64 vcc, |v[31:32]|, s[6:7]
	v_add_f64 v[6:7], v[6:7], v[35:36]
	v_mul_f64 v[35:36], v[23:24], v[21:22]
	v_add_f64 v[37:38], v[35:36], v[8:9]
	v_add_f64 v[48:49], v[37:38], v[6:7]
	v_add_f64 v[29:30], v[48:49], -v[37:38]
	v_add_f64 v[27:28], v[25:26], v[48:49]
	v_add_f64 v[6:7], v[6:7], -v[29:30]
	v_add_f64 v[29:30], v[48:49], -v[29:30]
	;; [unrolled: 1-line block ×5, first 2 shown]
	v_add_f64 v[6:7], v[6:7], v[29:30]
	v_add_f64 v[29:30], v[37:38], -v[35:36]
	v_add_f64 v[8:9], v[8:9], -v[29:30]
	;; [unrolled: 1-line block ×4, first 2 shown]
	v_add_f64 v[8:9], v[8:9], v[29:30]
	v_add_f64 v[6:7], v[8:9], v[6:7]
	v_fma_f64 v[8:9], v[23:24], v[21:22], -v[35:36]
	v_add_f64 v[6:7], v[8:9], v[6:7]
	v_ldexp_f64 v[8:9], v[33:34], 2
	v_add_f64 v[6:7], v[25:26], v[6:7]
	v_cndmask_b32_e32 v9, 0, v9, vcc
	v_cndmask_b32_e32 v8, 0, v8, vcc
	v_add_f64 v[21:22], v[27:28], v[8:9]
	v_cmp_gt_f64_e32 vcc, 0, v[21:22]
	v_mov_b32_e32 v21, 0
	v_cndmask_b32_e32 v22, 0, v17, vcc
	v_add_f64 v[8:9], v[8:9], v[21:22]
	v_add_f64 v[22:23], v[27:28], v[8:9]
	v_cvt_i32_f64_e32 v17, v[22:23]
	v_cvt_f64_i32_e32 v[22:23], v17
	v_add_f64 v[8:9], v[8:9], -v[22:23]
	v_add_f64 v[23:24], v[27:28], v[8:9]
	v_add_f64 v[8:9], v[23:24], -v[8:9]
	v_cmp_le_f64_e32 vcc, 0.5, v[23:24]
	v_add_f64 v[8:9], v[27:28], -v[8:9]
	v_addc_co_u32_e64 v17, s[6:7], 0, v17, vcc
	s_mov_b32 s6, 0x33145c07
	s_mov_b32 s7, 0x3c91a626
	v_add_f64 v[6:7], v[6:7], v[8:9]
	v_mov_b32_e32 v8, 0x3ff00000
	v_cndmask_b32_e32 v22, 0, v8, vcc
	v_add_f64 v[8:9], v[23:24], -v[21:22]
	v_add_f64 v[21:22], v[8:9], v[6:7]
	v_add_f64 v[8:9], v[21:22], -v[8:9]
	v_add_f64 v[6:7], v[6:7], -v[8:9]
	v_mul_f64 v[8:9], v[21:22], s[16:17]
	v_fma_f64 v[23:24], v[21:22], s[16:17], -v[8:9]
	v_fma_f64 v[21:22], v[21:22], s[6:7], v[23:24]
	v_fma_f64 v[21:22], v[6:7], s[16:17], v[21:22]
	v_add_f64 v[6:7], v[8:9], v[21:22]
	v_add_f64 v[8:9], v[6:7], -v[8:9]
	v_add_f64 v[8:9], v[21:22], -v[8:9]
.LBB30_74:
	s_andn2_saveexec_b64 s[6:7], s[18:19]
	s_cbranch_execz .LBB30_76
; %bb.75:
	s_mov_b32 s16, 0x6dc9c883
	s_mov_b32 s17, 0x3fe45f30
	v_mul_f64 v[6:7], |v[2:3]|, s[16:17]
	s_mov_b32 s16, 0x54442d18
	s_mov_b32 s17, 0xbff921fb
	;; [unrolled: 1-line block ×4, first 2 shown]
	v_rndne_f64_e32 v[21:22], v[6:7]
	v_fma_f64 v[6:7], v[21:22], s[16:17], |v[2:3]|
	v_mul_f64 v[8:9], v[21:22], s[18:19]
	s_mov_b32 s16, 0x252049c0
	s_mov_b32 s17, 0xb97b839a
	v_cvt_i32_f64_e32 v17, v[21:22]
	v_fma_f64 v[27:28], v[21:22], s[18:19], v[6:7]
	v_add_f64 v[23:24], v[6:7], v[8:9]
	s_mov_b32 s19, 0x3c91a626
	v_add_f64 v[25:26], v[6:7], -v[23:24]
	v_add_f64 v[23:24], v[23:24], -v[27:28]
	v_add_f64 v[6:7], v[25:26], v[8:9]
	v_fma_f64 v[8:9], v[21:22], s[18:19], v[8:9]
	v_add_f64 v[6:7], v[23:24], v[6:7]
	v_add_f64 v[6:7], v[6:7], -v[8:9]
	v_fma_f64 v[8:9], v[21:22], s[16:17], v[6:7]
	v_add_f64 v[6:7], v[27:28], v[8:9]
	v_add_f64 v[23:24], v[6:7], -v[27:28]
	v_add_f64 v[8:9], v[8:9], -v[23:24]
.LBB30_76:
	s_or_b64 exec, exec, s[6:7]
	v_mul_f64 v[21:22], v[6:7], v[6:7]
	v_add_f64 v[23:24], v[8:9], v[8:9]
	s_mov_b32 s6, 0xc751c08c
	s_mov_b32 s7, 0x3ef5e089
	v_and_b32_e32 v17, 1, v17
	v_cmp_eq_u32_e32 vcc, 0, v17
	s_mov_b32 s18, 0x54442d18
	s_mov_b32 s19, 0xc00921fb
	v_fma_f64 v[25:26], v[6:7], v[6:7], -v[21:22]
	s_mov_b64 s[16:17], exec
	v_sub_f32_e32 v19, 1.0, v19
	v_fma_f64 v[23:24], v[6:7], v[23:24], v[25:26]
	v_add_f64 v[21:22], v[21:22], v[23:24]
	v_mov_b32_e32 v23, 0xa9a29f71
	v_mov_b32_e32 v24, 0xbf078809
	v_fma_f64 v[23:24], v[21:22], s[6:7], v[23:24]
	s_mov_b32 s6, 0x90a8aae0
	s_mov_b32 s7, 0x3f17746f
	v_fma_f64 v[23:24], v[21:22], v[23:24], s[6:7]
	s_mov_b32 s6, 0xa6fbf144
	s_mov_b32 s7, 0xbefbb44d
	;; [unrolled: 3-line block ×12, first 2 shown]
	v_fma_f64 v[23:24], v[21:22], v[23:24], s[6:7]
	s_movk_i32 s6, 0x1f8
	v_cmp_class_f64_e64 s[6:7], v[2:3], s6
	v_mul_f64 v[21:22], v[21:22], v[23:24]
	v_mul_f64 v[23:24], v[6:7], v[21:22]
	v_add_f64 v[25:26], v[6:7], v[23:24]
	v_fma_f64 v[21:22], v[6:7], v[21:22], -v[23:24]
	v_add_f64 v[6:7], v[25:26], -v[6:7]
	v_add_f64 v[8:9], v[8:9], v[21:22]
	v_add_f64 v[6:7], v[23:24], -v[6:7]
	v_add_f64 v[6:7], v[8:9], v[6:7]
	v_add_f64 v[8:9], v[25:26], v[6:7]
	v_rcp_f64_e32 v[21:22], v[8:9]
	v_fma_f64 v[23:24], -v[8:9], v[21:22], 1.0
	v_fma_f64 v[21:22], v[23:24], v[21:22], v[21:22]
	v_fma_f64 v[23:24], -v[8:9], v[21:22], 1.0
	v_fma_f64 v[21:22], v[23:24], v[21:22], v[21:22]
	v_add_f64 v[23:24], v[8:9], -v[25:26]
	v_mul_f64 v[25:26], v[8:9], v[21:22]
	v_add_f64 v[6:7], v[6:7], -v[23:24]
	v_fma_f64 v[23:24], v[21:22], v[8:9], -v[25:26]
	v_fma_f64 v[6:7], v[21:22], v[6:7], v[23:24]
	v_add_f64 v[23:24], v[25:26], v[6:7]
	v_add_f64 v[27:28], -v[23:24], 1.0
	v_add_f64 v[25:26], v[23:24], -v[25:26]
	v_add_f64 v[29:30], -v[27:28], 1.0
	v_add_f64 v[6:7], v[25:26], -v[6:7]
	v_add_f64 v[23:24], v[29:30], -v[23:24]
	v_add_f64 v[6:7], v[6:7], v[23:24]
	v_add_f64 v[6:7], v[27:28], v[6:7]
	v_mul_f64 v[6:7], v[21:22], v[6:7]
	v_add_f64 v[6:7], v[21:22], v[6:7]
	v_and_b32_e32 v21, 0x80000000, v3
	v_mov_b32_e32 v3, 0x7ff80000
	v_xor_b32_e32 v2, 0x80000000, v7
	v_cndmask_b32_e32 v6, v6, v8, vcc
	v_cndmask_b32_e32 v7, v2, v9, vcc
	v_cndmask_b32_e64 v2, 0, v6, s[6:7]
	v_xor_b32_e32 v6, v7, v21
	v_cndmask_b32_e64 v3, v3, v6, s[6:7]
	v_div_scale_f64 v[6:7], s[6:7], v[2:3], v[2:3], s[18:19]
	v_div_scale_f64 v[23:24], vcc, s[18:19], v[2:3], s[18:19]
	v_rcp_f64_e32 v[8:9], v[6:7]
	v_fma_f64 v[21:22], -v[6:7], v[8:9], 1.0
	v_fma_f64 v[8:9], v[8:9], v[21:22], v[8:9]
	v_fma_f64 v[21:22], -v[6:7], v[8:9], 1.0
	v_fma_f64 v[8:9], v[8:9], v[21:22], v[8:9]
	v_mul_f64 v[21:22], v[23:24], v[8:9]
	v_fma_f64 v[6:7], -v[6:7], v[21:22], v[23:24]
	v_div_fmas_f64 v[6:7], v[6:7], v[8:9], v[21:22]
	v_div_fixup_f64 v[2:3], v[6:7], v[2:3], s[18:19]
	v_cvt_f32_f64_e32 v2, v[2:3]
.LBB30_77:
	s_or_b64 exec, exec, s[14:15]
	s_orn2_b64 s[14:15], s[16:17], exec
.LBB30_78:
	s_or_b64 exec, exec, s[12:13]
	v_mov_b32_e32 v17, 0x7fc0
	s_and_saveexec_b64 s[6:7], s[14:15]
	s_cbranch_execz .LBB30_90
; %bb.79:
	s_mov_b32 s16, 0x41200000
	v_cmp_gt_f32_e32 vcc, s16, v19
	s_and_saveexec_b64 s[12:13], vcc
	s_cbranch_execz .LBB30_83
; %bb.80:
	s_mov_b64 s[14:15], 0
.LBB30_81:                              ; =>This Inner Loop Header: Depth=1
	v_div_scale_f32 v3, s[18:19], v19, v19, 1.0
	v_div_scale_f32 v6, vcc, 1.0, v19, 1.0
	v_rcp_f32_e32 v7, v3
	v_fma_f32 v8, -v3, v7, 1.0
	v_fmac_f32_e32 v7, v8, v7
	v_mul_f32_e32 v8, v6, v7
	v_fma_f32 v9, -v3, v8, v6
	v_fmac_f32_e32 v8, v9, v7
	v_fma_f32 v3, -v3, v8, v6
	v_div_fmas_f32 v3, v3, v7, v8
	v_div_fixup_f32 v3, v3, v19, 1.0
	v_add_f32_e32 v19, 1.0, v19
	v_cmp_ngt_f32_e32 vcc, s16, v19
	s_or_b64 s[14:15], vcc, s[14:15]
	v_sub_f32_e32 v2, v2, v3
	s_andn2_b64 exec, exec, s[14:15]
	s_cbranch_execnz .LBB30_81
; %bb.82:
	s_or_b64 exec, exec, s[14:15]
.LBB30_83:
	s_or_b64 exec, exec, s[12:13]
	s_mov_b32 s12, 0x41200000
	v_cmp_neq_f32_e32 vcc, s12, v19
                                        ; implicit-def: $vgpr17
	s_and_saveexec_b64 s[12:13], vcc
	s_xor_b64 s[12:13], exec, s[12:13]
	s_cbranch_execz .LBB30_87
; %bb.84:
	v_cvt_f64_f32_e32 v[6:7], v19
	s_mov_b32 s14, 0x85d8a000
	s_mov_b32 s15, 0x43763457
	v_mov_b32_e32 v3, 0
	v_cmp_gt_f64_e32 vcc, s[14:15], v[6:7]
	s_and_saveexec_b64 s[14:15], vcc
	s_cbranch_execz .LBB30_86
; %bb.85:
	v_mul_f32_e32 v3, v19, v19
	v_div_scale_f32 v6, s[16:17], v3, v3, 1.0
	v_div_scale_f32 v7, vcc, 1.0, v3, 1.0
	v_mov_b32_e32 v21, 0x3b820821
	v_rcp_f32_e32 v8, v6
	v_fma_f32 v9, -v6, v8, 1.0
	v_fmac_f32_e32 v8, v9, v8
	v_mul_f32_e32 v9, v7, v8
	v_fma_f32 v17, -v6, v9, v7
	v_fmac_f32_e32 v9, v17, v8
	v_fma_f32 v6, -v6, v9, v7
	v_div_fmas_f32 v6, v6, v8, v9
	v_mov_b32_e32 v7, 0x3daaaaab
	v_mov_b32_e32 v8, 0xbcaccacd
	;; [unrolled: 1-line block ×4, first 2 shown]
	v_div_fixup_f32 v3, v6, v3, 1.0
	v_fma_f32 v6, 0, v3, v7
	v_fmac_f32_e32 v8, v3, v6
	v_fmac_f32_e32 v9, v3, v8
	;; [unrolled: 1-line block ×4, first 2 shown]
	v_mov_b32_e32 v6, 0xbc088889
	v_fmac_f32_e32 v6, v3, v21
	v_fmac_f32_e32 v7, v3, v6
	v_mul_f32_e32 v3, v3, v7
.LBB30_86:
	s_or_b64 exec, exec, s[14:15]
	v_div_scale_f32 v6, s[14:15], v19, v19, -0.5
	v_div_scale_f32 v7, vcc, -0.5, v19, -0.5
	s_mov_b32 s14, 0x800000
	s_mov_b32 s15, 0x3f317217
	;; [unrolled: 1-line block ×3, first 2 shown]
	v_rcp_f32_e32 v8, v6
	v_fma_f32 v9, -v6, v8, 1.0
	v_fmac_f32_e32 v8, v9, v8
	v_mul_f32_e32 v9, v7, v8
	v_fma_f32 v17, -v6, v9, v7
	v_fmac_f32_e32 v9, v17, v8
	v_fma_f32 v6, -v6, v9, v7
	v_div_fmas_f32 v6, v6, v8, v9
	v_cmp_gt_f32_e32 vcc, s14, v19
	v_cndmask_b32_e64 v8, 0, 32, vcc
	v_ldexp_f32 v8, v19, v8
	v_log_f32_e32 v8, v8
	v_mov_b32_e32 v7, 0x41b17218
	v_cndmask_b32_e32 v7, 0, v7, vcc
	s_movk_i32 s14, 0x7fff
	v_mul_f32_e32 v17, 0x3f317217, v8
	v_fma_f32 v17, v8, s15, -v17
	v_fmac_f32_e32 v17, 0x3377d1cf, v8
	v_fmac_f32_e32 v17, 0x3f317217, v8
	v_cmp_lt_f32_e64 vcc, |v8|, s16
	v_cndmask_b32_e32 v8, v8, v17, vcc
	v_sub_f32_e32 v7, v8, v7
	v_mov_b32_e32 v9, 0x7fc0
	v_div_fixup_f32 v6, v6, v19, -0.5
	v_add_f32_e32 v6, v7, v6
	v_sub_f32_e32 v3, v6, v3
	v_add_f32_e32 v2, v2, v3
	v_bfe_u32 v3, v2, 16, 1
	v_cmp_o_f32_e32 vcc, v2, v2
	v_add3_u32 v2, v2, v3, s14
	v_cndmask_b32_sdwa v17, v9, v2, vcc dst_sel:DWORD dst_unused:UNUSED_PAD src0_sel:DWORD src1_sel:WORD_1
                                        ; implicit-def: $vgpr2
.LBB30_87:
	s_andn2_saveexec_b64 s[12:13], s[12:13]
; %bb.88:
	v_add_f32_e32 v2, 0x40101cb7, v2
	v_bfe_u32 v3, v2, 16, 1
	s_movk_i32 s14, 0x7fff
	v_add3_u32 v3, v2, v3, s14
	v_cmp_o_f32_e32 vcc, v2, v2
	v_mov_b32_e32 v2, 0x7fc0
	v_cndmask_b32_sdwa v17, v2, v3, vcc dst_sel:DWORD dst_unused:UNUSED_PAD src0_sel:DWORD src1_sel:WORD_1
; %bb.89:
	s_or_b64 exec, exec, s[12:13]
.LBB30_90:
	s_or_b64 exec, exec, s[6:7]
                                        ; implicit-def: $vgpr19
.LBB30_91:
	s_andn2_saveexec_b64 s[6:7], s[10:11]
; %bb.92:
	v_xor_b32_e32 v2, 0x80000000, v19
	v_and_b32_e32 v2, 0x80000000, v2
	v_or_b32_e32 v2, 0x7f800000, v2
	v_lshrrev_b32_e32 v17, 16, v2
; %bb.93:
	s_or_b64 exec, exec, s[6:7]
.LBB30_94:
	s_or_b64 exec, exec, s[8:9]
	v_add_u32_e32 v2, 0x300, v10
	v_cmp_lt_i32_e32 vcc, v2, v4
                                        ; implicit-def: $vgpr19
	s_and_saveexec_b64 s[8:9], vcc
	s_cbranch_execz .LBB30_120
; %bb.95:
	v_cmp_neq_f32_e32 vcc, 0, v20
                                        ; implicit-def: $vgpr19
	s_and_saveexec_b64 s[6:7], vcc
	s_xor_b64 s[10:11], exec, s[6:7]
	s_cbranch_execz .LBB30_117
; %bb.96:
	v_mov_b32_e32 v2, 0
	v_cmp_gt_f32_e32 vcc, 0, v20
	s_mov_b64 s[14:15], -1
	s_and_saveexec_b64 s[12:13], vcc
	s_cbranch_execz .LBB30_104
; %bb.97:
	v_trunc_f32_e32 v2, v20
	v_cmp_neq_f32_e32 vcc, v2, v20
	s_mov_b64 s[16:17], 0
	v_mov_b32_e32 v2, 0
	s_and_saveexec_b64 s[14:15], vcc
	s_cbranch_execz .LBB30_103
; %bb.98:
	v_cvt_f64_f32_e32 v[2:3], v20
	s_mov_b32 s6, 0
	s_mov_b32 s17, 0xc00921fb
	;; [unrolled: 1-line block ×3, first 2 shown]
	v_trunc_f64_e32 v[6:7], v[2:3]
	s_mov_b32 s7, 0x7ff00000
	v_cmp_neq_f64_e64 vcc, |v[2:3]|, s[6:7]
	v_bfrev_b32_e32 v8, 1
	s_mov_b32 s18, 0
	s_mov_b32 s19, 0x41d00000
                                        ; implicit-def: $vgpr19
	v_add_f64 v[6:7], v[2:3], -v[6:7]
	v_mul_f64 v[6:7], |v[6:7]|, s[16:17]
	v_cndmask_b32_e32 v3, v8, v7, vcc
	v_cndmask_b32_e32 v2, 0, v6, vcc
	v_cmp_nlt_f64_e64 s[18:19], |v[2:3]|, s[18:19]
                                        ; implicit-def: $vgpr6_vgpr7
                                        ; implicit-def: $vgpr8_vgpr9
	s_and_saveexec_b64 s[22:23], s[18:19]
	s_xor_b64 s[18:19], exec, s[22:23]
	s_cbranch_execz .LBB30_100
; %bb.99:
	v_trig_preop_f64 v[6:7], |v[2:3]|, 0
	s_mov_b32 s22, 0
	s_mov_b32 s23, 0x7b000000
	s_movk_i32 s17, 0xff80
	v_cmp_ge_f64_e64 vcc, |v[2:3]|, s[22:23]
	v_ldexp_f64 v[21:22], |v[2:3]|, s17
	v_trig_preop_f64 v[8:9], |v[2:3]|, 1
	v_and_b32_e32 v19, 0x7fffffff, v3
	s_mov_b32 s17, 0x3ff921fb
	v_cndmask_b32_e32 v22, v19, v22, vcc
	v_cndmask_b32_e32 v21, v2, v21, vcc
	v_mov_b32_e32 v19, 0x40100000
	v_mul_f64 v[25:26], v[6:7], v[21:22]
	v_mul_f64 v[23:24], v[8:9], v[21:22]
	v_fma_f64 v[6:7], v[6:7], v[21:22], -v[25:26]
	v_fma_f64 v[8:9], v[8:9], v[21:22], -v[23:24]
	v_add_f64 v[27:28], v[23:24], v[6:7]
	v_add_f64 v[35:36], v[27:28], -v[23:24]
	v_add_f64 v[29:30], v[25:26], v[27:28]
	v_add_f64 v[6:7], v[6:7], -v[35:36]
	v_add_f64 v[35:36], v[27:28], -v[35:36]
	v_ldexp_f64 v[31:32], v[29:30], -2
	v_add_f64 v[25:26], v[29:30], -v[25:26]
	v_add_f64 v[35:36], v[23:24], -v[35:36]
	v_trig_preop_f64 v[23:24], |v[2:3]|, 2
	v_fract_f64_e32 v[33:34], v[31:32]
	v_add_f64 v[25:26], v[27:28], -v[25:26]
	v_cmp_neq_f64_e64 vcc, |v[31:32]|, s[6:7]
	v_add_f64 v[6:7], v[6:7], v[35:36]
	v_mul_f64 v[35:36], v[23:24], v[21:22]
	v_add_f64 v[37:38], v[35:36], v[8:9]
	v_add_f64 v[48:49], v[37:38], v[6:7]
	v_add_f64 v[29:30], v[48:49], -v[37:38]
	v_add_f64 v[27:28], v[25:26], v[48:49]
	v_add_f64 v[6:7], v[6:7], -v[29:30]
	v_add_f64 v[29:30], v[48:49], -v[29:30]
	;; [unrolled: 1-line block ×5, first 2 shown]
	v_add_f64 v[6:7], v[6:7], v[29:30]
	v_add_f64 v[29:30], v[37:38], -v[35:36]
	v_add_f64 v[8:9], v[8:9], -v[29:30]
	;; [unrolled: 1-line block ×4, first 2 shown]
	v_add_f64 v[8:9], v[8:9], v[29:30]
	v_add_f64 v[6:7], v[8:9], v[6:7]
	v_fma_f64 v[8:9], v[23:24], v[21:22], -v[35:36]
	v_add_f64 v[6:7], v[8:9], v[6:7]
	v_ldexp_f64 v[8:9], v[33:34], 2
	v_add_f64 v[6:7], v[25:26], v[6:7]
	v_cndmask_b32_e32 v9, 0, v9, vcc
	v_cndmask_b32_e32 v8, 0, v8, vcc
	v_add_f64 v[21:22], v[27:28], v[8:9]
	v_cmp_gt_f64_e32 vcc, 0, v[21:22]
	v_mov_b32_e32 v21, 0
	v_cndmask_b32_e32 v22, 0, v19, vcc
	v_add_f64 v[8:9], v[8:9], v[21:22]
	v_add_f64 v[22:23], v[27:28], v[8:9]
	v_cvt_i32_f64_e32 v19, v[22:23]
	v_cvt_f64_i32_e32 v[22:23], v19
	v_add_f64 v[8:9], v[8:9], -v[22:23]
	v_add_f64 v[23:24], v[27:28], v[8:9]
	v_add_f64 v[8:9], v[23:24], -v[8:9]
	v_cmp_le_f64_e32 vcc, 0.5, v[23:24]
	v_add_f64 v[8:9], v[27:28], -v[8:9]
	v_addc_co_u32_e64 v19, s[6:7], 0, v19, vcc
	s_mov_b32 s6, 0x33145c07
	s_mov_b32 s7, 0x3c91a626
	v_add_f64 v[6:7], v[6:7], v[8:9]
	v_mov_b32_e32 v8, 0x3ff00000
	v_cndmask_b32_e32 v22, 0, v8, vcc
	v_add_f64 v[8:9], v[23:24], -v[21:22]
	v_add_f64 v[21:22], v[8:9], v[6:7]
	v_add_f64 v[8:9], v[21:22], -v[8:9]
	v_add_f64 v[6:7], v[6:7], -v[8:9]
	v_mul_f64 v[8:9], v[21:22], s[16:17]
	v_fma_f64 v[23:24], v[21:22], s[16:17], -v[8:9]
	v_fma_f64 v[21:22], v[21:22], s[6:7], v[23:24]
	v_fma_f64 v[21:22], v[6:7], s[16:17], v[21:22]
	v_add_f64 v[6:7], v[8:9], v[21:22]
	v_add_f64 v[8:9], v[6:7], -v[8:9]
	v_add_f64 v[8:9], v[21:22], -v[8:9]
.LBB30_100:
	s_andn2_saveexec_b64 s[6:7], s[18:19]
	s_cbranch_execz .LBB30_102
; %bb.101:
	s_mov_b32 s16, 0x6dc9c883
	s_mov_b32 s17, 0x3fe45f30
	v_mul_f64 v[6:7], |v[2:3]|, s[16:17]
	s_mov_b32 s16, 0x54442d18
	s_mov_b32 s17, 0xbff921fb
	;; [unrolled: 1-line block ×4, first 2 shown]
	v_rndne_f64_e32 v[21:22], v[6:7]
	v_fma_f64 v[6:7], v[21:22], s[16:17], |v[2:3]|
	v_mul_f64 v[8:9], v[21:22], s[18:19]
	s_mov_b32 s16, 0x252049c0
	s_mov_b32 s17, 0xb97b839a
	v_cvt_i32_f64_e32 v19, v[21:22]
	v_fma_f64 v[27:28], v[21:22], s[18:19], v[6:7]
	v_add_f64 v[23:24], v[6:7], v[8:9]
	s_mov_b32 s19, 0x3c91a626
	v_add_f64 v[25:26], v[6:7], -v[23:24]
	v_add_f64 v[23:24], v[23:24], -v[27:28]
	v_add_f64 v[6:7], v[25:26], v[8:9]
	v_fma_f64 v[8:9], v[21:22], s[18:19], v[8:9]
	v_add_f64 v[6:7], v[23:24], v[6:7]
	v_add_f64 v[6:7], v[6:7], -v[8:9]
	v_fma_f64 v[8:9], v[21:22], s[16:17], v[6:7]
	v_add_f64 v[6:7], v[27:28], v[8:9]
	v_add_f64 v[23:24], v[6:7], -v[27:28]
	v_add_f64 v[8:9], v[8:9], -v[23:24]
.LBB30_102:
	s_or_b64 exec, exec, s[6:7]
	v_mul_f64 v[21:22], v[6:7], v[6:7]
	v_add_f64 v[23:24], v[8:9], v[8:9]
	s_mov_b32 s6, 0xc751c08c
	s_mov_b32 s7, 0x3ef5e089
	v_and_b32_e32 v19, 1, v19
	v_cmp_eq_u32_e32 vcc, 0, v19
	s_mov_b32 s18, 0x54442d18
	s_mov_b32 s19, 0xc00921fb
	v_fma_f64 v[25:26], v[6:7], v[6:7], -v[21:22]
	s_mov_b64 s[16:17], exec
	v_sub_f32_e32 v20, 1.0, v20
	v_fma_f64 v[23:24], v[6:7], v[23:24], v[25:26]
	v_add_f64 v[21:22], v[21:22], v[23:24]
	v_mov_b32_e32 v23, 0xa9a29f71
	v_mov_b32_e32 v24, 0xbf078809
	v_fma_f64 v[23:24], v[21:22], s[6:7], v[23:24]
	s_mov_b32 s6, 0x90a8aae0
	s_mov_b32 s7, 0x3f17746f
	v_fma_f64 v[23:24], v[21:22], v[23:24], s[6:7]
	s_mov_b32 s6, 0xa6fbf144
	s_mov_b32 s7, 0xbefbb44d
	;; [unrolled: 3-line block ×12, first 2 shown]
	v_fma_f64 v[23:24], v[21:22], v[23:24], s[6:7]
	s_movk_i32 s6, 0x1f8
	v_cmp_class_f64_e64 s[6:7], v[2:3], s6
	v_mul_f64 v[21:22], v[21:22], v[23:24]
	v_mul_f64 v[23:24], v[6:7], v[21:22]
	v_add_f64 v[25:26], v[6:7], v[23:24]
	v_fma_f64 v[21:22], v[6:7], v[21:22], -v[23:24]
	v_add_f64 v[6:7], v[25:26], -v[6:7]
	v_add_f64 v[8:9], v[8:9], v[21:22]
	v_add_f64 v[6:7], v[23:24], -v[6:7]
	v_add_f64 v[6:7], v[8:9], v[6:7]
	v_add_f64 v[8:9], v[25:26], v[6:7]
	v_rcp_f64_e32 v[21:22], v[8:9]
	v_fma_f64 v[23:24], -v[8:9], v[21:22], 1.0
	v_fma_f64 v[21:22], v[23:24], v[21:22], v[21:22]
	v_fma_f64 v[23:24], -v[8:9], v[21:22], 1.0
	v_fma_f64 v[21:22], v[23:24], v[21:22], v[21:22]
	v_add_f64 v[23:24], v[8:9], -v[25:26]
	v_mul_f64 v[25:26], v[8:9], v[21:22]
	v_add_f64 v[6:7], v[6:7], -v[23:24]
	v_fma_f64 v[23:24], v[21:22], v[8:9], -v[25:26]
	v_fma_f64 v[6:7], v[21:22], v[6:7], v[23:24]
	v_add_f64 v[23:24], v[25:26], v[6:7]
	v_add_f64 v[27:28], -v[23:24], 1.0
	v_add_f64 v[25:26], v[23:24], -v[25:26]
	v_add_f64 v[29:30], -v[27:28], 1.0
	v_add_f64 v[6:7], v[25:26], -v[6:7]
	v_add_f64 v[23:24], v[29:30], -v[23:24]
	v_add_f64 v[6:7], v[6:7], v[23:24]
	v_add_f64 v[6:7], v[27:28], v[6:7]
	v_mul_f64 v[6:7], v[21:22], v[6:7]
	v_add_f64 v[6:7], v[21:22], v[6:7]
	v_and_b32_e32 v21, 0x80000000, v3
	v_mov_b32_e32 v3, 0x7ff80000
	v_xor_b32_e32 v2, 0x80000000, v7
	v_cndmask_b32_e32 v6, v6, v8, vcc
	v_cndmask_b32_e32 v7, v2, v9, vcc
	v_cndmask_b32_e64 v2, 0, v6, s[6:7]
	v_xor_b32_e32 v6, v7, v21
	v_cndmask_b32_e64 v3, v3, v6, s[6:7]
	v_div_scale_f64 v[6:7], s[6:7], v[2:3], v[2:3], s[18:19]
	v_div_scale_f64 v[23:24], vcc, s[18:19], v[2:3], s[18:19]
	v_rcp_f64_e32 v[8:9], v[6:7]
	v_fma_f64 v[21:22], -v[6:7], v[8:9], 1.0
	v_fma_f64 v[8:9], v[8:9], v[21:22], v[8:9]
	v_fma_f64 v[21:22], -v[6:7], v[8:9], 1.0
	v_fma_f64 v[8:9], v[8:9], v[21:22], v[8:9]
	v_mul_f64 v[21:22], v[23:24], v[8:9]
	v_fma_f64 v[6:7], -v[6:7], v[21:22], v[23:24]
	v_div_fmas_f64 v[6:7], v[6:7], v[8:9], v[21:22]
	v_div_fixup_f64 v[2:3], v[6:7], v[2:3], s[18:19]
	v_cvt_f32_f64_e32 v2, v[2:3]
.LBB30_103:
	s_or_b64 exec, exec, s[14:15]
	s_orn2_b64 s[14:15], s[16:17], exec
.LBB30_104:
	s_or_b64 exec, exec, s[12:13]
	v_mov_b32_e32 v19, 0x7fc0
	s_and_saveexec_b64 s[6:7], s[14:15]
	s_cbranch_execz .LBB30_116
; %bb.105:
	s_mov_b32 s16, 0x41200000
	v_cmp_gt_f32_e32 vcc, s16, v20
	s_and_saveexec_b64 s[12:13], vcc
	s_cbranch_execz .LBB30_109
; %bb.106:
	s_mov_b64 s[14:15], 0
.LBB30_107:                             ; =>This Inner Loop Header: Depth=1
	v_div_scale_f32 v3, s[18:19], v20, v20, 1.0
	v_div_scale_f32 v6, vcc, 1.0, v20, 1.0
	v_rcp_f32_e32 v7, v3
	v_fma_f32 v8, -v3, v7, 1.0
	v_fmac_f32_e32 v7, v8, v7
	v_mul_f32_e32 v8, v6, v7
	v_fma_f32 v9, -v3, v8, v6
	v_fmac_f32_e32 v8, v9, v7
	v_fma_f32 v3, -v3, v8, v6
	v_div_fmas_f32 v3, v3, v7, v8
	v_div_fixup_f32 v3, v3, v20, 1.0
	v_add_f32_e32 v20, 1.0, v20
	v_cmp_ngt_f32_e32 vcc, s16, v20
	s_or_b64 s[14:15], vcc, s[14:15]
	v_sub_f32_e32 v2, v2, v3
	s_andn2_b64 exec, exec, s[14:15]
	s_cbranch_execnz .LBB30_107
; %bb.108:
	s_or_b64 exec, exec, s[14:15]
.LBB30_109:
	s_or_b64 exec, exec, s[12:13]
	s_mov_b32 s12, 0x41200000
	v_cmp_neq_f32_e32 vcc, s12, v20
                                        ; implicit-def: $vgpr19
	s_and_saveexec_b64 s[12:13], vcc
	s_xor_b64 s[12:13], exec, s[12:13]
	s_cbranch_execz .LBB30_113
; %bb.110:
	v_cvt_f64_f32_e32 v[6:7], v20
	s_mov_b32 s14, 0x85d8a000
	s_mov_b32 s15, 0x43763457
	v_mov_b32_e32 v3, 0
	v_cmp_gt_f64_e32 vcc, s[14:15], v[6:7]
	s_and_saveexec_b64 s[14:15], vcc
	s_cbranch_execz .LBB30_112
; %bb.111:
	v_mul_f32_e32 v3, v20, v20
	v_div_scale_f32 v6, s[16:17], v3, v3, 1.0
	v_div_scale_f32 v7, vcc, 1.0, v3, 1.0
	v_mov_b32_e32 v21, 0x3b820821
	v_rcp_f32_e32 v8, v6
	v_fma_f32 v9, -v6, v8, 1.0
	v_fmac_f32_e32 v8, v9, v8
	v_mul_f32_e32 v9, v7, v8
	v_fma_f32 v19, -v6, v9, v7
	v_fmac_f32_e32 v9, v19, v8
	v_fma_f32 v6, -v6, v9, v7
	v_div_fmas_f32 v6, v6, v8, v9
	v_mov_b32_e32 v7, 0x3daaaaab
	v_mov_b32_e32 v8, 0xbcaccacd
	;; [unrolled: 1-line block ×4, first 2 shown]
	v_div_fixup_f32 v3, v6, v3, 1.0
	v_fma_f32 v6, 0, v3, v7
	v_fmac_f32_e32 v8, v3, v6
	v_fmac_f32_e32 v9, v3, v8
	;; [unrolled: 1-line block ×4, first 2 shown]
	v_mov_b32_e32 v6, 0xbc088889
	v_fmac_f32_e32 v6, v3, v21
	v_fmac_f32_e32 v7, v3, v6
	v_mul_f32_e32 v3, v3, v7
.LBB30_112:
	s_or_b64 exec, exec, s[14:15]
	v_div_scale_f32 v6, s[14:15], v20, v20, -0.5
	v_div_scale_f32 v7, vcc, -0.5, v20, -0.5
	s_mov_b32 s14, 0x800000
	s_mov_b32 s15, 0x3f317217
	s_mov_b32 s16, 0x7f800000
	v_rcp_f32_e32 v8, v6
	v_fma_f32 v9, -v6, v8, 1.0
	v_fmac_f32_e32 v8, v9, v8
	v_mul_f32_e32 v9, v7, v8
	v_fma_f32 v19, -v6, v9, v7
	v_fmac_f32_e32 v9, v19, v8
	v_fma_f32 v6, -v6, v9, v7
	v_div_fmas_f32 v6, v6, v8, v9
	v_cmp_gt_f32_e32 vcc, s14, v20
	v_cndmask_b32_e64 v8, 0, 32, vcc
	v_ldexp_f32 v8, v20, v8
	v_log_f32_e32 v8, v8
	v_mov_b32_e32 v7, 0x41b17218
	v_cndmask_b32_e32 v7, 0, v7, vcc
	s_movk_i32 s14, 0x7fff
	v_mul_f32_e32 v19, 0x3f317217, v8
	v_fma_f32 v19, v8, s15, -v19
	v_fmac_f32_e32 v19, 0x3377d1cf, v8
	v_fmac_f32_e32 v19, 0x3f317217, v8
	v_cmp_lt_f32_e64 vcc, |v8|, s16
	v_cndmask_b32_e32 v8, v8, v19, vcc
	v_sub_f32_e32 v7, v8, v7
	v_mov_b32_e32 v9, 0x7fc0
	v_div_fixup_f32 v6, v6, v20, -0.5
	v_add_f32_e32 v6, v7, v6
	v_sub_f32_e32 v3, v6, v3
	v_add_f32_e32 v2, v2, v3
	v_bfe_u32 v3, v2, 16, 1
	v_cmp_o_f32_e32 vcc, v2, v2
	v_add3_u32 v2, v2, v3, s14
	v_cndmask_b32_sdwa v19, v9, v2, vcc dst_sel:DWORD dst_unused:UNUSED_PAD src0_sel:DWORD src1_sel:WORD_1
                                        ; implicit-def: $vgpr2
.LBB30_113:
	s_andn2_saveexec_b64 s[12:13], s[12:13]
; %bb.114:
	v_add_f32_e32 v2, 0x40101cb7, v2
	v_bfe_u32 v3, v2, 16, 1
	s_movk_i32 s14, 0x7fff
	v_add3_u32 v3, v2, v3, s14
	v_cmp_o_f32_e32 vcc, v2, v2
	v_mov_b32_e32 v2, 0x7fc0
	v_cndmask_b32_sdwa v19, v2, v3, vcc dst_sel:DWORD dst_unused:UNUSED_PAD src0_sel:DWORD src1_sel:WORD_1
; %bb.115:
	s_or_b64 exec, exec, s[12:13]
.LBB30_116:
	s_or_b64 exec, exec, s[6:7]
                                        ; implicit-def: $vgpr20
.LBB30_117:
	s_andn2_saveexec_b64 s[6:7], s[10:11]
; %bb.118:
	v_xor_b32_e32 v2, 0x80000000, v20
	v_and_b32_e32 v2, 0x80000000, v2
	v_or_b32_e32 v2, 0x7f800000, v2
	v_lshrrev_b32_e32 v19, 16, v2
; %bb.119:
	s_or_b64 exec, exec, s[6:7]
.LBB30_120:
	s_or_b64 exec, exec, s[8:9]
	v_or_b32_e32 v2, 0x400, v10
	v_cmp_lt_i32_e32 vcc, v2, v4
                                        ; implicit-def: $vgpr20
	s_and_saveexec_b64 s[8:9], vcc
	s_cbranch_execz .LBB30_146
; %bb.121:
	v_cmp_neq_f32_e32 vcc, 0, v18
                                        ; implicit-def: $vgpr20
	s_and_saveexec_b64 s[6:7], vcc
	s_xor_b64 s[10:11], exec, s[6:7]
	s_cbranch_execz .LBB30_143
; %bb.122:
	v_mov_b32_e32 v2, 0
	v_cmp_gt_f32_e32 vcc, 0, v18
	s_mov_b64 s[14:15], -1
	s_and_saveexec_b64 s[12:13], vcc
	s_cbranch_execz .LBB30_130
; %bb.123:
	v_trunc_f32_e32 v2, v18
	v_cmp_neq_f32_e32 vcc, v2, v18
	s_mov_b64 s[16:17], 0
	v_mov_b32_e32 v2, 0
	s_and_saveexec_b64 s[14:15], vcc
	s_cbranch_execz .LBB30_129
; %bb.124:
	v_cvt_f64_f32_e32 v[2:3], v18
	s_mov_b32 s6, 0
	s_mov_b32 s17, 0xc00921fb
	;; [unrolled: 1-line block ×3, first 2 shown]
	v_trunc_f64_e32 v[6:7], v[2:3]
	s_mov_b32 s7, 0x7ff00000
	v_cmp_neq_f64_e64 vcc, |v[2:3]|, s[6:7]
	v_bfrev_b32_e32 v8, 1
	s_mov_b32 s18, 0
	s_mov_b32 s19, 0x41d00000
                                        ; implicit-def: $vgpr20
	v_add_f64 v[6:7], v[2:3], -v[6:7]
	v_mul_f64 v[6:7], |v[6:7]|, s[16:17]
	v_cndmask_b32_e32 v3, v8, v7, vcc
	v_cndmask_b32_e32 v2, 0, v6, vcc
	v_cmp_nlt_f64_e64 s[18:19], |v[2:3]|, s[18:19]
                                        ; implicit-def: $vgpr6_vgpr7
                                        ; implicit-def: $vgpr8_vgpr9
	s_and_saveexec_b64 s[22:23], s[18:19]
	s_xor_b64 s[18:19], exec, s[22:23]
	s_cbranch_execz .LBB30_126
; %bb.125:
	v_trig_preop_f64 v[6:7], |v[2:3]|, 0
	s_mov_b32 s22, 0
	s_mov_b32 s23, 0x7b000000
	s_movk_i32 s17, 0xff80
	v_cmp_ge_f64_e64 vcc, |v[2:3]|, s[22:23]
	v_ldexp_f64 v[20:21], |v[2:3]|, s17
	v_trig_preop_f64 v[8:9], |v[2:3]|, 1
	v_and_b32_e32 v22, 0x7fffffff, v3
	s_mov_b32 s17, 0x3ff921fb
	v_cndmask_b32_e32 v21, v22, v21, vcc
	v_cndmask_b32_e32 v20, v2, v20, vcc
	v_mul_f64 v[24:25], v[6:7], v[20:21]
	v_mul_f64 v[22:23], v[8:9], v[20:21]
	v_fma_f64 v[6:7], v[6:7], v[20:21], -v[24:25]
	v_fma_f64 v[8:9], v[8:9], v[20:21], -v[22:23]
	v_add_f64 v[26:27], v[22:23], v[6:7]
	v_add_f64 v[34:35], v[26:27], -v[22:23]
	v_add_f64 v[28:29], v[24:25], v[26:27]
	v_add_f64 v[6:7], v[6:7], -v[34:35]
	v_add_f64 v[34:35], v[26:27], -v[34:35]
	v_ldexp_f64 v[30:31], v[28:29], -2
	v_add_f64 v[24:25], v[28:29], -v[24:25]
	v_add_f64 v[34:35], v[22:23], -v[34:35]
	v_trig_preop_f64 v[22:23], |v[2:3]|, 2
	v_fract_f64_e32 v[32:33], v[30:31]
	v_add_f64 v[24:25], v[26:27], -v[24:25]
	v_cmp_neq_f64_e64 vcc, |v[30:31]|, s[6:7]
	v_add_f64 v[6:7], v[6:7], v[34:35]
	v_mul_f64 v[34:35], v[22:23], v[20:21]
	v_add_f64 v[36:37], v[34:35], v[8:9]
	v_add_f64 v[38:39], v[36:37], v[6:7]
	v_add_f64 v[28:29], v[38:39], -v[36:37]
	v_add_f64 v[26:27], v[24:25], v[38:39]
	v_add_f64 v[6:7], v[6:7], -v[28:29]
	v_add_f64 v[28:29], v[38:39], -v[28:29]
	;; [unrolled: 1-line block ×5, first 2 shown]
	v_add_f64 v[6:7], v[6:7], v[28:29]
	v_add_f64 v[28:29], v[36:37], -v[34:35]
	v_add_f64 v[8:9], v[8:9], -v[28:29]
	;; [unrolled: 1-line block ×4, first 2 shown]
	v_add_f64 v[8:9], v[8:9], v[28:29]
	v_add_f64 v[6:7], v[8:9], v[6:7]
	v_fma_f64 v[8:9], v[22:23], v[20:21], -v[34:35]
	v_add_f64 v[6:7], v[8:9], v[6:7]
	v_ldexp_f64 v[8:9], v[32:33], 2
	v_add_f64 v[6:7], v[24:25], v[6:7]
	v_cndmask_b32_e32 v9, 0, v9, vcc
	v_cndmask_b32_e32 v8, 0, v8, vcc
	v_add_f64 v[20:21], v[26:27], v[8:9]
	v_cmp_gt_f64_e32 vcc, 0, v[20:21]
	v_mov_b32_e32 v20, 0x40100000
	v_mov_b32_e32 v21, 0
	v_cndmask_b32_e32 v22, 0, v20, vcc
	v_add_f64 v[8:9], v[8:9], v[21:22]
	v_add_f64 v[22:23], v[26:27], v[8:9]
	v_cvt_i32_f64_e32 v20, v[22:23]
	v_cvt_f64_i32_e32 v[22:23], v20
	v_add_f64 v[8:9], v[8:9], -v[22:23]
	v_add_f64 v[23:24], v[26:27], v[8:9]
	v_add_f64 v[8:9], v[23:24], -v[8:9]
	v_cmp_le_f64_e32 vcc, 0.5, v[23:24]
	v_add_f64 v[8:9], v[26:27], -v[8:9]
	v_addc_co_u32_e64 v20, s[6:7], 0, v20, vcc
	s_mov_b32 s6, 0x33145c07
	s_mov_b32 s7, 0x3c91a626
	v_add_f64 v[6:7], v[6:7], v[8:9]
	v_mov_b32_e32 v8, 0x3ff00000
	v_cndmask_b32_e32 v22, 0, v8, vcc
	v_add_f64 v[8:9], v[23:24], -v[21:22]
	v_add_f64 v[21:22], v[8:9], v[6:7]
	v_add_f64 v[8:9], v[21:22], -v[8:9]
	v_add_f64 v[6:7], v[6:7], -v[8:9]
	v_mul_f64 v[8:9], v[21:22], s[16:17]
	v_fma_f64 v[23:24], v[21:22], s[16:17], -v[8:9]
	v_fma_f64 v[21:22], v[21:22], s[6:7], v[23:24]
	v_fma_f64 v[21:22], v[6:7], s[16:17], v[21:22]
	v_add_f64 v[6:7], v[8:9], v[21:22]
	v_add_f64 v[8:9], v[6:7], -v[8:9]
	v_add_f64 v[8:9], v[21:22], -v[8:9]
.LBB30_126:
	s_andn2_saveexec_b64 s[6:7], s[18:19]
	s_cbranch_execz .LBB30_128
; %bb.127:
	s_mov_b32 s16, 0x6dc9c883
	s_mov_b32 s17, 0x3fe45f30
	v_mul_f64 v[6:7], |v[2:3]|, s[16:17]
	s_mov_b32 s16, 0x54442d18
	s_mov_b32 s17, 0xbff921fb
	s_mov_b32 s19, 0xbc91a626
	s_mov_b32 s18, 0x33145c00
	v_rndne_f64_e32 v[20:21], v[6:7]
	v_fma_f64 v[6:7], v[20:21], s[16:17], |v[2:3]|
	v_mul_f64 v[8:9], v[20:21], s[18:19]
	s_mov_b32 s16, 0x252049c0
	s_mov_b32 s17, 0xb97b839a
	v_fma_f64 v[26:27], v[20:21], s[18:19], v[6:7]
	v_add_f64 v[22:23], v[6:7], v[8:9]
	s_mov_b32 s19, 0x3c91a626
	v_add_f64 v[24:25], v[6:7], -v[22:23]
	v_add_f64 v[22:23], v[22:23], -v[26:27]
	v_add_f64 v[6:7], v[24:25], v[8:9]
	v_fma_f64 v[8:9], v[20:21], s[18:19], v[8:9]
	v_add_f64 v[6:7], v[22:23], v[6:7]
	v_add_f64 v[6:7], v[6:7], -v[8:9]
	v_fma_f64 v[8:9], v[20:21], s[16:17], v[6:7]
	v_cvt_i32_f64_e32 v20, v[20:21]
	v_add_f64 v[6:7], v[26:27], v[8:9]
	v_add_f64 v[22:23], v[6:7], -v[26:27]
	v_add_f64 v[8:9], v[8:9], -v[22:23]
.LBB30_128:
	s_or_b64 exec, exec, s[6:7]
	v_mul_f64 v[21:22], v[6:7], v[6:7]
	v_add_f64 v[23:24], v[8:9], v[8:9]
	s_mov_b32 s6, 0xc751c08c
	s_mov_b32 s7, 0x3ef5e089
	v_and_b32_e32 v20, 1, v20
	v_cmp_eq_u32_e32 vcc, 0, v20
	s_mov_b32 s18, 0x54442d18
	s_mov_b32 s19, 0xc00921fb
	v_fma_f64 v[25:26], v[6:7], v[6:7], -v[21:22]
	s_mov_b64 s[16:17], exec
	v_sub_f32_e32 v18, 1.0, v18
	v_fma_f64 v[23:24], v[6:7], v[23:24], v[25:26]
	v_add_f64 v[21:22], v[21:22], v[23:24]
	v_mov_b32_e32 v23, 0xa9a29f71
	v_mov_b32_e32 v24, 0xbf078809
	v_fma_f64 v[23:24], v[21:22], s[6:7], v[23:24]
	s_mov_b32 s6, 0x90a8aae0
	s_mov_b32 s7, 0x3f17746f
	v_fma_f64 v[23:24], v[21:22], v[23:24], s[6:7]
	s_mov_b32 s6, 0xa6fbf144
	s_mov_b32 s7, 0xbefbb44d
	;; [unrolled: 3-line block ×12, first 2 shown]
	v_fma_f64 v[23:24], v[21:22], v[23:24], s[6:7]
	s_movk_i32 s6, 0x1f8
	v_cmp_class_f64_e64 s[6:7], v[2:3], s6
	v_mul_f64 v[21:22], v[21:22], v[23:24]
	v_mul_f64 v[23:24], v[6:7], v[21:22]
	v_add_f64 v[25:26], v[6:7], v[23:24]
	v_fma_f64 v[21:22], v[6:7], v[21:22], -v[23:24]
	v_add_f64 v[6:7], v[25:26], -v[6:7]
	v_add_f64 v[8:9], v[8:9], v[21:22]
	v_add_f64 v[6:7], v[23:24], -v[6:7]
	v_add_f64 v[6:7], v[8:9], v[6:7]
	v_add_f64 v[8:9], v[25:26], v[6:7]
	v_rcp_f64_e32 v[21:22], v[8:9]
	v_fma_f64 v[23:24], -v[8:9], v[21:22], 1.0
	v_fma_f64 v[21:22], v[23:24], v[21:22], v[21:22]
	v_fma_f64 v[23:24], -v[8:9], v[21:22], 1.0
	v_fma_f64 v[21:22], v[23:24], v[21:22], v[21:22]
	v_add_f64 v[23:24], v[8:9], -v[25:26]
	v_mul_f64 v[25:26], v[8:9], v[21:22]
	v_add_f64 v[6:7], v[6:7], -v[23:24]
	v_fma_f64 v[23:24], v[21:22], v[8:9], -v[25:26]
	v_fma_f64 v[6:7], v[21:22], v[6:7], v[23:24]
	v_add_f64 v[23:24], v[25:26], v[6:7]
	v_add_f64 v[27:28], -v[23:24], 1.0
	v_add_f64 v[25:26], v[23:24], -v[25:26]
	v_add_f64 v[29:30], -v[27:28], 1.0
	v_add_f64 v[6:7], v[25:26], -v[6:7]
	v_add_f64 v[23:24], v[29:30], -v[23:24]
	v_add_f64 v[6:7], v[6:7], v[23:24]
	v_add_f64 v[6:7], v[27:28], v[6:7]
	v_mul_f64 v[6:7], v[21:22], v[6:7]
	v_add_f64 v[6:7], v[21:22], v[6:7]
	v_and_b32_e32 v21, 0x80000000, v3
	v_mov_b32_e32 v3, 0x7ff80000
	v_xor_b32_e32 v2, 0x80000000, v7
	v_cndmask_b32_e32 v6, v6, v8, vcc
	v_cndmask_b32_e32 v7, v2, v9, vcc
	v_cndmask_b32_e64 v2, 0, v6, s[6:7]
	v_xor_b32_e32 v6, v7, v21
	v_cndmask_b32_e64 v3, v3, v6, s[6:7]
	v_div_scale_f64 v[6:7], s[6:7], v[2:3], v[2:3], s[18:19]
	v_div_scale_f64 v[22:23], vcc, s[18:19], v[2:3], s[18:19]
	v_rcp_f64_e32 v[8:9], v[6:7]
	v_fma_f64 v[20:21], -v[6:7], v[8:9], 1.0
	v_fma_f64 v[8:9], v[8:9], v[20:21], v[8:9]
	v_fma_f64 v[20:21], -v[6:7], v[8:9], 1.0
	v_fma_f64 v[8:9], v[8:9], v[20:21], v[8:9]
	v_mul_f64 v[20:21], v[22:23], v[8:9]
	v_fma_f64 v[6:7], -v[6:7], v[20:21], v[22:23]
	v_div_fmas_f64 v[6:7], v[6:7], v[8:9], v[20:21]
	v_div_fixup_f64 v[2:3], v[6:7], v[2:3], s[18:19]
	v_cvt_f32_f64_e32 v2, v[2:3]
.LBB30_129:
	s_or_b64 exec, exec, s[14:15]
	s_orn2_b64 s[14:15], s[16:17], exec
.LBB30_130:
	s_or_b64 exec, exec, s[12:13]
	v_mov_b32_e32 v20, 0x7fc0
	s_and_saveexec_b64 s[6:7], s[14:15]
	s_cbranch_execz .LBB30_142
; %bb.131:
	s_mov_b32 s16, 0x41200000
	v_cmp_gt_f32_e32 vcc, s16, v18
	s_and_saveexec_b64 s[12:13], vcc
	s_cbranch_execz .LBB30_135
; %bb.132:
	s_mov_b64 s[14:15], 0
.LBB30_133:                             ; =>This Inner Loop Header: Depth=1
	v_div_scale_f32 v3, s[18:19], v18, v18, 1.0
	v_div_scale_f32 v6, vcc, 1.0, v18, 1.0
	v_rcp_f32_e32 v7, v3
	v_fma_f32 v8, -v3, v7, 1.0
	v_fmac_f32_e32 v7, v8, v7
	v_mul_f32_e32 v8, v6, v7
	v_fma_f32 v9, -v3, v8, v6
	v_fmac_f32_e32 v8, v9, v7
	v_fma_f32 v3, -v3, v8, v6
	v_div_fmas_f32 v3, v3, v7, v8
	v_div_fixup_f32 v3, v3, v18, 1.0
	v_add_f32_e32 v18, 1.0, v18
	v_cmp_ngt_f32_e32 vcc, s16, v18
	s_or_b64 s[14:15], vcc, s[14:15]
	v_sub_f32_e32 v2, v2, v3
	s_andn2_b64 exec, exec, s[14:15]
	s_cbranch_execnz .LBB30_133
; %bb.134:
	s_or_b64 exec, exec, s[14:15]
.LBB30_135:
	s_or_b64 exec, exec, s[12:13]
	s_mov_b32 s12, 0x41200000
	v_cmp_neq_f32_e32 vcc, s12, v18
                                        ; implicit-def: $vgpr20
	s_and_saveexec_b64 s[12:13], vcc
	s_xor_b64 s[12:13], exec, s[12:13]
	s_cbranch_execz .LBB30_139
; %bb.136:
	v_cvt_f64_f32_e32 v[6:7], v18
	s_mov_b32 s14, 0x85d8a000
	s_mov_b32 s15, 0x43763457
	v_mov_b32_e32 v3, 0
	v_cmp_gt_f64_e32 vcc, s[14:15], v[6:7]
	s_and_saveexec_b64 s[14:15], vcc
	s_cbranch_execz .LBB30_138
; %bb.137:
	v_mul_f32_e32 v3, v18, v18
	v_div_scale_f32 v6, s[16:17], v3, v3, 1.0
	v_div_scale_f32 v7, vcc, 1.0, v3, 1.0
	v_mov_b32_e32 v21, 0x3b820821
	v_rcp_f32_e32 v8, v6
	v_fma_f32 v9, -v6, v8, 1.0
	v_fmac_f32_e32 v8, v9, v8
	v_mul_f32_e32 v9, v7, v8
	v_fma_f32 v20, -v6, v9, v7
	v_fmac_f32_e32 v9, v20, v8
	v_fma_f32 v6, -v6, v9, v7
	v_div_fmas_f32 v6, v6, v8, v9
	v_mov_b32_e32 v7, 0x3daaaaab
	v_mov_b32_e32 v8, 0xbcaccacd
	;; [unrolled: 1-line block ×4, first 2 shown]
	v_div_fixup_f32 v3, v6, v3, 1.0
	v_fma_f32 v6, 0, v3, v7
	v_fmac_f32_e32 v8, v3, v6
	v_fmac_f32_e32 v9, v3, v8
	;; [unrolled: 1-line block ×4, first 2 shown]
	v_mov_b32_e32 v6, 0xbc088889
	v_fmac_f32_e32 v6, v3, v21
	v_fmac_f32_e32 v7, v3, v6
	v_mul_f32_e32 v3, v3, v7
.LBB30_138:
	s_or_b64 exec, exec, s[14:15]
	v_div_scale_f32 v6, s[14:15], v18, v18, -0.5
	v_div_scale_f32 v7, vcc, -0.5, v18, -0.5
	s_mov_b32 s14, 0x800000
	s_mov_b32 s15, 0x3f317217
	;; [unrolled: 1-line block ×3, first 2 shown]
	v_rcp_f32_e32 v8, v6
	v_fma_f32 v9, -v6, v8, 1.0
	v_fmac_f32_e32 v8, v9, v8
	v_mul_f32_e32 v9, v7, v8
	v_fma_f32 v20, -v6, v9, v7
	v_fmac_f32_e32 v9, v20, v8
	v_fma_f32 v6, -v6, v9, v7
	v_div_fmas_f32 v6, v6, v8, v9
	v_cmp_gt_f32_e32 vcc, s14, v18
	v_cndmask_b32_e64 v8, 0, 32, vcc
	v_ldexp_f32 v8, v18, v8
	v_log_f32_e32 v8, v8
	v_mov_b32_e32 v7, 0x41b17218
	v_cndmask_b32_e32 v7, 0, v7, vcc
	s_movk_i32 s14, 0x7fff
	v_mul_f32_e32 v20, 0x3f317217, v8
	v_fma_f32 v20, v8, s15, -v20
	v_fmac_f32_e32 v20, 0x3377d1cf, v8
	v_fmac_f32_e32 v20, 0x3f317217, v8
	v_cmp_lt_f32_e64 vcc, |v8|, s16
	v_cndmask_b32_e32 v8, v8, v20, vcc
	v_sub_f32_e32 v7, v8, v7
	v_mov_b32_e32 v9, 0x7fc0
	v_div_fixup_f32 v6, v6, v18, -0.5
	v_add_f32_e32 v6, v7, v6
	v_sub_f32_e32 v3, v6, v3
	v_add_f32_e32 v2, v2, v3
	v_bfe_u32 v3, v2, 16, 1
	v_cmp_o_f32_e32 vcc, v2, v2
	v_add3_u32 v2, v2, v3, s14
	v_cndmask_b32_sdwa v20, v9, v2, vcc dst_sel:DWORD dst_unused:UNUSED_PAD src0_sel:DWORD src1_sel:WORD_1
                                        ; implicit-def: $vgpr2
.LBB30_139:
	s_andn2_saveexec_b64 s[12:13], s[12:13]
; %bb.140:
	v_add_f32_e32 v2, 0x40101cb7, v2
	v_bfe_u32 v3, v2, 16, 1
	s_movk_i32 s14, 0x7fff
	v_add3_u32 v3, v2, v3, s14
	v_cmp_o_f32_e32 vcc, v2, v2
	v_mov_b32_e32 v2, 0x7fc0
	v_cndmask_b32_sdwa v20, v2, v3, vcc dst_sel:DWORD dst_unused:UNUSED_PAD src0_sel:DWORD src1_sel:WORD_1
; %bb.141:
	s_or_b64 exec, exec, s[12:13]
.LBB30_142:
	s_or_b64 exec, exec, s[6:7]
                                        ; implicit-def: $vgpr18
.LBB30_143:
	s_andn2_saveexec_b64 s[6:7], s[10:11]
; %bb.144:
	v_xor_b32_e32 v2, 0x80000000, v18
	v_and_b32_e32 v2, 0x80000000, v2
	v_or_b32_e32 v2, 0x7f800000, v2
	v_lshrrev_b32_e32 v20, 16, v2
; %bb.145:
	s_or_b64 exec, exec, s[6:7]
.LBB30_146:
	s_or_b64 exec, exec, s[8:9]
	v_add_u32_e32 v2, 0x500, v10
	v_cmp_lt_i32_e32 vcc, v2, v4
                                        ; implicit-def: $vgpr18
	s_and_saveexec_b64 s[8:9], vcc
	s_cbranch_execz .LBB30_172
; %bb.147:
	v_cmp_neq_f32_e32 vcc, 0, v16
                                        ; implicit-def: $vgpr18
	s_and_saveexec_b64 s[6:7], vcc
	s_xor_b64 s[10:11], exec, s[6:7]
	s_cbranch_execz .LBB30_169
; %bb.148:
	v_mov_b32_e32 v2, 0
	v_cmp_gt_f32_e32 vcc, 0, v16
	s_mov_b64 s[14:15], -1
	s_and_saveexec_b64 s[12:13], vcc
	s_cbranch_execz .LBB30_156
; %bb.149:
	v_trunc_f32_e32 v2, v16
	v_cmp_neq_f32_e32 vcc, v2, v16
	s_mov_b64 s[16:17], 0
	v_mov_b32_e32 v2, 0
	s_and_saveexec_b64 s[14:15], vcc
	s_cbranch_execz .LBB30_155
; %bb.150:
	v_cvt_f64_f32_e32 v[2:3], v16
	s_mov_b32 s6, 0
	s_mov_b32 s17, 0xc00921fb
	;; [unrolled: 1-line block ×3, first 2 shown]
	v_trunc_f64_e32 v[6:7], v[2:3]
	s_mov_b32 s7, 0x7ff00000
	v_cmp_neq_f64_e64 vcc, |v[2:3]|, s[6:7]
	v_bfrev_b32_e32 v8, 1
	s_mov_b32 s18, 0
	s_mov_b32 s19, 0x41d00000
                                        ; implicit-def: $vgpr18
	v_add_f64 v[6:7], v[2:3], -v[6:7]
	v_mul_f64 v[6:7], |v[6:7]|, s[16:17]
	v_cndmask_b32_e32 v3, v8, v7, vcc
	v_cndmask_b32_e32 v2, 0, v6, vcc
	v_cmp_nlt_f64_e64 s[18:19], |v[2:3]|, s[18:19]
                                        ; implicit-def: $vgpr6_vgpr7
                                        ; implicit-def: $vgpr8_vgpr9
	s_and_saveexec_b64 s[22:23], s[18:19]
	s_xor_b64 s[18:19], exec, s[22:23]
	s_cbranch_execz .LBB30_152
; %bb.151:
	v_trig_preop_f64 v[6:7], |v[2:3]|, 0
	s_mov_b32 s22, 0
	s_mov_b32 s23, 0x7b000000
	s_movk_i32 s17, 0xff80
	v_cmp_ge_f64_e64 vcc, |v[2:3]|, s[22:23]
	v_ldexp_f64 v[21:22], |v[2:3]|, s17
	v_trig_preop_f64 v[8:9], |v[2:3]|, 1
	v_and_b32_e32 v18, 0x7fffffff, v3
	s_mov_b32 s17, 0x3ff921fb
	v_cndmask_b32_e32 v22, v18, v22, vcc
	v_cndmask_b32_e32 v21, v2, v21, vcc
	v_mov_b32_e32 v18, 0x40100000
	v_mul_f64 v[25:26], v[6:7], v[21:22]
	v_mul_f64 v[23:24], v[8:9], v[21:22]
	v_fma_f64 v[6:7], v[6:7], v[21:22], -v[25:26]
	v_fma_f64 v[8:9], v[8:9], v[21:22], -v[23:24]
	v_add_f64 v[27:28], v[23:24], v[6:7]
	v_add_f64 v[35:36], v[27:28], -v[23:24]
	v_add_f64 v[29:30], v[25:26], v[27:28]
	v_add_f64 v[6:7], v[6:7], -v[35:36]
	v_add_f64 v[35:36], v[27:28], -v[35:36]
	v_ldexp_f64 v[31:32], v[29:30], -2
	v_add_f64 v[25:26], v[29:30], -v[25:26]
	v_add_f64 v[35:36], v[23:24], -v[35:36]
	v_trig_preop_f64 v[23:24], |v[2:3]|, 2
	v_fract_f64_e32 v[33:34], v[31:32]
	v_add_f64 v[25:26], v[27:28], -v[25:26]
	v_cmp_neq_f64_e64 vcc, |v[31:32]|, s[6:7]
	v_add_f64 v[6:7], v[6:7], v[35:36]
	v_mul_f64 v[35:36], v[23:24], v[21:22]
	v_add_f64 v[37:38], v[35:36], v[8:9]
	v_add_f64 v[48:49], v[37:38], v[6:7]
	v_add_f64 v[29:30], v[48:49], -v[37:38]
	v_add_f64 v[27:28], v[25:26], v[48:49]
	v_add_f64 v[6:7], v[6:7], -v[29:30]
	v_add_f64 v[29:30], v[48:49], -v[29:30]
	;; [unrolled: 1-line block ×5, first 2 shown]
	v_add_f64 v[6:7], v[6:7], v[29:30]
	v_add_f64 v[29:30], v[37:38], -v[35:36]
	v_add_f64 v[8:9], v[8:9], -v[29:30]
	;; [unrolled: 1-line block ×4, first 2 shown]
	v_add_f64 v[8:9], v[8:9], v[29:30]
	v_add_f64 v[6:7], v[8:9], v[6:7]
	v_fma_f64 v[8:9], v[23:24], v[21:22], -v[35:36]
	v_add_f64 v[6:7], v[8:9], v[6:7]
	v_ldexp_f64 v[8:9], v[33:34], 2
	v_add_f64 v[6:7], v[25:26], v[6:7]
	v_cndmask_b32_e32 v9, 0, v9, vcc
	v_cndmask_b32_e32 v8, 0, v8, vcc
	v_add_f64 v[21:22], v[27:28], v[8:9]
	v_cmp_gt_f64_e32 vcc, 0, v[21:22]
	v_mov_b32_e32 v21, 0
	v_cndmask_b32_e32 v22, 0, v18, vcc
	v_add_f64 v[8:9], v[8:9], v[21:22]
	v_add_f64 v[22:23], v[27:28], v[8:9]
	v_cvt_i32_f64_e32 v18, v[22:23]
	v_cvt_f64_i32_e32 v[22:23], v18
	v_add_f64 v[8:9], v[8:9], -v[22:23]
	v_add_f64 v[23:24], v[27:28], v[8:9]
	v_add_f64 v[8:9], v[23:24], -v[8:9]
	v_cmp_le_f64_e32 vcc, 0.5, v[23:24]
	v_add_f64 v[8:9], v[27:28], -v[8:9]
	v_addc_co_u32_e64 v18, s[6:7], 0, v18, vcc
	s_mov_b32 s6, 0x33145c07
	s_mov_b32 s7, 0x3c91a626
	v_add_f64 v[6:7], v[6:7], v[8:9]
	v_mov_b32_e32 v8, 0x3ff00000
	v_cndmask_b32_e32 v22, 0, v8, vcc
	v_add_f64 v[8:9], v[23:24], -v[21:22]
	v_add_f64 v[21:22], v[8:9], v[6:7]
	v_add_f64 v[8:9], v[21:22], -v[8:9]
	v_add_f64 v[6:7], v[6:7], -v[8:9]
	v_mul_f64 v[8:9], v[21:22], s[16:17]
	v_fma_f64 v[23:24], v[21:22], s[16:17], -v[8:9]
	v_fma_f64 v[21:22], v[21:22], s[6:7], v[23:24]
	v_fma_f64 v[21:22], v[6:7], s[16:17], v[21:22]
	v_add_f64 v[6:7], v[8:9], v[21:22]
	v_add_f64 v[8:9], v[6:7], -v[8:9]
	v_add_f64 v[8:9], v[21:22], -v[8:9]
.LBB30_152:
	s_andn2_saveexec_b64 s[6:7], s[18:19]
	s_cbranch_execz .LBB30_154
; %bb.153:
	s_mov_b32 s16, 0x6dc9c883
	s_mov_b32 s17, 0x3fe45f30
	v_mul_f64 v[6:7], |v[2:3]|, s[16:17]
	s_mov_b32 s16, 0x54442d18
	s_mov_b32 s17, 0xbff921fb
	;; [unrolled: 1-line block ×4, first 2 shown]
	v_rndne_f64_e32 v[21:22], v[6:7]
	v_fma_f64 v[6:7], v[21:22], s[16:17], |v[2:3]|
	v_mul_f64 v[8:9], v[21:22], s[18:19]
	s_mov_b32 s16, 0x252049c0
	s_mov_b32 s17, 0xb97b839a
	v_cvt_i32_f64_e32 v18, v[21:22]
	v_fma_f64 v[27:28], v[21:22], s[18:19], v[6:7]
	v_add_f64 v[23:24], v[6:7], v[8:9]
	s_mov_b32 s19, 0x3c91a626
	v_add_f64 v[25:26], v[6:7], -v[23:24]
	v_add_f64 v[23:24], v[23:24], -v[27:28]
	v_add_f64 v[6:7], v[25:26], v[8:9]
	v_fma_f64 v[8:9], v[21:22], s[18:19], v[8:9]
	v_add_f64 v[6:7], v[23:24], v[6:7]
	v_add_f64 v[6:7], v[6:7], -v[8:9]
	v_fma_f64 v[8:9], v[21:22], s[16:17], v[6:7]
	v_add_f64 v[6:7], v[27:28], v[8:9]
	v_add_f64 v[23:24], v[6:7], -v[27:28]
	v_add_f64 v[8:9], v[8:9], -v[23:24]
.LBB30_154:
	s_or_b64 exec, exec, s[6:7]
	v_mul_f64 v[21:22], v[6:7], v[6:7]
	v_add_f64 v[23:24], v[8:9], v[8:9]
	s_mov_b32 s6, 0xc751c08c
	s_mov_b32 s7, 0x3ef5e089
	v_and_b32_e32 v18, 1, v18
	v_cmp_eq_u32_e32 vcc, 0, v18
	s_mov_b32 s18, 0x54442d18
	s_mov_b32 s19, 0xc00921fb
	v_fma_f64 v[25:26], v[6:7], v[6:7], -v[21:22]
	s_mov_b64 s[16:17], exec
	v_sub_f32_e32 v16, 1.0, v16
	v_fma_f64 v[23:24], v[6:7], v[23:24], v[25:26]
	v_add_f64 v[21:22], v[21:22], v[23:24]
	v_mov_b32_e32 v23, 0xa9a29f71
	v_mov_b32_e32 v24, 0xbf078809
	v_fma_f64 v[23:24], v[21:22], s[6:7], v[23:24]
	s_mov_b32 s6, 0x90a8aae0
	s_mov_b32 s7, 0x3f17746f
	v_fma_f64 v[23:24], v[21:22], v[23:24], s[6:7]
	s_mov_b32 s6, 0xa6fbf144
	s_mov_b32 s7, 0xbefbb44d
	;; [unrolled: 3-line block ×12, first 2 shown]
	v_fma_f64 v[23:24], v[21:22], v[23:24], s[6:7]
	s_movk_i32 s6, 0x1f8
	v_cmp_class_f64_e64 s[6:7], v[2:3], s6
	v_mul_f64 v[21:22], v[21:22], v[23:24]
	v_mul_f64 v[23:24], v[6:7], v[21:22]
	v_add_f64 v[25:26], v[6:7], v[23:24]
	v_fma_f64 v[21:22], v[6:7], v[21:22], -v[23:24]
	v_add_f64 v[6:7], v[25:26], -v[6:7]
	v_add_f64 v[8:9], v[8:9], v[21:22]
	v_add_f64 v[6:7], v[23:24], -v[6:7]
	v_add_f64 v[6:7], v[8:9], v[6:7]
	v_add_f64 v[8:9], v[25:26], v[6:7]
	v_rcp_f64_e32 v[21:22], v[8:9]
	v_fma_f64 v[23:24], -v[8:9], v[21:22], 1.0
	v_fma_f64 v[21:22], v[23:24], v[21:22], v[21:22]
	v_fma_f64 v[23:24], -v[8:9], v[21:22], 1.0
	v_fma_f64 v[21:22], v[23:24], v[21:22], v[21:22]
	v_add_f64 v[23:24], v[8:9], -v[25:26]
	v_mul_f64 v[25:26], v[8:9], v[21:22]
	v_add_f64 v[6:7], v[6:7], -v[23:24]
	v_fma_f64 v[23:24], v[21:22], v[8:9], -v[25:26]
	v_fma_f64 v[6:7], v[21:22], v[6:7], v[23:24]
	v_add_f64 v[23:24], v[25:26], v[6:7]
	v_add_f64 v[27:28], -v[23:24], 1.0
	v_add_f64 v[25:26], v[23:24], -v[25:26]
	v_add_f64 v[29:30], -v[27:28], 1.0
	v_add_f64 v[6:7], v[25:26], -v[6:7]
	v_add_f64 v[23:24], v[29:30], -v[23:24]
	v_add_f64 v[6:7], v[6:7], v[23:24]
	v_add_f64 v[6:7], v[27:28], v[6:7]
	v_mul_f64 v[6:7], v[21:22], v[6:7]
	v_add_f64 v[6:7], v[21:22], v[6:7]
	v_and_b32_e32 v21, 0x80000000, v3
	v_mov_b32_e32 v3, 0x7ff80000
	v_xor_b32_e32 v2, 0x80000000, v7
	v_cndmask_b32_e32 v6, v6, v8, vcc
	v_cndmask_b32_e32 v7, v2, v9, vcc
	v_cndmask_b32_e64 v2, 0, v6, s[6:7]
	v_xor_b32_e32 v6, v7, v21
	v_cndmask_b32_e64 v3, v3, v6, s[6:7]
	v_div_scale_f64 v[6:7], s[6:7], v[2:3], v[2:3], s[18:19]
	v_div_scale_f64 v[23:24], vcc, s[18:19], v[2:3], s[18:19]
	v_rcp_f64_e32 v[8:9], v[6:7]
	v_fma_f64 v[21:22], -v[6:7], v[8:9], 1.0
	v_fma_f64 v[8:9], v[8:9], v[21:22], v[8:9]
	v_fma_f64 v[21:22], -v[6:7], v[8:9], 1.0
	v_fma_f64 v[8:9], v[8:9], v[21:22], v[8:9]
	v_mul_f64 v[21:22], v[23:24], v[8:9]
	v_fma_f64 v[6:7], -v[6:7], v[21:22], v[23:24]
	v_div_fmas_f64 v[6:7], v[6:7], v[8:9], v[21:22]
	v_div_fixup_f64 v[2:3], v[6:7], v[2:3], s[18:19]
	v_cvt_f32_f64_e32 v2, v[2:3]
.LBB30_155:
	s_or_b64 exec, exec, s[14:15]
	s_orn2_b64 s[14:15], s[16:17], exec
.LBB30_156:
	s_or_b64 exec, exec, s[12:13]
	v_mov_b32_e32 v18, 0x7fc0
	s_and_saveexec_b64 s[6:7], s[14:15]
	s_cbranch_execz .LBB30_168
; %bb.157:
	s_mov_b32 s16, 0x41200000
	v_cmp_gt_f32_e32 vcc, s16, v16
	s_and_saveexec_b64 s[12:13], vcc
	s_cbranch_execz .LBB30_161
; %bb.158:
	s_mov_b64 s[14:15], 0
.LBB30_159:                             ; =>This Inner Loop Header: Depth=1
	v_div_scale_f32 v3, s[18:19], v16, v16, 1.0
	v_div_scale_f32 v6, vcc, 1.0, v16, 1.0
	v_rcp_f32_e32 v7, v3
	v_fma_f32 v8, -v3, v7, 1.0
	v_fmac_f32_e32 v7, v8, v7
	v_mul_f32_e32 v8, v6, v7
	v_fma_f32 v9, -v3, v8, v6
	v_fmac_f32_e32 v8, v9, v7
	v_fma_f32 v3, -v3, v8, v6
	v_div_fmas_f32 v3, v3, v7, v8
	v_div_fixup_f32 v3, v3, v16, 1.0
	v_add_f32_e32 v16, 1.0, v16
	v_cmp_ngt_f32_e32 vcc, s16, v16
	s_or_b64 s[14:15], vcc, s[14:15]
	v_sub_f32_e32 v2, v2, v3
	s_andn2_b64 exec, exec, s[14:15]
	s_cbranch_execnz .LBB30_159
; %bb.160:
	s_or_b64 exec, exec, s[14:15]
.LBB30_161:
	s_or_b64 exec, exec, s[12:13]
	s_mov_b32 s12, 0x41200000
	v_cmp_neq_f32_e32 vcc, s12, v16
                                        ; implicit-def: $vgpr18
	s_and_saveexec_b64 s[12:13], vcc
	s_xor_b64 s[12:13], exec, s[12:13]
	s_cbranch_execz .LBB30_165
; %bb.162:
	v_cvt_f64_f32_e32 v[6:7], v16
	s_mov_b32 s14, 0x85d8a000
	s_mov_b32 s15, 0x43763457
	v_mov_b32_e32 v3, 0
	v_cmp_gt_f64_e32 vcc, s[14:15], v[6:7]
	s_and_saveexec_b64 s[14:15], vcc
	s_cbranch_execz .LBB30_164
; %bb.163:
	v_mul_f32_e32 v3, v16, v16
	v_div_scale_f32 v6, s[16:17], v3, v3, 1.0
	v_div_scale_f32 v7, vcc, 1.0, v3, 1.0
	v_mov_b32_e32 v21, 0x3b820821
	v_rcp_f32_e32 v8, v6
	v_fma_f32 v9, -v6, v8, 1.0
	v_fmac_f32_e32 v8, v9, v8
	v_mul_f32_e32 v9, v7, v8
	v_fma_f32 v18, -v6, v9, v7
	v_fmac_f32_e32 v9, v18, v8
	v_fma_f32 v6, -v6, v9, v7
	v_div_fmas_f32 v6, v6, v8, v9
	v_mov_b32_e32 v7, 0x3daaaaab
	v_mov_b32_e32 v8, 0xbcaccacd
	;; [unrolled: 1-line block ×4, first 2 shown]
	v_div_fixup_f32 v3, v6, v3, 1.0
	v_fma_f32 v6, 0, v3, v7
	v_fmac_f32_e32 v8, v3, v6
	v_fmac_f32_e32 v9, v3, v8
	;; [unrolled: 1-line block ×4, first 2 shown]
	v_mov_b32_e32 v6, 0xbc088889
	v_fmac_f32_e32 v6, v3, v21
	v_fmac_f32_e32 v7, v3, v6
	v_mul_f32_e32 v3, v3, v7
.LBB30_164:
	s_or_b64 exec, exec, s[14:15]
	v_div_scale_f32 v6, s[14:15], v16, v16, -0.5
	v_div_scale_f32 v7, vcc, -0.5, v16, -0.5
	s_mov_b32 s14, 0x800000
	s_mov_b32 s15, 0x3f317217
	;; [unrolled: 1-line block ×3, first 2 shown]
	v_rcp_f32_e32 v8, v6
	v_fma_f32 v9, -v6, v8, 1.0
	v_fmac_f32_e32 v8, v9, v8
	v_mul_f32_e32 v9, v7, v8
	v_fma_f32 v18, -v6, v9, v7
	v_fmac_f32_e32 v9, v18, v8
	v_fma_f32 v6, -v6, v9, v7
	v_div_fmas_f32 v6, v6, v8, v9
	v_cmp_gt_f32_e32 vcc, s14, v16
	v_cndmask_b32_e64 v8, 0, 32, vcc
	v_ldexp_f32 v8, v16, v8
	v_log_f32_e32 v8, v8
	v_mov_b32_e32 v7, 0x41b17218
	v_cndmask_b32_e32 v7, 0, v7, vcc
	s_movk_i32 s14, 0x7fff
	v_mul_f32_e32 v18, 0x3f317217, v8
	v_fma_f32 v18, v8, s15, -v18
	v_fmac_f32_e32 v18, 0x3377d1cf, v8
	v_fmac_f32_e32 v18, 0x3f317217, v8
	v_cmp_lt_f32_e64 vcc, |v8|, s16
	v_cndmask_b32_e32 v8, v8, v18, vcc
	v_sub_f32_e32 v7, v8, v7
	v_mov_b32_e32 v9, 0x7fc0
	v_div_fixup_f32 v6, v6, v16, -0.5
	v_add_f32_e32 v6, v7, v6
	v_sub_f32_e32 v3, v6, v3
	v_add_f32_e32 v2, v2, v3
	v_bfe_u32 v3, v2, 16, 1
	v_cmp_o_f32_e32 vcc, v2, v2
	v_add3_u32 v2, v2, v3, s14
	v_cndmask_b32_sdwa v18, v9, v2, vcc dst_sel:DWORD dst_unused:UNUSED_PAD src0_sel:DWORD src1_sel:WORD_1
                                        ; implicit-def: $vgpr2
.LBB30_165:
	s_andn2_saveexec_b64 s[12:13], s[12:13]
; %bb.166:
	v_add_f32_e32 v2, 0x40101cb7, v2
	v_bfe_u32 v3, v2, 16, 1
	s_movk_i32 s14, 0x7fff
	v_add3_u32 v3, v2, v3, s14
	v_cmp_o_f32_e32 vcc, v2, v2
	v_mov_b32_e32 v2, 0x7fc0
	v_cndmask_b32_sdwa v18, v2, v3, vcc dst_sel:DWORD dst_unused:UNUSED_PAD src0_sel:DWORD src1_sel:WORD_1
; %bb.167:
	s_or_b64 exec, exec, s[12:13]
.LBB30_168:
	s_or_b64 exec, exec, s[6:7]
                                        ; implicit-def: $vgpr16
.LBB30_169:
	s_andn2_saveexec_b64 s[6:7], s[10:11]
; %bb.170:
	v_xor_b32_e32 v2, 0x80000000, v16
	v_and_b32_e32 v2, 0x80000000, v2
	v_or_b32_e32 v2, 0x7f800000, v2
	v_lshrrev_b32_e32 v18, 16, v2
; %bb.171:
	s_or_b64 exec, exec, s[6:7]
.LBB30_172:
	s_or_b64 exec, exec, s[8:9]
	v_add_u32_e32 v2, 0x600, v10
	v_cmp_lt_i32_e32 vcc, v2, v4
                                        ; implicit-def: $vgpr16
	s_and_saveexec_b64 s[8:9], vcc
	s_cbranch_execz .LBB30_198
; %bb.173:
	v_cmp_neq_f32_e32 vcc, 0, v14
                                        ; implicit-def: $vgpr16
	s_and_saveexec_b64 s[6:7], vcc
	s_xor_b64 s[10:11], exec, s[6:7]
	s_cbranch_execz .LBB30_195
; %bb.174:
	v_mov_b32_e32 v2, 0
	v_cmp_gt_f32_e32 vcc, 0, v14
	s_mov_b64 s[14:15], -1
	s_and_saveexec_b64 s[12:13], vcc
	s_cbranch_execz .LBB30_182
; %bb.175:
	v_trunc_f32_e32 v2, v14
	v_cmp_neq_f32_e32 vcc, v2, v14
	s_mov_b64 s[16:17], 0
	v_mov_b32_e32 v2, 0
	s_and_saveexec_b64 s[14:15], vcc
	s_cbranch_execz .LBB30_181
; %bb.176:
	v_cvt_f64_f32_e32 v[2:3], v14
	s_mov_b32 s6, 0
	s_mov_b32 s17, 0xc00921fb
	;; [unrolled: 1-line block ×3, first 2 shown]
	v_trunc_f64_e32 v[6:7], v[2:3]
	s_mov_b32 s7, 0x7ff00000
	v_cmp_neq_f64_e64 vcc, |v[2:3]|, s[6:7]
	v_bfrev_b32_e32 v8, 1
	s_mov_b32 s18, 0
	s_mov_b32 s19, 0x41d00000
                                        ; implicit-def: $vgpr16
	v_add_f64 v[6:7], v[2:3], -v[6:7]
	v_mul_f64 v[6:7], |v[6:7]|, s[16:17]
	v_cndmask_b32_e32 v3, v8, v7, vcc
	v_cndmask_b32_e32 v2, 0, v6, vcc
	v_cmp_nlt_f64_e64 s[18:19], |v[2:3]|, s[18:19]
                                        ; implicit-def: $vgpr6_vgpr7
                                        ; implicit-def: $vgpr8_vgpr9
	s_and_saveexec_b64 s[22:23], s[18:19]
	s_xor_b64 s[18:19], exec, s[22:23]
	s_cbranch_execz .LBB30_178
; %bb.177:
	v_trig_preop_f64 v[6:7], |v[2:3]|, 0
	s_mov_b32 s22, 0
	s_mov_b32 s23, 0x7b000000
	s_movk_i32 s17, 0xff80
	v_cmp_ge_f64_e64 vcc, |v[2:3]|, s[22:23]
	v_ldexp_f64 v[21:22], |v[2:3]|, s17
	v_trig_preop_f64 v[8:9], |v[2:3]|, 1
	v_and_b32_e32 v16, 0x7fffffff, v3
	s_mov_b32 s17, 0x3ff921fb
	v_cndmask_b32_e32 v22, v16, v22, vcc
	v_cndmask_b32_e32 v21, v2, v21, vcc
	v_mov_b32_e32 v16, 0x40100000
	v_mul_f64 v[25:26], v[6:7], v[21:22]
	v_mul_f64 v[23:24], v[8:9], v[21:22]
	v_fma_f64 v[6:7], v[6:7], v[21:22], -v[25:26]
	v_fma_f64 v[8:9], v[8:9], v[21:22], -v[23:24]
	v_add_f64 v[27:28], v[23:24], v[6:7]
	v_add_f64 v[35:36], v[27:28], -v[23:24]
	v_add_f64 v[29:30], v[25:26], v[27:28]
	v_add_f64 v[6:7], v[6:7], -v[35:36]
	v_add_f64 v[35:36], v[27:28], -v[35:36]
	v_ldexp_f64 v[31:32], v[29:30], -2
	v_add_f64 v[25:26], v[29:30], -v[25:26]
	v_add_f64 v[35:36], v[23:24], -v[35:36]
	v_trig_preop_f64 v[23:24], |v[2:3]|, 2
	v_fract_f64_e32 v[33:34], v[31:32]
	v_add_f64 v[25:26], v[27:28], -v[25:26]
	v_cmp_neq_f64_e64 vcc, |v[31:32]|, s[6:7]
	v_add_f64 v[6:7], v[6:7], v[35:36]
	v_mul_f64 v[35:36], v[23:24], v[21:22]
	v_add_f64 v[37:38], v[35:36], v[8:9]
	v_add_f64 v[48:49], v[37:38], v[6:7]
	v_add_f64 v[29:30], v[48:49], -v[37:38]
	v_add_f64 v[27:28], v[25:26], v[48:49]
	v_add_f64 v[6:7], v[6:7], -v[29:30]
	v_add_f64 v[29:30], v[48:49], -v[29:30]
	;; [unrolled: 1-line block ×5, first 2 shown]
	v_add_f64 v[6:7], v[6:7], v[29:30]
	v_add_f64 v[29:30], v[37:38], -v[35:36]
	v_add_f64 v[8:9], v[8:9], -v[29:30]
	;; [unrolled: 1-line block ×4, first 2 shown]
	v_add_f64 v[8:9], v[8:9], v[29:30]
	v_add_f64 v[6:7], v[8:9], v[6:7]
	v_fma_f64 v[8:9], v[23:24], v[21:22], -v[35:36]
	v_add_f64 v[6:7], v[8:9], v[6:7]
	v_ldexp_f64 v[8:9], v[33:34], 2
	v_add_f64 v[6:7], v[25:26], v[6:7]
	v_cndmask_b32_e32 v9, 0, v9, vcc
	v_cndmask_b32_e32 v8, 0, v8, vcc
	v_add_f64 v[21:22], v[27:28], v[8:9]
	v_cmp_gt_f64_e32 vcc, 0, v[21:22]
	v_mov_b32_e32 v21, 0
	v_cndmask_b32_e32 v22, 0, v16, vcc
	v_add_f64 v[8:9], v[8:9], v[21:22]
	v_add_f64 v[22:23], v[27:28], v[8:9]
	v_cvt_i32_f64_e32 v16, v[22:23]
	v_cvt_f64_i32_e32 v[22:23], v16
	v_add_f64 v[8:9], v[8:9], -v[22:23]
	v_add_f64 v[23:24], v[27:28], v[8:9]
	v_add_f64 v[8:9], v[23:24], -v[8:9]
	v_cmp_le_f64_e32 vcc, 0.5, v[23:24]
	v_add_f64 v[8:9], v[27:28], -v[8:9]
	v_addc_co_u32_e64 v16, s[6:7], 0, v16, vcc
	s_mov_b32 s6, 0x33145c07
	s_mov_b32 s7, 0x3c91a626
	v_add_f64 v[6:7], v[6:7], v[8:9]
	v_mov_b32_e32 v8, 0x3ff00000
	v_cndmask_b32_e32 v22, 0, v8, vcc
	v_add_f64 v[8:9], v[23:24], -v[21:22]
	v_add_f64 v[21:22], v[8:9], v[6:7]
	v_add_f64 v[8:9], v[21:22], -v[8:9]
	v_add_f64 v[6:7], v[6:7], -v[8:9]
	v_mul_f64 v[8:9], v[21:22], s[16:17]
	v_fma_f64 v[23:24], v[21:22], s[16:17], -v[8:9]
	v_fma_f64 v[21:22], v[21:22], s[6:7], v[23:24]
	v_fma_f64 v[21:22], v[6:7], s[16:17], v[21:22]
	v_add_f64 v[6:7], v[8:9], v[21:22]
	v_add_f64 v[8:9], v[6:7], -v[8:9]
	v_add_f64 v[8:9], v[21:22], -v[8:9]
.LBB30_178:
	s_andn2_saveexec_b64 s[6:7], s[18:19]
	s_cbranch_execz .LBB30_180
; %bb.179:
	s_mov_b32 s16, 0x6dc9c883
	s_mov_b32 s17, 0x3fe45f30
	v_mul_f64 v[6:7], |v[2:3]|, s[16:17]
	s_mov_b32 s16, 0x54442d18
	s_mov_b32 s17, 0xbff921fb
	s_mov_b32 s19, 0xbc91a626
	s_mov_b32 s18, 0x33145c00
	v_rndne_f64_e32 v[21:22], v[6:7]
	v_fma_f64 v[6:7], v[21:22], s[16:17], |v[2:3]|
	v_mul_f64 v[8:9], v[21:22], s[18:19]
	s_mov_b32 s16, 0x252049c0
	s_mov_b32 s17, 0xb97b839a
	v_cvt_i32_f64_e32 v16, v[21:22]
	v_fma_f64 v[27:28], v[21:22], s[18:19], v[6:7]
	v_add_f64 v[23:24], v[6:7], v[8:9]
	s_mov_b32 s19, 0x3c91a626
	v_add_f64 v[25:26], v[6:7], -v[23:24]
	v_add_f64 v[23:24], v[23:24], -v[27:28]
	v_add_f64 v[6:7], v[25:26], v[8:9]
	v_fma_f64 v[8:9], v[21:22], s[18:19], v[8:9]
	v_add_f64 v[6:7], v[23:24], v[6:7]
	v_add_f64 v[6:7], v[6:7], -v[8:9]
	v_fma_f64 v[8:9], v[21:22], s[16:17], v[6:7]
	v_add_f64 v[6:7], v[27:28], v[8:9]
	v_add_f64 v[23:24], v[6:7], -v[27:28]
	v_add_f64 v[8:9], v[8:9], -v[23:24]
.LBB30_180:
	s_or_b64 exec, exec, s[6:7]
	v_mul_f64 v[21:22], v[6:7], v[6:7]
	v_add_f64 v[23:24], v[8:9], v[8:9]
	s_mov_b32 s6, 0xc751c08c
	s_mov_b32 s7, 0x3ef5e089
	v_and_b32_e32 v16, 1, v16
	v_cmp_eq_u32_e32 vcc, 0, v16
	s_mov_b32 s18, 0x54442d18
	s_mov_b32 s19, 0xc00921fb
	v_fma_f64 v[25:26], v[6:7], v[6:7], -v[21:22]
	s_mov_b64 s[16:17], exec
	v_sub_f32_e32 v14, 1.0, v14
	v_fma_f64 v[23:24], v[6:7], v[23:24], v[25:26]
	v_add_f64 v[21:22], v[21:22], v[23:24]
	v_mov_b32_e32 v23, 0xa9a29f71
	v_mov_b32_e32 v24, 0xbf078809
	v_fma_f64 v[23:24], v[21:22], s[6:7], v[23:24]
	s_mov_b32 s6, 0x90a8aae0
	s_mov_b32 s7, 0x3f17746f
	v_fma_f64 v[23:24], v[21:22], v[23:24], s[6:7]
	s_mov_b32 s6, 0xa6fbf144
	s_mov_b32 s7, 0xbefbb44d
	;; [unrolled: 3-line block ×12, first 2 shown]
	v_fma_f64 v[23:24], v[21:22], v[23:24], s[6:7]
	s_movk_i32 s6, 0x1f8
	v_cmp_class_f64_e64 s[6:7], v[2:3], s6
	v_mul_f64 v[21:22], v[21:22], v[23:24]
	v_mul_f64 v[23:24], v[6:7], v[21:22]
	v_add_f64 v[25:26], v[6:7], v[23:24]
	v_fma_f64 v[21:22], v[6:7], v[21:22], -v[23:24]
	v_add_f64 v[6:7], v[25:26], -v[6:7]
	v_add_f64 v[8:9], v[8:9], v[21:22]
	v_add_f64 v[6:7], v[23:24], -v[6:7]
	v_add_f64 v[6:7], v[8:9], v[6:7]
	v_add_f64 v[8:9], v[25:26], v[6:7]
	v_rcp_f64_e32 v[21:22], v[8:9]
	v_fma_f64 v[23:24], -v[8:9], v[21:22], 1.0
	v_fma_f64 v[21:22], v[23:24], v[21:22], v[21:22]
	v_fma_f64 v[23:24], -v[8:9], v[21:22], 1.0
	v_fma_f64 v[21:22], v[23:24], v[21:22], v[21:22]
	v_add_f64 v[23:24], v[8:9], -v[25:26]
	v_mul_f64 v[25:26], v[8:9], v[21:22]
	v_add_f64 v[6:7], v[6:7], -v[23:24]
	v_fma_f64 v[23:24], v[21:22], v[8:9], -v[25:26]
	v_fma_f64 v[6:7], v[21:22], v[6:7], v[23:24]
	v_add_f64 v[23:24], v[25:26], v[6:7]
	v_add_f64 v[27:28], -v[23:24], 1.0
	v_add_f64 v[25:26], v[23:24], -v[25:26]
	v_add_f64 v[29:30], -v[27:28], 1.0
	v_add_f64 v[6:7], v[25:26], -v[6:7]
	v_add_f64 v[23:24], v[29:30], -v[23:24]
	v_add_f64 v[6:7], v[6:7], v[23:24]
	v_add_f64 v[6:7], v[27:28], v[6:7]
	v_mul_f64 v[6:7], v[21:22], v[6:7]
	v_add_f64 v[6:7], v[21:22], v[6:7]
	v_and_b32_e32 v21, 0x80000000, v3
	v_mov_b32_e32 v3, 0x7ff80000
	v_xor_b32_e32 v2, 0x80000000, v7
	v_cndmask_b32_e32 v6, v6, v8, vcc
	v_cndmask_b32_e32 v7, v2, v9, vcc
	v_cndmask_b32_e64 v2, 0, v6, s[6:7]
	v_xor_b32_e32 v6, v7, v21
	v_cndmask_b32_e64 v3, v3, v6, s[6:7]
	v_div_scale_f64 v[6:7], s[6:7], v[2:3], v[2:3], s[18:19]
	v_div_scale_f64 v[23:24], vcc, s[18:19], v[2:3], s[18:19]
	v_rcp_f64_e32 v[8:9], v[6:7]
	v_fma_f64 v[21:22], -v[6:7], v[8:9], 1.0
	v_fma_f64 v[8:9], v[8:9], v[21:22], v[8:9]
	v_fma_f64 v[21:22], -v[6:7], v[8:9], 1.0
	v_fma_f64 v[8:9], v[8:9], v[21:22], v[8:9]
	v_mul_f64 v[21:22], v[23:24], v[8:9]
	v_fma_f64 v[6:7], -v[6:7], v[21:22], v[23:24]
	v_div_fmas_f64 v[6:7], v[6:7], v[8:9], v[21:22]
	v_div_fixup_f64 v[2:3], v[6:7], v[2:3], s[18:19]
	v_cvt_f32_f64_e32 v2, v[2:3]
.LBB30_181:
	s_or_b64 exec, exec, s[14:15]
	s_orn2_b64 s[14:15], s[16:17], exec
.LBB30_182:
	s_or_b64 exec, exec, s[12:13]
	v_mov_b32_e32 v16, 0x7fc0
	s_and_saveexec_b64 s[6:7], s[14:15]
	s_cbranch_execz .LBB30_194
; %bb.183:
	s_mov_b32 s16, 0x41200000
	v_cmp_gt_f32_e32 vcc, s16, v14
	s_and_saveexec_b64 s[12:13], vcc
	s_cbranch_execz .LBB30_187
; %bb.184:
	s_mov_b64 s[14:15], 0
.LBB30_185:                             ; =>This Inner Loop Header: Depth=1
	v_div_scale_f32 v3, s[18:19], v14, v14, 1.0
	v_div_scale_f32 v6, vcc, 1.0, v14, 1.0
	v_rcp_f32_e32 v7, v3
	v_fma_f32 v8, -v3, v7, 1.0
	v_fmac_f32_e32 v7, v8, v7
	v_mul_f32_e32 v8, v6, v7
	v_fma_f32 v9, -v3, v8, v6
	v_fmac_f32_e32 v8, v9, v7
	v_fma_f32 v3, -v3, v8, v6
	v_div_fmas_f32 v3, v3, v7, v8
	v_div_fixup_f32 v3, v3, v14, 1.0
	v_add_f32_e32 v14, 1.0, v14
	v_cmp_ngt_f32_e32 vcc, s16, v14
	s_or_b64 s[14:15], vcc, s[14:15]
	v_sub_f32_e32 v2, v2, v3
	s_andn2_b64 exec, exec, s[14:15]
	s_cbranch_execnz .LBB30_185
; %bb.186:
	s_or_b64 exec, exec, s[14:15]
.LBB30_187:
	s_or_b64 exec, exec, s[12:13]
	s_mov_b32 s12, 0x41200000
	v_cmp_neq_f32_e32 vcc, s12, v14
                                        ; implicit-def: $vgpr16
	s_and_saveexec_b64 s[12:13], vcc
	s_xor_b64 s[12:13], exec, s[12:13]
	s_cbranch_execz .LBB30_191
; %bb.188:
	v_cvt_f64_f32_e32 v[6:7], v14
	s_mov_b32 s14, 0x85d8a000
	s_mov_b32 s15, 0x43763457
	v_mov_b32_e32 v3, 0
	v_cmp_gt_f64_e32 vcc, s[14:15], v[6:7]
	s_and_saveexec_b64 s[14:15], vcc
	s_cbranch_execz .LBB30_190
; %bb.189:
	v_mul_f32_e32 v3, v14, v14
	v_div_scale_f32 v6, s[16:17], v3, v3, 1.0
	v_div_scale_f32 v7, vcc, 1.0, v3, 1.0
	v_mov_b32_e32 v21, 0x3b820821
	v_rcp_f32_e32 v8, v6
	v_fma_f32 v9, -v6, v8, 1.0
	v_fmac_f32_e32 v8, v9, v8
	v_mul_f32_e32 v9, v7, v8
	v_fma_f32 v16, -v6, v9, v7
	v_fmac_f32_e32 v9, v16, v8
	v_fma_f32 v6, -v6, v9, v7
	v_div_fmas_f32 v6, v6, v8, v9
	v_mov_b32_e32 v7, 0x3daaaaab
	v_mov_b32_e32 v8, 0xbcaccacd
	;; [unrolled: 1-line block ×4, first 2 shown]
	v_div_fixup_f32 v3, v6, v3, 1.0
	v_fma_f32 v6, 0, v3, v7
	v_fmac_f32_e32 v8, v3, v6
	v_fmac_f32_e32 v9, v3, v8
	;; [unrolled: 1-line block ×4, first 2 shown]
	v_mov_b32_e32 v6, 0xbc088889
	v_fmac_f32_e32 v6, v3, v21
	v_fmac_f32_e32 v7, v3, v6
	v_mul_f32_e32 v3, v3, v7
.LBB30_190:
	s_or_b64 exec, exec, s[14:15]
	v_div_scale_f32 v6, s[14:15], v14, v14, -0.5
	v_div_scale_f32 v7, vcc, -0.5, v14, -0.5
	s_mov_b32 s14, 0x800000
	s_mov_b32 s15, 0x3f317217
	;; [unrolled: 1-line block ×3, first 2 shown]
	v_rcp_f32_e32 v8, v6
	v_fma_f32 v9, -v6, v8, 1.0
	v_fmac_f32_e32 v8, v9, v8
	v_mul_f32_e32 v9, v7, v8
	v_fma_f32 v16, -v6, v9, v7
	v_fmac_f32_e32 v9, v16, v8
	v_fma_f32 v6, -v6, v9, v7
	v_div_fmas_f32 v6, v6, v8, v9
	v_cmp_gt_f32_e32 vcc, s14, v14
	v_cndmask_b32_e64 v8, 0, 32, vcc
	v_ldexp_f32 v8, v14, v8
	v_log_f32_e32 v8, v8
	v_mov_b32_e32 v7, 0x41b17218
	v_cndmask_b32_e32 v7, 0, v7, vcc
	s_movk_i32 s14, 0x7fff
	v_mul_f32_e32 v16, 0x3f317217, v8
	v_fma_f32 v16, v8, s15, -v16
	v_fmac_f32_e32 v16, 0x3377d1cf, v8
	v_fmac_f32_e32 v16, 0x3f317217, v8
	v_cmp_lt_f32_e64 vcc, |v8|, s16
	v_cndmask_b32_e32 v8, v8, v16, vcc
	v_sub_f32_e32 v7, v8, v7
	v_mov_b32_e32 v9, 0x7fc0
	v_div_fixup_f32 v6, v6, v14, -0.5
	v_add_f32_e32 v6, v7, v6
	v_sub_f32_e32 v3, v6, v3
	v_add_f32_e32 v2, v2, v3
	v_bfe_u32 v3, v2, 16, 1
	v_cmp_o_f32_e32 vcc, v2, v2
	v_add3_u32 v2, v2, v3, s14
	v_cndmask_b32_sdwa v16, v9, v2, vcc dst_sel:DWORD dst_unused:UNUSED_PAD src0_sel:DWORD src1_sel:WORD_1
                                        ; implicit-def: $vgpr2
.LBB30_191:
	s_andn2_saveexec_b64 s[12:13], s[12:13]
; %bb.192:
	v_add_f32_e32 v2, 0x40101cb7, v2
	v_bfe_u32 v3, v2, 16, 1
	s_movk_i32 s14, 0x7fff
	v_add3_u32 v3, v2, v3, s14
	v_cmp_o_f32_e32 vcc, v2, v2
	v_mov_b32_e32 v2, 0x7fc0
	v_cndmask_b32_sdwa v16, v2, v3, vcc dst_sel:DWORD dst_unused:UNUSED_PAD src0_sel:DWORD src1_sel:WORD_1
; %bb.193:
	s_or_b64 exec, exec, s[12:13]
.LBB30_194:
	s_or_b64 exec, exec, s[6:7]
                                        ; implicit-def: $vgpr14
.LBB30_195:
	s_andn2_saveexec_b64 s[6:7], s[10:11]
; %bb.196:
	v_xor_b32_e32 v2, 0x80000000, v14
	v_and_b32_e32 v2, 0x80000000, v2
	v_or_b32_e32 v2, 0x7f800000, v2
	v_lshrrev_b32_e32 v16, 16, v2
; %bb.197:
	s_or_b64 exec, exec, s[6:7]
.LBB30_198:
	s_or_b64 exec, exec, s[8:9]
	v_add_u32_e32 v2, 0x700, v10
	v_cmp_lt_i32_e32 vcc, v2, v4
                                        ; implicit-def: $vgpr3
	s_and_saveexec_b64 s[8:9], vcc
	s_cbranch_execnz .LBB30_208
; %bb.199:
	s_or_b64 exec, exec, s[8:9]
	s_and_saveexec_b64 s[6:7], s[4:5]
	s_xor_b64 s[4:5], exec, s[6:7]
	s_cbranch_execnz .LBB30_233
.LBB30_200:
	s_or_b64 exec, exec, s[4:5]
	v_cmp_lt_i32_e32 vcc, v10, v4
	s_and_saveexec_b64 s[4:5], vcc
	s_cbranch_execnz .LBB30_234
.LBB30_201:
	s_or_b64 exec, exec, s[4:5]
	v_cmp_lt_i32_e32 vcc, v10, v4
	s_and_saveexec_b64 s[4:5], vcc
	s_cbranch_execnz .LBB30_235
.LBB30_202:
	s_or_b64 exec, exec, s[4:5]
	v_cmp_lt_i32_e32 vcc, v10, v4
	s_and_saveexec_b64 s[4:5], vcc
	s_cbranch_execnz .LBB30_236
.LBB30_203:
	s_or_b64 exec, exec, s[4:5]
	v_cmp_lt_i32_e32 vcc, v10, v4
	s_and_saveexec_b64 s[4:5], vcc
	s_cbranch_execnz .LBB30_237
.LBB30_204:
	s_or_b64 exec, exec, s[4:5]
	v_cmp_lt_i32_e32 vcc, v10, v4
	s_and_saveexec_b64 s[4:5], vcc
	s_cbranch_execnz .LBB30_238
.LBB30_205:
	s_or_b64 exec, exec, s[4:5]
	v_cmp_lt_i32_e32 vcc, v10, v4
	s_and_saveexec_b64 s[4:5], vcc
	s_cbranch_execnz .LBB30_239
.LBB30_206:
	s_or_b64 exec, exec, s[4:5]
	v_cmp_lt_i32_e32 vcc, v10, v4
	s_and_saveexec_b64 s[4:5], vcc
	s_cbranch_execnz .LBB30_240
.LBB30_207:
	s_or_b64 exec, exec, s[4:5]
	s_waitcnt vmcnt(0) lgkmcnt(0)
	s_setpc_b64 s[30:31]
.LBB30_208:
	v_cmp_neq_f32_e32 vcc, 0, v11
                                        ; implicit-def: $vgpr3
	s_and_saveexec_b64 s[6:7], vcc
	s_xor_b64 s[10:11], exec, s[6:7]
	s_cbranch_execz .LBB30_230
; %bb.209:
	v_mov_b32_e32 v2, 0
	v_cmp_gt_f32_e32 vcc, 0, v11
	s_mov_b64 s[14:15], -1
	s_and_saveexec_b64 s[12:13], vcc
	s_cbranch_execz .LBB30_217
; %bb.210:
	v_trunc_f32_e32 v2, v11
	v_cmp_neq_f32_e32 vcc, v2, v11
	s_mov_b64 s[16:17], 0
	v_mov_b32_e32 v2, 0
	s_and_saveexec_b64 s[14:15], vcc
	s_cbranch_execz .LBB30_216
; %bb.211:
	v_cvt_f64_f32_e32 v[2:3], v11
	s_mov_b32 s6, 0
	s_mov_b32 s17, 0xc00921fb
	;; [unrolled: 1-line block ×3, first 2 shown]
	v_trunc_f64_e32 v[6:7], v[2:3]
	s_mov_b32 s7, 0x7ff00000
	v_cmp_neq_f64_e64 vcc, |v[2:3]|, s[6:7]
	v_bfrev_b32_e32 v8, 1
	s_mov_b32 s18, 0
	s_mov_b32 s19, 0x41d00000
                                        ; implicit-def: $vgpr14
	v_add_f64 v[6:7], v[2:3], -v[6:7]
	v_mul_f64 v[6:7], |v[6:7]|, s[16:17]
	v_cndmask_b32_e32 v3, v8, v7, vcc
	v_cndmask_b32_e32 v2, 0, v6, vcc
	v_cmp_nlt_f64_e64 s[18:19], |v[2:3]|, s[18:19]
                                        ; implicit-def: $vgpr6_vgpr7
                                        ; implicit-def: $vgpr8_vgpr9
	s_and_saveexec_b64 s[22:23], s[18:19]
	s_xor_b64 s[18:19], exec, s[22:23]
	s_cbranch_execz .LBB30_213
; %bb.212:
	v_trig_preop_f64 v[6:7], |v[2:3]|, 0
	s_mov_b32 s22, 0
	s_mov_b32 s23, 0x7b000000
	s_movk_i32 s17, 0xff80
	v_cmp_ge_f64_e64 vcc, |v[2:3]|, s[22:23]
	v_ldexp_f64 v[21:22], |v[2:3]|, s17
	v_trig_preop_f64 v[8:9], |v[2:3]|, 1
	v_and_b32_e32 v14, 0x7fffffff, v3
	s_mov_b32 s17, 0x3ff921fb
	v_cndmask_b32_e32 v22, v14, v22, vcc
	v_cndmask_b32_e32 v21, v2, v21, vcc
	v_mov_b32_e32 v14, 0x40100000
	v_mul_f64 v[25:26], v[6:7], v[21:22]
	v_mul_f64 v[23:24], v[8:9], v[21:22]
	v_fma_f64 v[6:7], v[6:7], v[21:22], -v[25:26]
	v_fma_f64 v[8:9], v[8:9], v[21:22], -v[23:24]
	v_add_f64 v[27:28], v[23:24], v[6:7]
	v_add_f64 v[35:36], v[27:28], -v[23:24]
	v_add_f64 v[29:30], v[25:26], v[27:28]
	v_add_f64 v[6:7], v[6:7], -v[35:36]
	v_add_f64 v[35:36], v[27:28], -v[35:36]
	v_ldexp_f64 v[31:32], v[29:30], -2
	v_add_f64 v[25:26], v[29:30], -v[25:26]
	v_add_f64 v[35:36], v[23:24], -v[35:36]
	v_trig_preop_f64 v[23:24], |v[2:3]|, 2
	v_fract_f64_e32 v[33:34], v[31:32]
	v_add_f64 v[25:26], v[27:28], -v[25:26]
	v_cmp_neq_f64_e64 vcc, |v[31:32]|, s[6:7]
	v_add_f64 v[6:7], v[6:7], v[35:36]
	v_mul_f64 v[35:36], v[23:24], v[21:22]
	v_add_f64 v[37:38], v[35:36], v[8:9]
	v_add_f64 v[48:49], v[37:38], v[6:7]
	v_add_f64 v[29:30], v[48:49], -v[37:38]
	v_add_f64 v[27:28], v[25:26], v[48:49]
	v_add_f64 v[6:7], v[6:7], -v[29:30]
	v_add_f64 v[29:30], v[48:49], -v[29:30]
	;; [unrolled: 1-line block ×5, first 2 shown]
	v_add_f64 v[6:7], v[6:7], v[29:30]
	v_add_f64 v[29:30], v[37:38], -v[35:36]
	v_add_f64 v[8:9], v[8:9], -v[29:30]
	;; [unrolled: 1-line block ×4, first 2 shown]
	v_add_f64 v[8:9], v[8:9], v[29:30]
	v_add_f64 v[6:7], v[8:9], v[6:7]
	v_fma_f64 v[8:9], v[23:24], v[21:22], -v[35:36]
	v_add_f64 v[6:7], v[8:9], v[6:7]
	v_ldexp_f64 v[8:9], v[33:34], 2
	v_add_f64 v[6:7], v[25:26], v[6:7]
	v_cndmask_b32_e32 v9, 0, v9, vcc
	v_cndmask_b32_e32 v8, 0, v8, vcc
	v_add_f64 v[21:22], v[27:28], v[8:9]
	v_cmp_gt_f64_e32 vcc, 0, v[21:22]
	v_mov_b32_e32 v21, 0
	v_cndmask_b32_e32 v22, 0, v14, vcc
	v_add_f64 v[8:9], v[8:9], v[21:22]
	v_add_f64 v[22:23], v[27:28], v[8:9]
	v_cvt_i32_f64_e32 v14, v[22:23]
	v_cvt_f64_i32_e32 v[22:23], v14
	v_add_f64 v[8:9], v[8:9], -v[22:23]
	v_add_f64 v[23:24], v[27:28], v[8:9]
	v_add_f64 v[8:9], v[23:24], -v[8:9]
	v_cmp_le_f64_e32 vcc, 0.5, v[23:24]
	v_add_f64 v[8:9], v[27:28], -v[8:9]
	v_addc_co_u32_e64 v14, s[6:7], 0, v14, vcc
	s_mov_b32 s6, 0x33145c07
	s_mov_b32 s7, 0x3c91a626
	v_add_f64 v[6:7], v[6:7], v[8:9]
	v_mov_b32_e32 v8, 0x3ff00000
	v_cndmask_b32_e32 v22, 0, v8, vcc
	v_add_f64 v[8:9], v[23:24], -v[21:22]
	v_add_f64 v[21:22], v[8:9], v[6:7]
	v_add_f64 v[8:9], v[21:22], -v[8:9]
	v_add_f64 v[6:7], v[6:7], -v[8:9]
	v_mul_f64 v[8:9], v[21:22], s[16:17]
	v_fma_f64 v[23:24], v[21:22], s[16:17], -v[8:9]
	v_fma_f64 v[21:22], v[21:22], s[6:7], v[23:24]
	v_fma_f64 v[21:22], v[6:7], s[16:17], v[21:22]
	v_add_f64 v[6:7], v[8:9], v[21:22]
	v_add_f64 v[8:9], v[6:7], -v[8:9]
	v_add_f64 v[8:9], v[21:22], -v[8:9]
.LBB30_213:
	s_andn2_saveexec_b64 s[6:7], s[18:19]
	s_cbranch_execz .LBB30_215
; %bb.214:
	s_mov_b32 s16, 0x6dc9c883
	s_mov_b32 s17, 0x3fe45f30
	v_mul_f64 v[6:7], |v[2:3]|, s[16:17]
	s_mov_b32 s16, 0x54442d18
	s_mov_b32 s17, 0xbff921fb
	;; [unrolled: 1-line block ×4, first 2 shown]
	v_rndne_f64_e32 v[21:22], v[6:7]
	v_fma_f64 v[6:7], v[21:22], s[16:17], |v[2:3]|
	v_mul_f64 v[8:9], v[21:22], s[18:19]
	s_mov_b32 s16, 0x252049c0
	s_mov_b32 s17, 0xb97b839a
	v_cvt_i32_f64_e32 v14, v[21:22]
	v_fma_f64 v[27:28], v[21:22], s[18:19], v[6:7]
	v_add_f64 v[23:24], v[6:7], v[8:9]
	s_mov_b32 s19, 0x3c91a626
	v_add_f64 v[25:26], v[6:7], -v[23:24]
	v_add_f64 v[23:24], v[23:24], -v[27:28]
	v_add_f64 v[6:7], v[25:26], v[8:9]
	v_fma_f64 v[8:9], v[21:22], s[18:19], v[8:9]
	v_add_f64 v[6:7], v[23:24], v[6:7]
	v_add_f64 v[6:7], v[6:7], -v[8:9]
	v_fma_f64 v[8:9], v[21:22], s[16:17], v[6:7]
	v_add_f64 v[6:7], v[27:28], v[8:9]
	v_add_f64 v[23:24], v[6:7], -v[27:28]
	v_add_f64 v[8:9], v[8:9], -v[23:24]
.LBB30_215:
	s_or_b64 exec, exec, s[6:7]
	v_mul_f64 v[21:22], v[6:7], v[6:7]
	v_add_f64 v[23:24], v[8:9], v[8:9]
	s_mov_b32 s6, 0xc751c08c
	s_mov_b32 s7, 0x3ef5e089
	v_and_b32_e32 v14, 1, v14
	v_cmp_eq_u32_e32 vcc, 0, v14
	s_mov_b32 s18, 0x54442d18
	s_mov_b32 s19, 0xc00921fb
	v_fma_f64 v[25:26], v[6:7], v[6:7], -v[21:22]
	s_mov_b64 s[16:17], exec
	v_sub_f32_e32 v11, 1.0, v11
	v_fma_f64 v[23:24], v[6:7], v[23:24], v[25:26]
	v_add_f64 v[21:22], v[21:22], v[23:24]
	v_mov_b32_e32 v23, 0xa9a29f71
	v_mov_b32_e32 v24, 0xbf078809
	v_fma_f64 v[23:24], v[21:22], s[6:7], v[23:24]
	s_mov_b32 s6, 0x90a8aae0
	s_mov_b32 s7, 0x3f17746f
	v_fma_f64 v[23:24], v[21:22], v[23:24], s[6:7]
	s_mov_b32 s6, 0xa6fbf144
	s_mov_b32 s7, 0xbefbb44d
	;; [unrolled: 3-line block ×12, first 2 shown]
	v_fma_f64 v[23:24], v[21:22], v[23:24], s[6:7]
	s_movk_i32 s6, 0x1f8
	v_cmp_class_f64_e64 s[6:7], v[2:3], s6
	v_mul_f64 v[21:22], v[21:22], v[23:24]
	v_mul_f64 v[23:24], v[6:7], v[21:22]
	v_add_f64 v[25:26], v[6:7], v[23:24]
	v_fma_f64 v[21:22], v[6:7], v[21:22], -v[23:24]
	v_add_f64 v[6:7], v[25:26], -v[6:7]
	v_add_f64 v[8:9], v[8:9], v[21:22]
	v_add_f64 v[6:7], v[23:24], -v[6:7]
	v_add_f64 v[6:7], v[8:9], v[6:7]
	v_add_f64 v[8:9], v[25:26], v[6:7]
	v_rcp_f64_e32 v[21:22], v[8:9]
	v_fma_f64 v[23:24], -v[8:9], v[21:22], 1.0
	v_fma_f64 v[21:22], v[23:24], v[21:22], v[21:22]
	v_fma_f64 v[23:24], -v[8:9], v[21:22], 1.0
	v_fma_f64 v[21:22], v[23:24], v[21:22], v[21:22]
	v_add_f64 v[23:24], v[8:9], -v[25:26]
	v_mul_f64 v[25:26], v[8:9], v[21:22]
	v_add_f64 v[6:7], v[6:7], -v[23:24]
	v_fma_f64 v[23:24], v[21:22], v[8:9], -v[25:26]
	v_fma_f64 v[6:7], v[21:22], v[6:7], v[23:24]
	v_add_f64 v[23:24], v[25:26], v[6:7]
	v_add_f64 v[27:28], -v[23:24], 1.0
	v_add_f64 v[25:26], v[23:24], -v[25:26]
	v_add_f64 v[29:30], -v[27:28], 1.0
	v_add_f64 v[6:7], v[25:26], -v[6:7]
	v_add_f64 v[23:24], v[29:30], -v[23:24]
	v_add_f64 v[6:7], v[6:7], v[23:24]
	v_add_f64 v[6:7], v[27:28], v[6:7]
	v_mul_f64 v[6:7], v[21:22], v[6:7]
	v_add_f64 v[6:7], v[21:22], v[6:7]
	v_and_b32_e32 v21, 0x80000000, v3
	v_mov_b32_e32 v3, 0x7ff80000
	v_xor_b32_e32 v2, 0x80000000, v7
	v_cndmask_b32_e32 v6, v6, v8, vcc
	v_cndmask_b32_e32 v7, v2, v9, vcc
	v_cndmask_b32_e64 v2, 0, v6, s[6:7]
	v_xor_b32_e32 v6, v7, v21
	v_cndmask_b32_e64 v3, v3, v6, s[6:7]
	v_div_scale_f64 v[6:7], s[6:7], v[2:3], v[2:3], s[18:19]
	v_div_scale_f64 v[23:24], vcc, s[18:19], v[2:3], s[18:19]
	v_rcp_f64_e32 v[8:9], v[6:7]
	v_fma_f64 v[21:22], -v[6:7], v[8:9], 1.0
	v_fma_f64 v[8:9], v[8:9], v[21:22], v[8:9]
	v_fma_f64 v[21:22], -v[6:7], v[8:9], 1.0
	v_fma_f64 v[8:9], v[8:9], v[21:22], v[8:9]
	v_mul_f64 v[21:22], v[23:24], v[8:9]
	v_fma_f64 v[6:7], -v[6:7], v[21:22], v[23:24]
	v_div_fmas_f64 v[6:7], v[6:7], v[8:9], v[21:22]
	v_div_fixup_f64 v[2:3], v[6:7], v[2:3], s[18:19]
	v_cvt_f32_f64_e32 v2, v[2:3]
.LBB30_216:
	s_or_b64 exec, exec, s[14:15]
	s_orn2_b64 s[14:15], s[16:17], exec
.LBB30_217:
	s_or_b64 exec, exec, s[12:13]
	v_mov_b32_e32 v3, 0x7fc0
	s_and_saveexec_b64 s[6:7], s[14:15]
	s_cbranch_execz .LBB30_229
; %bb.218:
	s_mov_b32 s16, 0x41200000
	v_cmp_gt_f32_e32 vcc, s16, v11
	s_and_saveexec_b64 s[12:13], vcc
	s_cbranch_execz .LBB30_222
; %bb.219:
	s_mov_b64 s[14:15], 0
.LBB30_220:                             ; =>This Inner Loop Header: Depth=1
	v_div_scale_f32 v3, s[18:19], v11, v11, 1.0
	v_div_scale_f32 v6, vcc, 1.0, v11, 1.0
	v_rcp_f32_e32 v7, v3
	v_fma_f32 v8, -v3, v7, 1.0
	v_fmac_f32_e32 v7, v8, v7
	v_mul_f32_e32 v8, v6, v7
	v_fma_f32 v9, -v3, v8, v6
	v_fmac_f32_e32 v8, v9, v7
	v_fma_f32 v3, -v3, v8, v6
	v_div_fmas_f32 v3, v3, v7, v8
	v_div_fixup_f32 v3, v3, v11, 1.0
	v_add_f32_e32 v11, 1.0, v11
	v_cmp_ngt_f32_e32 vcc, s16, v11
	s_or_b64 s[14:15], vcc, s[14:15]
	v_sub_f32_e32 v2, v2, v3
	s_andn2_b64 exec, exec, s[14:15]
	s_cbranch_execnz .LBB30_220
; %bb.221:
	s_or_b64 exec, exec, s[14:15]
.LBB30_222:
	s_or_b64 exec, exec, s[12:13]
	s_mov_b32 s12, 0x41200000
	v_cmp_neq_f32_e32 vcc, s12, v11
                                        ; implicit-def: $vgpr3
	s_and_saveexec_b64 s[12:13], vcc
	s_xor_b64 s[12:13], exec, s[12:13]
	s_cbranch_execz .LBB30_226
; %bb.223:
	v_cvt_f64_f32_e32 v[6:7], v11
	s_mov_b32 s14, 0x85d8a000
	s_mov_b32 s15, 0x43763457
	v_mov_b32_e32 v3, 0
	v_cmp_gt_f64_e32 vcc, s[14:15], v[6:7]
	s_and_saveexec_b64 s[14:15], vcc
	s_cbranch_execz .LBB30_225
; %bb.224:
	v_mul_f32_e32 v3, v11, v11
	v_div_scale_f32 v6, s[16:17], v3, v3, 1.0
	v_div_scale_f32 v7, vcc, 1.0, v3, 1.0
	v_mov_b32_e32 v21, 0x3b820821
	v_rcp_f32_e32 v8, v6
	v_fma_f32 v9, -v6, v8, 1.0
	v_fmac_f32_e32 v8, v9, v8
	v_mul_f32_e32 v9, v7, v8
	v_fma_f32 v14, -v6, v9, v7
	v_fmac_f32_e32 v9, v14, v8
	v_fma_f32 v6, -v6, v9, v7
	v_div_fmas_f32 v6, v6, v8, v9
	v_mov_b32_e32 v7, 0x3daaaaab
	v_mov_b32_e32 v8, 0xbcaccacd
	;; [unrolled: 1-line block ×4, first 2 shown]
	v_div_fixup_f32 v3, v6, v3, 1.0
	v_fma_f32 v6, 0, v3, v7
	v_fmac_f32_e32 v8, v3, v6
	v_fmac_f32_e32 v9, v3, v8
	;; [unrolled: 1-line block ×4, first 2 shown]
	v_mov_b32_e32 v6, 0xbc088889
	v_fmac_f32_e32 v6, v3, v21
	v_fmac_f32_e32 v7, v3, v6
	v_mul_f32_e32 v3, v3, v7
.LBB30_225:
	s_or_b64 exec, exec, s[14:15]
	v_div_scale_f32 v6, s[14:15], v11, v11, -0.5
	v_div_scale_f32 v7, vcc, -0.5, v11, -0.5
	s_mov_b32 s14, 0x800000
	s_mov_b32 s15, 0x3f317217
	;; [unrolled: 1-line block ×3, first 2 shown]
	v_rcp_f32_e32 v8, v6
	v_fma_f32 v9, -v6, v8, 1.0
	v_fmac_f32_e32 v8, v9, v8
	v_mul_f32_e32 v9, v7, v8
	v_fma_f32 v14, -v6, v9, v7
	v_fmac_f32_e32 v9, v14, v8
	v_fma_f32 v6, -v6, v9, v7
	v_div_fmas_f32 v6, v6, v8, v9
	v_cmp_gt_f32_e32 vcc, s14, v11
	v_cndmask_b32_e64 v8, 0, 32, vcc
	v_ldexp_f32 v8, v11, v8
	v_log_f32_e32 v8, v8
	v_mov_b32_e32 v7, 0x41b17218
	v_cndmask_b32_e32 v7, 0, v7, vcc
	s_movk_i32 s14, 0x7fff
	v_mul_f32_e32 v14, 0x3f317217, v8
	v_fma_f32 v14, v8, s15, -v14
	v_fmac_f32_e32 v14, 0x3377d1cf, v8
	v_fmac_f32_e32 v14, 0x3f317217, v8
	v_cmp_lt_f32_e64 vcc, |v8|, s16
	v_cndmask_b32_e32 v8, v8, v14, vcc
	v_sub_f32_e32 v7, v8, v7
	v_mov_b32_e32 v9, 0x7fc0
	v_div_fixup_f32 v6, v6, v11, -0.5
	v_add_f32_e32 v6, v7, v6
	v_sub_f32_e32 v3, v6, v3
	v_add_f32_e32 v2, v2, v3
	v_bfe_u32 v3, v2, 16, 1
	v_cmp_o_f32_e32 vcc, v2, v2
	v_add3_u32 v2, v2, v3, s14
	v_cndmask_b32_sdwa v3, v9, v2, vcc dst_sel:DWORD dst_unused:UNUSED_PAD src0_sel:DWORD src1_sel:WORD_1
                                        ; implicit-def: $vgpr2
.LBB30_226:
	s_andn2_saveexec_b64 s[12:13], s[12:13]
; %bb.227:
	v_add_f32_e32 v2, 0x40101cb7, v2
	v_bfe_u32 v3, v2, 16, 1
	s_movk_i32 s14, 0x7fff
	v_add3_u32 v3, v2, v3, s14
	v_cmp_o_f32_e32 vcc, v2, v2
	v_mov_b32_e32 v2, 0x7fc0
	v_cndmask_b32_sdwa v3, v2, v3, vcc dst_sel:DWORD dst_unused:UNUSED_PAD src0_sel:DWORD src1_sel:WORD_1
; %bb.228:
	s_or_b64 exec, exec, s[12:13]
.LBB30_229:
	s_or_b64 exec, exec, s[6:7]
                                        ; implicit-def: $vgpr11
.LBB30_230:
	s_andn2_saveexec_b64 s[6:7], s[10:11]
; %bb.231:
	v_xor_b32_e32 v2, 0x80000000, v11
	v_and_b32_e32 v2, 0x80000000, v2
	v_or_b32_e32 v2, 0x7f800000, v2
	v_lshrrev_b32_e32 v3, 16, v2
; %bb.232:
	s_or_b64 exec, exec, s[6:7]
	s_or_b64 exec, exec, s[8:9]
	s_and_saveexec_b64 s[6:7], s[4:5]
	s_xor_b64 s[4:5], exec, s[6:7]
	s_cbranch_execz .LBB30_200
.LBB30_233:
	v_mov_b32_e32 v6, 0
	v_lshlrev_b64 v[5:6], 1, v[5:6]
	v_mov_b32_e32 v10, v13
	v_add_co_u32_e32 v5, vcc, v0, v5
	v_addc_co_u32_e32 v6, vcc, v1, v6, vcc
	flat_store_short v[5:6], v12
	s_or_b64 exec, exec, s[4:5]
	v_cmp_lt_i32_e32 vcc, v10, v4
	s_and_saveexec_b64 s[4:5], vcc
	s_cbranch_execz .LBB30_201
.LBB30_234:
	v_add_u32_e32 v5, s20, v10
	v_mov_b32_e32 v6, 0
	v_lshlrev_b64 v[5:6], 1, v[5:6]
	v_add_u32_e32 v10, 0x100, v10
	v_add_co_u32_e32 v5, vcc, v0, v5
	v_addc_co_u32_e32 v6, vcc, v1, v6, vcc
	flat_store_short v[5:6], v15
	s_or_b64 exec, exec, s[4:5]
	v_cmp_lt_i32_e32 vcc, v10, v4
	s_and_saveexec_b64 s[4:5], vcc
	s_cbranch_execz .LBB30_202
.LBB30_235:
	v_add_u32_e32 v5, s20, v10
	v_mov_b32_e32 v6, 0
	v_lshlrev_b64 v[5:6], 1, v[5:6]
	v_add_u32_e32 v10, 0x100, v10
	v_add_co_u32_e32 v5, vcc, v0, v5
	v_addc_co_u32_e32 v6, vcc, v1, v6, vcc
	flat_store_short v[5:6], v17
	s_or_b64 exec, exec, s[4:5]
	v_cmp_lt_i32_e32 vcc, v10, v4
	s_and_saveexec_b64 s[4:5], vcc
	s_cbranch_execz .LBB30_203
.LBB30_236:
	v_add_u32_e32 v5, s20, v10
	v_mov_b32_e32 v6, 0
	v_lshlrev_b64 v[5:6], 1, v[5:6]
	v_add_u32_e32 v10, 0x100, v10
	v_add_co_u32_e32 v5, vcc, v0, v5
	v_addc_co_u32_e32 v6, vcc, v1, v6, vcc
	flat_store_short v[5:6], v19
	s_or_b64 exec, exec, s[4:5]
	v_cmp_lt_i32_e32 vcc, v10, v4
	s_and_saveexec_b64 s[4:5], vcc
	s_cbranch_execz .LBB30_204
.LBB30_237:
	v_add_u32_e32 v5, s20, v10
	v_mov_b32_e32 v6, 0
	v_lshlrev_b64 v[5:6], 1, v[5:6]
	v_add_u32_e32 v10, 0x100, v10
	v_add_co_u32_e32 v5, vcc, v0, v5
	v_addc_co_u32_e32 v6, vcc, v1, v6, vcc
	flat_store_short v[5:6], v20
	s_or_b64 exec, exec, s[4:5]
	v_cmp_lt_i32_e32 vcc, v10, v4
	s_and_saveexec_b64 s[4:5], vcc
	s_cbranch_execz .LBB30_205
.LBB30_238:
	v_add_u32_e32 v5, s20, v10
	v_mov_b32_e32 v6, 0
	v_lshlrev_b64 v[5:6], 1, v[5:6]
	v_add_u32_e32 v10, 0x100, v10
	v_add_co_u32_e32 v5, vcc, v0, v5
	v_addc_co_u32_e32 v6, vcc, v1, v6, vcc
	flat_store_short v[5:6], v18
	s_or_b64 exec, exec, s[4:5]
	v_cmp_lt_i32_e32 vcc, v10, v4
	s_and_saveexec_b64 s[4:5], vcc
	s_cbranch_execz .LBB30_206
.LBB30_239:
	v_add_u32_e32 v5, s20, v10
	v_mov_b32_e32 v6, 0
	v_lshlrev_b64 v[5:6], 1, v[5:6]
	v_add_u32_e32 v10, 0x100, v10
	v_add_co_u32_e32 v5, vcc, v0, v5
	v_addc_co_u32_e32 v6, vcc, v1, v6, vcc
	flat_store_short v[5:6], v16
	s_or_b64 exec, exec, s[4:5]
	v_cmp_lt_i32_e32 vcc, v10, v4
	s_and_saveexec_b64 s[4:5], vcc
	s_cbranch_execz .LBB30_207
.LBB30_240:
	v_add_u32_e32 v4, s20, v10
	v_mov_b32_e32 v5, 0
	v_lshlrev_b64 v[4:5], 1, v[4:5]
	v_add_co_u32_e32 v0, vcc, v0, v4
	v_addc_co_u32_e32 v1, vcc, v1, v5, vcc
	flat_store_short v[0:1], v3
	s_or_b64 exec, exec, s[4:5]
	s_waitcnt vmcnt(0) lgkmcnt(0)
	s_setpc_b64 s[30:31]
.Lfunc_end30:
	.size	_ZN2at6native25elementwise_kernel_helperILb0EZZZNS0_19digamma_kernel_cudaERNS_18TensorIteratorBaseEENKUlvE_clEvENKUlvE2_clEvEUlN3c108BFloat16EE_NS0_6memory8policies11unroll_baseILi256ESt5arrayIPcLm2EE23TrivialOffsetCalculatorILi1EjESG_NS9_15LoadWithoutCastENS9_16StoreWithoutCastELi8ELi1EEEEEvT0_T1_, .Lfunc_end30-_ZN2at6native25elementwise_kernel_helperILb0EZZZNS0_19digamma_kernel_cudaERNS_18TensorIteratorBaseEENKUlvE_clEvENKUlvE2_clEvEUlN3c108BFloat16EE_NS0_6memory8policies11unroll_baseILi256ESt5arrayIPcLm2EE23TrivialOffsetCalculatorILi1EjESG_NS9_15LoadWithoutCastENS9_16StoreWithoutCastELi8ELi1EEEEEvT0_T1_
                                        ; -- End function
	.set .L_ZN2at6native25elementwise_kernel_helperILb0EZZZNS0_19digamma_kernel_cudaERNS_18TensorIteratorBaseEENKUlvE_clEvENKUlvE2_clEvEUlN3c108BFloat16EE_NS0_6memory8policies11unroll_baseILi256ESt5arrayIPcLm2EE23TrivialOffsetCalculatorILi1EjESG_NS9_15LoadWithoutCastENS9_16StoreWithoutCastELi8ELi1EEEEEvT0_T1_.num_vgpr, 66
	.set .L_ZN2at6native25elementwise_kernel_helperILb0EZZZNS0_19digamma_kernel_cudaERNS_18TensorIteratorBaseEENKUlvE_clEvENKUlvE2_clEvEUlN3c108BFloat16EE_NS0_6memory8policies11unroll_baseILi256ESt5arrayIPcLm2EE23TrivialOffsetCalculatorILi1EjESG_NS9_15LoadWithoutCastENS9_16StoreWithoutCastELi8ELi1EEEEEvT0_T1_.num_agpr, 0
	.set .L_ZN2at6native25elementwise_kernel_helperILb0EZZZNS0_19digamma_kernel_cudaERNS_18TensorIteratorBaseEENKUlvE_clEvENKUlvE2_clEvEUlN3c108BFloat16EE_NS0_6memory8policies11unroll_baseILi256ESt5arrayIPcLm2EE23TrivialOffsetCalculatorILi1EjESG_NS9_15LoadWithoutCastENS9_16StoreWithoutCastELi8ELi1EEEEEvT0_T1_.numbered_sgpr, 32
	.set .L_ZN2at6native25elementwise_kernel_helperILb0EZZZNS0_19digamma_kernel_cudaERNS_18TensorIteratorBaseEENKUlvE_clEvENKUlvE2_clEvEUlN3c108BFloat16EE_NS0_6memory8policies11unroll_baseILi256ESt5arrayIPcLm2EE23TrivialOffsetCalculatorILi1EjESG_NS9_15LoadWithoutCastENS9_16StoreWithoutCastELi8ELi1EEEEEvT0_T1_.num_named_barrier, 0
	.set .L_ZN2at6native25elementwise_kernel_helperILb0EZZZNS0_19digamma_kernel_cudaERNS_18TensorIteratorBaseEENKUlvE_clEvENKUlvE2_clEvEUlN3c108BFloat16EE_NS0_6memory8policies11unroll_baseILi256ESt5arrayIPcLm2EE23TrivialOffsetCalculatorILi1EjESG_NS9_15LoadWithoutCastENS9_16StoreWithoutCastELi8ELi1EEEEEvT0_T1_.private_seg_size, 0
	.set .L_ZN2at6native25elementwise_kernel_helperILb0EZZZNS0_19digamma_kernel_cudaERNS_18TensorIteratorBaseEENKUlvE_clEvENKUlvE2_clEvEUlN3c108BFloat16EE_NS0_6memory8policies11unroll_baseILi256ESt5arrayIPcLm2EE23TrivialOffsetCalculatorILi1EjESG_NS9_15LoadWithoutCastENS9_16StoreWithoutCastELi8ELi1EEEEEvT0_T1_.uses_vcc, 1
	.set .L_ZN2at6native25elementwise_kernel_helperILb0EZZZNS0_19digamma_kernel_cudaERNS_18TensorIteratorBaseEENKUlvE_clEvENKUlvE2_clEvEUlN3c108BFloat16EE_NS0_6memory8policies11unroll_baseILi256ESt5arrayIPcLm2EE23TrivialOffsetCalculatorILi1EjESG_NS9_15LoadWithoutCastENS9_16StoreWithoutCastELi8ELi1EEEEEvT0_T1_.uses_flat_scratch, 0
	.set .L_ZN2at6native25elementwise_kernel_helperILb0EZZZNS0_19digamma_kernel_cudaERNS_18TensorIteratorBaseEENKUlvE_clEvENKUlvE2_clEvEUlN3c108BFloat16EE_NS0_6memory8policies11unroll_baseILi256ESt5arrayIPcLm2EE23TrivialOffsetCalculatorILi1EjESG_NS9_15LoadWithoutCastENS9_16StoreWithoutCastELi8ELi1EEEEEvT0_T1_.has_dyn_sized_stack, 0
	.set .L_ZN2at6native25elementwise_kernel_helperILb0EZZZNS0_19digamma_kernel_cudaERNS_18TensorIteratorBaseEENKUlvE_clEvENKUlvE2_clEvEUlN3c108BFloat16EE_NS0_6memory8policies11unroll_baseILi256ESt5arrayIPcLm2EE23TrivialOffsetCalculatorILi1EjESG_NS9_15LoadWithoutCastENS9_16StoreWithoutCastELi8ELi1EEEEEvT0_T1_.has_recursion, 0
	.set .L_ZN2at6native25elementwise_kernel_helperILb0EZZZNS0_19digamma_kernel_cudaERNS_18TensorIteratorBaseEENKUlvE_clEvENKUlvE2_clEvEUlN3c108BFloat16EE_NS0_6memory8policies11unroll_baseILi256ESt5arrayIPcLm2EE23TrivialOffsetCalculatorILi1EjESG_NS9_15LoadWithoutCastENS9_16StoreWithoutCastELi8ELi1EEEEEvT0_T1_.has_indirect_call, 0
	.section	.AMDGPU.csdata,"",@progbits
; Function info:
; codeLenInByte = 21060
; TotalNumSgprs: 36
; NumVgprs: 66
; ScratchSize: 0
; MemoryBound: 0
	.text
	.p2align	2                               ; -- Begin function _ZN2at6native25elementwise_kernel_helperILb0EZZZNS0_19digamma_kernel_cudaERNS_18TensorIteratorBaseEENKUlvE_clEvENKUlvE2_clEvEUlN3c108BFloat16EE_NS0_6memory8policies10vectorizedILi8ESt5arrayIPcLm2EELi8EEEEEvT0_T1_
	.type	_ZN2at6native25elementwise_kernel_helperILb0EZZZNS0_19digamma_kernel_cudaERNS_18TensorIteratorBaseEENKUlvE_clEvENKUlvE2_clEvEUlN3c108BFloat16EE_NS0_6memory8policies10vectorizedILi8ESt5arrayIPcLm2EELi8EEEEEvT0_T1_,@function
_ZN2at6native25elementwise_kernel_helperILb0EZZZNS0_19digamma_kernel_cudaERNS_18TensorIteratorBaseEENKUlvE_clEvENKUlvE2_clEvEUlN3c108BFloat16EE_NS0_6memory8policies10vectorizedILi8ESt5arrayIPcLm2EELi8EEEEEvT0_T1_: ; @_ZN2at6native25elementwise_kernel_helperILb0EZZZNS0_19digamma_kernel_cudaERNS_18TensorIteratorBaseEENKUlvE_clEvENKUlvE2_clEvEUlN3c108BFloat16EE_NS0_6memory8policies10vectorizedILi8ESt5arrayIPcLm2EELi8EEEEEvT0_T1_
; %bb.0:
	s_waitcnt vmcnt(0) expcnt(0) lgkmcnt(0)
	s_lshl_b32 s4, s12, 11
	s_ashr_i32 s5, s4, 31
	s_lshl_b64 s[6:7], s[4:5], 1
	v_mov_b32_e32 v4, s7
	v_add_co_u32_e32 v2, vcc, s6, v2
	v_addc_co_u32_e32 v3, vcc, v3, v4, vcc
	v_and_b32_e32 v4, 0x3ff, v31
	v_lshlrev_b32_e32 v12, 4, v4
	v_add_co_u32_e32 v2, vcc, v2, v12
	v_addc_co_u32_e32 v3, vcc, 0, v3, vcc
	flat_load_dwordx4 v[2:5], v[2:3]
	v_mov_b32_e32 v6, 0
                                        ; implicit-def: $vgpr13
	s_waitcnt vmcnt(0) lgkmcnt(0)
	v_lshlrev_b32_e32 v14, 16, v2
	v_cmp_neq_f32_e32 vcc, 0, v14
	s_and_saveexec_b64 s[4:5], vcc
	s_xor_b64 s[8:9], exec, s[4:5]
	s_cbranch_execz .LBB31_22
; %bb.1:
	v_cmp_gt_f32_e32 vcc, 0, v14
	s_mov_b64 s[12:13], -1
	s_and_saveexec_b64 s[10:11], vcc
	s_cbranch_execz .LBB31_9
; %bb.2:
	v_trunc_f32_e32 v6, v14
	v_cmp_neq_f32_e32 vcc, v6, v14
	s_mov_b64 s[14:15], 0
	v_mov_b32_e32 v6, 0
	s_and_saveexec_b64 s[12:13], vcc
	s_cbranch_execz .LBB31_8
; %bb.3:
	v_cvt_f64_f32_e32 v[6:7], v14
	s_mov_b32 s4, 0
	s_mov_b32 s15, 0xc00921fb
	;; [unrolled: 1-line block ×3, first 2 shown]
	v_trunc_f64_e32 v[8:9], v[6:7]
	s_mov_b32 s5, 0x7ff00000
	v_cmp_neq_f64_e64 vcc, |v[6:7]|, s[4:5]
	v_bfrev_b32_e32 v10, 1
	s_mov_b32 s16, 0
	s_mov_b32 s17, 0x41d00000
                                        ; implicit-def: $vgpr13
	v_add_f64 v[8:9], v[6:7], -v[8:9]
	v_mul_f64 v[8:9], |v[8:9]|, s[14:15]
	v_cndmask_b32_e32 v7, v10, v9, vcc
	v_cndmask_b32_e32 v6, 0, v8, vcc
	v_cmp_nlt_f64_e64 s[16:17], |v[6:7]|, s[16:17]
                                        ; implicit-def: $vgpr8_vgpr9
                                        ; implicit-def: $vgpr10_vgpr11
	s_and_saveexec_b64 s[18:19], s[16:17]
	s_xor_b64 s[16:17], exec, s[18:19]
	s_cbranch_execz .LBB31_5
; %bb.4:
	v_trig_preop_f64 v[8:9], |v[6:7]|, 0
	s_mov_b32 s18, 0
	s_mov_b32 s19, 0x7b000000
	s_movk_i32 s15, 0xff80
	v_ldexp_f64 v[15:16], |v[6:7]|, s15
	v_cmp_ge_f64_e64 vcc, |v[6:7]|, s[18:19]
	v_trig_preop_f64 v[10:11], |v[6:7]|, 1
	v_and_b32_e32 v13, 0x7fffffff, v7
	v_trig_preop_f64 v[21:22], |v[6:7]|, 2
	s_mov_b32 s15, 0x3ff921fb
	v_cndmask_b32_e32 v16, v13, v16, vcc
	v_cndmask_b32_e32 v15, v6, v15, vcc
	v_mov_b32_e32 v13, 0x40100000
	v_mul_f64 v[17:18], v[8:9], v[15:16]
	v_mul_f64 v[19:20], v[10:11], v[15:16]
	;; [unrolled: 1-line block ×3, first 2 shown]
	v_fma_f64 v[8:9], v[8:9], v[15:16], -v[17:18]
	v_fma_f64 v[10:11], v[10:11], v[15:16], -v[19:20]
	;; [unrolled: 1-line block ×3, first 2 shown]
	v_add_f64 v[23:24], v[19:20], v[8:9]
	v_add_f64 v[25:26], v[23:24], -v[19:20]
	v_add_f64 v[21:22], v[17:18], v[23:24]
	v_add_f64 v[8:9], v[8:9], -v[25:26]
	v_add_f64 v[25:26], v[23:24], -v[25:26]
	;; [unrolled: 1-line block ×3, first 2 shown]
	v_ldexp_f64 v[21:22], v[21:22], -2
	v_add_f64 v[19:20], v[19:20], -v[25:26]
	v_add_f64 v[25:26], v[27:28], v[10:11]
	v_add_f64 v[17:18], v[23:24], -v[17:18]
	v_fract_f64_e32 v[23:24], v[21:22]
	v_cmp_neq_f64_e64 vcc, |v[21:22]|, s[4:5]
	v_add_f64 v[8:9], v[8:9], v[19:20]
	v_add_f64 v[19:20], v[25:26], -v[27:28]
	v_ldexp_f64 v[23:24], v[23:24], 2
	v_add_f64 v[10:11], v[10:11], -v[19:20]
	v_add_f64 v[19:20], v[25:26], -v[19:20]
	;; [unrolled: 1-line block ×3, first 2 shown]
	v_add_f64 v[27:28], v[25:26], v[8:9]
	v_add_f64 v[10:11], v[10:11], v[19:20]
	v_add_f64 v[21:22], v[27:28], -v[25:26]
	v_cndmask_b32_e32 v20, 0, v24, vcc
	v_cndmask_b32_e32 v19, 0, v23, vcc
	v_add_f64 v[23:24], v[17:18], v[27:28]
	v_add_f64 v[8:9], v[8:9], -v[21:22]
	v_add_f64 v[21:22], v[27:28], -v[21:22]
	;; [unrolled: 1-line block ×4, first 2 shown]
	v_add_f64 v[25:26], v[23:24], v[19:20]
	v_add_f64 v[17:18], v[27:28], -v[17:18]
	v_add_f64 v[8:9], v[8:9], v[21:22]
	v_cmp_gt_f64_e32 vcc, 0, v[25:26]
	v_mov_b32_e32 v25, 0
	v_add_f64 v[8:9], v[10:11], v[8:9]
	v_cndmask_b32_e32 v26, 0, v13, vcc
	v_add_f64 v[19:20], v[19:20], v[25:26]
	v_add_f64 v[8:9], v[15:16], v[8:9]
	;; [unrolled: 1-line block ×4, first 2 shown]
	v_mov_b32_e32 v17, 0x3ff00000
	v_cvt_i32_f64_e32 v13, v[21:22]
	v_cvt_f64_i32_e32 v[21:22], v13
	v_add_f64 v[19:20], v[19:20], -v[21:22]
	v_add_f64 v[10:11], v[23:24], v[19:20]
	v_add_f64 v[15:16], v[10:11], -v[19:20]
	v_cmp_le_f64_e32 vcc, 0.5, v[10:11]
	v_add_f64 v[15:16], v[23:24], -v[15:16]
	v_cndmask_b32_e32 v26, 0, v17, vcc
	v_add_f64 v[10:11], v[10:11], -v[25:26]
	v_addc_co_u32_e64 v13, s[4:5], 0, v13, vcc
	s_mov_b32 s4, 0x33145c07
	s_mov_b32 s5, 0x3c91a626
	v_add_f64 v[8:9], v[8:9], v[15:16]
	v_add_f64 v[15:16], v[10:11], v[8:9]
	v_mul_f64 v[17:18], v[15:16], s[14:15]
	v_add_f64 v[10:11], v[15:16], -v[10:11]
	v_fma_f64 v[19:20], v[15:16], s[14:15], -v[17:18]
	v_add_f64 v[8:9], v[8:9], -v[10:11]
	v_fma_f64 v[10:11], v[15:16], s[4:5], v[19:20]
	v_fma_f64 v[10:11], v[8:9], s[14:15], v[10:11]
	v_add_f64 v[8:9], v[17:18], v[10:11]
	v_add_f64 v[15:16], v[8:9], -v[17:18]
	v_add_f64 v[10:11], v[10:11], -v[15:16]
.LBB31_5:
	s_andn2_saveexec_b64 s[4:5], s[16:17]
	s_cbranch_execz .LBB31_7
; %bb.6:
	s_mov_b32 s14, 0x6dc9c883
	s_mov_b32 s15, 0x3fe45f30
	v_mul_f64 v[8:9], |v[6:7]|, s[14:15]
	s_mov_b32 s14, 0x54442d18
	s_mov_b32 s15, 0xbff921fb
	;; [unrolled: 1-line block ×4, first 2 shown]
	v_rndne_f64_e32 v[15:16], v[8:9]
	v_fma_f64 v[8:9], v[15:16], s[14:15], |v[6:7]|
	v_mul_f64 v[10:11], v[15:16], s[16:17]
	s_mov_b32 s14, 0x252049c0
	s_mov_b32 s15, 0xb97b839a
	v_cvt_i32_f64_e32 v13, v[15:16]
	v_fma_f64 v[21:22], v[15:16], s[16:17], v[8:9]
	v_add_f64 v[17:18], v[8:9], v[10:11]
	s_mov_b32 s17, 0x3c91a626
	v_add_f64 v[19:20], v[8:9], -v[17:18]
	v_add_f64 v[17:18], v[17:18], -v[21:22]
	v_add_f64 v[8:9], v[19:20], v[10:11]
	v_fma_f64 v[10:11], v[15:16], s[16:17], v[10:11]
	v_add_f64 v[8:9], v[17:18], v[8:9]
	v_add_f64 v[8:9], v[8:9], -v[10:11]
	v_fma_f64 v[10:11], v[15:16], s[14:15], v[8:9]
	v_add_f64 v[8:9], v[21:22], v[10:11]
	v_add_f64 v[17:18], v[8:9], -v[21:22]
	v_add_f64 v[10:11], v[10:11], -v[17:18]
.LBB31_7:
	s_or_b64 exec, exec, s[4:5]
	v_mul_f64 v[15:16], v[8:9], v[8:9]
	v_add_f64 v[17:18], v[10:11], v[10:11]
	s_mov_b32 s4, 0xc751c08c
	s_mov_b32 s5, 0x3ef5e089
	v_and_b32_e32 v13, 1, v13
	v_cmp_eq_u32_e32 vcc, 0, v13
	s_mov_b32 s16, 0x54442d18
	s_mov_b32 s17, 0xc00921fb
	v_fma_f64 v[19:20], v[8:9], v[8:9], -v[15:16]
	s_mov_b64 s[14:15], exec
	v_sub_f32_e32 v14, 1.0, v14
	v_fma_f64 v[17:18], v[8:9], v[17:18], v[19:20]
	v_add_f64 v[15:16], v[15:16], v[17:18]
	v_mov_b32_e32 v17, 0xa9a29f71
	v_mov_b32_e32 v18, 0xbf078809
	v_fma_f64 v[17:18], v[15:16], s[4:5], v[17:18]
	s_mov_b32 s4, 0x90a8aae0
	s_mov_b32 s5, 0x3f17746f
	v_fma_f64 v[17:18], v[15:16], v[17:18], s[4:5]
	s_mov_b32 s4, 0xa6fbf144
	s_mov_b32 s5, 0xbefbb44d
	;; [unrolled: 3-line block ×12, first 2 shown]
	v_fma_f64 v[17:18], v[15:16], v[17:18], s[4:5]
	s_movk_i32 s4, 0x1f8
	v_cmp_class_f64_e64 s[4:5], v[6:7], s4
	v_mul_f64 v[15:16], v[15:16], v[17:18]
	v_mul_f64 v[17:18], v[8:9], v[15:16]
	v_add_f64 v[19:20], v[8:9], v[17:18]
	v_fma_f64 v[15:16], v[8:9], v[15:16], -v[17:18]
	v_add_f64 v[8:9], v[19:20], -v[8:9]
	v_add_f64 v[10:11], v[10:11], v[15:16]
	v_add_f64 v[8:9], v[17:18], -v[8:9]
	v_add_f64 v[8:9], v[10:11], v[8:9]
	v_add_f64 v[10:11], v[19:20], v[8:9]
	v_rcp_f64_e32 v[15:16], v[10:11]
	v_fma_f64 v[17:18], -v[10:11], v[15:16], 1.0
	v_fma_f64 v[15:16], v[17:18], v[15:16], v[15:16]
	v_fma_f64 v[17:18], -v[10:11], v[15:16], 1.0
	v_fma_f64 v[15:16], v[17:18], v[15:16], v[15:16]
	v_add_f64 v[17:18], v[10:11], -v[19:20]
	v_mul_f64 v[19:20], v[10:11], v[15:16]
	v_add_f64 v[8:9], v[8:9], -v[17:18]
	v_fma_f64 v[17:18], v[15:16], v[10:11], -v[19:20]
	v_fma_f64 v[8:9], v[15:16], v[8:9], v[17:18]
	v_add_f64 v[17:18], v[19:20], v[8:9]
	v_add_f64 v[21:22], -v[17:18], 1.0
	v_add_f64 v[19:20], v[17:18], -v[19:20]
	v_add_f64 v[23:24], -v[21:22], 1.0
	v_add_f64 v[8:9], v[19:20], -v[8:9]
	v_add_f64 v[17:18], v[23:24], -v[17:18]
	v_add_f64 v[8:9], v[8:9], v[17:18]
	v_add_f64 v[8:9], v[21:22], v[8:9]
	v_mul_f64 v[8:9], v[15:16], v[8:9]
	v_add_f64 v[8:9], v[15:16], v[8:9]
	v_and_b32_e32 v15, 0x80000000, v7
	v_mov_b32_e32 v7, 0x7ff80000
	v_xor_b32_e32 v6, 0x80000000, v9
	v_cndmask_b32_e32 v8, v8, v10, vcc
	v_cndmask_b32_e32 v9, v6, v11, vcc
	v_cndmask_b32_e64 v6, 0, v8, s[4:5]
	v_xor_b32_e32 v8, v9, v15
	v_cndmask_b32_e64 v7, v7, v8, s[4:5]
	v_div_scale_f64 v[8:9], s[4:5], v[6:7], v[6:7], s[16:17]
	v_div_scale_f64 v[17:18], vcc, s[16:17], v[6:7], s[16:17]
	v_rcp_f64_e32 v[10:11], v[8:9]
	v_fma_f64 v[15:16], -v[8:9], v[10:11], 1.0
	v_fma_f64 v[10:11], v[10:11], v[15:16], v[10:11]
	v_fma_f64 v[15:16], -v[8:9], v[10:11], 1.0
	v_fma_f64 v[10:11], v[10:11], v[15:16], v[10:11]
	v_mul_f64 v[15:16], v[17:18], v[10:11]
	v_fma_f64 v[8:9], -v[8:9], v[15:16], v[17:18]
	v_div_fmas_f64 v[8:9], v[8:9], v[10:11], v[15:16]
	v_div_fixup_f64 v[6:7], v[8:9], v[6:7], s[16:17]
	v_cvt_f32_f64_e32 v6, v[6:7]
.LBB31_8:
	s_or_b64 exec, exec, s[12:13]
	s_orn2_b64 s[12:13], s[14:15], exec
.LBB31_9:
	s_or_b64 exec, exec, s[10:11]
	v_mov_b32_e32 v13, 0x7fc0
	s_and_saveexec_b64 s[4:5], s[12:13]
	s_cbranch_execz .LBB31_21
; %bb.10:
	s_mov_b32 s14, 0x41200000
	v_cmp_gt_f32_e32 vcc, s14, v14
	s_and_saveexec_b64 s[10:11], vcc
	s_cbranch_execz .LBB31_14
; %bb.11:
	s_mov_b64 s[12:13], 0
.LBB31_12:                              ; =>This Inner Loop Header: Depth=1
	v_div_scale_f32 v7, s[16:17], v14, v14, 1.0
	v_div_scale_f32 v8, vcc, 1.0, v14, 1.0
	v_rcp_f32_e32 v9, v7
	v_fma_f32 v10, -v7, v9, 1.0
	v_fmac_f32_e32 v9, v10, v9
	v_mul_f32_e32 v10, v8, v9
	v_fma_f32 v11, -v7, v10, v8
	v_fmac_f32_e32 v10, v11, v9
	v_fma_f32 v7, -v7, v10, v8
	v_div_fmas_f32 v7, v7, v9, v10
	v_div_fixup_f32 v7, v7, v14, 1.0
	v_add_f32_e32 v14, 1.0, v14
	v_cmp_ngt_f32_e32 vcc, s14, v14
	s_or_b64 s[12:13], vcc, s[12:13]
	v_sub_f32_e32 v6, v6, v7
	s_andn2_b64 exec, exec, s[12:13]
	s_cbranch_execnz .LBB31_12
; %bb.13:
	s_or_b64 exec, exec, s[12:13]
.LBB31_14:
	s_or_b64 exec, exec, s[10:11]
	s_mov_b32 s10, 0x41200000
	v_cmp_neq_f32_e32 vcc, s10, v14
                                        ; implicit-def: $vgpr13
	s_and_saveexec_b64 s[10:11], vcc
	s_xor_b64 s[10:11], exec, s[10:11]
	s_cbranch_execz .LBB31_18
; %bb.15:
	v_cvt_f64_f32_e32 v[7:8], v14
	s_mov_b32 s12, 0x85d8a000
	s_mov_b32 s13, 0x43763457
	v_cmp_gt_f64_e32 vcc, s[12:13], v[7:8]
	v_mov_b32_e32 v7, 0
	s_and_saveexec_b64 s[12:13], vcc
	s_cbranch_execz .LBB31_17
; %bb.16:
	v_mul_f32_e32 v7, v14, v14
	v_div_scale_f32 v8, s[14:15], v7, v7, 1.0
	v_div_scale_f32 v9, vcc, 1.0, v7, 1.0
	v_mov_b32_e32 v15, 0x3b820821
	v_rcp_f32_e32 v10, v8
	v_fma_f32 v11, -v8, v10, 1.0
	v_fmac_f32_e32 v10, v11, v10
	v_mul_f32_e32 v11, v9, v10
	v_fma_f32 v13, -v8, v11, v9
	v_fmac_f32_e32 v11, v13, v10
	v_fma_f32 v8, -v8, v11, v9
	v_div_fmas_f32 v8, v8, v10, v11
	v_mov_b32_e32 v9, 0x3daaaaab
	v_mov_b32_e32 v10, 0xbcaccacd
	;; [unrolled: 1-line block ×4, first 2 shown]
	v_div_fixup_f32 v7, v8, v7, 1.0
	v_fma_f32 v8, 0, v7, v9
	v_fmac_f32_e32 v10, v7, v8
	v_fmac_f32_e32 v11, v7, v10
	;; [unrolled: 1-line block ×4, first 2 shown]
	v_mov_b32_e32 v8, 0xbc088889
	v_fmac_f32_e32 v8, v7, v15
	v_fmac_f32_e32 v9, v7, v8
	v_mul_f32_e32 v7, v7, v9
.LBB31_17:
	s_or_b64 exec, exec, s[12:13]
	v_div_scale_f32 v8, s[12:13], v14, v14, -0.5
	v_div_scale_f32 v9, vcc, -0.5, v14, -0.5
	s_mov_b32 s12, 0x800000
	s_mov_b32 s13, 0x3f317217
	;; [unrolled: 1-line block ×3, first 2 shown]
	v_rcp_f32_e32 v10, v8
	v_fma_f32 v11, -v8, v10, 1.0
	v_fmac_f32_e32 v10, v11, v10
	v_mul_f32_e32 v11, v9, v10
	v_fma_f32 v13, -v8, v11, v9
	v_fmac_f32_e32 v11, v13, v10
	v_fma_f32 v8, -v8, v11, v9
	v_div_fmas_f32 v8, v8, v10, v11
	v_cmp_gt_f32_e32 vcc, s12, v14
	v_cndmask_b32_e64 v10, 0, 32, vcc
	v_ldexp_f32 v10, v14, v10
	v_log_f32_e32 v10, v10
	v_mov_b32_e32 v9, 0x41b17218
	v_cndmask_b32_e32 v9, 0, v9, vcc
	s_movk_i32 s12, 0x7fff
	v_mul_f32_e32 v13, 0x3f317217, v10
	v_fma_f32 v13, v10, s13, -v13
	v_fmac_f32_e32 v13, 0x3377d1cf, v10
	v_fmac_f32_e32 v13, 0x3f317217, v10
	v_cmp_lt_f32_e64 vcc, |v10|, s14
	v_cndmask_b32_e32 v10, v10, v13, vcc
	v_sub_f32_e32 v9, v10, v9
	v_mov_b32_e32 v11, 0x7fc0
	v_div_fixup_f32 v8, v8, v14, -0.5
	v_add_f32_e32 v8, v9, v8
	v_sub_f32_e32 v7, v8, v7
	v_add_f32_e32 v6, v6, v7
	v_bfe_u32 v7, v6, 16, 1
	v_cmp_o_f32_e32 vcc, v6, v6
	v_add3_u32 v6, v6, v7, s12
	v_cndmask_b32_sdwa v13, v11, v6, vcc dst_sel:DWORD dst_unused:UNUSED_PAD src0_sel:DWORD src1_sel:WORD_1
                                        ; implicit-def: $vgpr6
.LBB31_18:
	s_andn2_saveexec_b64 s[10:11], s[10:11]
; %bb.19:
	v_add_f32_e32 v6, 0x40101cb7, v6
	v_bfe_u32 v7, v6, 16, 1
	s_movk_i32 s12, 0x7fff
	v_add3_u32 v7, v6, v7, s12
	v_cmp_o_f32_e32 vcc, v6, v6
	v_mov_b32_e32 v6, 0x7fc0
	v_cndmask_b32_sdwa v13, v6, v7, vcc dst_sel:DWORD dst_unused:UNUSED_PAD src0_sel:DWORD src1_sel:WORD_1
; %bb.20:
	s_or_b64 exec, exec, s[10:11]
.LBB31_21:
	s_or_b64 exec, exec, s[4:5]
                                        ; implicit-def: $vgpr14
.LBB31_22:
	s_andn2_saveexec_b64 s[4:5], s[8:9]
; %bb.23:
	v_xor_b32_e32 v6, 0x80000000, v14
	v_and_b32_e32 v6, 0x80000000, v6
	v_or_b32_e32 v6, 0x7f800000, v6
	v_lshrrev_b32_e32 v13, 16, v6
; %bb.24:
	s_or_b64 exec, exec, s[4:5]
	v_and_b32_e32 v2, 0xffff0000, v2
	v_cmp_neq_f32_e32 vcc, 0, v2
                                        ; implicit-def: $vgpr14
	s_and_saveexec_b64 s[4:5], vcc
	s_xor_b64 s[8:9], exec, s[4:5]
	s_cbranch_execz .LBB31_46
; %bb.25:
	v_mov_b32_e32 v6, 0
	v_cmp_gt_f32_e32 vcc, 0, v2
	s_mov_b64 s[12:13], -1
	s_and_saveexec_b64 s[10:11], vcc
	s_cbranch_execz .LBB31_33
; %bb.26:
	v_trunc_f32_e32 v6, v2
	v_cmp_neq_f32_e32 vcc, v6, v2
	s_mov_b64 s[14:15], 0
	v_mov_b32_e32 v6, 0
	s_and_saveexec_b64 s[12:13], vcc
	s_cbranch_execz .LBB31_32
; %bb.27:
	v_cvt_f64_f32_e32 v[6:7], v2
	s_mov_b32 s4, 0
	s_mov_b32 s15, 0xc00921fb
	s_mov_b32 s14, 0x54442d18
	v_trunc_f64_e32 v[8:9], v[6:7]
	s_mov_b32 s5, 0x7ff00000
	v_cmp_neq_f64_e64 vcc, |v[6:7]|, s[4:5]
	v_bfrev_b32_e32 v10, 1
	s_mov_b32 s16, 0
	s_mov_b32 s17, 0x41d00000
                                        ; implicit-def: $vgpr14
	v_add_f64 v[8:9], v[6:7], -v[8:9]
	v_mul_f64 v[8:9], |v[8:9]|, s[14:15]
	v_cndmask_b32_e32 v7, v10, v9, vcc
	v_cndmask_b32_e32 v6, 0, v8, vcc
	v_cmp_nlt_f64_e64 s[16:17], |v[6:7]|, s[16:17]
                                        ; implicit-def: $vgpr8_vgpr9
                                        ; implicit-def: $vgpr10_vgpr11
	s_and_saveexec_b64 s[18:19], s[16:17]
	s_xor_b64 s[16:17], exec, s[18:19]
	s_cbranch_execz .LBB31_29
; %bb.28:
	v_trig_preop_f64 v[8:9], |v[6:7]|, 0
	s_mov_b32 s18, 0
	s_mov_b32 s19, 0x7b000000
	s_movk_i32 s15, 0xff80
	v_cmp_ge_f64_e64 vcc, |v[6:7]|, s[18:19]
	v_ldexp_f64 v[14:15], |v[6:7]|, s15
	v_trig_preop_f64 v[10:11], |v[6:7]|, 1
	v_and_b32_e32 v16, 0x7fffffff, v7
	s_mov_b32 s15, 0x3ff921fb
	v_cndmask_b32_e32 v15, v16, v15, vcc
	v_cndmask_b32_e32 v14, v6, v14, vcc
	v_mul_f64 v[18:19], v[8:9], v[14:15]
	v_mul_f64 v[16:17], v[10:11], v[14:15]
	v_fma_f64 v[8:9], v[8:9], v[14:15], -v[18:19]
	v_fma_f64 v[10:11], v[10:11], v[14:15], -v[16:17]
	v_add_f64 v[20:21], v[16:17], v[8:9]
	v_add_f64 v[28:29], v[20:21], -v[16:17]
	v_add_f64 v[22:23], v[18:19], v[20:21]
	v_add_f64 v[8:9], v[8:9], -v[28:29]
	v_add_f64 v[28:29], v[20:21], -v[28:29]
	v_ldexp_f64 v[24:25], v[22:23], -2
	v_add_f64 v[18:19], v[22:23], -v[18:19]
	v_add_f64 v[28:29], v[16:17], -v[28:29]
	v_trig_preop_f64 v[16:17], |v[6:7]|, 2
	v_fract_f64_e32 v[26:27], v[24:25]
	v_add_f64 v[18:19], v[20:21], -v[18:19]
	v_cmp_neq_f64_e64 vcc, |v[24:25]|, s[4:5]
	v_add_f64 v[8:9], v[8:9], v[28:29]
	v_mul_f64 v[28:29], v[16:17], v[14:15]
	v_add_f64 v[30:31], v[28:29], v[10:11]
	v_add_f64 v[32:33], v[30:31], v[8:9]
	v_add_f64 v[22:23], v[32:33], -v[30:31]
	v_add_f64 v[20:21], v[18:19], v[32:33]
	v_add_f64 v[8:9], v[8:9], -v[22:23]
	v_add_f64 v[22:23], v[32:33], -v[22:23]
	;; [unrolled: 1-line block ×5, first 2 shown]
	v_add_f64 v[8:9], v[8:9], v[22:23]
	v_add_f64 v[22:23], v[30:31], -v[28:29]
	v_add_f64 v[10:11], v[10:11], -v[22:23]
	;; [unrolled: 1-line block ×4, first 2 shown]
	v_add_f64 v[10:11], v[10:11], v[22:23]
	v_add_f64 v[8:9], v[10:11], v[8:9]
	v_fma_f64 v[10:11], v[16:17], v[14:15], -v[28:29]
	v_add_f64 v[8:9], v[10:11], v[8:9]
	v_ldexp_f64 v[10:11], v[26:27], 2
	v_add_f64 v[8:9], v[18:19], v[8:9]
	v_cndmask_b32_e32 v11, 0, v11, vcc
	v_cndmask_b32_e32 v10, 0, v10, vcc
	v_add_f64 v[14:15], v[20:21], v[10:11]
	v_cmp_gt_f64_e32 vcc, 0, v[14:15]
	v_mov_b32_e32 v14, 0x40100000
	v_mov_b32_e32 v15, 0
	v_cndmask_b32_e32 v16, 0, v14, vcc
	v_add_f64 v[10:11], v[10:11], v[15:16]
	v_add_f64 v[16:17], v[20:21], v[10:11]
	v_cvt_i32_f64_e32 v14, v[16:17]
	v_cvt_f64_i32_e32 v[16:17], v14
	v_add_f64 v[10:11], v[10:11], -v[16:17]
	v_add_f64 v[17:18], v[20:21], v[10:11]
	v_add_f64 v[10:11], v[17:18], -v[10:11]
	v_cmp_le_f64_e32 vcc, 0.5, v[17:18]
	v_add_f64 v[10:11], v[20:21], -v[10:11]
	v_addc_co_u32_e64 v14, s[4:5], 0, v14, vcc
	s_mov_b32 s4, 0x33145c07
	s_mov_b32 s5, 0x3c91a626
	v_add_f64 v[8:9], v[8:9], v[10:11]
	v_mov_b32_e32 v10, 0x3ff00000
	v_cndmask_b32_e32 v16, 0, v10, vcc
	v_add_f64 v[10:11], v[17:18], -v[15:16]
	v_add_f64 v[15:16], v[10:11], v[8:9]
	v_add_f64 v[10:11], v[15:16], -v[10:11]
	v_add_f64 v[8:9], v[8:9], -v[10:11]
	v_mul_f64 v[10:11], v[15:16], s[14:15]
	v_fma_f64 v[17:18], v[15:16], s[14:15], -v[10:11]
	v_fma_f64 v[15:16], v[15:16], s[4:5], v[17:18]
	v_fma_f64 v[15:16], v[8:9], s[14:15], v[15:16]
	v_add_f64 v[8:9], v[10:11], v[15:16]
	v_add_f64 v[10:11], v[8:9], -v[10:11]
	v_add_f64 v[10:11], v[15:16], -v[10:11]
.LBB31_29:
	s_andn2_saveexec_b64 s[4:5], s[16:17]
	s_cbranch_execz .LBB31_31
; %bb.30:
	s_mov_b32 s14, 0x6dc9c883
	s_mov_b32 s15, 0x3fe45f30
	v_mul_f64 v[8:9], |v[6:7]|, s[14:15]
	s_mov_b32 s14, 0x54442d18
	s_mov_b32 s15, 0xbff921fb
	;; [unrolled: 1-line block ×4, first 2 shown]
	v_rndne_f64_e32 v[14:15], v[8:9]
	v_fma_f64 v[8:9], v[14:15], s[14:15], |v[6:7]|
	v_mul_f64 v[10:11], v[14:15], s[16:17]
	s_mov_b32 s14, 0x252049c0
	s_mov_b32 s15, 0xb97b839a
	v_fma_f64 v[20:21], v[14:15], s[16:17], v[8:9]
	v_add_f64 v[16:17], v[8:9], v[10:11]
	s_mov_b32 s17, 0x3c91a626
	v_add_f64 v[18:19], v[8:9], -v[16:17]
	v_add_f64 v[16:17], v[16:17], -v[20:21]
	v_add_f64 v[8:9], v[18:19], v[10:11]
	v_fma_f64 v[10:11], v[14:15], s[16:17], v[10:11]
	v_add_f64 v[8:9], v[16:17], v[8:9]
	v_add_f64 v[8:9], v[8:9], -v[10:11]
	v_fma_f64 v[10:11], v[14:15], s[14:15], v[8:9]
	v_cvt_i32_f64_e32 v14, v[14:15]
	v_add_f64 v[8:9], v[20:21], v[10:11]
	v_add_f64 v[16:17], v[8:9], -v[20:21]
	v_add_f64 v[10:11], v[10:11], -v[16:17]
.LBB31_31:
	s_or_b64 exec, exec, s[4:5]
	v_mul_f64 v[15:16], v[8:9], v[8:9]
	v_add_f64 v[17:18], v[10:11], v[10:11]
	s_mov_b32 s4, 0xc751c08c
	s_mov_b32 s5, 0x3ef5e089
	v_and_b32_e32 v14, 1, v14
	v_cmp_eq_u32_e32 vcc, 0, v14
	s_mov_b32 s16, 0x54442d18
	s_mov_b32 s17, 0xc00921fb
	v_fma_f64 v[19:20], v[8:9], v[8:9], -v[15:16]
	s_mov_b64 s[14:15], exec
	v_sub_f32_e32 v2, 1.0, v2
	v_fma_f64 v[17:18], v[8:9], v[17:18], v[19:20]
	v_add_f64 v[15:16], v[15:16], v[17:18]
	v_mov_b32_e32 v17, 0xa9a29f71
	v_mov_b32_e32 v18, 0xbf078809
	v_fma_f64 v[17:18], v[15:16], s[4:5], v[17:18]
	s_mov_b32 s4, 0x90a8aae0
	s_mov_b32 s5, 0x3f17746f
	v_fma_f64 v[17:18], v[15:16], v[17:18], s[4:5]
	s_mov_b32 s4, 0xa6fbf144
	s_mov_b32 s5, 0xbefbb44d
	;; [unrolled: 3-line block ×12, first 2 shown]
	v_fma_f64 v[17:18], v[15:16], v[17:18], s[4:5]
	s_movk_i32 s4, 0x1f8
	v_cmp_class_f64_e64 s[4:5], v[6:7], s4
	v_mul_f64 v[15:16], v[15:16], v[17:18]
	v_mul_f64 v[17:18], v[8:9], v[15:16]
	v_add_f64 v[19:20], v[8:9], v[17:18]
	v_fma_f64 v[15:16], v[8:9], v[15:16], -v[17:18]
	v_add_f64 v[8:9], v[19:20], -v[8:9]
	v_add_f64 v[10:11], v[10:11], v[15:16]
	v_add_f64 v[8:9], v[17:18], -v[8:9]
	v_add_f64 v[8:9], v[10:11], v[8:9]
	v_add_f64 v[10:11], v[19:20], v[8:9]
	v_rcp_f64_e32 v[15:16], v[10:11]
	v_fma_f64 v[17:18], -v[10:11], v[15:16], 1.0
	v_fma_f64 v[15:16], v[17:18], v[15:16], v[15:16]
	v_fma_f64 v[17:18], -v[10:11], v[15:16], 1.0
	v_fma_f64 v[15:16], v[17:18], v[15:16], v[15:16]
	v_add_f64 v[17:18], v[10:11], -v[19:20]
	v_mul_f64 v[19:20], v[10:11], v[15:16]
	v_add_f64 v[8:9], v[8:9], -v[17:18]
	v_fma_f64 v[17:18], v[15:16], v[10:11], -v[19:20]
	v_fma_f64 v[8:9], v[15:16], v[8:9], v[17:18]
	v_add_f64 v[17:18], v[19:20], v[8:9]
	v_add_f64 v[21:22], -v[17:18], 1.0
	v_add_f64 v[19:20], v[17:18], -v[19:20]
	v_add_f64 v[23:24], -v[21:22], 1.0
	v_add_f64 v[8:9], v[19:20], -v[8:9]
	v_add_f64 v[17:18], v[23:24], -v[17:18]
	v_add_f64 v[8:9], v[8:9], v[17:18]
	v_add_f64 v[8:9], v[21:22], v[8:9]
	v_mul_f64 v[8:9], v[15:16], v[8:9]
	v_add_f64 v[8:9], v[15:16], v[8:9]
	v_and_b32_e32 v15, 0x80000000, v7
	v_mov_b32_e32 v7, 0x7ff80000
	v_xor_b32_e32 v6, 0x80000000, v9
	v_cndmask_b32_e32 v8, v8, v10, vcc
	v_cndmask_b32_e32 v9, v6, v11, vcc
	v_cndmask_b32_e64 v6, 0, v8, s[4:5]
	v_xor_b32_e32 v8, v9, v15
	v_cndmask_b32_e64 v7, v7, v8, s[4:5]
	v_div_scale_f64 v[8:9], s[4:5], v[6:7], v[6:7], s[16:17]
	v_div_scale_f64 v[16:17], vcc, s[16:17], v[6:7], s[16:17]
	v_rcp_f64_e32 v[10:11], v[8:9]
	v_fma_f64 v[14:15], -v[8:9], v[10:11], 1.0
	v_fma_f64 v[10:11], v[10:11], v[14:15], v[10:11]
	v_fma_f64 v[14:15], -v[8:9], v[10:11], 1.0
	v_fma_f64 v[10:11], v[10:11], v[14:15], v[10:11]
	v_mul_f64 v[14:15], v[16:17], v[10:11]
	v_fma_f64 v[8:9], -v[8:9], v[14:15], v[16:17]
	v_div_fmas_f64 v[8:9], v[8:9], v[10:11], v[14:15]
	v_div_fixup_f64 v[6:7], v[8:9], v[6:7], s[16:17]
	v_cvt_f32_f64_e32 v6, v[6:7]
.LBB31_32:
	s_or_b64 exec, exec, s[12:13]
	s_orn2_b64 s[12:13], s[14:15], exec
.LBB31_33:
	s_or_b64 exec, exec, s[10:11]
	v_mov_b32_e32 v14, 0x7fc0
	s_and_saveexec_b64 s[4:5], s[12:13]
	s_cbranch_execz .LBB31_45
; %bb.34:
	s_mov_b32 s14, 0x41200000
	v_cmp_gt_f32_e32 vcc, s14, v2
	s_and_saveexec_b64 s[10:11], vcc
	s_cbranch_execz .LBB31_38
; %bb.35:
	s_mov_b64 s[12:13], 0
.LBB31_36:                              ; =>This Inner Loop Header: Depth=1
	v_div_scale_f32 v7, s[16:17], v2, v2, 1.0
	v_div_scale_f32 v8, vcc, 1.0, v2, 1.0
	v_rcp_f32_e32 v9, v7
	v_fma_f32 v10, -v7, v9, 1.0
	v_fmac_f32_e32 v9, v10, v9
	v_mul_f32_e32 v10, v8, v9
	v_fma_f32 v11, -v7, v10, v8
	v_fmac_f32_e32 v10, v11, v9
	v_fma_f32 v7, -v7, v10, v8
	v_div_fmas_f32 v7, v7, v9, v10
	v_div_fixup_f32 v7, v7, v2, 1.0
	v_add_f32_e32 v2, 1.0, v2
	v_cmp_ngt_f32_e32 vcc, s14, v2
	s_or_b64 s[12:13], vcc, s[12:13]
	v_sub_f32_e32 v6, v6, v7
	s_andn2_b64 exec, exec, s[12:13]
	s_cbranch_execnz .LBB31_36
; %bb.37:
	s_or_b64 exec, exec, s[12:13]
.LBB31_38:
	s_or_b64 exec, exec, s[10:11]
	s_mov_b32 s10, 0x41200000
	v_cmp_neq_f32_e32 vcc, s10, v2
                                        ; implicit-def: $vgpr14
	s_and_saveexec_b64 s[10:11], vcc
	s_xor_b64 s[10:11], exec, s[10:11]
	s_cbranch_execz .LBB31_42
; %bb.39:
	v_cvt_f64_f32_e32 v[7:8], v2
	s_mov_b32 s12, 0x85d8a000
	s_mov_b32 s13, 0x43763457
	v_cmp_gt_f64_e32 vcc, s[12:13], v[7:8]
	v_mov_b32_e32 v7, 0
	s_and_saveexec_b64 s[12:13], vcc
	s_cbranch_execz .LBB31_41
; %bb.40:
	v_mul_f32_e32 v7, v2, v2
	v_div_scale_f32 v8, s[14:15], v7, v7, 1.0
	v_div_scale_f32 v9, vcc, 1.0, v7, 1.0
	v_mov_b32_e32 v15, 0x3b820821
	v_rcp_f32_e32 v10, v8
	v_fma_f32 v11, -v8, v10, 1.0
	v_fmac_f32_e32 v10, v11, v10
	v_mul_f32_e32 v11, v9, v10
	v_fma_f32 v14, -v8, v11, v9
	v_fmac_f32_e32 v11, v14, v10
	v_fma_f32 v8, -v8, v11, v9
	v_div_fmas_f32 v8, v8, v10, v11
	v_mov_b32_e32 v9, 0x3daaaaab
	v_mov_b32_e32 v10, 0xbcaccacd
	;; [unrolled: 1-line block ×4, first 2 shown]
	v_div_fixup_f32 v7, v8, v7, 1.0
	v_fma_f32 v8, 0, v7, v9
	v_fmac_f32_e32 v10, v7, v8
	v_fmac_f32_e32 v11, v7, v10
	;; [unrolled: 1-line block ×4, first 2 shown]
	v_mov_b32_e32 v8, 0xbc088889
	v_fmac_f32_e32 v8, v7, v15
	v_fmac_f32_e32 v9, v7, v8
	v_mul_f32_e32 v7, v7, v9
.LBB31_41:
	s_or_b64 exec, exec, s[12:13]
	v_div_scale_f32 v8, s[12:13], v2, v2, -0.5
	v_div_scale_f32 v9, vcc, -0.5, v2, -0.5
	s_mov_b32 s12, 0x800000
	s_mov_b32 s13, 0x3f317217
	;; [unrolled: 1-line block ×3, first 2 shown]
	v_rcp_f32_e32 v10, v8
	v_fma_f32 v11, -v8, v10, 1.0
	v_fmac_f32_e32 v10, v11, v10
	v_mul_f32_e32 v11, v9, v10
	v_fma_f32 v14, -v8, v11, v9
	v_fmac_f32_e32 v11, v14, v10
	v_fma_f32 v8, -v8, v11, v9
	v_div_fmas_f32 v8, v8, v10, v11
	v_cmp_gt_f32_e32 vcc, s12, v2
	v_cndmask_b32_e64 v10, 0, 32, vcc
	v_ldexp_f32 v10, v2, v10
	v_log_f32_e32 v10, v10
	v_mov_b32_e32 v9, 0x41b17218
	v_cndmask_b32_e32 v9, 0, v9, vcc
	s_movk_i32 s12, 0x7fff
	v_mul_f32_e32 v14, 0x3f317217, v10
	v_fma_f32 v14, v10, s13, -v14
	v_fmac_f32_e32 v14, 0x3377d1cf, v10
	v_fmac_f32_e32 v14, 0x3f317217, v10
	v_cmp_lt_f32_e64 vcc, |v10|, s14
	v_cndmask_b32_e32 v10, v10, v14, vcc
	v_sub_f32_e32 v9, v10, v9
	v_mov_b32_e32 v11, 0x7fc0
	v_div_fixup_f32 v2, v8, v2, -0.5
	v_add_f32_e32 v2, v9, v2
	v_sub_f32_e32 v2, v2, v7
	v_add_f32_e32 v2, v6, v2
	v_bfe_u32 v6, v2, 16, 1
	v_cmp_o_f32_e32 vcc, v2, v2
	v_add3_u32 v2, v2, v6, s12
	v_cndmask_b32_sdwa v14, v11, v2, vcc dst_sel:DWORD dst_unused:UNUSED_PAD src0_sel:DWORD src1_sel:WORD_1
                                        ; implicit-def: $vgpr6
.LBB31_42:
	s_andn2_saveexec_b64 s[10:11], s[10:11]
; %bb.43:
	v_add_f32_e32 v2, 0x40101cb7, v6
	v_bfe_u32 v6, v2, 16, 1
	s_movk_i32 s12, 0x7fff
	v_add3_u32 v6, v2, v6, s12
	v_cmp_o_f32_e32 vcc, v2, v2
	v_mov_b32_e32 v2, 0x7fc0
	v_cndmask_b32_sdwa v14, v2, v6, vcc dst_sel:DWORD dst_unused:UNUSED_PAD src0_sel:DWORD src1_sel:WORD_1
; %bb.44:
	s_or_b64 exec, exec, s[10:11]
.LBB31_45:
	s_or_b64 exec, exec, s[4:5]
                                        ; implicit-def: $vgpr2
.LBB31_46:
	s_andn2_saveexec_b64 s[4:5], s[8:9]
; %bb.47:
	v_xor_b32_e32 v2, 0x80000000, v2
	v_and_b32_e32 v2, 0x80000000, v2
	v_or_b32_e32 v2, 0x7f800000, v2
	v_lshrrev_b32_e32 v14, 16, v2
; %bb.48:
	s_or_b64 exec, exec, s[4:5]
	v_lshlrev_b32_e32 v2, 16, v3
	v_cmp_neq_f32_e32 vcc, 0, v2
                                        ; implicit-def: $vgpr10
	s_and_saveexec_b64 s[4:5], vcc
	s_xor_b64 s[8:9], exec, s[4:5]
	s_cbranch_execz .LBB31_70
; %bb.49:
	v_mov_b32_e32 v6, 0
	v_cmp_gt_f32_e32 vcc, 0, v2
	s_mov_b64 s[12:13], -1
	s_and_saveexec_b64 s[10:11], vcc
	s_cbranch_execz .LBB31_57
; %bb.50:
	v_trunc_f32_e32 v6, v2
	v_cmp_neq_f32_e32 vcc, v6, v2
	s_mov_b64 s[14:15], 0
	v_mov_b32_e32 v6, 0
	s_and_saveexec_b64 s[12:13], vcc
	s_cbranch_execz .LBB31_56
; %bb.51:
	v_cvt_f64_f32_e32 v[6:7], v2
	s_mov_b32 s16, 0
	s_mov_b32 s5, 0xc00921fb
	;; [unrolled: 1-line block ×3, first 2 shown]
	v_trunc_f64_e32 v[8:9], v[6:7]
	s_mov_b32 s17, 0x7ff00000
	v_cmp_neq_f64_e64 vcc, |v[6:7]|, s[16:17]
	v_bfrev_b32_e32 v10, 1
	s_mov_b32 s14, 0
	s_mov_b32 s15, 0x41d00000
                                        ; implicit-def: $vgpr15
	v_add_f64 v[8:9], v[6:7], -v[8:9]
	v_mul_f64 v[8:9], |v[8:9]|, s[4:5]
	v_cndmask_b32_e32 v7, v10, v9, vcc
	v_cndmask_b32_e32 v6, 0, v8, vcc
	v_cmp_nlt_f64_e64 s[14:15], |v[6:7]|, s[14:15]
                                        ; implicit-def: $vgpr8_vgpr9
                                        ; implicit-def: $vgpr10_vgpr11
	s_and_saveexec_b64 s[18:19], s[14:15]
	s_xor_b64 s[14:15], exec, s[18:19]
	s_cbranch_execz .LBB31_53
; %bb.52:
	v_trig_preop_f64 v[8:9], |v[6:7]|, 0
	s_mov_b32 s18, 0
	s_mov_b32 s19, 0x7b000000
	s_movk_i32 s5, 0xff80
	v_cmp_ge_f64_e64 vcc, |v[6:7]|, s[18:19]
	v_ldexp_f64 v[10:11], |v[6:7]|, s5
	v_trig_preop_f64 v[15:16], |v[6:7]|, 1
	v_and_b32_e32 v17, 0x7fffffff, v7
	v_trig_preop_f64 v[21:22], |v[6:7]|, 2
	v_mov_b32_e32 v33, 0x40100000
	s_mov_b32 s5, 0x3ff921fb
	v_cndmask_b32_e32 v11, v17, v11, vcc
	v_cndmask_b32_e32 v10, v6, v10, vcc
	v_mul_f64 v[17:18], v[8:9], v[10:11]
	v_mul_f64 v[19:20], v[15:16], v[10:11]
	;; [unrolled: 1-line block ×3, first 2 shown]
	v_fma_f64 v[8:9], v[8:9], v[10:11], -v[17:18]
	v_fma_f64 v[15:16], v[15:16], v[10:11], -v[19:20]
	;; [unrolled: 1-line block ×3, first 2 shown]
	v_add_f64 v[23:24], v[19:20], v[8:9]
	v_add_f64 v[31:32], v[27:28], v[15:16]
	v_add_f64 v[25:26], v[23:24], -v[19:20]
	v_add_f64 v[29:30], v[23:24], -v[25:26]
	;; [unrolled: 1-line block ×3, first 2 shown]
	v_add_f64 v[25:26], v[17:18], v[23:24]
	v_add_f64 v[19:20], v[19:20], -v[29:30]
	v_add_f64 v[29:30], v[31:32], -v[27:28]
	;; [unrolled: 1-line block ×3, first 2 shown]
	v_ldexp_f64 v[25:26], v[25:26], -2
	v_add_f64 v[8:9], v[8:9], v[19:20]
	v_add_f64 v[19:20], v[31:32], -v[29:30]
	v_add_f64 v[15:16], v[15:16], -v[29:30]
	v_fract_f64_e32 v[29:30], v[25:26]
	v_add_f64 v[17:18], v[23:24], -v[17:18]
	v_cmp_neq_f64_e64 vcc, |v[25:26]|, s[16:17]
	s_mov_b32 s16, 0x33145c07
	s_mov_b32 s17, 0x3c91a626
	v_add_f64 v[23:24], v[31:32], v[8:9]
	v_add_f64 v[19:20], v[27:28], -v[19:20]
	v_ldexp_f64 v[25:26], v[29:30], 2
	v_add_f64 v[29:30], v[17:18], v[23:24]
	v_add_f64 v[15:16], v[15:16], v[19:20]
	v_cndmask_b32_e32 v20, 0, v26, vcc
	v_cndmask_b32_e32 v19, 0, v25, vcc
	v_add_f64 v[25:26], v[29:30], v[19:20]
	v_add_f64 v[17:18], v[29:30], -v[17:18]
	v_cmp_gt_f64_e32 vcc, 0, v[25:26]
	v_add_f64 v[25:26], v[23:24], -v[31:32]
	v_add_f64 v[17:18], v[23:24], -v[17:18]
	v_add_f64 v[8:9], v[8:9], -v[25:26]
	v_add_f64 v[25:26], v[23:24], -v[25:26]
	v_add_f64 v[25:26], v[31:32], -v[25:26]
	v_mov_b32_e32 v31, 0
	v_cndmask_b32_e32 v32, 0, v33, vcc
	v_add_f64 v[19:20], v[19:20], v[31:32]
	v_add_f64 v[8:9], v[8:9], v[25:26]
	;; [unrolled: 1-line block ×4, first 2 shown]
	v_cvt_i32_f64_e32 v33, v[32:33]
	v_cvt_f64_i32_e32 v[25:26], v33
	v_add_f64 v[8:9], v[10:11], v[8:9]
	v_add_f64 v[19:20], v[19:20], -v[25:26]
	v_add_f64 v[8:9], v[17:18], v[8:9]
	v_mov_b32_e32 v17, 0x3ff00000
	v_add_f64 v[15:16], v[29:30], v[19:20]
	v_add_f64 v[10:11], v[15:16], -v[19:20]
	v_cmp_le_f64_e32 vcc, 0.5, v[15:16]
	v_add_f64 v[10:11], v[29:30], -v[10:11]
	v_cndmask_b32_e32 v32, 0, v17, vcc
	v_add_f64 v[8:9], v[8:9], v[10:11]
	v_add_f64 v[10:11], v[15:16], -v[31:32]
	v_add_f64 v[15:16], v[10:11], v[8:9]
	v_mul_f64 v[17:18], v[15:16], s[4:5]
	v_add_f64 v[10:11], v[15:16], -v[10:11]
	v_fma_f64 v[19:20], v[15:16], s[4:5], -v[17:18]
	v_add_f64 v[8:9], v[8:9], -v[10:11]
	v_fma_f64 v[10:11], v[15:16], s[16:17], v[19:20]
	v_fma_f64 v[10:11], v[8:9], s[4:5], v[10:11]
	v_add_f64 v[8:9], v[17:18], v[10:11]
	v_add_f64 v[15:16], v[8:9], -v[17:18]
	v_add_f64 v[10:11], v[10:11], -v[15:16]
	v_addc_co_u32_e32 v15, vcc, 0, v33, vcc
.LBB31_53:
	s_andn2_saveexec_b64 s[4:5], s[14:15]
	s_cbranch_execz .LBB31_55
; %bb.54:
	s_mov_b32 s14, 0x6dc9c883
	s_mov_b32 s15, 0x3fe45f30
	v_mul_f64 v[8:9], |v[6:7]|, s[14:15]
	s_mov_b32 s14, 0x54442d18
	s_mov_b32 s15, 0xbff921fb
	;; [unrolled: 1-line block ×4, first 2 shown]
	v_rndne_f64_e32 v[15:16], v[8:9]
	v_fma_f64 v[8:9], v[15:16], s[14:15], |v[6:7]|
	v_mul_f64 v[10:11], v[15:16], s[16:17]
	s_mov_b32 s14, 0x252049c0
	s_mov_b32 s15, 0xb97b839a
	v_fma_f64 v[21:22], v[15:16], s[16:17], v[8:9]
	v_add_f64 v[17:18], v[8:9], v[10:11]
	s_mov_b32 s17, 0x3c91a626
	v_add_f64 v[19:20], v[8:9], -v[17:18]
	v_add_f64 v[17:18], v[17:18], -v[21:22]
	v_add_f64 v[8:9], v[19:20], v[10:11]
	v_fma_f64 v[10:11], v[15:16], s[16:17], v[10:11]
	v_add_f64 v[8:9], v[17:18], v[8:9]
	v_add_f64 v[8:9], v[8:9], -v[10:11]
	v_fma_f64 v[10:11], v[15:16], s[14:15], v[8:9]
	v_cvt_i32_f64_e32 v15, v[15:16]
	v_add_f64 v[8:9], v[21:22], v[10:11]
	v_add_f64 v[17:18], v[8:9], -v[21:22]
	v_add_f64 v[10:11], v[10:11], -v[17:18]
.LBB31_55:
	s_or_b64 exec, exec, s[4:5]
	v_mul_f64 v[16:17], v[8:9], v[8:9]
	v_add_f64 v[18:19], v[10:11], v[10:11]
	s_mov_b32 s4, 0xc751c08c
	s_mov_b32 s5, 0x3ef5e089
	v_and_b32_e32 v15, 1, v15
	v_cmp_eq_u32_e32 vcc, 0, v15
	s_mov_b32 s16, 0x54442d18
	s_mov_b32 s17, 0xc00921fb
	v_fma_f64 v[20:21], v[8:9], v[8:9], -v[16:17]
	s_mov_b64 s[14:15], exec
	v_sub_f32_e32 v2, 1.0, v2
	v_fma_f64 v[18:19], v[8:9], v[18:19], v[20:21]
	v_add_f64 v[16:17], v[16:17], v[18:19]
	v_mov_b32_e32 v18, 0xa9a29f71
	v_mov_b32_e32 v19, 0xbf078809
	v_fma_f64 v[18:19], v[16:17], s[4:5], v[18:19]
	s_mov_b32 s4, 0x90a8aae0
	s_mov_b32 s5, 0x3f17746f
	v_fma_f64 v[18:19], v[16:17], v[18:19], s[4:5]
	s_mov_b32 s4, 0xa6fbf144
	s_mov_b32 s5, 0xbefbb44d
	;; [unrolled: 3-line block ×12, first 2 shown]
	v_fma_f64 v[18:19], v[16:17], v[18:19], s[4:5]
	s_movk_i32 s4, 0x1f8
	v_cmp_class_f64_e64 s[4:5], v[6:7], s4
	v_mul_f64 v[16:17], v[16:17], v[18:19]
	v_mul_f64 v[18:19], v[8:9], v[16:17]
	v_add_f64 v[20:21], v[8:9], v[18:19]
	v_fma_f64 v[16:17], v[8:9], v[16:17], -v[18:19]
	v_add_f64 v[8:9], v[20:21], -v[8:9]
	v_add_f64 v[10:11], v[10:11], v[16:17]
	v_add_f64 v[8:9], v[18:19], -v[8:9]
	v_add_f64 v[8:9], v[10:11], v[8:9]
	v_add_f64 v[10:11], v[20:21], v[8:9]
	v_rcp_f64_e32 v[16:17], v[10:11]
	v_fma_f64 v[18:19], -v[10:11], v[16:17], 1.0
	v_fma_f64 v[16:17], v[18:19], v[16:17], v[16:17]
	v_fma_f64 v[18:19], -v[10:11], v[16:17], 1.0
	v_fma_f64 v[16:17], v[18:19], v[16:17], v[16:17]
	v_add_f64 v[18:19], v[10:11], -v[20:21]
	v_mul_f64 v[20:21], v[10:11], v[16:17]
	v_add_f64 v[8:9], v[8:9], -v[18:19]
	v_fma_f64 v[18:19], v[16:17], v[10:11], -v[20:21]
	v_fma_f64 v[8:9], v[16:17], v[8:9], v[18:19]
	v_add_f64 v[18:19], v[20:21], v[8:9]
	v_add_f64 v[22:23], -v[18:19], 1.0
	v_add_f64 v[20:21], v[18:19], -v[20:21]
	v_add_f64 v[24:25], -v[22:23], 1.0
	v_add_f64 v[8:9], v[20:21], -v[8:9]
	v_add_f64 v[18:19], v[24:25], -v[18:19]
	v_add_f64 v[8:9], v[8:9], v[18:19]
	v_add_f64 v[8:9], v[22:23], v[8:9]
	v_mul_f64 v[8:9], v[16:17], v[8:9]
	v_add_f64 v[8:9], v[16:17], v[8:9]
	v_and_b32_e32 v16, 0x80000000, v7
	v_mov_b32_e32 v7, 0x7ff80000
	v_xor_b32_e32 v6, 0x80000000, v9
	v_cndmask_b32_e32 v8, v8, v10, vcc
	v_cndmask_b32_e32 v9, v6, v11, vcc
	v_cndmask_b32_e64 v6, 0, v8, s[4:5]
	v_xor_b32_e32 v8, v9, v16
	v_cndmask_b32_e64 v7, v7, v8, s[4:5]
	v_div_scale_f64 v[8:9], s[4:5], v[6:7], v[6:7], s[16:17]
	v_div_scale_f64 v[17:18], vcc, s[16:17], v[6:7], s[16:17]
	v_rcp_f64_e32 v[10:11], v[8:9]
	v_fma_f64 v[15:16], -v[8:9], v[10:11], 1.0
	v_fma_f64 v[10:11], v[10:11], v[15:16], v[10:11]
	v_fma_f64 v[15:16], -v[8:9], v[10:11], 1.0
	v_fma_f64 v[10:11], v[10:11], v[15:16], v[10:11]
	v_mul_f64 v[15:16], v[17:18], v[10:11]
	v_fma_f64 v[8:9], -v[8:9], v[15:16], v[17:18]
	v_div_fmas_f64 v[8:9], v[8:9], v[10:11], v[15:16]
	v_div_fixup_f64 v[6:7], v[8:9], v[6:7], s[16:17]
	v_cvt_f32_f64_e32 v6, v[6:7]
.LBB31_56:
	s_or_b64 exec, exec, s[12:13]
	s_orn2_b64 s[12:13], s[14:15], exec
.LBB31_57:
	s_or_b64 exec, exec, s[10:11]
	v_mov_b32_e32 v10, 0x7fc0
	s_and_saveexec_b64 s[4:5], s[12:13]
	s_cbranch_execz .LBB31_69
; %bb.58:
	s_mov_b32 s14, 0x41200000
	v_cmp_gt_f32_e32 vcc, s14, v2
	s_and_saveexec_b64 s[10:11], vcc
	s_cbranch_execz .LBB31_62
; %bb.59:
	s_mov_b64 s[12:13], 0
.LBB31_60:                              ; =>This Inner Loop Header: Depth=1
	v_div_scale_f32 v7, s[16:17], v2, v2, 1.0
	v_div_scale_f32 v8, vcc, 1.0, v2, 1.0
	v_rcp_f32_e32 v9, v7
	v_fma_f32 v10, -v7, v9, 1.0
	v_fmac_f32_e32 v9, v10, v9
	v_mul_f32_e32 v10, v8, v9
	v_fma_f32 v11, -v7, v10, v8
	v_fmac_f32_e32 v10, v11, v9
	v_fma_f32 v7, -v7, v10, v8
	v_div_fmas_f32 v7, v7, v9, v10
	v_div_fixup_f32 v7, v7, v2, 1.0
	v_add_f32_e32 v2, 1.0, v2
	v_cmp_ngt_f32_e32 vcc, s14, v2
	s_or_b64 s[12:13], vcc, s[12:13]
	v_sub_f32_e32 v6, v6, v7
	s_andn2_b64 exec, exec, s[12:13]
	s_cbranch_execnz .LBB31_60
; %bb.61:
	s_or_b64 exec, exec, s[12:13]
.LBB31_62:
	s_or_b64 exec, exec, s[10:11]
	s_mov_b32 s10, 0x41200000
	v_cmp_neq_f32_e32 vcc, s10, v2
                                        ; implicit-def: $vgpr10
	s_and_saveexec_b64 s[10:11], vcc
	s_xor_b64 s[10:11], exec, s[10:11]
	s_cbranch_execz .LBB31_66
; %bb.63:
	v_cvt_f64_f32_e32 v[7:8], v2
	s_mov_b32 s12, 0x85d8a000
	s_mov_b32 s13, 0x43763457
	v_cmp_gt_f64_e32 vcc, s[12:13], v[7:8]
	v_mov_b32_e32 v7, 0
	s_and_saveexec_b64 s[12:13], vcc
	s_cbranch_execz .LBB31_65
; %bb.64:
	v_mul_f32_e32 v7, v2, v2
	v_div_scale_f32 v8, s[14:15], v7, v7, 1.0
	v_div_scale_f32 v9, vcc, 1.0, v7, 1.0
	v_mov_b32_e32 v16, 0x3b820821
	v_rcp_f32_e32 v10, v8
	v_fma_f32 v11, -v8, v10, 1.0
	v_fmac_f32_e32 v10, v11, v10
	v_mul_f32_e32 v11, v9, v10
	v_fma_f32 v15, -v8, v11, v9
	v_fmac_f32_e32 v11, v15, v10
	v_fma_f32 v8, -v8, v11, v9
	v_div_fmas_f32 v8, v8, v10, v11
	v_mov_b32_e32 v9, 0x3daaaaab
	v_mov_b32_e32 v10, 0xbcaccacd
	;; [unrolled: 1-line block ×4, first 2 shown]
	v_div_fixup_f32 v7, v8, v7, 1.0
	v_fma_f32 v8, 0, v7, v9
	v_fmac_f32_e32 v10, v7, v8
	v_fmac_f32_e32 v11, v7, v10
	;; [unrolled: 1-line block ×4, first 2 shown]
	v_mov_b32_e32 v8, 0xbc088889
	v_fmac_f32_e32 v8, v7, v16
	v_fmac_f32_e32 v9, v7, v8
	v_mul_f32_e32 v7, v7, v9
.LBB31_65:
	s_or_b64 exec, exec, s[12:13]
	v_div_scale_f32 v8, s[12:13], v2, v2, -0.5
	v_div_scale_f32 v9, vcc, -0.5, v2, -0.5
	s_mov_b32 s12, 0x800000
	s_mov_b32 s13, 0x3f317217
	s_mov_b32 s14, 0x7f800000
	v_rcp_f32_e32 v10, v8
	v_fma_f32 v11, -v8, v10, 1.0
	v_fmac_f32_e32 v10, v11, v10
	v_mul_f32_e32 v11, v9, v10
	v_fma_f32 v15, -v8, v11, v9
	v_fmac_f32_e32 v11, v15, v10
	v_fma_f32 v8, -v8, v11, v9
	v_div_fmas_f32 v8, v8, v10, v11
	v_cmp_gt_f32_e32 vcc, s12, v2
	v_cndmask_b32_e64 v10, 0, 32, vcc
	v_ldexp_f32 v10, v2, v10
	v_log_f32_e32 v10, v10
	v_mov_b32_e32 v9, 0x41b17218
	v_cndmask_b32_e32 v9, 0, v9, vcc
	s_movk_i32 s12, 0x7fff
	v_mul_f32_e32 v15, 0x3f317217, v10
	v_fma_f32 v15, v10, s13, -v15
	v_fmac_f32_e32 v15, 0x3377d1cf, v10
	v_fmac_f32_e32 v15, 0x3f317217, v10
	v_cmp_lt_f32_e64 vcc, |v10|, s14
	v_cndmask_b32_e32 v10, v10, v15, vcc
	v_sub_f32_e32 v9, v10, v9
	v_mov_b32_e32 v11, 0x7fc0
	v_div_fixup_f32 v2, v8, v2, -0.5
	v_add_f32_e32 v2, v9, v2
	v_sub_f32_e32 v2, v2, v7
	v_add_f32_e32 v2, v6, v2
	v_bfe_u32 v6, v2, 16, 1
	v_cmp_o_f32_e32 vcc, v2, v2
	v_add3_u32 v2, v2, v6, s12
	v_cndmask_b32_sdwa v10, v11, v2, vcc dst_sel:DWORD dst_unused:UNUSED_PAD src0_sel:DWORD src1_sel:WORD_1
                                        ; implicit-def: $vgpr6
.LBB31_66:
	s_andn2_saveexec_b64 s[10:11], s[10:11]
; %bb.67:
	v_add_f32_e32 v2, 0x40101cb7, v6
	v_bfe_u32 v6, v2, 16, 1
	s_movk_i32 s12, 0x7fff
	v_add3_u32 v6, v2, v6, s12
	v_cmp_o_f32_e32 vcc, v2, v2
	v_mov_b32_e32 v2, 0x7fc0
	v_cndmask_b32_sdwa v10, v2, v6, vcc dst_sel:DWORD dst_unused:UNUSED_PAD src0_sel:DWORD src1_sel:WORD_1
; %bb.68:
	s_or_b64 exec, exec, s[10:11]
.LBB31_69:
	s_or_b64 exec, exec, s[4:5]
                                        ; implicit-def: $vgpr2
.LBB31_70:
	s_andn2_saveexec_b64 s[4:5], s[8:9]
; %bb.71:
	v_xor_b32_e32 v2, 0x80000000, v2
	v_and_b32_e32 v2, 0x80000000, v2
	v_or_b32_e32 v2, 0x7f800000, v2
	v_lshrrev_b32_e32 v10, 16, v2
; %bb.72:
	s_or_b64 exec, exec, s[4:5]
	v_and_b32_e32 v15, 0xffff0000, v3
	v_cmp_neq_f32_e32 vcc, 0, v15
                                        ; implicit-def: $vgpr11
	s_and_saveexec_b64 s[4:5], vcc
	s_xor_b64 s[8:9], exec, s[4:5]
	s_cbranch_execz .LBB31_94
; %bb.73:
	v_mov_b32_e32 v2, 0
	v_cmp_gt_f32_e32 vcc, 0, v15
	s_mov_b64 s[12:13], -1
	s_and_saveexec_b64 s[10:11], vcc
	s_cbranch_execz .LBB31_81
; %bb.74:
	v_trunc_f32_e32 v2, v15
	v_cmp_neq_f32_e32 vcc, v2, v15
	s_mov_b64 s[14:15], 0
	v_mov_b32_e32 v2, 0
	s_and_saveexec_b64 s[12:13], vcc
	s_cbranch_execz .LBB31_80
; %bb.75:
	v_cvt_f64_f32_e32 v[2:3], v15
	s_mov_b32 s16, 0
	s_mov_b32 s5, 0xc00921fb
	;; [unrolled: 1-line block ×3, first 2 shown]
	v_trunc_f64_e32 v[6:7], v[2:3]
	s_mov_b32 s17, 0x7ff00000
	v_cmp_neq_f64_e64 vcc, |v[2:3]|, s[16:17]
	v_bfrev_b32_e32 v8, 1
	s_mov_b32 s14, 0
	s_mov_b32 s15, 0x41d00000
                                        ; implicit-def: $vgpr11
	v_add_f64 v[6:7], v[2:3], -v[6:7]
	v_mul_f64 v[6:7], |v[6:7]|, s[4:5]
	v_cndmask_b32_e32 v3, v8, v7, vcc
	v_cndmask_b32_e32 v2, 0, v6, vcc
	v_cmp_nlt_f64_e64 s[14:15], |v[2:3]|, s[14:15]
                                        ; implicit-def: $vgpr6_vgpr7
                                        ; implicit-def: $vgpr8_vgpr9
	s_and_saveexec_b64 s[18:19], s[14:15]
	s_xor_b64 s[14:15], exec, s[18:19]
	s_cbranch_execz .LBB31_77
; %bb.76:
	v_trig_preop_f64 v[6:7], |v[2:3]|, 0
	s_mov_b32 s18, 0
	s_mov_b32 s19, 0x7b000000
	s_movk_i32 s5, 0xff80
	v_cmp_ge_f64_e64 vcc, |v[2:3]|, s[18:19]
	v_ldexp_f64 v[8:9], |v[2:3]|, s5
	v_trig_preop_f64 v[16:17], |v[2:3]|, 1
	v_and_b32_e32 v11, 0x7fffffff, v3
	v_trig_preop_f64 v[22:23], |v[2:3]|, 2
	s_mov_b32 s5, 0x3ff921fb
	v_cndmask_b32_e32 v9, v11, v9, vcc
	v_cndmask_b32_e32 v8, v2, v8, vcc
	v_mov_b32_e32 v11, 0x40100000
	v_mul_f64 v[18:19], v[6:7], v[8:9]
	v_mul_f64 v[20:21], v[16:17], v[8:9]
	;; [unrolled: 1-line block ×3, first 2 shown]
	v_fma_f64 v[6:7], v[6:7], v[8:9], -v[18:19]
	v_fma_f64 v[16:17], v[16:17], v[8:9], -v[20:21]
	;; [unrolled: 1-line block ×3, first 2 shown]
	v_add_f64 v[24:25], v[20:21], v[6:7]
	v_add_f64 v[32:33], v[28:29], v[16:17]
	v_add_f64 v[26:27], v[24:25], -v[20:21]
	v_add_f64 v[30:31], v[24:25], -v[26:27]
	;; [unrolled: 1-line block ×3, first 2 shown]
	v_add_f64 v[26:27], v[18:19], v[24:25]
	v_add_f64 v[20:21], v[20:21], -v[30:31]
	v_add_f64 v[30:31], v[32:33], -v[28:29]
	;; [unrolled: 1-line block ×3, first 2 shown]
	v_ldexp_f64 v[26:27], v[26:27], -2
	v_add_f64 v[6:7], v[6:7], v[20:21]
	v_add_f64 v[20:21], v[32:33], -v[30:31]
	v_add_f64 v[16:17], v[16:17], -v[30:31]
	v_fract_f64_e32 v[30:31], v[26:27]
	v_add_f64 v[18:19], v[24:25], -v[18:19]
	v_cmp_neq_f64_e64 vcc, |v[26:27]|, s[16:17]
	s_mov_b32 s16, 0x33145c07
	s_mov_b32 s17, 0x3c91a626
	v_add_f64 v[24:25], v[32:33], v[6:7]
	v_add_f64 v[20:21], v[28:29], -v[20:21]
	v_ldexp_f64 v[26:27], v[30:31], 2
	v_add_f64 v[30:31], v[18:19], v[24:25]
	v_add_f64 v[16:17], v[16:17], v[20:21]
	v_cndmask_b32_e32 v21, 0, v27, vcc
	v_cndmask_b32_e32 v20, 0, v26, vcc
	v_add_f64 v[26:27], v[30:31], v[20:21]
	v_add_f64 v[18:19], v[30:31], -v[18:19]
	v_cmp_gt_f64_e32 vcc, 0, v[26:27]
	v_add_f64 v[26:27], v[24:25], -v[32:33]
	v_add_f64 v[18:19], v[24:25], -v[18:19]
	;; [unrolled: 1-line block ×5, first 2 shown]
	v_mov_b32_e32 v32, 0
	v_cndmask_b32_e32 v33, 0, v11, vcc
	v_add_f64 v[20:21], v[20:21], v[32:33]
	v_add_f64 v[6:7], v[6:7], v[26:27]
	;; [unrolled: 1-line block ×4, first 2 shown]
	v_cvt_i32_f64_e32 v11, v[33:34]
	v_cvt_f64_i32_e32 v[26:27], v11
	v_add_f64 v[6:7], v[8:9], v[6:7]
	v_add_f64 v[20:21], v[20:21], -v[26:27]
	v_add_f64 v[6:7], v[18:19], v[6:7]
	v_mov_b32_e32 v18, 0x3ff00000
	v_add_f64 v[16:17], v[30:31], v[20:21]
	v_add_f64 v[8:9], v[16:17], -v[20:21]
	v_cmp_le_f64_e32 vcc, 0.5, v[16:17]
	v_add_f64 v[8:9], v[30:31], -v[8:9]
	v_cndmask_b32_e32 v33, 0, v18, vcc
	v_addc_co_u32_e32 v11, vcc, 0, v11, vcc
	v_add_f64 v[6:7], v[6:7], v[8:9]
	v_add_f64 v[8:9], v[16:17], -v[32:33]
	v_add_f64 v[16:17], v[8:9], v[6:7]
	v_mul_f64 v[18:19], v[16:17], s[4:5]
	v_add_f64 v[8:9], v[16:17], -v[8:9]
	v_fma_f64 v[20:21], v[16:17], s[4:5], -v[18:19]
	v_add_f64 v[6:7], v[6:7], -v[8:9]
	v_fma_f64 v[8:9], v[16:17], s[16:17], v[20:21]
	v_fma_f64 v[8:9], v[6:7], s[4:5], v[8:9]
	v_add_f64 v[6:7], v[18:19], v[8:9]
	v_add_f64 v[16:17], v[6:7], -v[18:19]
	v_add_f64 v[8:9], v[8:9], -v[16:17]
.LBB31_77:
	s_andn2_saveexec_b64 s[4:5], s[14:15]
	s_cbranch_execz .LBB31_79
; %bb.78:
	s_mov_b32 s14, 0x6dc9c883
	s_mov_b32 s15, 0x3fe45f30
	v_mul_f64 v[6:7], |v[2:3]|, s[14:15]
	s_mov_b32 s14, 0x54442d18
	s_mov_b32 s15, 0xbff921fb
	;; [unrolled: 1-line block ×4, first 2 shown]
	v_rndne_f64_e32 v[16:17], v[6:7]
	v_fma_f64 v[6:7], v[16:17], s[14:15], |v[2:3]|
	v_mul_f64 v[8:9], v[16:17], s[16:17]
	s_mov_b32 s14, 0x252049c0
	s_mov_b32 s15, 0xb97b839a
	v_cvt_i32_f64_e32 v11, v[16:17]
	v_fma_f64 v[22:23], v[16:17], s[16:17], v[6:7]
	v_add_f64 v[18:19], v[6:7], v[8:9]
	s_mov_b32 s17, 0x3c91a626
	v_add_f64 v[20:21], v[6:7], -v[18:19]
	v_add_f64 v[18:19], v[18:19], -v[22:23]
	v_add_f64 v[6:7], v[20:21], v[8:9]
	v_fma_f64 v[8:9], v[16:17], s[16:17], v[8:9]
	v_add_f64 v[6:7], v[18:19], v[6:7]
	v_add_f64 v[6:7], v[6:7], -v[8:9]
	v_fma_f64 v[8:9], v[16:17], s[14:15], v[6:7]
	v_add_f64 v[6:7], v[22:23], v[8:9]
	v_add_f64 v[18:19], v[6:7], -v[22:23]
	v_add_f64 v[8:9], v[8:9], -v[18:19]
.LBB31_79:
	s_or_b64 exec, exec, s[4:5]
	v_mul_f64 v[16:17], v[6:7], v[6:7]
	v_add_f64 v[18:19], v[8:9], v[8:9]
	s_mov_b32 s4, 0xc751c08c
	s_mov_b32 s5, 0x3ef5e089
	v_and_b32_e32 v11, 1, v11
	v_cmp_eq_u32_e32 vcc, 0, v11
	s_mov_b32 s16, 0x54442d18
	s_mov_b32 s17, 0xc00921fb
	v_fma_f64 v[20:21], v[6:7], v[6:7], -v[16:17]
	s_mov_b64 s[14:15], exec
	v_sub_f32_e32 v15, 1.0, v15
	v_fma_f64 v[18:19], v[6:7], v[18:19], v[20:21]
	v_add_f64 v[16:17], v[16:17], v[18:19]
	v_mov_b32_e32 v18, 0xa9a29f71
	v_mov_b32_e32 v19, 0xbf078809
	v_fma_f64 v[18:19], v[16:17], s[4:5], v[18:19]
	s_mov_b32 s4, 0x90a8aae0
	s_mov_b32 s5, 0x3f17746f
	v_fma_f64 v[18:19], v[16:17], v[18:19], s[4:5]
	s_mov_b32 s4, 0xa6fbf144
	s_mov_b32 s5, 0xbefbb44d
	;; [unrolled: 3-line block ×12, first 2 shown]
	v_fma_f64 v[18:19], v[16:17], v[18:19], s[4:5]
	s_movk_i32 s4, 0x1f8
	v_cmp_class_f64_e64 s[4:5], v[2:3], s4
	v_mul_f64 v[16:17], v[16:17], v[18:19]
	v_mul_f64 v[18:19], v[6:7], v[16:17]
	v_add_f64 v[20:21], v[6:7], v[18:19]
	v_fma_f64 v[16:17], v[6:7], v[16:17], -v[18:19]
	v_add_f64 v[6:7], v[20:21], -v[6:7]
	v_add_f64 v[8:9], v[8:9], v[16:17]
	v_add_f64 v[6:7], v[18:19], -v[6:7]
	v_add_f64 v[6:7], v[8:9], v[6:7]
	v_add_f64 v[8:9], v[20:21], v[6:7]
	v_rcp_f64_e32 v[16:17], v[8:9]
	v_fma_f64 v[18:19], -v[8:9], v[16:17], 1.0
	v_fma_f64 v[16:17], v[18:19], v[16:17], v[16:17]
	v_fma_f64 v[18:19], -v[8:9], v[16:17], 1.0
	v_fma_f64 v[16:17], v[18:19], v[16:17], v[16:17]
	v_add_f64 v[18:19], v[8:9], -v[20:21]
	v_mul_f64 v[20:21], v[8:9], v[16:17]
	v_add_f64 v[6:7], v[6:7], -v[18:19]
	v_fma_f64 v[18:19], v[16:17], v[8:9], -v[20:21]
	v_fma_f64 v[6:7], v[16:17], v[6:7], v[18:19]
	v_add_f64 v[18:19], v[20:21], v[6:7]
	v_add_f64 v[22:23], -v[18:19], 1.0
	v_add_f64 v[20:21], v[18:19], -v[20:21]
	v_add_f64 v[24:25], -v[22:23], 1.0
	v_add_f64 v[6:7], v[20:21], -v[6:7]
	v_add_f64 v[18:19], v[24:25], -v[18:19]
	v_add_f64 v[6:7], v[6:7], v[18:19]
	v_add_f64 v[6:7], v[22:23], v[6:7]
	v_mul_f64 v[6:7], v[16:17], v[6:7]
	v_add_f64 v[6:7], v[16:17], v[6:7]
	v_and_b32_e32 v16, 0x80000000, v3
	v_mov_b32_e32 v3, 0x7ff80000
	v_xor_b32_e32 v2, 0x80000000, v7
	v_cndmask_b32_e32 v6, v6, v8, vcc
	v_cndmask_b32_e32 v7, v2, v9, vcc
	v_cndmask_b32_e64 v2, 0, v6, s[4:5]
	v_xor_b32_e32 v6, v7, v16
	v_cndmask_b32_e64 v3, v3, v6, s[4:5]
	v_div_scale_f64 v[6:7], s[4:5], v[2:3], v[2:3], s[16:17]
	v_div_scale_f64 v[18:19], vcc, s[16:17], v[2:3], s[16:17]
	v_rcp_f64_e32 v[8:9], v[6:7]
	v_fma_f64 v[16:17], -v[6:7], v[8:9], 1.0
	v_fma_f64 v[8:9], v[8:9], v[16:17], v[8:9]
	v_fma_f64 v[16:17], -v[6:7], v[8:9], 1.0
	v_fma_f64 v[8:9], v[8:9], v[16:17], v[8:9]
	v_mul_f64 v[16:17], v[18:19], v[8:9]
	v_fma_f64 v[6:7], -v[6:7], v[16:17], v[18:19]
	v_div_fmas_f64 v[6:7], v[6:7], v[8:9], v[16:17]
	v_div_fixup_f64 v[2:3], v[6:7], v[2:3], s[16:17]
	v_cvt_f32_f64_e32 v2, v[2:3]
.LBB31_80:
	s_or_b64 exec, exec, s[12:13]
	s_orn2_b64 s[12:13], s[14:15], exec
.LBB31_81:
	s_or_b64 exec, exec, s[10:11]
	v_mov_b32_e32 v11, 0x7fc0
	s_and_saveexec_b64 s[4:5], s[12:13]
	s_cbranch_execz .LBB31_93
; %bb.82:
	s_mov_b32 s14, 0x41200000
	v_cmp_gt_f32_e32 vcc, s14, v15
	s_and_saveexec_b64 s[10:11], vcc
	s_cbranch_execz .LBB31_86
; %bb.83:
	s_mov_b64 s[12:13], 0
.LBB31_84:                              ; =>This Inner Loop Header: Depth=1
	v_div_scale_f32 v3, s[16:17], v15, v15, 1.0
	v_div_scale_f32 v6, vcc, 1.0, v15, 1.0
	v_rcp_f32_e32 v7, v3
	v_fma_f32 v8, -v3, v7, 1.0
	v_fmac_f32_e32 v7, v8, v7
	v_mul_f32_e32 v8, v6, v7
	v_fma_f32 v9, -v3, v8, v6
	v_fmac_f32_e32 v8, v9, v7
	v_fma_f32 v3, -v3, v8, v6
	v_div_fmas_f32 v3, v3, v7, v8
	v_div_fixup_f32 v3, v3, v15, 1.0
	v_add_f32_e32 v15, 1.0, v15
	v_cmp_ngt_f32_e32 vcc, s14, v15
	s_or_b64 s[12:13], vcc, s[12:13]
	v_sub_f32_e32 v2, v2, v3
	s_andn2_b64 exec, exec, s[12:13]
	s_cbranch_execnz .LBB31_84
; %bb.85:
	s_or_b64 exec, exec, s[12:13]
.LBB31_86:
	s_or_b64 exec, exec, s[10:11]
	s_mov_b32 s10, 0x41200000
	v_cmp_neq_f32_e32 vcc, s10, v15
                                        ; implicit-def: $vgpr11
	s_and_saveexec_b64 s[10:11], vcc
	s_xor_b64 s[10:11], exec, s[10:11]
	s_cbranch_execz .LBB31_90
; %bb.87:
	v_cvt_f64_f32_e32 v[6:7], v15
	s_mov_b32 s12, 0x85d8a000
	s_mov_b32 s13, 0x43763457
	v_mov_b32_e32 v3, 0
	v_cmp_gt_f64_e32 vcc, s[12:13], v[6:7]
	s_and_saveexec_b64 s[12:13], vcc
	s_cbranch_execz .LBB31_89
; %bb.88:
	v_mul_f32_e32 v3, v15, v15
	v_div_scale_f32 v6, s[14:15], v3, v3, 1.0
	v_div_scale_f32 v7, vcc, 1.0, v3, 1.0
	v_mov_b32_e32 v16, 0x3b820821
	v_rcp_f32_e32 v8, v6
	v_fma_f32 v9, -v6, v8, 1.0
	v_fmac_f32_e32 v8, v9, v8
	v_mul_f32_e32 v9, v7, v8
	v_fma_f32 v11, -v6, v9, v7
	v_fmac_f32_e32 v9, v11, v8
	v_fma_f32 v6, -v6, v9, v7
	v_div_fmas_f32 v6, v6, v8, v9
	v_mov_b32_e32 v7, 0x3daaaaab
	v_mov_b32_e32 v8, 0xbcaccacd
	;; [unrolled: 1-line block ×4, first 2 shown]
	v_div_fixup_f32 v3, v6, v3, 1.0
	v_fma_f32 v6, 0, v3, v7
	v_fmac_f32_e32 v8, v3, v6
	v_fmac_f32_e32 v9, v3, v8
	;; [unrolled: 1-line block ×4, first 2 shown]
	v_mov_b32_e32 v6, 0xbc088889
	v_fmac_f32_e32 v6, v3, v16
	v_fmac_f32_e32 v7, v3, v6
	v_mul_f32_e32 v3, v3, v7
.LBB31_89:
	s_or_b64 exec, exec, s[12:13]
	v_div_scale_f32 v6, s[12:13], v15, v15, -0.5
	v_div_scale_f32 v7, vcc, -0.5, v15, -0.5
	s_mov_b32 s12, 0x800000
	s_mov_b32 s13, 0x3f317217
	;; [unrolled: 1-line block ×3, first 2 shown]
	v_rcp_f32_e32 v8, v6
	v_fma_f32 v9, -v6, v8, 1.0
	v_fmac_f32_e32 v8, v9, v8
	v_mul_f32_e32 v9, v7, v8
	v_fma_f32 v11, -v6, v9, v7
	v_fmac_f32_e32 v9, v11, v8
	v_fma_f32 v6, -v6, v9, v7
	v_div_fmas_f32 v6, v6, v8, v9
	v_cmp_gt_f32_e32 vcc, s12, v15
	v_cndmask_b32_e64 v8, 0, 32, vcc
	v_ldexp_f32 v8, v15, v8
	v_log_f32_e32 v8, v8
	v_mov_b32_e32 v7, 0x41b17218
	v_cndmask_b32_e32 v7, 0, v7, vcc
	s_movk_i32 s12, 0x7fff
	v_mul_f32_e32 v11, 0x3f317217, v8
	v_fma_f32 v11, v8, s13, -v11
	v_fmac_f32_e32 v11, 0x3377d1cf, v8
	v_fmac_f32_e32 v11, 0x3f317217, v8
	v_cmp_lt_f32_e64 vcc, |v8|, s14
	v_cndmask_b32_e32 v8, v8, v11, vcc
	v_sub_f32_e32 v7, v8, v7
	v_mov_b32_e32 v9, 0x7fc0
	v_div_fixup_f32 v6, v6, v15, -0.5
	v_add_f32_e32 v6, v7, v6
	v_sub_f32_e32 v3, v6, v3
	v_add_f32_e32 v2, v2, v3
	v_bfe_u32 v3, v2, 16, 1
	v_cmp_o_f32_e32 vcc, v2, v2
	v_add3_u32 v2, v2, v3, s12
	v_cndmask_b32_sdwa v11, v9, v2, vcc dst_sel:DWORD dst_unused:UNUSED_PAD src0_sel:DWORD src1_sel:WORD_1
                                        ; implicit-def: $vgpr2
.LBB31_90:
	s_andn2_saveexec_b64 s[10:11], s[10:11]
; %bb.91:
	v_add_f32_e32 v2, 0x40101cb7, v2
	v_bfe_u32 v3, v2, 16, 1
	s_movk_i32 s12, 0x7fff
	v_add3_u32 v3, v2, v3, s12
	v_cmp_o_f32_e32 vcc, v2, v2
	v_mov_b32_e32 v2, 0x7fc0
	v_cndmask_b32_sdwa v11, v2, v3, vcc dst_sel:DWORD dst_unused:UNUSED_PAD src0_sel:DWORD src1_sel:WORD_1
; %bb.92:
	s_or_b64 exec, exec, s[10:11]
.LBB31_93:
	s_or_b64 exec, exec, s[4:5]
                                        ; implicit-def: $vgpr15
.LBB31_94:
	s_andn2_saveexec_b64 s[4:5], s[8:9]
; %bb.95:
	v_xor_b32_e32 v2, 0x80000000, v15
	v_and_b32_e32 v2, 0x80000000, v2
	v_or_b32_e32 v2, 0x7f800000, v2
	v_lshrrev_b32_e32 v11, 16, v2
; %bb.96:
	s_or_b64 exec, exec, s[4:5]
	v_lshlrev_b32_e32 v16, 16, v4
	v_cmp_neq_f32_e32 vcc, 0, v16
                                        ; implicit-def: $vgpr15
	s_and_saveexec_b64 s[4:5], vcc
	s_xor_b64 s[8:9], exec, s[4:5]
	s_cbranch_execz .LBB31_118
; %bb.97:
	v_mov_b32_e32 v2, 0
	v_cmp_gt_f32_e32 vcc, 0, v16
	s_mov_b64 s[12:13], -1
	s_and_saveexec_b64 s[10:11], vcc
	s_cbranch_execz .LBB31_105
; %bb.98:
	v_trunc_f32_e32 v2, v16
	v_cmp_neq_f32_e32 vcc, v2, v16
	s_mov_b64 s[14:15], 0
	v_mov_b32_e32 v2, 0
	s_and_saveexec_b64 s[12:13], vcc
	s_cbranch_execz .LBB31_104
; %bb.99:
	v_cvt_f64_f32_e32 v[2:3], v16
	s_mov_b32 s16, 0
	s_mov_b32 s5, 0xc00921fb
	;; [unrolled: 1-line block ×3, first 2 shown]
	v_trunc_f64_e32 v[6:7], v[2:3]
	s_mov_b32 s17, 0x7ff00000
	v_cmp_neq_f64_e64 vcc, |v[2:3]|, s[16:17]
	v_bfrev_b32_e32 v8, 1
	s_mov_b32 s14, 0
	s_mov_b32 s15, 0x41d00000
                                        ; implicit-def: $vgpr15
	v_add_f64 v[6:7], v[2:3], -v[6:7]
	v_mul_f64 v[6:7], |v[6:7]|, s[4:5]
	v_cndmask_b32_e32 v3, v8, v7, vcc
	v_cndmask_b32_e32 v2, 0, v6, vcc
	v_cmp_nlt_f64_e64 s[14:15], |v[2:3]|, s[14:15]
                                        ; implicit-def: $vgpr6_vgpr7
                                        ; implicit-def: $vgpr8_vgpr9
	s_and_saveexec_b64 s[18:19], s[14:15]
	s_xor_b64 s[14:15], exec, s[18:19]
	s_cbranch_execz .LBB31_101
; %bb.100:
	v_trig_preop_f64 v[6:7], |v[2:3]|, 0
	s_mov_b32 s18, 0
	s_mov_b32 s19, 0x7b000000
	s_movk_i32 s5, 0xff80
	v_cmp_ge_f64_e64 vcc, |v[2:3]|, s[18:19]
	v_ldexp_f64 v[8:9], |v[2:3]|, s5
	v_trig_preop_f64 v[17:18], |v[2:3]|, 1
	v_and_b32_e32 v15, 0x7fffffff, v3
	v_trig_preop_f64 v[23:24], |v[2:3]|, 2
	s_mov_b32 s5, 0x3ff921fb
	v_cndmask_b32_e32 v9, v15, v9, vcc
	v_cndmask_b32_e32 v8, v2, v8, vcc
	v_mov_b32_e32 v15, 0x40100000
	v_mul_f64 v[19:20], v[6:7], v[8:9]
	v_mul_f64 v[21:22], v[17:18], v[8:9]
	;; [unrolled: 1-line block ×3, first 2 shown]
	v_fma_f64 v[6:7], v[6:7], v[8:9], -v[19:20]
	v_fma_f64 v[17:18], v[17:18], v[8:9], -v[21:22]
	;; [unrolled: 1-line block ×3, first 2 shown]
	v_add_f64 v[25:26], v[21:22], v[6:7]
	v_add_f64 v[33:34], v[29:30], v[17:18]
	v_add_f64 v[27:28], v[25:26], -v[21:22]
	v_add_f64 v[31:32], v[25:26], -v[27:28]
	v_add_f64 v[6:7], v[6:7], -v[27:28]
	v_add_f64 v[27:28], v[19:20], v[25:26]
	v_add_f64 v[21:22], v[21:22], -v[31:32]
	v_add_f64 v[31:32], v[33:34], -v[29:30]
	;; [unrolled: 1-line block ×3, first 2 shown]
	v_ldexp_f64 v[27:28], v[27:28], -2
	v_add_f64 v[6:7], v[6:7], v[21:22]
	v_add_f64 v[21:22], v[33:34], -v[31:32]
	v_add_f64 v[17:18], v[17:18], -v[31:32]
	v_fract_f64_e32 v[31:32], v[27:28]
	v_add_f64 v[19:20], v[25:26], -v[19:20]
	v_cmp_neq_f64_e64 vcc, |v[27:28]|, s[16:17]
	s_mov_b32 s16, 0x33145c07
	s_mov_b32 s17, 0x3c91a626
	v_add_f64 v[25:26], v[33:34], v[6:7]
	v_add_f64 v[21:22], v[29:30], -v[21:22]
	v_ldexp_f64 v[27:28], v[31:32], 2
	v_add_f64 v[31:32], v[19:20], v[25:26]
	v_add_f64 v[17:18], v[17:18], v[21:22]
	v_cndmask_b32_e32 v22, 0, v28, vcc
	v_cndmask_b32_e32 v21, 0, v27, vcc
	v_add_f64 v[27:28], v[31:32], v[21:22]
	v_add_f64 v[19:20], v[31:32], -v[19:20]
	v_cmp_gt_f64_e32 vcc, 0, v[27:28]
	v_add_f64 v[27:28], v[25:26], -v[33:34]
	v_add_f64 v[19:20], v[25:26], -v[19:20]
	;; [unrolled: 1-line block ×5, first 2 shown]
	v_mov_b32_e32 v33, 0
	v_cndmask_b32_e32 v34, 0, v15, vcc
	v_add_f64 v[21:22], v[21:22], v[33:34]
	v_add_f64 v[6:7], v[6:7], v[27:28]
	;; [unrolled: 1-line block ×4, first 2 shown]
	v_cvt_i32_f64_e32 v15, v[34:35]
	v_cvt_f64_i32_e32 v[27:28], v15
	v_add_f64 v[6:7], v[8:9], v[6:7]
	v_add_f64 v[21:22], v[21:22], -v[27:28]
	v_add_f64 v[6:7], v[19:20], v[6:7]
	v_mov_b32_e32 v19, 0x3ff00000
	v_add_f64 v[17:18], v[31:32], v[21:22]
	v_add_f64 v[8:9], v[17:18], -v[21:22]
	v_cmp_le_f64_e32 vcc, 0.5, v[17:18]
	v_add_f64 v[8:9], v[31:32], -v[8:9]
	v_cndmask_b32_e32 v34, 0, v19, vcc
	v_addc_co_u32_e32 v15, vcc, 0, v15, vcc
	v_add_f64 v[6:7], v[6:7], v[8:9]
	v_add_f64 v[8:9], v[17:18], -v[33:34]
	v_add_f64 v[17:18], v[8:9], v[6:7]
	v_mul_f64 v[19:20], v[17:18], s[4:5]
	v_add_f64 v[8:9], v[17:18], -v[8:9]
	v_fma_f64 v[21:22], v[17:18], s[4:5], -v[19:20]
	v_add_f64 v[6:7], v[6:7], -v[8:9]
	v_fma_f64 v[8:9], v[17:18], s[16:17], v[21:22]
	v_fma_f64 v[8:9], v[6:7], s[4:5], v[8:9]
	v_add_f64 v[6:7], v[19:20], v[8:9]
	v_add_f64 v[17:18], v[6:7], -v[19:20]
	v_add_f64 v[8:9], v[8:9], -v[17:18]
.LBB31_101:
	s_andn2_saveexec_b64 s[4:5], s[14:15]
	s_cbranch_execz .LBB31_103
; %bb.102:
	s_mov_b32 s14, 0x6dc9c883
	s_mov_b32 s15, 0x3fe45f30
	v_mul_f64 v[6:7], |v[2:3]|, s[14:15]
	s_mov_b32 s14, 0x54442d18
	s_mov_b32 s15, 0xbff921fb
	;; [unrolled: 1-line block ×4, first 2 shown]
	v_rndne_f64_e32 v[17:18], v[6:7]
	v_fma_f64 v[6:7], v[17:18], s[14:15], |v[2:3]|
	v_mul_f64 v[8:9], v[17:18], s[16:17]
	s_mov_b32 s14, 0x252049c0
	s_mov_b32 s15, 0xb97b839a
	v_cvt_i32_f64_e32 v15, v[17:18]
	v_fma_f64 v[23:24], v[17:18], s[16:17], v[6:7]
	v_add_f64 v[19:20], v[6:7], v[8:9]
	s_mov_b32 s17, 0x3c91a626
	v_add_f64 v[21:22], v[6:7], -v[19:20]
	v_add_f64 v[19:20], v[19:20], -v[23:24]
	v_add_f64 v[6:7], v[21:22], v[8:9]
	v_fma_f64 v[8:9], v[17:18], s[16:17], v[8:9]
	v_add_f64 v[6:7], v[19:20], v[6:7]
	v_add_f64 v[6:7], v[6:7], -v[8:9]
	v_fma_f64 v[8:9], v[17:18], s[14:15], v[6:7]
	v_add_f64 v[6:7], v[23:24], v[8:9]
	v_add_f64 v[19:20], v[6:7], -v[23:24]
	v_add_f64 v[8:9], v[8:9], -v[19:20]
.LBB31_103:
	s_or_b64 exec, exec, s[4:5]
	v_mul_f64 v[17:18], v[6:7], v[6:7]
	v_add_f64 v[19:20], v[8:9], v[8:9]
	s_mov_b32 s4, 0xc751c08c
	s_mov_b32 s5, 0x3ef5e089
	v_and_b32_e32 v15, 1, v15
	v_cmp_eq_u32_e32 vcc, 0, v15
	s_mov_b32 s16, 0x54442d18
	s_mov_b32 s17, 0xc00921fb
	v_fma_f64 v[21:22], v[6:7], v[6:7], -v[17:18]
	s_mov_b64 s[14:15], exec
	v_sub_f32_e32 v16, 1.0, v16
	v_fma_f64 v[19:20], v[6:7], v[19:20], v[21:22]
	v_add_f64 v[17:18], v[17:18], v[19:20]
	v_mov_b32_e32 v19, 0xa9a29f71
	v_mov_b32_e32 v20, 0xbf078809
	v_fma_f64 v[19:20], v[17:18], s[4:5], v[19:20]
	s_mov_b32 s4, 0x90a8aae0
	s_mov_b32 s5, 0x3f17746f
	v_fma_f64 v[19:20], v[17:18], v[19:20], s[4:5]
	s_mov_b32 s4, 0xa6fbf144
	s_mov_b32 s5, 0xbefbb44d
	;; [unrolled: 3-line block ×12, first 2 shown]
	v_fma_f64 v[19:20], v[17:18], v[19:20], s[4:5]
	s_movk_i32 s4, 0x1f8
	v_cmp_class_f64_e64 s[4:5], v[2:3], s4
	v_mul_f64 v[17:18], v[17:18], v[19:20]
	v_mul_f64 v[19:20], v[6:7], v[17:18]
	v_add_f64 v[21:22], v[6:7], v[19:20]
	v_fma_f64 v[17:18], v[6:7], v[17:18], -v[19:20]
	v_add_f64 v[6:7], v[21:22], -v[6:7]
	v_add_f64 v[8:9], v[8:9], v[17:18]
	v_add_f64 v[6:7], v[19:20], -v[6:7]
	v_add_f64 v[6:7], v[8:9], v[6:7]
	v_add_f64 v[8:9], v[21:22], v[6:7]
	v_rcp_f64_e32 v[17:18], v[8:9]
	v_fma_f64 v[19:20], -v[8:9], v[17:18], 1.0
	v_fma_f64 v[17:18], v[19:20], v[17:18], v[17:18]
	v_fma_f64 v[19:20], -v[8:9], v[17:18], 1.0
	v_fma_f64 v[17:18], v[19:20], v[17:18], v[17:18]
	v_add_f64 v[19:20], v[8:9], -v[21:22]
	v_mul_f64 v[21:22], v[8:9], v[17:18]
	v_add_f64 v[6:7], v[6:7], -v[19:20]
	v_fma_f64 v[19:20], v[17:18], v[8:9], -v[21:22]
	v_fma_f64 v[6:7], v[17:18], v[6:7], v[19:20]
	v_add_f64 v[19:20], v[21:22], v[6:7]
	v_add_f64 v[23:24], -v[19:20], 1.0
	v_add_f64 v[21:22], v[19:20], -v[21:22]
	v_add_f64 v[25:26], -v[23:24], 1.0
	v_add_f64 v[6:7], v[21:22], -v[6:7]
	v_add_f64 v[19:20], v[25:26], -v[19:20]
	v_add_f64 v[6:7], v[6:7], v[19:20]
	v_add_f64 v[6:7], v[23:24], v[6:7]
	v_mul_f64 v[6:7], v[17:18], v[6:7]
	v_add_f64 v[6:7], v[17:18], v[6:7]
	v_and_b32_e32 v17, 0x80000000, v3
	v_mov_b32_e32 v3, 0x7ff80000
	v_xor_b32_e32 v2, 0x80000000, v7
	v_cndmask_b32_e32 v6, v6, v8, vcc
	v_cndmask_b32_e32 v7, v2, v9, vcc
	v_cndmask_b32_e64 v2, 0, v6, s[4:5]
	v_xor_b32_e32 v6, v7, v17
	v_cndmask_b32_e64 v3, v3, v6, s[4:5]
	v_div_scale_f64 v[6:7], s[4:5], v[2:3], v[2:3], s[16:17]
	v_div_scale_f64 v[19:20], vcc, s[16:17], v[2:3], s[16:17]
	v_rcp_f64_e32 v[8:9], v[6:7]
	v_fma_f64 v[17:18], -v[6:7], v[8:9], 1.0
	v_fma_f64 v[8:9], v[8:9], v[17:18], v[8:9]
	v_fma_f64 v[17:18], -v[6:7], v[8:9], 1.0
	v_fma_f64 v[8:9], v[8:9], v[17:18], v[8:9]
	v_mul_f64 v[17:18], v[19:20], v[8:9]
	v_fma_f64 v[6:7], -v[6:7], v[17:18], v[19:20]
	v_div_fmas_f64 v[6:7], v[6:7], v[8:9], v[17:18]
	v_div_fixup_f64 v[2:3], v[6:7], v[2:3], s[16:17]
	v_cvt_f32_f64_e32 v2, v[2:3]
.LBB31_104:
	s_or_b64 exec, exec, s[12:13]
	s_orn2_b64 s[12:13], s[14:15], exec
.LBB31_105:
	s_or_b64 exec, exec, s[10:11]
	v_mov_b32_e32 v15, 0x7fc0
	s_and_saveexec_b64 s[4:5], s[12:13]
	s_cbranch_execz .LBB31_117
; %bb.106:
	s_mov_b32 s14, 0x41200000
	v_cmp_gt_f32_e32 vcc, s14, v16
	s_and_saveexec_b64 s[10:11], vcc
	s_cbranch_execz .LBB31_110
; %bb.107:
	s_mov_b64 s[12:13], 0
.LBB31_108:                             ; =>This Inner Loop Header: Depth=1
	v_div_scale_f32 v3, s[16:17], v16, v16, 1.0
	v_div_scale_f32 v6, vcc, 1.0, v16, 1.0
	v_rcp_f32_e32 v7, v3
	v_fma_f32 v8, -v3, v7, 1.0
	v_fmac_f32_e32 v7, v8, v7
	v_mul_f32_e32 v8, v6, v7
	v_fma_f32 v9, -v3, v8, v6
	v_fmac_f32_e32 v8, v9, v7
	v_fma_f32 v3, -v3, v8, v6
	v_div_fmas_f32 v3, v3, v7, v8
	v_div_fixup_f32 v3, v3, v16, 1.0
	v_add_f32_e32 v16, 1.0, v16
	v_cmp_ngt_f32_e32 vcc, s14, v16
	s_or_b64 s[12:13], vcc, s[12:13]
	v_sub_f32_e32 v2, v2, v3
	s_andn2_b64 exec, exec, s[12:13]
	s_cbranch_execnz .LBB31_108
; %bb.109:
	s_or_b64 exec, exec, s[12:13]
.LBB31_110:
	s_or_b64 exec, exec, s[10:11]
	s_mov_b32 s10, 0x41200000
	v_cmp_neq_f32_e32 vcc, s10, v16
                                        ; implicit-def: $vgpr15
	s_and_saveexec_b64 s[10:11], vcc
	s_xor_b64 s[10:11], exec, s[10:11]
	s_cbranch_execz .LBB31_114
; %bb.111:
	v_cvt_f64_f32_e32 v[6:7], v16
	s_mov_b32 s12, 0x85d8a000
	s_mov_b32 s13, 0x43763457
	v_mov_b32_e32 v3, 0
	v_cmp_gt_f64_e32 vcc, s[12:13], v[6:7]
	s_and_saveexec_b64 s[12:13], vcc
	s_cbranch_execz .LBB31_113
; %bb.112:
	v_mul_f32_e32 v3, v16, v16
	v_div_scale_f32 v6, s[14:15], v3, v3, 1.0
	v_div_scale_f32 v7, vcc, 1.0, v3, 1.0
	v_mov_b32_e32 v17, 0x3b820821
	v_rcp_f32_e32 v8, v6
	v_fma_f32 v9, -v6, v8, 1.0
	v_fmac_f32_e32 v8, v9, v8
	v_mul_f32_e32 v9, v7, v8
	v_fma_f32 v15, -v6, v9, v7
	v_fmac_f32_e32 v9, v15, v8
	v_fma_f32 v6, -v6, v9, v7
	v_div_fmas_f32 v6, v6, v8, v9
	v_mov_b32_e32 v7, 0x3daaaaab
	v_mov_b32_e32 v8, 0xbcaccacd
	;; [unrolled: 1-line block ×4, first 2 shown]
	v_div_fixup_f32 v3, v6, v3, 1.0
	v_fma_f32 v6, 0, v3, v7
	v_fmac_f32_e32 v8, v3, v6
	v_fmac_f32_e32 v9, v3, v8
	;; [unrolled: 1-line block ×4, first 2 shown]
	v_mov_b32_e32 v6, 0xbc088889
	v_fmac_f32_e32 v6, v3, v17
	v_fmac_f32_e32 v7, v3, v6
	v_mul_f32_e32 v3, v3, v7
.LBB31_113:
	s_or_b64 exec, exec, s[12:13]
	v_div_scale_f32 v6, s[12:13], v16, v16, -0.5
	v_div_scale_f32 v7, vcc, -0.5, v16, -0.5
	s_mov_b32 s12, 0x800000
	s_mov_b32 s13, 0x3f317217
	;; [unrolled: 1-line block ×3, first 2 shown]
	v_rcp_f32_e32 v8, v6
	v_fma_f32 v9, -v6, v8, 1.0
	v_fmac_f32_e32 v8, v9, v8
	v_mul_f32_e32 v9, v7, v8
	v_fma_f32 v15, -v6, v9, v7
	v_fmac_f32_e32 v9, v15, v8
	v_fma_f32 v6, -v6, v9, v7
	v_div_fmas_f32 v6, v6, v8, v9
	v_cmp_gt_f32_e32 vcc, s12, v16
	v_cndmask_b32_e64 v8, 0, 32, vcc
	v_ldexp_f32 v8, v16, v8
	v_log_f32_e32 v8, v8
	v_mov_b32_e32 v7, 0x41b17218
	v_cndmask_b32_e32 v7, 0, v7, vcc
	s_movk_i32 s12, 0x7fff
	v_mul_f32_e32 v15, 0x3f317217, v8
	v_fma_f32 v15, v8, s13, -v15
	v_fmac_f32_e32 v15, 0x3377d1cf, v8
	v_fmac_f32_e32 v15, 0x3f317217, v8
	v_cmp_lt_f32_e64 vcc, |v8|, s14
	v_cndmask_b32_e32 v8, v8, v15, vcc
	v_sub_f32_e32 v7, v8, v7
	v_mov_b32_e32 v9, 0x7fc0
	v_div_fixup_f32 v6, v6, v16, -0.5
	v_add_f32_e32 v6, v7, v6
	v_sub_f32_e32 v3, v6, v3
	v_add_f32_e32 v2, v2, v3
	v_bfe_u32 v3, v2, 16, 1
	v_cmp_o_f32_e32 vcc, v2, v2
	v_add3_u32 v2, v2, v3, s12
	v_cndmask_b32_sdwa v15, v9, v2, vcc dst_sel:DWORD dst_unused:UNUSED_PAD src0_sel:DWORD src1_sel:WORD_1
                                        ; implicit-def: $vgpr2
.LBB31_114:
	s_andn2_saveexec_b64 s[10:11], s[10:11]
; %bb.115:
	v_add_f32_e32 v2, 0x40101cb7, v2
	v_bfe_u32 v3, v2, 16, 1
	s_movk_i32 s12, 0x7fff
	v_add3_u32 v3, v2, v3, s12
	v_cmp_o_f32_e32 vcc, v2, v2
	v_mov_b32_e32 v2, 0x7fc0
	v_cndmask_b32_sdwa v15, v2, v3, vcc dst_sel:DWORD dst_unused:UNUSED_PAD src0_sel:DWORD src1_sel:WORD_1
; %bb.116:
	s_or_b64 exec, exec, s[10:11]
.LBB31_117:
	s_or_b64 exec, exec, s[4:5]
                                        ; implicit-def: $vgpr16
.LBB31_118:
	s_andn2_saveexec_b64 s[4:5], s[8:9]
; %bb.119:
	v_xor_b32_e32 v2, 0x80000000, v16
	v_and_b32_e32 v2, 0x80000000, v2
	v_or_b32_e32 v2, 0x7f800000, v2
	v_lshrrev_b32_e32 v15, 16, v2
; %bb.120:
	s_or_b64 exec, exec, s[4:5]
	v_and_b32_e32 v4, 0xffff0000, v4
	v_cmp_neq_f32_e32 vcc, 0, v4
                                        ; implicit-def: $vgpr16
	s_and_saveexec_b64 s[4:5], vcc
	s_xor_b64 s[8:9], exec, s[4:5]
	s_cbranch_execz .LBB31_142
; %bb.121:
	v_mov_b32_e32 v2, 0
	v_cmp_gt_f32_e32 vcc, 0, v4
	s_mov_b64 s[12:13], -1
	s_and_saveexec_b64 s[10:11], vcc
	s_cbranch_execz .LBB31_129
; %bb.122:
	v_trunc_f32_e32 v2, v4
	v_cmp_neq_f32_e32 vcc, v2, v4
	s_mov_b64 s[14:15], 0
	v_mov_b32_e32 v2, 0
	s_and_saveexec_b64 s[12:13], vcc
	s_cbranch_execz .LBB31_128
; %bb.123:
	v_cvt_f64_f32_e32 v[2:3], v4
	s_mov_b32 s4, 0
	s_mov_b32 s15, 0xc00921fb
	s_mov_b32 s14, 0x54442d18
	v_trunc_f64_e32 v[6:7], v[2:3]
	s_mov_b32 s5, 0x7ff00000
	v_cmp_neq_f64_e64 vcc, |v[2:3]|, s[4:5]
	v_bfrev_b32_e32 v8, 1
	s_mov_b32 s16, 0
	s_mov_b32 s17, 0x41d00000
                                        ; implicit-def: $vgpr16
	v_add_f64 v[6:7], v[2:3], -v[6:7]
	v_mul_f64 v[6:7], |v[6:7]|, s[14:15]
	v_cndmask_b32_e32 v3, v8, v7, vcc
	v_cndmask_b32_e32 v2, 0, v6, vcc
	v_cmp_nlt_f64_e64 s[16:17], |v[2:3]|, s[16:17]
                                        ; implicit-def: $vgpr6_vgpr7
                                        ; implicit-def: $vgpr8_vgpr9
	s_and_saveexec_b64 s[18:19], s[16:17]
	s_xor_b64 s[16:17], exec, s[18:19]
	s_cbranch_execz .LBB31_125
; %bb.124:
	v_trig_preop_f64 v[6:7], |v[2:3]|, 0
	s_mov_b32 s18, 0
	s_mov_b32 s19, 0x7b000000
	s_movk_i32 s15, 0xff80
	v_cmp_ge_f64_e64 vcc, |v[2:3]|, s[18:19]
	v_ldexp_f64 v[16:17], |v[2:3]|, s15
	v_trig_preop_f64 v[8:9], |v[2:3]|, 1
	v_and_b32_e32 v18, 0x7fffffff, v3
	s_mov_b32 s15, 0x3ff921fb
	v_cndmask_b32_e32 v17, v18, v17, vcc
	v_cndmask_b32_e32 v16, v2, v16, vcc
	v_mul_f64 v[20:21], v[6:7], v[16:17]
	v_mul_f64 v[18:19], v[8:9], v[16:17]
	v_fma_f64 v[6:7], v[6:7], v[16:17], -v[20:21]
	v_fma_f64 v[8:9], v[8:9], v[16:17], -v[18:19]
	v_add_f64 v[22:23], v[18:19], v[6:7]
	v_add_f64 v[30:31], v[22:23], -v[18:19]
	v_add_f64 v[24:25], v[20:21], v[22:23]
	v_add_f64 v[6:7], v[6:7], -v[30:31]
	v_add_f64 v[30:31], v[22:23], -v[30:31]
	v_ldexp_f64 v[26:27], v[24:25], -2
	v_add_f64 v[20:21], v[24:25], -v[20:21]
	v_add_f64 v[30:31], v[18:19], -v[30:31]
	v_trig_preop_f64 v[18:19], |v[2:3]|, 2
	v_fract_f64_e32 v[28:29], v[26:27]
	v_add_f64 v[20:21], v[22:23], -v[20:21]
	v_cmp_neq_f64_e64 vcc, |v[26:27]|, s[4:5]
	v_add_f64 v[6:7], v[6:7], v[30:31]
	v_mul_f64 v[30:31], v[18:19], v[16:17]
	v_add_f64 v[32:33], v[30:31], v[8:9]
	v_add_f64 v[34:35], v[32:33], v[6:7]
	v_add_f64 v[24:25], v[34:35], -v[32:33]
	v_add_f64 v[22:23], v[20:21], v[34:35]
	v_add_f64 v[6:7], v[6:7], -v[24:25]
	v_add_f64 v[24:25], v[34:35], -v[24:25]
	;; [unrolled: 1-line block ×5, first 2 shown]
	v_add_f64 v[6:7], v[6:7], v[24:25]
	v_add_f64 v[24:25], v[32:33], -v[30:31]
	v_add_f64 v[8:9], v[8:9], -v[24:25]
	;; [unrolled: 1-line block ×4, first 2 shown]
	v_add_f64 v[8:9], v[8:9], v[24:25]
	v_add_f64 v[6:7], v[8:9], v[6:7]
	v_fma_f64 v[8:9], v[18:19], v[16:17], -v[30:31]
	v_add_f64 v[6:7], v[8:9], v[6:7]
	v_ldexp_f64 v[8:9], v[28:29], 2
	v_add_f64 v[6:7], v[20:21], v[6:7]
	v_cndmask_b32_e32 v9, 0, v9, vcc
	v_cndmask_b32_e32 v8, 0, v8, vcc
	v_add_f64 v[16:17], v[22:23], v[8:9]
	v_cmp_gt_f64_e32 vcc, 0, v[16:17]
	v_mov_b32_e32 v16, 0x40100000
	v_mov_b32_e32 v17, 0
	v_cndmask_b32_e32 v18, 0, v16, vcc
	v_add_f64 v[8:9], v[8:9], v[17:18]
	v_add_f64 v[18:19], v[22:23], v[8:9]
	v_cvt_i32_f64_e32 v16, v[18:19]
	v_cvt_f64_i32_e32 v[18:19], v16
	v_add_f64 v[8:9], v[8:9], -v[18:19]
	v_add_f64 v[19:20], v[22:23], v[8:9]
	v_add_f64 v[8:9], v[19:20], -v[8:9]
	v_cmp_le_f64_e32 vcc, 0.5, v[19:20]
	v_add_f64 v[8:9], v[22:23], -v[8:9]
	v_addc_co_u32_e64 v16, s[4:5], 0, v16, vcc
	s_mov_b32 s4, 0x33145c07
	s_mov_b32 s5, 0x3c91a626
	v_add_f64 v[6:7], v[6:7], v[8:9]
	v_mov_b32_e32 v8, 0x3ff00000
	v_cndmask_b32_e32 v18, 0, v8, vcc
	v_add_f64 v[8:9], v[19:20], -v[17:18]
	v_add_f64 v[17:18], v[8:9], v[6:7]
	v_add_f64 v[8:9], v[17:18], -v[8:9]
	v_add_f64 v[6:7], v[6:7], -v[8:9]
	v_mul_f64 v[8:9], v[17:18], s[14:15]
	v_fma_f64 v[19:20], v[17:18], s[14:15], -v[8:9]
	v_fma_f64 v[17:18], v[17:18], s[4:5], v[19:20]
	v_fma_f64 v[17:18], v[6:7], s[14:15], v[17:18]
	v_add_f64 v[6:7], v[8:9], v[17:18]
	v_add_f64 v[8:9], v[6:7], -v[8:9]
	v_add_f64 v[8:9], v[17:18], -v[8:9]
.LBB31_125:
	s_andn2_saveexec_b64 s[4:5], s[16:17]
	s_cbranch_execz .LBB31_127
; %bb.126:
	s_mov_b32 s14, 0x6dc9c883
	s_mov_b32 s15, 0x3fe45f30
	v_mul_f64 v[6:7], |v[2:3]|, s[14:15]
	s_mov_b32 s14, 0x54442d18
	s_mov_b32 s15, 0xbff921fb
	s_mov_b32 s17, 0xbc91a626
	s_mov_b32 s16, 0x33145c00
	v_rndne_f64_e32 v[16:17], v[6:7]
	v_fma_f64 v[6:7], v[16:17], s[14:15], |v[2:3]|
	v_mul_f64 v[8:9], v[16:17], s[16:17]
	s_mov_b32 s14, 0x252049c0
	s_mov_b32 s15, 0xb97b839a
	v_fma_f64 v[22:23], v[16:17], s[16:17], v[6:7]
	v_add_f64 v[18:19], v[6:7], v[8:9]
	s_mov_b32 s17, 0x3c91a626
	v_add_f64 v[20:21], v[6:7], -v[18:19]
	v_add_f64 v[18:19], v[18:19], -v[22:23]
	v_add_f64 v[6:7], v[20:21], v[8:9]
	v_fma_f64 v[8:9], v[16:17], s[16:17], v[8:9]
	v_add_f64 v[6:7], v[18:19], v[6:7]
	v_add_f64 v[6:7], v[6:7], -v[8:9]
	v_fma_f64 v[8:9], v[16:17], s[14:15], v[6:7]
	v_cvt_i32_f64_e32 v16, v[16:17]
	v_add_f64 v[6:7], v[22:23], v[8:9]
	v_add_f64 v[18:19], v[6:7], -v[22:23]
	v_add_f64 v[8:9], v[8:9], -v[18:19]
.LBB31_127:
	s_or_b64 exec, exec, s[4:5]
	v_mul_f64 v[17:18], v[6:7], v[6:7]
	v_add_f64 v[19:20], v[8:9], v[8:9]
	s_mov_b32 s4, 0xc751c08c
	s_mov_b32 s5, 0x3ef5e089
	v_and_b32_e32 v16, 1, v16
	v_cmp_eq_u32_e32 vcc, 0, v16
	s_mov_b32 s16, 0x54442d18
	s_mov_b32 s17, 0xc00921fb
	v_fma_f64 v[21:22], v[6:7], v[6:7], -v[17:18]
	s_mov_b64 s[14:15], exec
	v_sub_f32_e32 v4, 1.0, v4
	v_fma_f64 v[19:20], v[6:7], v[19:20], v[21:22]
	v_add_f64 v[17:18], v[17:18], v[19:20]
	v_mov_b32_e32 v19, 0xa9a29f71
	v_mov_b32_e32 v20, 0xbf078809
	v_fma_f64 v[19:20], v[17:18], s[4:5], v[19:20]
	s_mov_b32 s4, 0x90a8aae0
	s_mov_b32 s5, 0x3f17746f
	v_fma_f64 v[19:20], v[17:18], v[19:20], s[4:5]
	s_mov_b32 s4, 0xa6fbf144
	s_mov_b32 s5, 0xbefbb44d
	;; [unrolled: 3-line block ×12, first 2 shown]
	v_fma_f64 v[19:20], v[17:18], v[19:20], s[4:5]
	s_movk_i32 s4, 0x1f8
	v_cmp_class_f64_e64 s[4:5], v[2:3], s4
	v_mul_f64 v[17:18], v[17:18], v[19:20]
	v_mul_f64 v[19:20], v[6:7], v[17:18]
	v_add_f64 v[21:22], v[6:7], v[19:20]
	v_fma_f64 v[17:18], v[6:7], v[17:18], -v[19:20]
	v_add_f64 v[6:7], v[21:22], -v[6:7]
	v_add_f64 v[8:9], v[8:9], v[17:18]
	v_add_f64 v[6:7], v[19:20], -v[6:7]
	v_add_f64 v[6:7], v[8:9], v[6:7]
	v_add_f64 v[8:9], v[21:22], v[6:7]
	v_rcp_f64_e32 v[17:18], v[8:9]
	v_fma_f64 v[19:20], -v[8:9], v[17:18], 1.0
	v_fma_f64 v[17:18], v[19:20], v[17:18], v[17:18]
	v_fma_f64 v[19:20], -v[8:9], v[17:18], 1.0
	v_fma_f64 v[17:18], v[19:20], v[17:18], v[17:18]
	v_add_f64 v[19:20], v[8:9], -v[21:22]
	v_mul_f64 v[21:22], v[8:9], v[17:18]
	v_add_f64 v[6:7], v[6:7], -v[19:20]
	v_fma_f64 v[19:20], v[17:18], v[8:9], -v[21:22]
	v_fma_f64 v[6:7], v[17:18], v[6:7], v[19:20]
	v_add_f64 v[19:20], v[21:22], v[6:7]
	v_add_f64 v[23:24], -v[19:20], 1.0
	v_add_f64 v[21:22], v[19:20], -v[21:22]
	v_add_f64 v[25:26], -v[23:24], 1.0
	v_add_f64 v[6:7], v[21:22], -v[6:7]
	v_add_f64 v[19:20], v[25:26], -v[19:20]
	v_add_f64 v[6:7], v[6:7], v[19:20]
	v_add_f64 v[6:7], v[23:24], v[6:7]
	v_mul_f64 v[6:7], v[17:18], v[6:7]
	v_add_f64 v[6:7], v[17:18], v[6:7]
	v_and_b32_e32 v17, 0x80000000, v3
	v_mov_b32_e32 v3, 0x7ff80000
	v_xor_b32_e32 v2, 0x80000000, v7
	v_cndmask_b32_e32 v6, v6, v8, vcc
	v_cndmask_b32_e32 v7, v2, v9, vcc
	v_cndmask_b32_e64 v2, 0, v6, s[4:5]
	v_xor_b32_e32 v6, v7, v17
	v_cndmask_b32_e64 v3, v3, v6, s[4:5]
	v_div_scale_f64 v[6:7], s[4:5], v[2:3], v[2:3], s[16:17]
	v_div_scale_f64 v[18:19], vcc, s[16:17], v[2:3], s[16:17]
	v_rcp_f64_e32 v[8:9], v[6:7]
	v_fma_f64 v[16:17], -v[6:7], v[8:9], 1.0
	v_fma_f64 v[8:9], v[8:9], v[16:17], v[8:9]
	v_fma_f64 v[16:17], -v[6:7], v[8:9], 1.0
	v_fma_f64 v[8:9], v[8:9], v[16:17], v[8:9]
	v_mul_f64 v[16:17], v[18:19], v[8:9]
	v_fma_f64 v[6:7], -v[6:7], v[16:17], v[18:19]
	v_div_fmas_f64 v[6:7], v[6:7], v[8:9], v[16:17]
	v_div_fixup_f64 v[2:3], v[6:7], v[2:3], s[16:17]
	v_cvt_f32_f64_e32 v2, v[2:3]
.LBB31_128:
	s_or_b64 exec, exec, s[12:13]
	s_orn2_b64 s[12:13], s[14:15], exec
.LBB31_129:
	s_or_b64 exec, exec, s[10:11]
	v_mov_b32_e32 v16, 0x7fc0
	s_and_saveexec_b64 s[4:5], s[12:13]
	s_cbranch_execz .LBB31_141
; %bb.130:
	s_mov_b32 s14, 0x41200000
	v_cmp_gt_f32_e32 vcc, s14, v4
	s_and_saveexec_b64 s[10:11], vcc
	s_cbranch_execz .LBB31_134
; %bb.131:
	s_mov_b64 s[12:13], 0
.LBB31_132:                             ; =>This Inner Loop Header: Depth=1
	v_div_scale_f32 v3, s[16:17], v4, v4, 1.0
	v_div_scale_f32 v6, vcc, 1.0, v4, 1.0
	v_rcp_f32_e32 v7, v3
	v_fma_f32 v8, -v3, v7, 1.0
	v_fmac_f32_e32 v7, v8, v7
	v_mul_f32_e32 v8, v6, v7
	v_fma_f32 v9, -v3, v8, v6
	v_fmac_f32_e32 v8, v9, v7
	v_fma_f32 v3, -v3, v8, v6
	v_div_fmas_f32 v3, v3, v7, v8
	v_div_fixup_f32 v3, v3, v4, 1.0
	v_add_f32_e32 v4, 1.0, v4
	v_cmp_ngt_f32_e32 vcc, s14, v4
	s_or_b64 s[12:13], vcc, s[12:13]
	v_sub_f32_e32 v2, v2, v3
	s_andn2_b64 exec, exec, s[12:13]
	s_cbranch_execnz .LBB31_132
; %bb.133:
	s_or_b64 exec, exec, s[12:13]
.LBB31_134:
	s_or_b64 exec, exec, s[10:11]
	s_mov_b32 s10, 0x41200000
	v_cmp_neq_f32_e32 vcc, s10, v4
                                        ; implicit-def: $vgpr16
	s_and_saveexec_b64 s[10:11], vcc
	s_xor_b64 s[10:11], exec, s[10:11]
	s_cbranch_execz .LBB31_138
; %bb.135:
	v_cvt_f64_f32_e32 v[6:7], v4
	s_mov_b32 s12, 0x85d8a000
	s_mov_b32 s13, 0x43763457
	v_mov_b32_e32 v3, 0
	v_cmp_gt_f64_e32 vcc, s[12:13], v[6:7]
	s_and_saveexec_b64 s[12:13], vcc
	s_cbranch_execz .LBB31_137
; %bb.136:
	v_mul_f32_e32 v3, v4, v4
	v_div_scale_f32 v6, s[14:15], v3, v3, 1.0
	v_div_scale_f32 v7, vcc, 1.0, v3, 1.0
	v_mov_b32_e32 v17, 0x3b820821
	v_rcp_f32_e32 v8, v6
	v_fma_f32 v9, -v6, v8, 1.0
	v_fmac_f32_e32 v8, v9, v8
	v_mul_f32_e32 v9, v7, v8
	v_fma_f32 v16, -v6, v9, v7
	v_fmac_f32_e32 v9, v16, v8
	v_fma_f32 v6, -v6, v9, v7
	v_div_fmas_f32 v6, v6, v8, v9
	v_mov_b32_e32 v7, 0x3daaaaab
	v_mov_b32_e32 v8, 0xbcaccacd
	;; [unrolled: 1-line block ×4, first 2 shown]
	v_div_fixup_f32 v3, v6, v3, 1.0
	v_fma_f32 v6, 0, v3, v7
	v_fmac_f32_e32 v8, v3, v6
	v_fmac_f32_e32 v9, v3, v8
	;; [unrolled: 1-line block ×4, first 2 shown]
	v_mov_b32_e32 v6, 0xbc088889
	v_fmac_f32_e32 v6, v3, v17
	v_fmac_f32_e32 v7, v3, v6
	v_mul_f32_e32 v3, v3, v7
.LBB31_137:
	s_or_b64 exec, exec, s[12:13]
	v_div_scale_f32 v6, s[12:13], v4, v4, -0.5
	v_div_scale_f32 v7, vcc, -0.5, v4, -0.5
	s_mov_b32 s12, 0x800000
	s_mov_b32 s13, 0x3f317217
	;; [unrolled: 1-line block ×3, first 2 shown]
	v_rcp_f32_e32 v8, v6
	v_fma_f32 v9, -v6, v8, 1.0
	v_fmac_f32_e32 v8, v9, v8
	v_mul_f32_e32 v9, v7, v8
	v_fma_f32 v16, -v6, v9, v7
	v_fmac_f32_e32 v9, v16, v8
	v_fma_f32 v6, -v6, v9, v7
	v_div_fmas_f32 v6, v6, v8, v9
	v_cmp_gt_f32_e32 vcc, s12, v4
	v_cndmask_b32_e64 v8, 0, 32, vcc
	v_ldexp_f32 v8, v4, v8
	v_log_f32_e32 v8, v8
	v_mov_b32_e32 v7, 0x41b17218
	v_cndmask_b32_e32 v7, 0, v7, vcc
	s_movk_i32 s12, 0x7fff
	v_mul_f32_e32 v16, 0x3f317217, v8
	v_fma_f32 v16, v8, s13, -v16
	v_fmac_f32_e32 v16, 0x3377d1cf, v8
	v_fmac_f32_e32 v16, 0x3f317217, v8
	v_cmp_lt_f32_e64 vcc, |v8|, s14
	v_cndmask_b32_e32 v8, v8, v16, vcc
	v_sub_f32_e32 v7, v8, v7
	v_mov_b32_e32 v9, 0x7fc0
	v_div_fixup_f32 v4, v6, v4, -0.5
	v_add_f32_e32 v4, v7, v4
	v_sub_f32_e32 v3, v4, v3
	v_add_f32_e32 v2, v2, v3
	v_bfe_u32 v3, v2, 16, 1
	v_cmp_o_f32_e32 vcc, v2, v2
	v_add3_u32 v2, v2, v3, s12
	v_cndmask_b32_sdwa v16, v9, v2, vcc dst_sel:DWORD dst_unused:UNUSED_PAD src0_sel:DWORD src1_sel:WORD_1
                                        ; implicit-def: $vgpr2
.LBB31_138:
	s_andn2_saveexec_b64 s[10:11], s[10:11]
; %bb.139:
	v_add_f32_e32 v2, 0x40101cb7, v2
	v_bfe_u32 v3, v2, 16, 1
	s_movk_i32 s12, 0x7fff
	v_add3_u32 v3, v2, v3, s12
	v_cmp_o_f32_e32 vcc, v2, v2
	v_mov_b32_e32 v2, 0x7fc0
	v_cndmask_b32_sdwa v16, v2, v3, vcc dst_sel:DWORD dst_unused:UNUSED_PAD src0_sel:DWORD src1_sel:WORD_1
; %bb.140:
	s_or_b64 exec, exec, s[10:11]
.LBB31_141:
	s_or_b64 exec, exec, s[4:5]
                                        ; implicit-def: $vgpr4
.LBB31_142:
	s_andn2_saveexec_b64 s[4:5], s[8:9]
; %bb.143:
	v_xor_b32_e32 v2, 0x80000000, v4
	v_and_b32_e32 v2, 0x80000000, v2
	v_or_b32_e32 v2, 0x7f800000, v2
	v_lshrrev_b32_e32 v16, 16, v2
; %bb.144:
	s_or_b64 exec, exec, s[4:5]
	v_lshlrev_b32_e32 v4, 16, v5
	v_cmp_neq_f32_e32 vcc, 0, v4
                                        ; implicit-def: $vgpr8
	s_and_saveexec_b64 s[4:5], vcc
	s_xor_b64 s[8:9], exec, s[4:5]
	s_cbranch_execz .LBB31_166
; %bb.145:
	v_mov_b32_e32 v2, 0
	v_cmp_gt_f32_e32 vcc, 0, v4
	s_mov_b64 s[12:13], -1
	s_and_saveexec_b64 s[10:11], vcc
	s_cbranch_execz .LBB31_153
; %bb.146:
	v_trunc_f32_e32 v2, v4
	v_cmp_neq_f32_e32 vcc, v2, v4
	s_mov_b64 s[14:15], 0
	v_mov_b32_e32 v2, 0
	s_and_saveexec_b64 s[12:13], vcc
	s_cbranch_execz .LBB31_152
; %bb.147:
	v_cvt_f64_f32_e32 v[2:3], v4
	s_mov_b32 s4, 0
	s_mov_b32 s15, 0xc00921fb
	s_mov_b32 s14, 0x54442d18
	v_trunc_f64_e32 v[6:7], v[2:3]
	s_mov_b32 s5, 0x7ff00000
	v_cmp_neq_f64_e64 vcc, |v[2:3]|, s[4:5]
	v_bfrev_b32_e32 v8, 1
	s_mov_b32 s16, 0
	s_mov_b32 s17, 0x41d00000
                                        ; implicit-def: $vgpr17
	v_add_f64 v[6:7], v[2:3], -v[6:7]
	v_mul_f64 v[6:7], |v[6:7]|, s[14:15]
	v_cndmask_b32_e32 v3, v8, v7, vcc
	v_cndmask_b32_e32 v2, 0, v6, vcc
	v_cmp_nlt_f64_e64 s[16:17], |v[2:3]|, s[16:17]
                                        ; implicit-def: $vgpr6_vgpr7
                                        ; implicit-def: $vgpr8_vgpr9
	s_and_saveexec_b64 s[18:19], s[16:17]
	s_xor_b64 s[16:17], exec, s[18:19]
	s_cbranch_execz .LBB31_149
; %bb.148:
	v_trig_preop_f64 v[6:7], |v[2:3]|, 0
	s_mov_b32 s18, 0
	s_mov_b32 s19, 0x7b000000
	s_movk_i32 s15, 0xff80
	v_cmp_ge_f64_e64 vcc, |v[2:3]|, s[18:19]
	v_ldexp_f64 v[17:18], |v[2:3]|, s15
	v_trig_preop_f64 v[8:9], |v[2:3]|, 1
	v_and_b32_e32 v19, 0x7fffffff, v3
	s_mov_b32 s15, 0x3ff921fb
	v_cndmask_b32_e32 v18, v19, v18, vcc
	v_cndmask_b32_e32 v17, v2, v17, vcc
	v_mul_f64 v[21:22], v[6:7], v[17:18]
	v_mul_f64 v[19:20], v[8:9], v[17:18]
	v_fma_f64 v[6:7], v[6:7], v[17:18], -v[21:22]
	v_fma_f64 v[8:9], v[8:9], v[17:18], -v[19:20]
	v_add_f64 v[23:24], v[19:20], v[6:7]
	v_add_f64 v[31:32], v[23:24], -v[19:20]
	v_add_f64 v[25:26], v[21:22], v[23:24]
	v_add_f64 v[6:7], v[6:7], -v[31:32]
	v_add_f64 v[31:32], v[23:24], -v[31:32]
	v_ldexp_f64 v[27:28], v[25:26], -2
	v_add_f64 v[21:22], v[25:26], -v[21:22]
	v_add_f64 v[31:32], v[19:20], -v[31:32]
	v_trig_preop_f64 v[19:20], |v[2:3]|, 2
	v_fract_f64_e32 v[29:30], v[27:28]
	v_add_f64 v[21:22], v[23:24], -v[21:22]
	v_cmp_neq_f64_e64 vcc, |v[27:28]|, s[4:5]
	v_add_f64 v[6:7], v[6:7], v[31:32]
	v_mul_f64 v[31:32], v[19:20], v[17:18]
	v_add_f64 v[33:34], v[31:32], v[8:9]
	v_add_f64 v[35:36], v[33:34], v[6:7]
	v_add_f64 v[25:26], v[35:36], -v[33:34]
	v_add_f64 v[23:24], v[21:22], v[35:36]
	v_add_f64 v[6:7], v[6:7], -v[25:26]
	v_add_f64 v[25:26], v[35:36], -v[25:26]
	;; [unrolled: 1-line block ×5, first 2 shown]
	v_add_f64 v[6:7], v[6:7], v[25:26]
	v_add_f64 v[25:26], v[33:34], -v[31:32]
	v_add_f64 v[8:9], v[8:9], -v[25:26]
	v_add_f64 v[25:26], v[33:34], -v[25:26]
	v_add_f64 v[25:26], v[31:32], -v[25:26]
	v_add_f64 v[8:9], v[8:9], v[25:26]
	v_add_f64 v[6:7], v[8:9], v[6:7]
	v_fma_f64 v[8:9], v[19:20], v[17:18], -v[31:32]
	v_add_f64 v[6:7], v[8:9], v[6:7]
	v_ldexp_f64 v[8:9], v[29:30], 2
	v_add_f64 v[6:7], v[21:22], v[6:7]
	v_cndmask_b32_e32 v9, 0, v9, vcc
	v_cndmask_b32_e32 v8, 0, v8, vcc
	v_add_f64 v[17:18], v[23:24], v[8:9]
	v_cmp_gt_f64_e32 vcc, 0, v[17:18]
	v_mov_b32_e32 v17, 0x40100000
	v_mov_b32_e32 v18, 0
	v_cndmask_b32_e32 v19, 0, v17, vcc
	v_add_f64 v[8:9], v[8:9], v[18:19]
	v_add_f64 v[19:20], v[23:24], v[8:9]
	v_cvt_i32_f64_e32 v17, v[19:20]
	v_cvt_f64_i32_e32 v[19:20], v17
	v_add_f64 v[8:9], v[8:9], -v[19:20]
	v_add_f64 v[20:21], v[23:24], v[8:9]
	v_add_f64 v[8:9], v[20:21], -v[8:9]
	v_cmp_le_f64_e32 vcc, 0.5, v[20:21]
	v_add_f64 v[8:9], v[23:24], -v[8:9]
	v_addc_co_u32_e64 v17, s[4:5], 0, v17, vcc
	s_mov_b32 s4, 0x33145c07
	s_mov_b32 s5, 0x3c91a626
	v_add_f64 v[6:7], v[6:7], v[8:9]
	v_mov_b32_e32 v8, 0x3ff00000
	v_cndmask_b32_e32 v19, 0, v8, vcc
	v_add_f64 v[8:9], v[20:21], -v[18:19]
	v_add_f64 v[18:19], v[8:9], v[6:7]
	v_add_f64 v[8:9], v[18:19], -v[8:9]
	v_add_f64 v[6:7], v[6:7], -v[8:9]
	v_mul_f64 v[8:9], v[18:19], s[14:15]
	v_fma_f64 v[20:21], v[18:19], s[14:15], -v[8:9]
	v_fma_f64 v[18:19], v[18:19], s[4:5], v[20:21]
	v_fma_f64 v[18:19], v[6:7], s[14:15], v[18:19]
	v_add_f64 v[6:7], v[8:9], v[18:19]
	v_add_f64 v[8:9], v[6:7], -v[8:9]
	v_add_f64 v[8:9], v[18:19], -v[8:9]
.LBB31_149:
	s_andn2_saveexec_b64 s[4:5], s[16:17]
	s_cbranch_execz .LBB31_151
; %bb.150:
	s_mov_b32 s14, 0x6dc9c883
	s_mov_b32 s15, 0x3fe45f30
	v_mul_f64 v[6:7], |v[2:3]|, s[14:15]
	s_mov_b32 s14, 0x54442d18
	s_mov_b32 s15, 0xbff921fb
	;; [unrolled: 1-line block ×4, first 2 shown]
	v_rndne_f64_e32 v[17:18], v[6:7]
	v_fma_f64 v[6:7], v[17:18], s[14:15], |v[2:3]|
	v_mul_f64 v[8:9], v[17:18], s[16:17]
	s_mov_b32 s14, 0x252049c0
	s_mov_b32 s15, 0xb97b839a
	v_fma_f64 v[23:24], v[17:18], s[16:17], v[6:7]
	v_add_f64 v[19:20], v[6:7], v[8:9]
	s_mov_b32 s17, 0x3c91a626
	v_add_f64 v[21:22], v[6:7], -v[19:20]
	v_add_f64 v[19:20], v[19:20], -v[23:24]
	v_add_f64 v[6:7], v[21:22], v[8:9]
	v_fma_f64 v[8:9], v[17:18], s[16:17], v[8:9]
	v_add_f64 v[6:7], v[19:20], v[6:7]
	v_add_f64 v[6:7], v[6:7], -v[8:9]
	v_fma_f64 v[8:9], v[17:18], s[14:15], v[6:7]
	v_cvt_i32_f64_e32 v17, v[17:18]
	v_add_f64 v[6:7], v[23:24], v[8:9]
	v_add_f64 v[19:20], v[6:7], -v[23:24]
	v_add_f64 v[8:9], v[8:9], -v[19:20]
.LBB31_151:
	s_or_b64 exec, exec, s[4:5]
	v_mul_f64 v[18:19], v[6:7], v[6:7]
	v_add_f64 v[20:21], v[8:9], v[8:9]
	s_mov_b32 s4, 0xc751c08c
	s_mov_b32 s5, 0x3ef5e089
	v_and_b32_e32 v17, 1, v17
	v_cmp_eq_u32_e32 vcc, 0, v17
	s_mov_b32 s16, 0x54442d18
	s_mov_b32 s17, 0xc00921fb
	v_fma_f64 v[22:23], v[6:7], v[6:7], -v[18:19]
	s_mov_b64 s[14:15], exec
	v_sub_f32_e32 v4, 1.0, v4
	v_fma_f64 v[20:21], v[6:7], v[20:21], v[22:23]
	v_add_f64 v[18:19], v[18:19], v[20:21]
	v_mov_b32_e32 v20, 0xa9a29f71
	v_mov_b32_e32 v21, 0xbf078809
	v_fma_f64 v[20:21], v[18:19], s[4:5], v[20:21]
	s_mov_b32 s4, 0x90a8aae0
	s_mov_b32 s5, 0x3f17746f
	v_fma_f64 v[20:21], v[18:19], v[20:21], s[4:5]
	s_mov_b32 s4, 0xa6fbf144
	s_mov_b32 s5, 0xbefbb44d
	;; [unrolled: 3-line block ×12, first 2 shown]
	v_fma_f64 v[20:21], v[18:19], v[20:21], s[4:5]
	s_movk_i32 s4, 0x1f8
	v_cmp_class_f64_e64 s[4:5], v[2:3], s4
	v_mul_f64 v[18:19], v[18:19], v[20:21]
	v_mul_f64 v[20:21], v[6:7], v[18:19]
	v_add_f64 v[22:23], v[6:7], v[20:21]
	v_fma_f64 v[18:19], v[6:7], v[18:19], -v[20:21]
	v_add_f64 v[6:7], v[22:23], -v[6:7]
	v_add_f64 v[8:9], v[8:9], v[18:19]
	v_add_f64 v[6:7], v[20:21], -v[6:7]
	v_add_f64 v[6:7], v[8:9], v[6:7]
	v_add_f64 v[8:9], v[22:23], v[6:7]
	v_rcp_f64_e32 v[18:19], v[8:9]
	v_fma_f64 v[20:21], -v[8:9], v[18:19], 1.0
	v_fma_f64 v[18:19], v[20:21], v[18:19], v[18:19]
	v_fma_f64 v[20:21], -v[8:9], v[18:19], 1.0
	v_fma_f64 v[18:19], v[20:21], v[18:19], v[18:19]
	v_add_f64 v[20:21], v[8:9], -v[22:23]
	v_mul_f64 v[22:23], v[8:9], v[18:19]
	v_add_f64 v[6:7], v[6:7], -v[20:21]
	v_fma_f64 v[20:21], v[18:19], v[8:9], -v[22:23]
	v_fma_f64 v[6:7], v[18:19], v[6:7], v[20:21]
	v_add_f64 v[20:21], v[22:23], v[6:7]
	v_add_f64 v[24:25], -v[20:21], 1.0
	v_add_f64 v[22:23], v[20:21], -v[22:23]
	v_add_f64 v[26:27], -v[24:25], 1.0
	v_add_f64 v[6:7], v[22:23], -v[6:7]
	v_add_f64 v[20:21], v[26:27], -v[20:21]
	v_add_f64 v[6:7], v[6:7], v[20:21]
	v_add_f64 v[6:7], v[24:25], v[6:7]
	v_mul_f64 v[6:7], v[18:19], v[6:7]
	v_add_f64 v[6:7], v[18:19], v[6:7]
	v_and_b32_e32 v18, 0x80000000, v3
	v_mov_b32_e32 v3, 0x7ff80000
	v_xor_b32_e32 v2, 0x80000000, v7
	v_cndmask_b32_e32 v6, v6, v8, vcc
	v_cndmask_b32_e32 v7, v2, v9, vcc
	v_cndmask_b32_e64 v2, 0, v6, s[4:5]
	v_xor_b32_e32 v6, v7, v18
	v_cndmask_b32_e64 v3, v3, v6, s[4:5]
	v_div_scale_f64 v[6:7], s[4:5], v[2:3], v[2:3], s[16:17]
	v_div_scale_f64 v[19:20], vcc, s[16:17], v[2:3], s[16:17]
	v_rcp_f64_e32 v[8:9], v[6:7]
	v_fma_f64 v[17:18], -v[6:7], v[8:9], 1.0
	v_fma_f64 v[8:9], v[8:9], v[17:18], v[8:9]
	v_fma_f64 v[17:18], -v[6:7], v[8:9], 1.0
	v_fma_f64 v[8:9], v[8:9], v[17:18], v[8:9]
	v_mul_f64 v[17:18], v[19:20], v[8:9]
	v_fma_f64 v[6:7], -v[6:7], v[17:18], v[19:20]
	v_div_fmas_f64 v[6:7], v[6:7], v[8:9], v[17:18]
	v_div_fixup_f64 v[2:3], v[6:7], v[2:3], s[16:17]
	v_cvt_f32_f64_e32 v2, v[2:3]
.LBB31_152:
	s_or_b64 exec, exec, s[12:13]
	s_orn2_b64 s[12:13], s[14:15], exec
.LBB31_153:
	s_or_b64 exec, exec, s[10:11]
	v_mov_b32_e32 v8, 0x7fc0
	s_and_saveexec_b64 s[4:5], s[12:13]
	s_cbranch_execz .LBB31_165
; %bb.154:
	s_mov_b32 s14, 0x41200000
	v_cmp_gt_f32_e32 vcc, s14, v4
	s_and_saveexec_b64 s[10:11], vcc
	s_cbranch_execz .LBB31_158
; %bb.155:
	s_mov_b64 s[12:13], 0
.LBB31_156:                             ; =>This Inner Loop Header: Depth=1
	v_div_scale_f32 v3, s[16:17], v4, v4, 1.0
	v_div_scale_f32 v6, vcc, 1.0, v4, 1.0
	v_rcp_f32_e32 v7, v3
	v_fma_f32 v8, -v3, v7, 1.0
	v_fmac_f32_e32 v7, v8, v7
	v_mul_f32_e32 v8, v6, v7
	v_fma_f32 v9, -v3, v8, v6
	v_fmac_f32_e32 v8, v9, v7
	v_fma_f32 v3, -v3, v8, v6
	v_div_fmas_f32 v3, v3, v7, v8
	v_div_fixup_f32 v3, v3, v4, 1.0
	v_add_f32_e32 v4, 1.0, v4
	v_cmp_ngt_f32_e32 vcc, s14, v4
	s_or_b64 s[12:13], vcc, s[12:13]
	v_sub_f32_e32 v2, v2, v3
	s_andn2_b64 exec, exec, s[12:13]
	s_cbranch_execnz .LBB31_156
; %bb.157:
	s_or_b64 exec, exec, s[12:13]
.LBB31_158:
	s_or_b64 exec, exec, s[10:11]
	s_mov_b32 s10, 0x41200000
	v_cmp_neq_f32_e32 vcc, s10, v4
                                        ; implicit-def: $vgpr8
	s_and_saveexec_b64 s[10:11], vcc
	s_xor_b64 s[10:11], exec, s[10:11]
	s_cbranch_execz .LBB31_162
; %bb.159:
	v_cvt_f64_f32_e32 v[6:7], v4
	s_mov_b32 s12, 0x85d8a000
	s_mov_b32 s13, 0x43763457
	v_mov_b32_e32 v3, 0
	v_cmp_gt_f64_e32 vcc, s[12:13], v[6:7]
	s_and_saveexec_b64 s[12:13], vcc
	s_cbranch_execz .LBB31_161
; %bb.160:
	v_mul_f32_e32 v3, v4, v4
	v_div_scale_f32 v6, s[14:15], v3, v3, 1.0
	v_div_scale_f32 v7, vcc, 1.0, v3, 1.0
	v_mov_b32_e32 v18, 0x3b820821
	v_rcp_f32_e32 v8, v6
	v_fma_f32 v9, -v6, v8, 1.0
	v_fmac_f32_e32 v8, v9, v8
	v_mul_f32_e32 v9, v7, v8
	v_fma_f32 v17, -v6, v9, v7
	v_fmac_f32_e32 v9, v17, v8
	v_fma_f32 v6, -v6, v9, v7
	v_div_fmas_f32 v6, v6, v8, v9
	v_mov_b32_e32 v7, 0x3daaaaab
	v_mov_b32_e32 v8, 0xbcaccacd
	;; [unrolled: 1-line block ×4, first 2 shown]
	v_div_fixup_f32 v3, v6, v3, 1.0
	v_fma_f32 v6, 0, v3, v7
	v_fmac_f32_e32 v8, v3, v6
	v_fmac_f32_e32 v9, v3, v8
	;; [unrolled: 1-line block ×4, first 2 shown]
	v_mov_b32_e32 v6, 0xbc088889
	v_fmac_f32_e32 v6, v3, v18
	v_fmac_f32_e32 v7, v3, v6
	v_mul_f32_e32 v3, v3, v7
.LBB31_161:
	s_or_b64 exec, exec, s[12:13]
	v_div_scale_f32 v6, s[12:13], v4, v4, -0.5
	v_div_scale_f32 v7, vcc, -0.5, v4, -0.5
	s_mov_b32 s12, 0x800000
	s_mov_b32 s13, 0x3f317217
	;; [unrolled: 1-line block ×3, first 2 shown]
	v_rcp_f32_e32 v8, v6
	v_fma_f32 v9, -v6, v8, 1.0
	v_fmac_f32_e32 v8, v9, v8
	v_mul_f32_e32 v9, v7, v8
	v_fma_f32 v17, -v6, v9, v7
	v_fmac_f32_e32 v9, v17, v8
	v_fma_f32 v6, -v6, v9, v7
	v_div_fmas_f32 v6, v6, v8, v9
	v_cmp_gt_f32_e32 vcc, s12, v4
	v_cndmask_b32_e64 v8, 0, 32, vcc
	v_ldexp_f32 v8, v4, v8
	v_log_f32_e32 v8, v8
	v_mov_b32_e32 v7, 0x41b17218
	v_cndmask_b32_e32 v7, 0, v7, vcc
	s_movk_i32 s12, 0x7fff
	v_mul_f32_e32 v17, 0x3f317217, v8
	v_fma_f32 v17, v8, s13, -v17
	v_fmac_f32_e32 v17, 0x3377d1cf, v8
	v_fmac_f32_e32 v17, 0x3f317217, v8
	v_cmp_lt_f32_e64 vcc, |v8|, s14
	v_cndmask_b32_e32 v8, v8, v17, vcc
	v_sub_f32_e32 v7, v8, v7
	v_mov_b32_e32 v9, 0x7fc0
	v_div_fixup_f32 v4, v6, v4, -0.5
	v_add_f32_e32 v4, v7, v4
	v_sub_f32_e32 v3, v4, v3
	v_add_f32_e32 v2, v2, v3
	v_bfe_u32 v3, v2, 16, 1
	v_cmp_o_f32_e32 vcc, v2, v2
	v_add3_u32 v2, v2, v3, s12
	v_cndmask_b32_sdwa v8, v9, v2, vcc dst_sel:DWORD dst_unused:UNUSED_PAD src0_sel:DWORD src1_sel:WORD_1
                                        ; implicit-def: $vgpr2
.LBB31_162:
	s_andn2_saveexec_b64 s[10:11], s[10:11]
; %bb.163:
	v_add_f32_e32 v2, 0x40101cb7, v2
	v_bfe_u32 v3, v2, 16, 1
	s_movk_i32 s12, 0x7fff
	v_add3_u32 v3, v2, v3, s12
	v_cmp_o_f32_e32 vcc, v2, v2
	v_mov_b32_e32 v2, 0x7fc0
	v_cndmask_b32_sdwa v8, v2, v3, vcc dst_sel:DWORD dst_unused:UNUSED_PAD src0_sel:DWORD src1_sel:WORD_1
; %bb.164:
	s_or_b64 exec, exec, s[10:11]
.LBB31_165:
	s_or_b64 exec, exec, s[4:5]
                                        ; implicit-def: $vgpr4
.LBB31_166:
	s_andn2_saveexec_b64 s[4:5], s[8:9]
; %bb.167:
	v_xor_b32_e32 v2, 0x80000000, v4
	v_and_b32_e32 v2, 0x80000000, v2
	v_or_b32_e32 v2, 0x7f800000, v2
	v_lshrrev_b32_e32 v8, 16, v2
; %bb.168:
	s_or_b64 exec, exec, s[4:5]
	v_and_b32_e32 v9, 0xffff0000, v5
	v_cmp_neq_f32_e32 vcc, 0, v9
                                        ; implicit-def: $vgpr3
	s_and_saveexec_b64 s[4:5], vcc
	s_xor_b64 s[8:9], exec, s[4:5]
	s_cbranch_execz .LBB31_190
; %bb.169:
	v_mov_b32_e32 v2, 0
	v_cmp_gt_f32_e32 vcc, 0, v9
	s_mov_b64 s[12:13], -1
	s_and_saveexec_b64 s[10:11], vcc
	s_cbranch_execz .LBB31_177
; %bb.170:
	v_trunc_f32_e32 v2, v9
	v_cmp_neq_f32_e32 vcc, v2, v9
	s_mov_b64 s[14:15], 0
	v_mov_b32_e32 v2, 0
	s_and_saveexec_b64 s[12:13], vcc
	s_cbranch_execz .LBB31_176
; %bb.171:
	v_cvt_f64_f32_e32 v[2:3], v9
	s_mov_b32 s4, 0
	s_mov_b32 s15, 0xc00921fb
	;; [unrolled: 1-line block ×3, first 2 shown]
	v_trunc_f64_e32 v[4:5], v[2:3]
	s_mov_b32 s5, 0x7ff00000
	v_cmp_neq_f64_e64 vcc, |v[2:3]|, s[4:5]
	v_bfrev_b32_e32 v6, 1
	s_mov_b32 s16, 0
	s_mov_b32 s17, 0x41d00000
                                        ; implicit-def: $vgpr17
	v_add_f64 v[4:5], v[2:3], -v[4:5]
	v_mul_f64 v[4:5], |v[4:5]|, s[14:15]
	v_cndmask_b32_e32 v3, v6, v5, vcc
	v_cndmask_b32_e32 v2, 0, v4, vcc
	v_cmp_nlt_f64_e64 s[16:17], |v[2:3]|, s[16:17]
                                        ; implicit-def: $vgpr4_vgpr5
                                        ; implicit-def: $vgpr6_vgpr7
	s_and_saveexec_b64 s[18:19], s[16:17]
	s_xor_b64 s[16:17], exec, s[18:19]
	s_cbranch_execz .LBB31_173
; %bb.172:
	v_trig_preop_f64 v[4:5], |v[2:3]|, 0
	s_mov_b32 s18, 0
	s_mov_b32 s19, 0x7b000000
	s_movk_i32 s15, 0xff80
	v_cmp_ge_f64_e64 vcc, |v[2:3]|, s[18:19]
	v_ldexp_f64 v[17:18], |v[2:3]|, s15
	v_trig_preop_f64 v[6:7], |v[2:3]|, 1
	v_and_b32_e32 v19, 0x7fffffff, v3
	s_mov_b32 s15, 0x3ff921fb
	v_cndmask_b32_e32 v18, v19, v18, vcc
	v_cndmask_b32_e32 v17, v2, v17, vcc
	v_mul_f64 v[21:22], v[4:5], v[17:18]
	v_mul_f64 v[19:20], v[6:7], v[17:18]
	v_fma_f64 v[4:5], v[4:5], v[17:18], -v[21:22]
	v_fma_f64 v[6:7], v[6:7], v[17:18], -v[19:20]
	v_add_f64 v[23:24], v[19:20], v[4:5]
	v_add_f64 v[31:32], v[23:24], -v[19:20]
	v_add_f64 v[25:26], v[21:22], v[23:24]
	v_add_f64 v[4:5], v[4:5], -v[31:32]
	v_add_f64 v[31:32], v[23:24], -v[31:32]
	v_ldexp_f64 v[27:28], v[25:26], -2
	v_add_f64 v[21:22], v[25:26], -v[21:22]
	v_add_f64 v[31:32], v[19:20], -v[31:32]
	v_trig_preop_f64 v[19:20], |v[2:3]|, 2
	v_fract_f64_e32 v[29:30], v[27:28]
	v_add_f64 v[21:22], v[23:24], -v[21:22]
	v_cmp_neq_f64_e64 vcc, |v[27:28]|, s[4:5]
	v_add_f64 v[4:5], v[4:5], v[31:32]
	v_mul_f64 v[31:32], v[19:20], v[17:18]
	v_add_f64 v[33:34], v[31:32], v[6:7]
	v_add_f64 v[35:36], v[33:34], v[4:5]
	v_add_f64 v[25:26], v[35:36], -v[33:34]
	v_add_f64 v[23:24], v[21:22], v[35:36]
	v_add_f64 v[4:5], v[4:5], -v[25:26]
	v_add_f64 v[25:26], v[35:36], -v[25:26]
	;; [unrolled: 1-line block ×5, first 2 shown]
	v_add_f64 v[4:5], v[4:5], v[25:26]
	v_add_f64 v[25:26], v[33:34], -v[31:32]
	v_add_f64 v[6:7], v[6:7], -v[25:26]
	;; [unrolled: 1-line block ×4, first 2 shown]
	v_add_f64 v[6:7], v[6:7], v[25:26]
	v_add_f64 v[4:5], v[6:7], v[4:5]
	v_fma_f64 v[6:7], v[19:20], v[17:18], -v[31:32]
	v_add_f64 v[4:5], v[6:7], v[4:5]
	v_ldexp_f64 v[6:7], v[29:30], 2
	v_add_f64 v[4:5], v[21:22], v[4:5]
	v_cndmask_b32_e32 v7, 0, v7, vcc
	v_cndmask_b32_e32 v6, 0, v6, vcc
	v_add_f64 v[17:18], v[23:24], v[6:7]
	v_cmp_gt_f64_e32 vcc, 0, v[17:18]
	v_mov_b32_e32 v17, 0x40100000
	v_mov_b32_e32 v18, 0
	v_cndmask_b32_e32 v19, 0, v17, vcc
	v_add_f64 v[6:7], v[6:7], v[18:19]
	v_add_f64 v[19:20], v[23:24], v[6:7]
	v_cvt_i32_f64_e32 v17, v[19:20]
	v_cvt_f64_i32_e32 v[19:20], v17
	v_add_f64 v[6:7], v[6:7], -v[19:20]
	v_add_f64 v[20:21], v[23:24], v[6:7]
	v_add_f64 v[6:7], v[20:21], -v[6:7]
	v_cmp_le_f64_e32 vcc, 0.5, v[20:21]
	v_add_f64 v[6:7], v[23:24], -v[6:7]
	v_addc_co_u32_e64 v17, s[4:5], 0, v17, vcc
	s_mov_b32 s4, 0x33145c07
	s_mov_b32 s5, 0x3c91a626
	v_add_f64 v[4:5], v[4:5], v[6:7]
	v_mov_b32_e32 v6, 0x3ff00000
	v_cndmask_b32_e32 v19, 0, v6, vcc
	v_add_f64 v[6:7], v[20:21], -v[18:19]
	v_add_f64 v[18:19], v[6:7], v[4:5]
	v_add_f64 v[6:7], v[18:19], -v[6:7]
	v_add_f64 v[4:5], v[4:5], -v[6:7]
	v_mul_f64 v[6:7], v[18:19], s[14:15]
	v_fma_f64 v[20:21], v[18:19], s[14:15], -v[6:7]
	v_fma_f64 v[18:19], v[18:19], s[4:5], v[20:21]
	v_fma_f64 v[18:19], v[4:5], s[14:15], v[18:19]
	v_add_f64 v[4:5], v[6:7], v[18:19]
	v_add_f64 v[6:7], v[4:5], -v[6:7]
	v_add_f64 v[6:7], v[18:19], -v[6:7]
.LBB31_173:
	s_andn2_saveexec_b64 s[4:5], s[16:17]
	s_cbranch_execz .LBB31_175
; %bb.174:
	s_mov_b32 s14, 0x6dc9c883
	s_mov_b32 s15, 0x3fe45f30
	v_mul_f64 v[4:5], |v[2:3]|, s[14:15]
	s_mov_b32 s14, 0x54442d18
	s_mov_b32 s15, 0xbff921fb
	;; [unrolled: 1-line block ×4, first 2 shown]
	v_rndne_f64_e32 v[17:18], v[4:5]
	v_fma_f64 v[4:5], v[17:18], s[14:15], |v[2:3]|
	v_mul_f64 v[6:7], v[17:18], s[16:17]
	s_mov_b32 s14, 0x252049c0
	s_mov_b32 s15, 0xb97b839a
	v_fma_f64 v[23:24], v[17:18], s[16:17], v[4:5]
	v_add_f64 v[19:20], v[4:5], v[6:7]
	s_mov_b32 s17, 0x3c91a626
	v_add_f64 v[21:22], v[4:5], -v[19:20]
	v_add_f64 v[19:20], v[19:20], -v[23:24]
	v_add_f64 v[4:5], v[21:22], v[6:7]
	v_fma_f64 v[6:7], v[17:18], s[16:17], v[6:7]
	v_add_f64 v[4:5], v[19:20], v[4:5]
	v_add_f64 v[4:5], v[4:5], -v[6:7]
	v_fma_f64 v[6:7], v[17:18], s[14:15], v[4:5]
	v_cvt_i32_f64_e32 v17, v[17:18]
	v_add_f64 v[4:5], v[23:24], v[6:7]
	v_add_f64 v[19:20], v[4:5], -v[23:24]
	v_add_f64 v[6:7], v[6:7], -v[19:20]
.LBB31_175:
	s_or_b64 exec, exec, s[4:5]
	v_mul_f64 v[18:19], v[4:5], v[4:5]
	v_add_f64 v[20:21], v[6:7], v[6:7]
	s_mov_b32 s4, 0xc751c08c
	s_mov_b32 s5, 0x3ef5e089
	v_and_b32_e32 v17, 1, v17
	v_cmp_eq_u32_e32 vcc, 0, v17
	s_mov_b32 s16, 0x54442d18
	s_mov_b32 s17, 0xc00921fb
	v_fma_f64 v[22:23], v[4:5], v[4:5], -v[18:19]
	s_mov_b64 s[14:15], exec
	v_sub_f32_e32 v9, 1.0, v9
	v_fma_f64 v[20:21], v[4:5], v[20:21], v[22:23]
	v_add_f64 v[18:19], v[18:19], v[20:21]
	v_mov_b32_e32 v20, 0xa9a29f71
	v_mov_b32_e32 v21, 0xbf078809
	v_fma_f64 v[20:21], v[18:19], s[4:5], v[20:21]
	s_mov_b32 s4, 0x90a8aae0
	s_mov_b32 s5, 0x3f17746f
	v_fma_f64 v[20:21], v[18:19], v[20:21], s[4:5]
	s_mov_b32 s4, 0xa6fbf144
	s_mov_b32 s5, 0xbefbb44d
	;; [unrolled: 3-line block ×12, first 2 shown]
	v_fma_f64 v[20:21], v[18:19], v[20:21], s[4:5]
	s_movk_i32 s4, 0x1f8
	v_cmp_class_f64_e64 s[4:5], v[2:3], s4
	v_mul_f64 v[18:19], v[18:19], v[20:21]
	v_mul_f64 v[20:21], v[4:5], v[18:19]
	v_add_f64 v[22:23], v[4:5], v[20:21]
	v_fma_f64 v[18:19], v[4:5], v[18:19], -v[20:21]
	v_add_f64 v[4:5], v[22:23], -v[4:5]
	v_add_f64 v[6:7], v[6:7], v[18:19]
	v_add_f64 v[4:5], v[20:21], -v[4:5]
	v_add_f64 v[4:5], v[6:7], v[4:5]
	v_add_f64 v[6:7], v[22:23], v[4:5]
	v_rcp_f64_e32 v[18:19], v[6:7]
	v_fma_f64 v[20:21], -v[6:7], v[18:19], 1.0
	v_fma_f64 v[18:19], v[20:21], v[18:19], v[18:19]
	v_fma_f64 v[20:21], -v[6:7], v[18:19], 1.0
	v_fma_f64 v[18:19], v[20:21], v[18:19], v[18:19]
	v_add_f64 v[20:21], v[6:7], -v[22:23]
	v_mul_f64 v[22:23], v[6:7], v[18:19]
	v_add_f64 v[4:5], v[4:5], -v[20:21]
	v_fma_f64 v[20:21], v[18:19], v[6:7], -v[22:23]
	v_fma_f64 v[4:5], v[18:19], v[4:5], v[20:21]
	v_add_f64 v[20:21], v[22:23], v[4:5]
	v_add_f64 v[24:25], -v[20:21], 1.0
	v_add_f64 v[22:23], v[20:21], -v[22:23]
	v_add_f64 v[26:27], -v[24:25], 1.0
	v_add_f64 v[4:5], v[22:23], -v[4:5]
	v_add_f64 v[20:21], v[26:27], -v[20:21]
	v_add_f64 v[4:5], v[4:5], v[20:21]
	v_add_f64 v[4:5], v[24:25], v[4:5]
	v_mul_f64 v[4:5], v[18:19], v[4:5]
	v_add_f64 v[4:5], v[18:19], v[4:5]
	v_and_b32_e32 v18, 0x80000000, v3
	v_mov_b32_e32 v3, 0x7ff80000
	v_xor_b32_e32 v2, 0x80000000, v5
	v_cndmask_b32_e32 v4, v4, v6, vcc
	v_cndmask_b32_e32 v5, v2, v7, vcc
	v_cndmask_b32_e64 v2, 0, v4, s[4:5]
	v_xor_b32_e32 v4, v5, v18
	v_cndmask_b32_e64 v3, v3, v4, s[4:5]
	v_div_scale_f64 v[4:5], s[4:5], v[2:3], v[2:3], s[16:17]
	v_div_scale_f64 v[19:20], vcc, s[16:17], v[2:3], s[16:17]
	v_rcp_f64_e32 v[6:7], v[4:5]
	v_fma_f64 v[17:18], -v[4:5], v[6:7], 1.0
	v_fma_f64 v[6:7], v[6:7], v[17:18], v[6:7]
	v_fma_f64 v[17:18], -v[4:5], v[6:7], 1.0
	v_fma_f64 v[6:7], v[6:7], v[17:18], v[6:7]
	v_mul_f64 v[17:18], v[19:20], v[6:7]
	v_fma_f64 v[4:5], -v[4:5], v[17:18], v[19:20]
	v_div_fmas_f64 v[4:5], v[4:5], v[6:7], v[17:18]
	v_div_fixup_f64 v[2:3], v[4:5], v[2:3], s[16:17]
	v_cvt_f32_f64_e32 v2, v[2:3]
.LBB31_176:
	s_or_b64 exec, exec, s[12:13]
	s_orn2_b64 s[12:13], s[14:15], exec
.LBB31_177:
	s_or_b64 exec, exec, s[10:11]
	v_mov_b32_e32 v3, 0x7fc0
	s_and_saveexec_b64 s[4:5], s[12:13]
	s_cbranch_execz .LBB31_189
; %bb.178:
	s_mov_b32 s14, 0x41200000
	v_cmp_gt_f32_e32 vcc, s14, v9
	s_and_saveexec_b64 s[10:11], vcc
	s_cbranch_execz .LBB31_182
; %bb.179:
	s_mov_b64 s[12:13], 0
.LBB31_180:                             ; =>This Inner Loop Header: Depth=1
	v_div_scale_f32 v3, s[16:17], v9, v9, 1.0
	v_div_scale_f32 v4, vcc, 1.0, v9, 1.0
	v_rcp_f32_e32 v5, v3
	v_fma_f32 v6, -v3, v5, 1.0
	v_fmac_f32_e32 v5, v6, v5
	v_mul_f32_e32 v6, v4, v5
	v_fma_f32 v7, -v3, v6, v4
	v_fmac_f32_e32 v6, v7, v5
	v_fma_f32 v3, -v3, v6, v4
	v_div_fmas_f32 v3, v3, v5, v6
	v_div_fixup_f32 v3, v3, v9, 1.0
	v_add_f32_e32 v9, 1.0, v9
	v_cmp_ngt_f32_e32 vcc, s14, v9
	s_or_b64 s[12:13], vcc, s[12:13]
	v_sub_f32_e32 v2, v2, v3
	s_andn2_b64 exec, exec, s[12:13]
	s_cbranch_execnz .LBB31_180
; %bb.181:
	s_or_b64 exec, exec, s[12:13]
.LBB31_182:
	s_or_b64 exec, exec, s[10:11]
	s_mov_b32 s10, 0x41200000
	v_cmp_neq_f32_e32 vcc, s10, v9
                                        ; implicit-def: $vgpr3
	s_and_saveexec_b64 s[10:11], vcc
	s_xor_b64 s[10:11], exec, s[10:11]
	s_cbranch_execz .LBB31_186
; %bb.183:
	v_cvt_f64_f32_e32 v[3:4], v9
	s_mov_b32 s12, 0x85d8a000
	s_mov_b32 s13, 0x43763457
	v_cmp_gt_f64_e32 vcc, s[12:13], v[3:4]
	v_mov_b32_e32 v3, 0
	s_and_saveexec_b64 s[12:13], vcc
	s_cbranch_execz .LBB31_185
; %bb.184:
	v_mul_f32_e32 v3, v9, v9
	v_div_scale_f32 v4, s[14:15], v3, v3, 1.0
	v_div_scale_f32 v5, vcc, 1.0, v3, 1.0
	v_mov_b32_e32 v18, 0x3b820821
	v_rcp_f32_e32 v6, v4
	v_fma_f32 v7, -v4, v6, 1.0
	v_fmac_f32_e32 v6, v7, v6
	v_mul_f32_e32 v7, v5, v6
	v_fma_f32 v17, -v4, v7, v5
	v_fmac_f32_e32 v7, v17, v6
	v_fma_f32 v4, -v4, v7, v5
	v_div_fmas_f32 v4, v4, v6, v7
	v_mov_b32_e32 v5, 0x3daaaaab
	v_mov_b32_e32 v6, 0xbcaccacd
	v_mov_b32_e32 v7, 0x3bf83e10
	v_mov_b32_e32 v17, 0xbb888889
	v_div_fixup_f32 v3, v4, v3, 1.0
	v_fma_f32 v4, 0, v3, v5
	v_fmac_f32_e32 v6, v3, v4
	v_fmac_f32_e32 v7, v3, v6
	;; [unrolled: 1-line block ×4, first 2 shown]
	v_mov_b32_e32 v4, 0xbc088889
	v_fmac_f32_e32 v4, v3, v18
	v_fmac_f32_e32 v5, v3, v4
	v_mul_f32_e32 v3, v3, v5
.LBB31_185:
	s_or_b64 exec, exec, s[12:13]
	v_div_scale_f32 v4, s[12:13], v9, v9, -0.5
	v_div_scale_f32 v5, vcc, -0.5, v9, -0.5
	s_mov_b32 s12, 0x800000
	s_mov_b32 s13, 0x3f317217
	;; [unrolled: 1-line block ×3, first 2 shown]
	v_rcp_f32_e32 v6, v4
	v_fma_f32 v7, -v4, v6, 1.0
	v_fmac_f32_e32 v6, v7, v6
	v_mul_f32_e32 v7, v5, v6
	v_fma_f32 v17, -v4, v7, v5
	v_fmac_f32_e32 v7, v17, v6
	v_fma_f32 v4, -v4, v7, v5
	v_div_fmas_f32 v4, v4, v6, v7
	v_cmp_gt_f32_e32 vcc, s12, v9
	v_cndmask_b32_e64 v6, 0, 32, vcc
	v_ldexp_f32 v6, v9, v6
	v_log_f32_e32 v6, v6
	v_mov_b32_e32 v5, 0x41b17218
	v_cndmask_b32_e32 v5, 0, v5, vcc
	s_movk_i32 s12, 0x7fff
	v_mul_f32_e32 v17, 0x3f317217, v6
	v_fma_f32 v17, v6, s13, -v17
	v_fmac_f32_e32 v17, 0x3377d1cf, v6
	v_fmac_f32_e32 v17, 0x3f317217, v6
	v_cmp_lt_f32_e64 vcc, |v6|, s14
	v_cndmask_b32_e32 v6, v6, v17, vcc
	v_sub_f32_e32 v5, v6, v5
	v_mov_b32_e32 v7, 0x7fc0
	v_div_fixup_f32 v4, v4, v9, -0.5
	v_add_f32_e32 v4, v5, v4
	v_sub_f32_e32 v3, v4, v3
	v_add_f32_e32 v2, v2, v3
	v_bfe_u32 v3, v2, 16, 1
	v_cmp_o_f32_e32 vcc, v2, v2
	v_add3_u32 v2, v2, v3, s12
	v_cndmask_b32_sdwa v3, v7, v2, vcc dst_sel:DWORD dst_unused:UNUSED_PAD src0_sel:DWORD src1_sel:WORD_1
                                        ; implicit-def: $vgpr2
.LBB31_186:
	s_andn2_saveexec_b64 s[10:11], s[10:11]
; %bb.187:
	v_add_f32_e32 v2, 0x40101cb7, v2
	v_bfe_u32 v3, v2, 16, 1
	s_movk_i32 s12, 0x7fff
	v_add3_u32 v3, v2, v3, s12
	v_cmp_o_f32_e32 vcc, v2, v2
	v_mov_b32_e32 v2, 0x7fc0
	v_cndmask_b32_sdwa v3, v2, v3, vcc dst_sel:DWORD dst_unused:UNUSED_PAD src0_sel:DWORD src1_sel:WORD_1
; %bb.188:
	s_or_b64 exec, exec, s[10:11]
.LBB31_189:
	s_or_b64 exec, exec, s[4:5]
                                        ; implicit-def: $vgpr9
.LBB31_190:
	s_andn2_saveexec_b64 s[4:5], s[8:9]
; %bb.191:
	v_xor_b32_e32 v2, 0x80000000, v9
	v_and_b32_e32 v2, 0x80000000, v2
	v_or_b32_e32 v2, 0x7f800000, v2
	v_lshrrev_b32_e32 v3, 16, v2
; %bb.192:
	s_or_b64 exec, exec, s[4:5]
	v_mov_b32_e32 v2, s7
	v_add_co_u32_e32 v0, vcc, s6, v0
	v_addc_co_u32_e32 v1, vcc, v1, v2, vcc
	v_add_co_u32_e32 v4, vcc, v0, v12
	s_mov_b32 s4, 0x5040100
	v_addc_co_u32_e32 v5, vcc, 0, v1, vcc
	v_perm_b32 v3, v3, v8, s4
	v_perm_b32 v2, v16, v15, s4
	;; [unrolled: 1-line block ×4, first 2 shown]
	flat_store_dwordx4 v[4:5], v[0:3]
	s_waitcnt vmcnt(0) lgkmcnt(0)
	s_setpc_b64 s[30:31]
.Lfunc_end31:
	.size	_ZN2at6native25elementwise_kernel_helperILb0EZZZNS0_19digamma_kernel_cudaERNS_18TensorIteratorBaseEENKUlvE_clEvENKUlvE2_clEvEUlN3c108BFloat16EE_NS0_6memory8policies10vectorizedILi8ESt5arrayIPcLm2EELi8EEEEEvT0_T1_, .Lfunc_end31-_ZN2at6native25elementwise_kernel_helperILb0EZZZNS0_19digamma_kernel_cudaERNS_18TensorIteratorBaseEENKUlvE_clEvENKUlvE2_clEvEUlN3c108BFloat16EE_NS0_6memory8policies10vectorizedILi8ESt5arrayIPcLm2EELi8EEEEEvT0_T1_
                                        ; -- End function
	.set .L_ZN2at6native25elementwise_kernel_helperILb0EZZZNS0_19digamma_kernel_cudaERNS_18TensorIteratorBaseEENKUlvE_clEvENKUlvE2_clEvEUlN3c108BFloat16EE_NS0_6memory8policies10vectorizedILi8ESt5arrayIPcLm2EELi8EEEEEvT0_T1_.num_vgpr, 37
	.set .L_ZN2at6native25elementwise_kernel_helperILb0EZZZNS0_19digamma_kernel_cudaERNS_18TensorIteratorBaseEENKUlvE_clEvENKUlvE2_clEvEUlN3c108BFloat16EE_NS0_6memory8policies10vectorizedILi8ESt5arrayIPcLm2EELi8EEEEEvT0_T1_.num_agpr, 0
	.set .L_ZN2at6native25elementwise_kernel_helperILb0EZZZNS0_19digamma_kernel_cudaERNS_18TensorIteratorBaseEENKUlvE_clEvENKUlvE2_clEvEUlN3c108BFloat16EE_NS0_6memory8policies10vectorizedILi8ESt5arrayIPcLm2EELi8EEEEEvT0_T1_.numbered_sgpr, 32
	.set .L_ZN2at6native25elementwise_kernel_helperILb0EZZZNS0_19digamma_kernel_cudaERNS_18TensorIteratorBaseEENKUlvE_clEvENKUlvE2_clEvEUlN3c108BFloat16EE_NS0_6memory8policies10vectorizedILi8ESt5arrayIPcLm2EELi8EEEEEvT0_T1_.num_named_barrier, 0
	.set .L_ZN2at6native25elementwise_kernel_helperILb0EZZZNS0_19digamma_kernel_cudaERNS_18TensorIteratorBaseEENKUlvE_clEvENKUlvE2_clEvEUlN3c108BFloat16EE_NS0_6memory8policies10vectorizedILi8ESt5arrayIPcLm2EELi8EEEEEvT0_T1_.private_seg_size, 0
	.set .L_ZN2at6native25elementwise_kernel_helperILb0EZZZNS0_19digamma_kernel_cudaERNS_18TensorIteratorBaseEENKUlvE_clEvENKUlvE2_clEvEUlN3c108BFloat16EE_NS0_6memory8policies10vectorizedILi8ESt5arrayIPcLm2EELi8EEEEEvT0_T1_.uses_vcc, 1
	.set .L_ZN2at6native25elementwise_kernel_helperILb0EZZZNS0_19digamma_kernel_cudaERNS_18TensorIteratorBaseEENKUlvE_clEvENKUlvE2_clEvEUlN3c108BFloat16EE_NS0_6memory8policies10vectorizedILi8ESt5arrayIPcLm2EELi8EEEEEvT0_T1_.uses_flat_scratch, 0
	.set .L_ZN2at6native25elementwise_kernel_helperILb0EZZZNS0_19digamma_kernel_cudaERNS_18TensorIteratorBaseEENKUlvE_clEvENKUlvE2_clEvEUlN3c108BFloat16EE_NS0_6memory8policies10vectorizedILi8ESt5arrayIPcLm2EELi8EEEEEvT0_T1_.has_dyn_sized_stack, 0
	.set .L_ZN2at6native25elementwise_kernel_helperILb0EZZZNS0_19digamma_kernel_cudaERNS_18TensorIteratorBaseEENKUlvE_clEvENKUlvE2_clEvEUlN3c108BFloat16EE_NS0_6memory8policies10vectorizedILi8ESt5arrayIPcLm2EELi8EEEEEvT0_T1_.has_recursion, 0
	.set .L_ZN2at6native25elementwise_kernel_helperILb0EZZZNS0_19digamma_kernel_cudaERNS_18TensorIteratorBaseEENKUlvE_clEvENKUlvE2_clEvEUlN3c108BFloat16EE_NS0_6memory8policies10vectorizedILi8ESt5arrayIPcLm2EELi8EEEEEvT0_T1_.has_indirect_call, 0
	.section	.AMDGPU.csdata,"",@progbits
; Function info:
; codeLenInByte = 19884
; TotalNumSgprs: 36
; NumVgprs: 37
; ScratchSize: 0
; MemoryBound: 0
	.section	.text._ZN2at6native29vectorized_elementwise_kernelILi16EZZZNS0_19digamma_kernel_cudaERNS_18TensorIteratorBaseEENKUlvE_clEvENKUlvE2_clEvEUlN3c108BFloat16EE_St5arrayIPcLm2EEEEviT0_T1_,"axG",@progbits,_ZN2at6native29vectorized_elementwise_kernelILi16EZZZNS0_19digamma_kernel_cudaERNS_18TensorIteratorBaseEENKUlvE_clEvENKUlvE2_clEvEUlN3c108BFloat16EE_St5arrayIPcLm2EEEEviT0_T1_,comdat
	.globl	_ZN2at6native29vectorized_elementwise_kernelILi16EZZZNS0_19digamma_kernel_cudaERNS_18TensorIteratorBaseEENKUlvE_clEvENKUlvE2_clEvEUlN3c108BFloat16EE_St5arrayIPcLm2EEEEviT0_T1_ ; -- Begin function _ZN2at6native29vectorized_elementwise_kernelILi16EZZZNS0_19digamma_kernel_cudaERNS_18TensorIteratorBaseEENKUlvE_clEvENKUlvE2_clEvEUlN3c108BFloat16EE_St5arrayIPcLm2EEEEviT0_T1_
	.p2align	8
	.type	_ZN2at6native29vectorized_elementwise_kernelILi16EZZZNS0_19digamma_kernel_cudaERNS_18TensorIteratorBaseEENKUlvE_clEvENKUlvE2_clEvEUlN3c108BFloat16EE_St5arrayIPcLm2EEEEviT0_T1_,@function
_ZN2at6native29vectorized_elementwise_kernelILi16EZZZNS0_19digamma_kernel_cudaERNS_18TensorIteratorBaseEENKUlvE_clEvENKUlvE2_clEvEUlN3c108BFloat16EE_St5arrayIPcLm2EEEEviT0_T1_: ; @_ZN2at6native29vectorized_elementwise_kernelILi16EZZZNS0_19digamma_kernel_cudaERNS_18TensorIteratorBaseEENKUlvE_clEvENKUlvE2_clEvEUlN3c108BFloat16EE_St5arrayIPcLm2EEEEviT0_T1_
; %bb.0:
	s_mov_b32 s20, s6
	s_load_dword s6, s[4:5], 0x0
	s_load_dwordx4 s[24:27], s[4:5], 0x8
	s_add_u32 s0, s0, s7
	s_addc_u32 s1, s1, 0
	s_lshl_b32 s4, s20, 11
	s_waitcnt lgkmcnt(0)
	s_sub_i32 s21, s6, s4
	v_mov_b32_e32 v37, v0
	s_cmpk_gt_i32 s21, 0x7ff
	s_mov_b64 s[4:5], -1
	s_mov_b32 s32, 0
	s_cbranch_scc1 .LBB32_3
; %bb.1:
	s_andn2_b64 vcc, exec, s[4:5]
	s_cbranch_vccz .LBB32_4
.LBB32_2:
	s_endpgm
.LBB32_3:
	s_getpc_b64 s[4:5]
	s_add_u32 s4, s4, _ZN2at6native25elementwise_kernel_helperILb0EZZZNS0_19digamma_kernel_cudaERNS_18TensorIteratorBaseEENKUlvE_clEvENKUlvE2_clEvEUlN3c108BFloat16EE_NS0_6memory8policies10vectorizedILi8ESt5arrayIPcLm2EELi8EEEEEvT0_T1_@rel32@lo+4
	s_addc_u32 s5, s5, _ZN2at6native25elementwise_kernel_helperILb0EZZZNS0_19digamma_kernel_cudaERNS_18TensorIteratorBaseEENKUlvE_clEvENKUlvE2_clEvEUlN3c108BFloat16EE_NS0_6memory8policies10vectorizedILi8ESt5arrayIPcLm2EELi8EEEEEvT0_T1_@rel32@hi+12
	s_mov_b32 s12, s20
	v_mov_b32_e32 v31, v37
	v_mov_b32_e32 v0, s24
	;; [unrolled: 1-line block ×5, first 2 shown]
	s_swappc_b64 s[30:31], s[4:5]
	s_cbranch_execnz .LBB32_2
.LBB32_4:
	s_getpc_b64 s[4:5]
	s_add_u32 s4, s4, _ZN2at6native25elementwise_kernel_helperILb0EZZZNS0_19digamma_kernel_cudaERNS_18TensorIteratorBaseEENKUlvE_clEvENKUlvE2_clEvEUlN3c108BFloat16EE_NS0_6memory8policies11unroll_baseILi256ESt5arrayIPcLm2EE23TrivialOffsetCalculatorILi1EjESG_NS9_15LoadWithoutCastENS9_16StoreWithoutCastELi8ELi1EEEEEvT0_T1_@rel32@lo+4
	s_addc_u32 s5, s5, _ZN2at6native25elementwise_kernel_helperILb0EZZZNS0_19digamma_kernel_cudaERNS_18TensorIteratorBaseEENKUlvE_clEvENKUlvE2_clEvEUlN3c108BFloat16EE_NS0_6memory8policies11unroll_baseILi256ESt5arrayIPcLm2EE23TrivialOffsetCalculatorILi1EjESG_NS9_15LoadWithoutCastENS9_16StoreWithoutCastELi8ELi1EEEEEvT0_T1_@rel32@hi+12
	s_mov_b32 s12, s20
	v_mov_b32_e32 v31, v37
	v_mov_b32_e32 v0, s24
	;; [unrolled: 1-line block ×6, first 2 shown]
	s_swappc_b64 s[30:31], s[4:5]
	s_endpgm
	.section	.rodata,"a",@progbits
	.p2align	6, 0x0
	.amdhsa_kernel _ZN2at6native29vectorized_elementwise_kernelILi16EZZZNS0_19digamma_kernel_cudaERNS_18TensorIteratorBaseEENKUlvE_clEvENKUlvE2_clEvEUlN3c108BFloat16EE_St5arrayIPcLm2EEEEviT0_T1_
		.amdhsa_group_segment_fixed_size 0
		.amdhsa_private_segment_fixed_size 0
		.amdhsa_kernarg_size 24
		.amdhsa_user_sgpr_count 6
		.amdhsa_user_sgpr_private_segment_buffer 1
		.amdhsa_user_sgpr_dispatch_ptr 0
		.amdhsa_user_sgpr_queue_ptr 0
		.amdhsa_user_sgpr_kernarg_segment_ptr 1
		.amdhsa_user_sgpr_dispatch_id 0
		.amdhsa_user_sgpr_flat_scratch_init 0
		.amdhsa_user_sgpr_private_segment_size 0
		.amdhsa_uses_dynamic_stack 0
		.amdhsa_system_sgpr_private_segment_wavefront_offset 0
		.amdhsa_system_sgpr_workgroup_id_x 1
		.amdhsa_system_sgpr_workgroup_id_y 0
		.amdhsa_system_sgpr_workgroup_id_z 0
		.amdhsa_system_sgpr_workgroup_info 0
		.amdhsa_system_vgpr_workitem_id 0
		.amdhsa_next_free_vgpr 66
		.amdhsa_next_free_sgpr 33
		.amdhsa_reserve_vcc 1
		.amdhsa_reserve_flat_scratch 0
		.amdhsa_float_round_mode_32 0
		.amdhsa_float_round_mode_16_64 0
		.amdhsa_float_denorm_mode_32 3
		.amdhsa_float_denorm_mode_16_64 3
		.amdhsa_dx10_clamp 1
		.amdhsa_ieee_mode 1
		.amdhsa_fp16_overflow 0
		.amdhsa_exception_fp_ieee_invalid_op 0
		.amdhsa_exception_fp_denorm_src 0
		.amdhsa_exception_fp_ieee_div_zero 0
		.amdhsa_exception_fp_ieee_overflow 0
		.amdhsa_exception_fp_ieee_underflow 0
		.amdhsa_exception_fp_ieee_inexact 0
		.amdhsa_exception_int_div_zero 0
	.end_amdhsa_kernel
	.section	.text._ZN2at6native29vectorized_elementwise_kernelILi16EZZZNS0_19digamma_kernel_cudaERNS_18TensorIteratorBaseEENKUlvE_clEvENKUlvE2_clEvEUlN3c108BFloat16EE_St5arrayIPcLm2EEEEviT0_T1_,"axG",@progbits,_ZN2at6native29vectorized_elementwise_kernelILi16EZZZNS0_19digamma_kernel_cudaERNS_18TensorIteratorBaseEENKUlvE_clEvENKUlvE2_clEvEUlN3c108BFloat16EE_St5arrayIPcLm2EEEEviT0_T1_,comdat
.Lfunc_end32:
	.size	_ZN2at6native29vectorized_elementwise_kernelILi16EZZZNS0_19digamma_kernel_cudaERNS_18TensorIteratorBaseEENKUlvE_clEvENKUlvE2_clEvEUlN3c108BFloat16EE_St5arrayIPcLm2EEEEviT0_T1_, .Lfunc_end32-_ZN2at6native29vectorized_elementwise_kernelILi16EZZZNS0_19digamma_kernel_cudaERNS_18TensorIteratorBaseEENKUlvE_clEvENKUlvE2_clEvEUlN3c108BFloat16EE_St5arrayIPcLm2EEEEviT0_T1_
                                        ; -- End function
	.set _ZN2at6native29vectorized_elementwise_kernelILi16EZZZNS0_19digamma_kernel_cudaERNS_18TensorIteratorBaseEENKUlvE_clEvENKUlvE2_clEvEUlN3c108BFloat16EE_St5arrayIPcLm2EEEEviT0_T1_.num_vgpr, max(38, .L_ZN2at6native25elementwise_kernel_helperILb0EZZZNS0_19digamma_kernel_cudaERNS_18TensorIteratorBaseEENKUlvE_clEvENKUlvE2_clEvEUlN3c108BFloat16EE_NS0_6memory8policies10vectorizedILi8ESt5arrayIPcLm2EELi8EEEEEvT0_T1_.num_vgpr, .L_ZN2at6native25elementwise_kernel_helperILb0EZZZNS0_19digamma_kernel_cudaERNS_18TensorIteratorBaseEENKUlvE_clEvENKUlvE2_clEvEUlN3c108BFloat16EE_NS0_6memory8policies11unroll_baseILi256ESt5arrayIPcLm2EE23TrivialOffsetCalculatorILi1EjESG_NS9_15LoadWithoutCastENS9_16StoreWithoutCastELi8ELi1EEEEEvT0_T1_.num_vgpr)
	.set _ZN2at6native29vectorized_elementwise_kernelILi16EZZZNS0_19digamma_kernel_cudaERNS_18TensorIteratorBaseEENKUlvE_clEvENKUlvE2_clEvEUlN3c108BFloat16EE_St5arrayIPcLm2EEEEviT0_T1_.num_agpr, max(0, .L_ZN2at6native25elementwise_kernel_helperILb0EZZZNS0_19digamma_kernel_cudaERNS_18TensorIteratorBaseEENKUlvE_clEvENKUlvE2_clEvEUlN3c108BFloat16EE_NS0_6memory8policies10vectorizedILi8ESt5arrayIPcLm2EELi8EEEEEvT0_T1_.num_agpr, .L_ZN2at6native25elementwise_kernel_helperILb0EZZZNS0_19digamma_kernel_cudaERNS_18TensorIteratorBaseEENKUlvE_clEvENKUlvE2_clEvEUlN3c108BFloat16EE_NS0_6memory8policies11unroll_baseILi256ESt5arrayIPcLm2EE23TrivialOffsetCalculatorILi1EjESG_NS9_15LoadWithoutCastENS9_16StoreWithoutCastELi8ELi1EEEEEvT0_T1_.num_agpr)
	.set _ZN2at6native29vectorized_elementwise_kernelILi16EZZZNS0_19digamma_kernel_cudaERNS_18TensorIteratorBaseEENKUlvE_clEvENKUlvE2_clEvEUlN3c108BFloat16EE_St5arrayIPcLm2EEEEviT0_T1_.numbered_sgpr, max(33, .L_ZN2at6native25elementwise_kernel_helperILb0EZZZNS0_19digamma_kernel_cudaERNS_18TensorIteratorBaseEENKUlvE_clEvENKUlvE2_clEvEUlN3c108BFloat16EE_NS0_6memory8policies10vectorizedILi8ESt5arrayIPcLm2EELi8EEEEEvT0_T1_.numbered_sgpr, .L_ZN2at6native25elementwise_kernel_helperILb0EZZZNS0_19digamma_kernel_cudaERNS_18TensorIteratorBaseEENKUlvE_clEvENKUlvE2_clEvEUlN3c108BFloat16EE_NS0_6memory8policies11unroll_baseILi256ESt5arrayIPcLm2EE23TrivialOffsetCalculatorILi1EjESG_NS9_15LoadWithoutCastENS9_16StoreWithoutCastELi8ELi1EEEEEvT0_T1_.numbered_sgpr)
	.set _ZN2at6native29vectorized_elementwise_kernelILi16EZZZNS0_19digamma_kernel_cudaERNS_18TensorIteratorBaseEENKUlvE_clEvENKUlvE2_clEvEUlN3c108BFloat16EE_St5arrayIPcLm2EEEEviT0_T1_.num_named_barrier, max(0, .L_ZN2at6native25elementwise_kernel_helperILb0EZZZNS0_19digamma_kernel_cudaERNS_18TensorIteratorBaseEENKUlvE_clEvENKUlvE2_clEvEUlN3c108BFloat16EE_NS0_6memory8policies10vectorizedILi8ESt5arrayIPcLm2EELi8EEEEEvT0_T1_.num_named_barrier, .L_ZN2at6native25elementwise_kernel_helperILb0EZZZNS0_19digamma_kernel_cudaERNS_18TensorIteratorBaseEENKUlvE_clEvENKUlvE2_clEvEUlN3c108BFloat16EE_NS0_6memory8policies11unroll_baseILi256ESt5arrayIPcLm2EE23TrivialOffsetCalculatorILi1EjESG_NS9_15LoadWithoutCastENS9_16StoreWithoutCastELi8ELi1EEEEEvT0_T1_.num_named_barrier)
	.set _ZN2at6native29vectorized_elementwise_kernelILi16EZZZNS0_19digamma_kernel_cudaERNS_18TensorIteratorBaseEENKUlvE_clEvENKUlvE2_clEvEUlN3c108BFloat16EE_St5arrayIPcLm2EEEEviT0_T1_.private_seg_size, 0+max(.L_ZN2at6native25elementwise_kernel_helperILb0EZZZNS0_19digamma_kernel_cudaERNS_18TensorIteratorBaseEENKUlvE_clEvENKUlvE2_clEvEUlN3c108BFloat16EE_NS0_6memory8policies10vectorizedILi8ESt5arrayIPcLm2EELi8EEEEEvT0_T1_.private_seg_size, .L_ZN2at6native25elementwise_kernel_helperILb0EZZZNS0_19digamma_kernel_cudaERNS_18TensorIteratorBaseEENKUlvE_clEvENKUlvE2_clEvEUlN3c108BFloat16EE_NS0_6memory8policies11unroll_baseILi256ESt5arrayIPcLm2EE23TrivialOffsetCalculatorILi1EjESG_NS9_15LoadWithoutCastENS9_16StoreWithoutCastELi8ELi1EEEEEvT0_T1_.private_seg_size)
	.set _ZN2at6native29vectorized_elementwise_kernelILi16EZZZNS0_19digamma_kernel_cudaERNS_18TensorIteratorBaseEENKUlvE_clEvENKUlvE2_clEvEUlN3c108BFloat16EE_St5arrayIPcLm2EEEEviT0_T1_.uses_vcc, or(1, .L_ZN2at6native25elementwise_kernel_helperILb0EZZZNS0_19digamma_kernel_cudaERNS_18TensorIteratorBaseEENKUlvE_clEvENKUlvE2_clEvEUlN3c108BFloat16EE_NS0_6memory8policies10vectorizedILi8ESt5arrayIPcLm2EELi8EEEEEvT0_T1_.uses_vcc, .L_ZN2at6native25elementwise_kernel_helperILb0EZZZNS0_19digamma_kernel_cudaERNS_18TensorIteratorBaseEENKUlvE_clEvENKUlvE2_clEvEUlN3c108BFloat16EE_NS0_6memory8policies11unroll_baseILi256ESt5arrayIPcLm2EE23TrivialOffsetCalculatorILi1EjESG_NS9_15LoadWithoutCastENS9_16StoreWithoutCastELi8ELi1EEEEEvT0_T1_.uses_vcc)
	.set _ZN2at6native29vectorized_elementwise_kernelILi16EZZZNS0_19digamma_kernel_cudaERNS_18TensorIteratorBaseEENKUlvE_clEvENKUlvE2_clEvEUlN3c108BFloat16EE_St5arrayIPcLm2EEEEviT0_T1_.uses_flat_scratch, or(0, .L_ZN2at6native25elementwise_kernel_helperILb0EZZZNS0_19digamma_kernel_cudaERNS_18TensorIteratorBaseEENKUlvE_clEvENKUlvE2_clEvEUlN3c108BFloat16EE_NS0_6memory8policies10vectorizedILi8ESt5arrayIPcLm2EELi8EEEEEvT0_T1_.uses_flat_scratch, .L_ZN2at6native25elementwise_kernel_helperILb0EZZZNS0_19digamma_kernel_cudaERNS_18TensorIteratorBaseEENKUlvE_clEvENKUlvE2_clEvEUlN3c108BFloat16EE_NS0_6memory8policies11unroll_baseILi256ESt5arrayIPcLm2EE23TrivialOffsetCalculatorILi1EjESG_NS9_15LoadWithoutCastENS9_16StoreWithoutCastELi8ELi1EEEEEvT0_T1_.uses_flat_scratch)
	.set _ZN2at6native29vectorized_elementwise_kernelILi16EZZZNS0_19digamma_kernel_cudaERNS_18TensorIteratorBaseEENKUlvE_clEvENKUlvE2_clEvEUlN3c108BFloat16EE_St5arrayIPcLm2EEEEviT0_T1_.has_dyn_sized_stack, or(0, .L_ZN2at6native25elementwise_kernel_helperILb0EZZZNS0_19digamma_kernel_cudaERNS_18TensorIteratorBaseEENKUlvE_clEvENKUlvE2_clEvEUlN3c108BFloat16EE_NS0_6memory8policies10vectorizedILi8ESt5arrayIPcLm2EELi8EEEEEvT0_T1_.has_dyn_sized_stack, .L_ZN2at6native25elementwise_kernel_helperILb0EZZZNS0_19digamma_kernel_cudaERNS_18TensorIteratorBaseEENKUlvE_clEvENKUlvE2_clEvEUlN3c108BFloat16EE_NS0_6memory8policies11unroll_baseILi256ESt5arrayIPcLm2EE23TrivialOffsetCalculatorILi1EjESG_NS9_15LoadWithoutCastENS9_16StoreWithoutCastELi8ELi1EEEEEvT0_T1_.has_dyn_sized_stack)
	.set _ZN2at6native29vectorized_elementwise_kernelILi16EZZZNS0_19digamma_kernel_cudaERNS_18TensorIteratorBaseEENKUlvE_clEvENKUlvE2_clEvEUlN3c108BFloat16EE_St5arrayIPcLm2EEEEviT0_T1_.has_recursion, or(0, .L_ZN2at6native25elementwise_kernel_helperILb0EZZZNS0_19digamma_kernel_cudaERNS_18TensorIteratorBaseEENKUlvE_clEvENKUlvE2_clEvEUlN3c108BFloat16EE_NS0_6memory8policies10vectorizedILi8ESt5arrayIPcLm2EELi8EEEEEvT0_T1_.has_recursion, .L_ZN2at6native25elementwise_kernel_helperILb0EZZZNS0_19digamma_kernel_cudaERNS_18TensorIteratorBaseEENKUlvE_clEvENKUlvE2_clEvEUlN3c108BFloat16EE_NS0_6memory8policies11unroll_baseILi256ESt5arrayIPcLm2EE23TrivialOffsetCalculatorILi1EjESG_NS9_15LoadWithoutCastENS9_16StoreWithoutCastELi8ELi1EEEEEvT0_T1_.has_recursion)
	.set _ZN2at6native29vectorized_elementwise_kernelILi16EZZZNS0_19digamma_kernel_cudaERNS_18TensorIteratorBaseEENKUlvE_clEvENKUlvE2_clEvEUlN3c108BFloat16EE_St5arrayIPcLm2EEEEviT0_T1_.has_indirect_call, or(0, .L_ZN2at6native25elementwise_kernel_helperILb0EZZZNS0_19digamma_kernel_cudaERNS_18TensorIteratorBaseEENKUlvE_clEvENKUlvE2_clEvEUlN3c108BFloat16EE_NS0_6memory8policies10vectorizedILi8ESt5arrayIPcLm2EELi8EEEEEvT0_T1_.has_indirect_call, .L_ZN2at6native25elementwise_kernel_helperILb0EZZZNS0_19digamma_kernel_cudaERNS_18TensorIteratorBaseEENKUlvE_clEvENKUlvE2_clEvEUlN3c108BFloat16EE_NS0_6memory8policies11unroll_baseILi256ESt5arrayIPcLm2EE23TrivialOffsetCalculatorILi1EjESG_NS9_15LoadWithoutCastENS9_16StoreWithoutCastELi8ELi1EEEEEvT0_T1_.has_indirect_call)
	.section	.AMDGPU.csdata,"",@progbits
; Kernel info:
; codeLenInByte = 180
; TotalNumSgprs: 37
; NumVgprs: 66
; ScratchSize: 0
; MemoryBound: 0
; FloatMode: 240
; IeeeMode: 1
; LDSByteSize: 0 bytes/workgroup (compile time only)
; SGPRBlocks: 4
; VGPRBlocks: 16
; NumSGPRsForWavesPerEU: 37
; NumVGPRsForWavesPerEU: 66
; Occupancy: 3
; WaveLimiterHint : 0
; COMPUTE_PGM_RSRC2:SCRATCH_EN: 0
; COMPUTE_PGM_RSRC2:USER_SGPR: 6
; COMPUTE_PGM_RSRC2:TRAP_HANDLER: 0
; COMPUTE_PGM_RSRC2:TGID_X_EN: 1
; COMPUTE_PGM_RSRC2:TGID_Y_EN: 0
; COMPUTE_PGM_RSRC2:TGID_Z_EN: 0
; COMPUTE_PGM_RSRC2:TIDIG_COMP_CNT: 0
	.section	.text._ZN2at6native29vectorized_elementwise_kernelILi8EZZZNS0_19digamma_kernel_cudaERNS_18TensorIteratorBaseEENKUlvE_clEvENKUlvE2_clEvEUlN3c108BFloat16EE_St5arrayIPcLm2EEEEviT0_T1_,"axG",@progbits,_ZN2at6native29vectorized_elementwise_kernelILi8EZZZNS0_19digamma_kernel_cudaERNS_18TensorIteratorBaseEENKUlvE_clEvENKUlvE2_clEvEUlN3c108BFloat16EE_St5arrayIPcLm2EEEEviT0_T1_,comdat
	.globl	_ZN2at6native29vectorized_elementwise_kernelILi8EZZZNS0_19digamma_kernel_cudaERNS_18TensorIteratorBaseEENKUlvE_clEvENKUlvE2_clEvEUlN3c108BFloat16EE_St5arrayIPcLm2EEEEviT0_T1_ ; -- Begin function _ZN2at6native29vectorized_elementwise_kernelILi8EZZZNS0_19digamma_kernel_cudaERNS_18TensorIteratorBaseEENKUlvE_clEvENKUlvE2_clEvEUlN3c108BFloat16EE_St5arrayIPcLm2EEEEviT0_T1_
	.p2align	8
	.type	_ZN2at6native29vectorized_elementwise_kernelILi8EZZZNS0_19digamma_kernel_cudaERNS_18TensorIteratorBaseEENKUlvE_clEvENKUlvE2_clEvEUlN3c108BFloat16EE_St5arrayIPcLm2EEEEviT0_T1_,@function
_ZN2at6native29vectorized_elementwise_kernelILi8EZZZNS0_19digamma_kernel_cudaERNS_18TensorIteratorBaseEENKUlvE_clEvENKUlvE2_clEvEUlN3c108BFloat16EE_St5arrayIPcLm2EEEEviT0_T1_: ; @_ZN2at6native29vectorized_elementwise_kernelILi8EZZZNS0_19digamma_kernel_cudaERNS_18TensorIteratorBaseEENKUlvE_clEvENKUlvE2_clEvEUlN3c108BFloat16EE_St5arrayIPcLm2EEEEviT0_T1_
; %bb.0:
	s_mov_b32 s20, s6
	s_load_dword s6, s[4:5], 0x0
	s_load_dwordx4 s[24:27], s[4:5], 0x8
	s_add_u32 s0, s0, s7
	s_addc_u32 s1, s1, 0
	s_lshl_b32 s4, s20, 11
	s_waitcnt lgkmcnt(0)
	s_sub_i32 s21, s6, s4
	v_mov_b32_e32 v37, v0
	s_cmpk_gt_i32 s21, 0x7ff
	s_mov_b64 s[4:5], -1
	s_mov_b32 s32, 0
	s_cbranch_scc1 .LBB33_3
; %bb.1:
	s_andn2_b64 vcc, exec, s[4:5]
	s_cbranch_vccz .LBB33_4
.LBB33_2:
	s_endpgm
.LBB33_3:
	s_getpc_b64 s[4:5]
	s_add_u32 s4, s4, _ZN2at6native25elementwise_kernel_helperILb0EZZZNS0_19digamma_kernel_cudaERNS_18TensorIteratorBaseEENKUlvE_clEvENKUlvE2_clEvEUlN3c108BFloat16EE_NS0_6memory8policies10vectorizedILi8ESt5arrayIPcLm2EELi8EEEEEvT0_T1_@rel32@lo+4
	s_addc_u32 s5, s5, _ZN2at6native25elementwise_kernel_helperILb0EZZZNS0_19digamma_kernel_cudaERNS_18TensorIteratorBaseEENKUlvE_clEvENKUlvE2_clEvEUlN3c108BFloat16EE_NS0_6memory8policies10vectorizedILi8ESt5arrayIPcLm2EELi8EEEEEvT0_T1_@rel32@hi+12
	s_mov_b32 s12, s20
	v_mov_b32_e32 v31, v37
	v_mov_b32_e32 v0, s24
	;; [unrolled: 1-line block ×5, first 2 shown]
	s_swappc_b64 s[30:31], s[4:5]
	s_cbranch_execnz .LBB33_2
.LBB33_4:
	s_getpc_b64 s[4:5]
	s_add_u32 s4, s4, _ZN2at6native25elementwise_kernel_helperILb0EZZZNS0_19digamma_kernel_cudaERNS_18TensorIteratorBaseEENKUlvE_clEvENKUlvE2_clEvEUlN3c108BFloat16EE_NS0_6memory8policies11unroll_baseILi256ESt5arrayIPcLm2EE23TrivialOffsetCalculatorILi1EjESG_NS9_15LoadWithoutCastENS9_16StoreWithoutCastELi8ELi1EEEEEvT0_T1_@rel32@lo+4
	s_addc_u32 s5, s5, _ZN2at6native25elementwise_kernel_helperILb0EZZZNS0_19digamma_kernel_cudaERNS_18TensorIteratorBaseEENKUlvE_clEvENKUlvE2_clEvEUlN3c108BFloat16EE_NS0_6memory8policies11unroll_baseILi256ESt5arrayIPcLm2EE23TrivialOffsetCalculatorILi1EjESG_NS9_15LoadWithoutCastENS9_16StoreWithoutCastELi8ELi1EEEEEvT0_T1_@rel32@hi+12
	s_mov_b32 s12, s20
	v_mov_b32_e32 v31, v37
	v_mov_b32_e32 v0, s24
	;; [unrolled: 1-line block ×6, first 2 shown]
	s_swappc_b64 s[30:31], s[4:5]
	s_endpgm
	.section	.rodata,"a",@progbits
	.p2align	6, 0x0
	.amdhsa_kernel _ZN2at6native29vectorized_elementwise_kernelILi8EZZZNS0_19digamma_kernel_cudaERNS_18TensorIteratorBaseEENKUlvE_clEvENKUlvE2_clEvEUlN3c108BFloat16EE_St5arrayIPcLm2EEEEviT0_T1_
		.amdhsa_group_segment_fixed_size 0
		.amdhsa_private_segment_fixed_size 0
		.amdhsa_kernarg_size 24
		.amdhsa_user_sgpr_count 6
		.amdhsa_user_sgpr_private_segment_buffer 1
		.amdhsa_user_sgpr_dispatch_ptr 0
		.amdhsa_user_sgpr_queue_ptr 0
		.amdhsa_user_sgpr_kernarg_segment_ptr 1
		.amdhsa_user_sgpr_dispatch_id 0
		.amdhsa_user_sgpr_flat_scratch_init 0
		.amdhsa_user_sgpr_private_segment_size 0
		.amdhsa_uses_dynamic_stack 0
		.amdhsa_system_sgpr_private_segment_wavefront_offset 0
		.amdhsa_system_sgpr_workgroup_id_x 1
		.amdhsa_system_sgpr_workgroup_id_y 0
		.amdhsa_system_sgpr_workgroup_id_z 0
		.amdhsa_system_sgpr_workgroup_info 0
		.amdhsa_system_vgpr_workitem_id 0
		.amdhsa_next_free_vgpr 66
		.amdhsa_next_free_sgpr 33
		.amdhsa_reserve_vcc 1
		.amdhsa_reserve_flat_scratch 0
		.amdhsa_float_round_mode_32 0
		.amdhsa_float_round_mode_16_64 0
		.amdhsa_float_denorm_mode_32 3
		.amdhsa_float_denorm_mode_16_64 3
		.amdhsa_dx10_clamp 1
		.amdhsa_ieee_mode 1
		.amdhsa_fp16_overflow 0
		.amdhsa_exception_fp_ieee_invalid_op 0
		.amdhsa_exception_fp_denorm_src 0
		.amdhsa_exception_fp_ieee_div_zero 0
		.amdhsa_exception_fp_ieee_overflow 0
		.amdhsa_exception_fp_ieee_underflow 0
		.amdhsa_exception_fp_ieee_inexact 0
		.amdhsa_exception_int_div_zero 0
	.end_amdhsa_kernel
	.section	.text._ZN2at6native29vectorized_elementwise_kernelILi8EZZZNS0_19digamma_kernel_cudaERNS_18TensorIteratorBaseEENKUlvE_clEvENKUlvE2_clEvEUlN3c108BFloat16EE_St5arrayIPcLm2EEEEviT0_T1_,"axG",@progbits,_ZN2at6native29vectorized_elementwise_kernelILi8EZZZNS0_19digamma_kernel_cudaERNS_18TensorIteratorBaseEENKUlvE_clEvENKUlvE2_clEvEUlN3c108BFloat16EE_St5arrayIPcLm2EEEEviT0_T1_,comdat
.Lfunc_end33:
	.size	_ZN2at6native29vectorized_elementwise_kernelILi8EZZZNS0_19digamma_kernel_cudaERNS_18TensorIteratorBaseEENKUlvE_clEvENKUlvE2_clEvEUlN3c108BFloat16EE_St5arrayIPcLm2EEEEviT0_T1_, .Lfunc_end33-_ZN2at6native29vectorized_elementwise_kernelILi8EZZZNS0_19digamma_kernel_cudaERNS_18TensorIteratorBaseEENKUlvE_clEvENKUlvE2_clEvEUlN3c108BFloat16EE_St5arrayIPcLm2EEEEviT0_T1_
                                        ; -- End function
	.set _ZN2at6native29vectorized_elementwise_kernelILi8EZZZNS0_19digamma_kernel_cudaERNS_18TensorIteratorBaseEENKUlvE_clEvENKUlvE2_clEvEUlN3c108BFloat16EE_St5arrayIPcLm2EEEEviT0_T1_.num_vgpr, max(38, .L_ZN2at6native25elementwise_kernel_helperILb0EZZZNS0_19digamma_kernel_cudaERNS_18TensorIteratorBaseEENKUlvE_clEvENKUlvE2_clEvEUlN3c108BFloat16EE_NS0_6memory8policies10vectorizedILi8ESt5arrayIPcLm2EELi8EEEEEvT0_T1_.num_vgpr, .L_ZN2at6native25elementwise_kernel_helperILb0EZZZNS0_19digamma_kernel_cudaERNS_18TensorIteratorBaseEENKUlvE_clEvENKUlvE2_clEvEUlN3c108BFloat16EE_NS0_6memory8policies11unroll_baseILi256ESt5arrayIPcLm2EE23TrivialOffsetCalculatorILi1EjESG_NS9_15LoadWithoutCastENS9_16StoreWithoutCastELi8ELi1EEEEEvT0_T1_.num_vgpr)
	.set _ZN2at6native29vectorized_elementwise_kernelILi8EZZZNS0_19digamma_kernel_cudaERNS_18TensorIteratorBaseEENKUlvE_clEvENKUlvE2_clEvEUlN3c108BFloat16EE_St5arrayIPcLm2EEEEviT0_T1_.num_agpr, max(0, .L_ZN2at6native25elementwise_kernel_helperILb0EZZZNS0_19digamma_kernel_cudaERNS_18TensorIteratorBaseEENKUlvE_clEvENKUlvE2_clEvEUlN3c108BFloat16EE_NS0_6memory8policies10vectorizedILi8ESt5arrayIPcLm2EELi8EEEEEvT0_T1_.num_agpr, .L_ZN2at6native25elementwise_kernel_helperILb0EZZZNS0_19digamma_kernel_cudaERNS_18TensorIteratorBaseEENKUlvE_clEvENKUlvE2_clEvEUlN3c108BFloat16EE_NS0_6memory8policies11unroll_baseILi256ESt5arrayIPcLm2EE23TrivialOffsetCalculatorILi1EjESG_NS9_15LoadWithoutCastENS9_16StoreWithoutCastELi8ELi1EEEEEvT0_T1_.num_agpr)
	.set _ZN2at6native29vectorized_elementwise_kernelILi8EZZZNS0_19digamma_kernel_cudaERNS_18TensorIteratorBaseEENKUlvE_clEvENKUlvE2_clEvEUlN3c108BFloat16EE_St5arrayIPcLm2EEEEviT0_T1_.numbered_sgpr, max(33, .L_ZN2at6native25elementwise_kernel_helperILb0EZZZNS0_19digamma_kernel_cudaERNS_18TensorIteratorBaseEENKUlvE_clEvENKUlvE2_clEvEUlN3c108BFloat16EE_NS0_6memory8policies10vectorizedILi8ESt5arrayIPcLm2EELi8EEEEEvT0_T1_.numbered_sgpr, .L_ZN2at6native25elementwise_kernel_helperILb0EZZZNS0_19digamma_kernel_cudaERNS_18TensorIteratorBaseEENKUlvE_clEvENKUlvE2_clEvEUlN3c108BFloat16EE_NS0_6memory8policies11unroll_baseILi256ESt5arrayIPcLm2EE23TrivialOffsetCalculatorILi1EjESG_NS9_15LoadWithoutCastENS9_16StoreWithoutCastELi8ELi1EEEEEvT0_T1_.numbered_sgpr)
	.set _ZN2at6native29vectorized_elementwise_kernelILi8EZZZNS0_19digamma_kernel_cudaERNS_18TensorIteratorBaseEENKUlvE_clEvENKUlvE2_clEvEUlN3c108BFloat16EE_St5arrayIPcLm2EEEEviT0_T1_.num_named_barrier, max(0, .L_ZN2at6native25elementwise_kernel_helperILb0EZZZNS0_19digamma_kernel_cudaERNS_18TensorIteratorBaseEENKUlvE_clEvENKUlvE2_clEvEUlN3c108BFloat16EE_NS0_6memory8policies10vectorizedILi8ESt5arrayIPcLm2EELi8EEEEEvT0_T1_.num_named_barrier, .L_ZN2at6native25elementwise_kernel_helperILb0EZZZNS0_19digamma_kernel_cudaERNS_18TensorIteratorBaseEENKUlvE_clEvENKUlvE2_clEvEUlN3c108BFloat16EE_NS0_6memory8policies11unroll_baseILi256ESt5arrayIPcLm2EE23TrivialOffsetCalculatorILi1EjESG_NS9_15LoadWithoutCastENS9_16StoreWithoutCastELi8ELi1EEEEEvT0_T1_.num_named_barrier)
	.set _ZN2at6native29vectorized_elementwise_kernelILi8EZZZNS0_19digamma_kernel_cudaERNS_18TensorIteratorBaseEENKUlvE_clEvENKUlvE2_clEvEUlN3c108BFloat16EE_St5arrayIPcLm2EEEEviT0_T1_.private_seg_size, 0+max(.L_ZN2at6native25elementwise_kernel_helperILb0EZZZNS0_19digamma_kernel_cudaERNS_18TensorIteratorBaseEENKUlvE_clEvENKUlvE2_clEvEUlN3c108BFloat16EE_NS0_6memory8policies10vectorizedILi8ESt5arrayIPcLm2EELi8EEEEEvT0_T1_.private_seg_size, .L_ZN2at6native25elementwise_kernel_helperILb0EZZZNS0_19digamma_kernel_cudaERNS_18TensorIteratorBaseEENKUlvE_clEvENKUlvE2_clEvEUlN3c108BFloat16EE_NS0_6memory8policies11unroll_baseILi256ESt5arrayIPcLm2EE23TrivialOffsetCalculatorILi1EjESG_NS9_15LoadWithoutCastENS9_16StoreWithoutCastELi8ELi1EEEEEvT0_T1_.private_seg_size)
	.set _ZN2at6native29vectorized_elementwise_kernelILi8EZZZNS0_19digamma_kernel_cudaERNS_18TensorIteratorBaseEENKUlvE_clEvENKUlvE2_clEvEUlN3c108BFloat16EE_St5arrayIPcLm2EEEEviT0_T1_.uses_vcc, or(1, .L_ZN2at6native25elementwise_kernel_helperILb0EZZZNS0_19digamma_kernel_cudaERNS_18TensorIteratorBaseEENKUlvE_clEvENKUlvE2_clEvEUlN3c108BFloat16EE_NS0_6memory8policies10vectorizedILi8ESt5arrayIPcLm2EELi8EEEEEvT0_T1_.uses_vcc, .L_ZN2at6native25elementwise_kernel_helperILb0EZZZNS0_19digamma_kernel_cudaERNS_18TensorIteratorBaseEENKUlvE_clEvENKUlvE2_clEvEUlN3c108BFloat16EE_NS0_6memory8policies11unroll_baseILi256ESt5arrayIPcLm2EE23TrivialOffsetCalculatorILi1EjESG_NS9_15LoadWithoutCastENS9_16StoreWithoutCastELi8ELi1EEEEEvT0_T1_.uses_vcc)
	.set _ZN2at6native29vectorized_elementwise_kernelILi8EZZZNS0_19digamma_kernel_cudaERNS_18TensorIteratorBaseEENKUlvE_clEvENKUlvE2_clEvEUlN3c108BFloat16EE_St5arrayIPcLm2EEEEviT0_T1_.uses_flat_scratch, or(0, .L_ZN2at6native25elementwise_kernel_helperILb0EZZZNS0_19digamma_kernel_cudaERNS_18TensorIteratorBaseEENKUlvE_clEvENKUlvE2_clEvEUlN3c108BFloat16EE_NS0_6memory8policies10vectorizedILi8ESt5arrayIPcLm2EELi8EEEEEvT0_T1_.uses_flat_scratch, .L_ZN2at6native25elementwise_kernel_helperILb0EZZZNS0_19digamma_kernel_cudaERNS_18TensorIteratorBaseEENKUlvE_clEvENKUlvE2_clEvEUlN3c108BFloat16EE_NS0_6memory8policies11unroll_baseILi256ESt5arrayIPcLm2EE23TrivialOffsetCalculatorILi1EjESG_NS9_15LoadWithoutCastENS9_16StoreWithoutCastELi8ELi1EEEEEvT0_T1_.uses_flat_scratch)
	.set _ZN2at6native29vectorized_elementwise_kernelILi8EZZZNS0_19digamma_kernel_cudaERNS_18TensorIteratorBaseEENKUlvE_clEvENKUlvE2_clEvEUlN3c108BFloat16EE_St5arrayIPcLm2EEEEviT0_T1_.has_dyn_sized_stack, or(0, .L_ZN2at6native25elementwise_kernel_helperILb0EZZZNS0_19digamma_kernel_cudaERNS_18TensorIteratorBaseEENKUlvE_clEvENKUlvE2_clEvEUlN3c108BFloat16EE_NS0_6memory8policies10vectorizedILi8ESt5arrayIPcLm2EELi8EEEEEvT0_T1_.has_dyn_sized_stack, .L_ZN2at6native25elementwise_kernel_helperILb0EZZZNS0_19digamma_kernel_cudaERNS_18TensorIteratorBaseEENKUlvE_clEvENKUlvE2_clEvEUlN3c108BFloat16EE_NS0_6memory8policies11unroll_baseILi256ESt5arrayIPcLm2EE23TrivialOffsetCalculatorILi1EjESG_NS9_15LoadWithoutCastENS9_16StoreWithoutCastELi8ELi1EEEEEvT0_T1_.has_dyn_sized_stack)
	.set _ZN2at6native29vectorized_elementwise_kernelILi8EZZZNS0_19digamma_kernel_cudaERNS_18TensorIteratorBaseEENKUlvE_clEvENKUlvE2_clEvEUlN3c108BFloat16EE_St5arrayIPcLm2EEEEviT0_T1_.has_recursion, or(0, .L_ZN2at6native25elementwise_kernel_helperILb0EZZZNS0_19digamma_kernel_cudaERNS_18TensorIteratorBaseEENKUlvE_clEvENKUlvE2_clEvEUlN3c108BFloat16EE_NS0_6memory8policies10vectorizedILi8ESt5arrayIPcLm2EELi8EEEEEvT0_T1_.has_recursion, .L_ZN2at6native25elementwise_kernel_helperILb0EZZZNS0_19digamma_kernel_cudaERNS_18TensorIteratorBaseEENKUlvE_clEvENKUlvE2_clEvEUlN3c108BFloat16EE_NS0_6memory8policies11unroll_baseILi256ESt5arrayIPcLm2EE23TrivialOffsetCalculatorILi1EjESG_NS9_15LoadWithoutCastENS9_16StoreWithoutCastELi8ELi1EEEEEvT0_T1_.has_recursion)
	.set _ZN2at6native29vectorized_elementwise_kernelILi8EZZZNS0_19digamma_kernel_cudaERNS_18TensorIteratorBaseEENKUlvE_clEvENKUlvE2_clEvEUlN3c108BFloat16EE_St5arrayIPcLm2EEEEviT0_T1_.has_indirect_call, or(0, .L_ZN2at6native25elementwise_kernel_helperILb0EZZZNS0_19digamma_kernel_cudaERNS_18TensorIteratorBaseEENKUlvE_clEvENKUlvE2_clEvEUlN3c108BFloat16EE_NS0_6memory8policies10vectorizedILi8ESt5arrayIPcLm2EELi8EEEEEvT0_T1_.has_indirect_call, .L_ZN2at6native25elementwise_kernel_helperILb0EZZZNS0_19digamma_kernel_cudaERNS_18TensorIteratorBaseEENKUlvE_clEvENKUlvE2_clEvEUlN3c108BFloat16EE_NS0_6memory8policies11unroll_baseILi256ESt5arrayIPcLm2EE23TrivialOffsetCalculatorILi1EjESG_NS9_15LoadWithoutCastENS9_16StoreWithoutCastELi8ELi1EEEEEvT0_T1_.has_indirect_call)
	.section	.AMDGPU.csdata,"",@progbits
; Kernel info:
; codeLenInByte = 180
; TotalNumSgprs: 37
; NumVgprs: 66
; ScratchSize: 0
; MemoryBound: 0
; FloatMode: 240
; IeeeMode: 1
; LDSByteSize: 0 bytes/workgroup (compile time only)
; SGPRBlocks: 4
; VGPRBlocks: 16
; NumSGPRsForWavesPerEU: 37
; NumVGPRsForWavesPerEU: 66
; Occupancy: 3
; WaveLimiterHint : 0
; COMPUTE_PGM_RSRC2:SCRATCH_EN: 0
; COMPUTE_PGM_RSRC2:USER_SGPR: 6
; COMPUTE_PGM_RSRC2:TRAP_HANDLER: 0
; COMPUTE_PGM_RSRC2:TGID_X_EN: 1
; COMPUTE_PGM_RSRC2:TGID_Y_EN: 0
; COMPUTE_PGM_RSRC2:TGID_Z_EN: 0
; COMPUTE_PGM_RSRC2:TIDIG_COMP_CNT: 0
	.section	.text._ZN2at6native29vectorized_elementwise_kernelILi4EZZZNS0_19digamma_kernel_cudaERNS_18TensorIteratorBaseEENKUlvE_clEvENKUlvE2_clEvEUlN3c108BFloat16EE_St5arrayIPcLm2EEEEviT0_T1_,"axG",@progbits,_ZN2at6native29vectorized_elementwise_kernelILi4EZZZNS0_19digamma_kernel_cudaERNS_18TensorIteratorBaseEENKUlvE_clEvENKUlvE2_clEvEUlN3c108BFloat16EE_St5arrayIPcLm2EEEEviT0_T1_,comdat
	.globl	_ZN2at6native29vectorized_elementwise_kernelILi4EZZZNS0_19digamma_kernel_cudaERNS_18TensorIteratorBaseEENKUlvE_clEvENKUlvE2_clEvEUlN3c108BFloat16EE_St5arrayIPcLm2EEEEviT0_T1_ ; -- Begin function _ZN2at6native29vectorized_elementwise_kernelILi4EZZZNS0_19digamma_kernel_cudaERNS_18TensorIteratorBaseEENKUlvE_clEvENKUlvE2_clEvEUlN3c108BFloat16EE_St5arrayIPcLm2EEEEviT0_T1_
	.p2align	8
	.type	_ZN2at6native29vectorized_elementwise_kernelILi4EZZZNS0_19digamma_kernel_cudaERNS_18TensorIteratorBaseEENKUlvE_clEvENKUlvE2_clEvEUlN3c108BFloat16EE_St5arrayIPcLm2EEEEviT0_T1_,@function
_ZN2at6native29vectorized_elementwise_kernelILi4EZZZNS0_19digamma_kernel_cudaERNS_18TensorIteratorBaseEENKUlvE_clEvENKUlvE2_clEvEUlN3c108BFloat16EE_St5arrayIPcLm2EEEEviT0_T1_: ; @_ZN2at6native29vectorized_elementwise_kernelILi4EZZZNS0_19digamma_kernel_cudaERNS_18TensorIteratorBaseEENKUlvE_clEvENKUlvE2_clEvEUlN3c108BFloat16EE_St5arrayIPcLm2EEEEviT0_T1_
; %bb.0:
	s_add_u32 s0, s0, s7
	s_load_dword s7, s[4:5], 0x0
	s_load_dwordx4 s[8:11], s[4:5], 0x8
	s_addc_u32 s1, s1, 0
	s_lshl_b32 s4, s6, 11
	s_mov_b64 s[12:13], -1
	s_waitcnt lgkmcnt(0)
	s_sub_i32 s7, s7, s4
	s_cmpk_gt_i32 s7, 0x7ff
	s_mov_b32 s32, 0
	s_cbranch_scc1 .LBB34_3
; %bb.1:
	s_and_b64 vcc, exec, s[12:13]
	s_cbranch_vccnz .LBB34_196
.LBB34_2:
	s_endpgm
.LBB34_3:
	s_ashr_i32 s5, s4, 31
	s_lshl_b64 s[12:13], s[4:5], 1
	s_add_u32 s4, s10, s12
	s_addc_u32 s5, s11, s13
	v_lshlrev_b32_e32 v17, 3, v0
	global_load_dwordx2 v[7:8], v17, s[4:5]
	global_load_dwordx2 v[3:4], v17, s[4:5] offset:2048
	v_mov_b32_e32 v5, 0
                                        ; implicit-def: $vgpr1_vgpr2
	s_waitcnt vmcnt(1)
	v_lshlrev_b32_e32 v11, 16, v7
	v_cmp_neq_f32_e32 vcc, 0, v11
	s_and_saveexec_b64 s[4:5], vcc
	s_xor_b64 s[14:15], exec, s[4:5]
	s_cbranch_execz .LBB34_25
; %bb.4:
	v_cmp_gt_f32_e32 vcc, 0, v11
	s_mov_b64 s[18:19], -1
	s_and_saveexec_b64 s[16:17], vcc
	s_cbranch_execz .LBB34_12
; %bb.5:
	v_trunc_f32_e32 v1, v11
	v_cmp_neq_f32_e32 vcc, v1, v11
	s_mov_b64 s[20:21], 0
	v_mov_b32_e32 v5, 0
	s_and_saveexec_b64 s[18:19], vcc
	s_cbranch_execz .LBB34_11
; %bb.6:
	v_cvt_f64_f32_e32 v[1:2], v11
	s_mov_b32 s4, 0
	s_mov_b32 s21, 0xc00921fb
	;; [unrolled: 1-line block ×3, first 2 shown]
	v_trunc_f64_e32 v[5:6], v[1:2]
	s_mov_b32 s5, 0x7ff00000
	v_cmp_neq_f64_e64 vcc, |v[1:2]|, s[4:5]
	v_bfrev_b32_e32 v9, 1
	s_mov_b32 s22, 0
	s_mov_b32 s23, 0x41d00000
                                        ; implicit-def: $vgpr12
	v_add_f64 v[5:6], v[1:2], -v[5:6]
	v_mul_f64 v[5:6], |v[5:6]|, s[20:21]
	v_cndmask_b32_e32 v2, v9, v6, vcc
	v_cndmask_b32_e32 v1, 0, v5, vcc
	v_cmp_nlt_f64_e64 s[22:23], |v[1:2]|, s[22:23]
                                        ; implicit-def: $vgpr5_vgpr6
                                        ; implicit-def: $vgpr9_vgpr10
	s_and_saveexec_b64 s[24:25], s[22:23]
	s_xor_b64 s[22:23], exec, s[24:25]
	s_cbranch_execz .LBB34_8
; %bb.7:
	v_trig_preop_f64 v[5:6], |v[1:2]|, 0
	s_mov_b32 s24, 0
	s_mov_b32 s25, 0x7b000000
	s_movk_i32 s21, 0xff80
	v_ldexp_f64 v[12:13], |v[1:2]|, s21
	v_cmp_ge_f64_e64 vcc, |v[1:2]|, s[24:25]
	v_trig_preop_f64 v[9:10], |v[1:2]|, 1
	v_and_b32_e32 v14, 0x7fffffff, v2
	v_trig_preop_f64 v[22:23], |v[1:2]|, 2
	v_mov_b32_e32 v16, 0x40100000
	v_mov_b32_e32 v32, 0
	s_mov_b32 s21, 0x3ff921fb
	v_cndmask_b32_e32 v13, v14, v13, vcc
	v_cndmask_b32_e32 v12, v1, v12, vcc
	v_mul_f64 v[14:15], v[5:6], v[12:13]
	v_mul_f64 v[18:19], v[9:10], v[12:13]
	;; [unrolled: 1-line block ×3, first 2 shown]
	v_fma_f64 v[5:6], v[5:6], v[12:13], -v[14:15]
	v_fma_f64 v[9:10], v[9:10], v[12:13], -v[18:19]
	;; [unrolled: 1-line block ×3, first 2 shown]
	v_add_f64 v[20:21], v[18:19], v[5:6]
	v_add_f64 v[24:25], v[20:21], -v[18:19]
	v_add_f64 v[30:31], v[14:15], v[20:21]
	v_add_f64 v[26:27], v[20:21], -v[24:25]
	v_add_f64 v[5:6], v[5:6], -v[24:25]
	v_add_f64 v[24:25], v[28:29], v[9:10]
	v_add_f64 v[14:15], v[30:31], -v[14:15]
	v_add_f64 v[18:19], v[18:19], -v[26:27]
	v_ldexp_f64 v[26:27], v[30:31], -2
	v_add_f64 v[34:35], v[24:25], -v[28:29]
	v_add_f64 v[14:15], v[20:21], -v[14:15]
	v_add_f64 v[5:6], v[5:6], v[18:19]
	v_fract_f64_e32 v[18:19], v[26:27]
	v_cmp_neq_f64_e64 vcc, |v[26:27]|, s[4:5]
	v_add_f64 v[9:10], v[9:10], -v[34:35]
	v_add_f64 v[20:21], v[24:25], v[5:6]
	v_ldexp_f64 v[18:19], v[18:19], 2
	v_add_f64 v[26:27], v[14:15], v[20:21]
	v_cndmask_b32_e32 v19, 0, v19, vcc
	v_cndmask_b32_e32 v18, 0, v18, vcc
	v_add_f64 v[36:37], v[20:21], -v[24:25]
	v_add_f64 v[30:31], v[26:27], v[18:19]
	v_add_f64 v[14:15], v[26:27], -v[14:15]
	v_add_f64 v[38:39], v[20:21], -v[36:37]
	;; [unrolled: 1-line block ×3, first 2 shown]
	v_cmp_gt_f64_e32 vcc, 0, v[30:31]
	v_add_f64 v[30:31], v[24:25], -v[34:35]
	v_add_f64 v[14:15], v[20:21], -v[14:15]
	;; [unrolled: 1-line block ×3, first 2 shown]
	v_cndmask_b32_e32 v33, 0, v16, vcc
	v_add_f64 v[18:19], v[18:19], v[32:33]
	v_add_f64 v[30:31], v[28:29], -v[30:31]
	v_add_f64 v[5:6], v[5:6], v[24:25]
	v_add_f64 v[40:41], v[26:27], v[18:19]
	;; [unrolled: 1-line block ×3, first 2 shown]
	v_cvt_i32_f64_e32 v16, v[40:41]
	v_add_f64 v[5:6], v[9:10], v[5:6]
	v_cvt_f64_i32_e32 v[33:34], v16
	v_add_f64 v[18:19], v[18:19], -v[33:34]
	v_add_f64 v[5:6], v[12:13], v[5:6]
	v_add_f64 v[9:10], v[26:27], v[18:19]
	;; [unrolled: 1-line block ×3, first 2 shown]
	v_mov_b32_e32 v15, 0x3ff00000
	v_add_f64 v[12:13], v[9:10], -v[18:19]
	v_cmp_le_f64_e32 vcc, 0.5, v[9:10]
	v_add_f64 v[13:14], v[26:27], -v[12:13]
	v_cndmask_b32_e32 v33, 0, v15, vcc
	v_add_f64 v[9:10], v[9:10], -v[32:33]
	v_addc_co_u32_e64 v12, s[4:5], 0, v16, vcc
	s_mov_b32 s4, 0x33145c07
	s_mov_b32 s5, 0x3c91a626
	v_add_f64 v[5:6], v[5:6], v[13:14]
	v_add_f64 v[13:14], v[9:10], v[5:6]
	v_mul_f64 v[15:16], v[13:14], s[20:21]
	v_add_f64 v[9:10], v[13:14], -v[9:10]
	v_fma_f64 v[18:19], v[13:14], s[20:21], -v[15:16]
	v_add_f64 v[5:6], v[5:6], -v[9:10]
	v_fma_f64 v[9:10], v[13:14], s[4:5], v[18:19]
	v_fma_f64 v[9:10], v[5:6], s[20:21], v[9:10]
	v_add_f64 v[5:6], v[15:16], v[9:10]
	v_add_f64 v[13:14], v[5:6], -v[15:16]
	v_add_f64 v[9:10], v[9:10], -v[13:14]
.LBB34_8:
	s_andn2_saveexec_b64 s[4:5], s[22:23]
	s_cbranch_execz .LBB34_10
; %bb.9:
	s_mov_b32 s20, 0x6dc9c883
	s_mov_b32 s21, 0x3fe45f30
	v_mul_f64 v[5:6], |v[1:2]|, s[20:21]
	s_mov_b32 s20, 0x54442d18
	s_mov_b32 s21, 0xbff921fb
	;; [unrolled: 1-line block ×4, first 2 shown]
	v_rndne_f64_e32 v[12:13], v[5:6]
	v_fma_f64 v[5:6], v[12:13], s[20:21], |v[1:2]|
	v_mul_f64 v[9:10], v[12:13], s[22:23]
	s_mov_b32 s20, 0x252049c0
	s_mov_b32 s21, 0xb97b839a
	v_fma_f64 v[20:21], v[12:13], s[22:23], v[5:6]
	v_add_f64 v[14:15], v[5:6], v[9:10]
	s_mov_b32 s23, 0x3c91a626
	v_add_f64 v[18:19], v[5:6], -v[14:15]
	v_add_f64 v[14:15], v[14:15], -v[20:21]
	v_add_f64 v[5:6], v[18:19], v[9:10]
	v_fma_f64 v[9:10], v[12:13], s[22:23], v[9:10]
	v_add_f64 v[5:6], v[14:15], v[5:6]
	v_add_f64 v[5:6], v[5:6], -v[9:10]
	v_fma_f64 v[9:10], v[12:13], s[20:21], v[5:6]
	v_cvt_i32_f64_e32 v12, v[12:13]
	v_add_f64 v[5:6], v[20:21], v[9:10]
	v_add_f64 v[14:15], v[5:6], -v[20:21]
	v_add_f64 v[9:10], v[9:10], -v[14:15]
.LBB34_10:
	s_or_b64 exec, exec, s[4:5]
	v_mul_f64 v[13:14], v[5:6], v[5:6]
	v_add_f64 v[15:16], v[9:10], v[9:10]
	s_mov_b32 s4, 0xc751c08c
	s_mov_b32 s5, 0x3ef5e089
	v_and_b32_e32 v12, 1, v12
	v_cmp_eq_u32_e32 vcc, 0, v12
	s_mov_b32 s22, 0x54442d18
	s_mov_b32 s23, 0xc00921fb
	v_fma_f64 v[18:19], v[5:6], v[5:6], -v[13:14]
	s_mov_b64 s[20:21], exec
	v_sub_f32_e32 v11, 1.0, v11
	v_fma_f64 v[15:16], v[5:6], v[15:16], v[18:19]
	v_add_f64 v[13:14], v[13:14], v[15:16]
	v_mov_b32_e32 v15, 0xa9a29f71
	v_mov_b32_e32 v16, 0xbf078809
	v_fma_f64 v[15:16], v[13:14], s[4:5], v[15:16]
	s_mov_b32 s4, 0x90a8aae0
	s_mov_b32 s5, 0x3f17746f
	v_fma_f64 v[15:16], v[13:14], v[15:16], s[4:5]
	s_mov_b32 s4, 0xa6fbf144
	s_mov_b32 s5, 0xbefbb44d
	;; [unrolled: 3-line block ×12, first 2 shown]
	v_fma_f64 v[15:16], v[13:14], v[15:16], s[4:5]
	s_movk_i32 s4, 0x1f8
	v_cmp_class_f64_e64 s[4:5], v[1:2], s4
	v_mul_f64 v[13:14], v[13:14], v[15:16]
	v_mul_f64 v[15:16], v[5:6], v[13:14]
	v_add_f64 v[18:19], v[5:6], v[15:16]
	v_fma_f64 v[13:14], v[5:6], v[13:14], -v[15:16]
	v_add_f64 v[5:6], v[18:19], -v[5:6]
	v_add_f64 v[9:10], v[9:10], v[13:14]
	v_add_f64 v[5:6], v[15:16], -v[5:6]
	v_add_f64 v[5:6], v[9:10], v[5:6]
	v_add_f64 v[9:10], v[18:19], v[5:6]
	v_rcp_f64_e32 v[13:14], v[9:10]
	v_fma_f64 v[15:16], -v[9:10], v[13:14], 1.0
	v_fma_f64 v[13:14], v[15:16], v[13:14], v[13:14]
	v_fma_f64 v[15:16], -v[9:10], v[13:14], 1.0
	v_fma_f64 v[13:14], v[15:16], v[13:14], v[13:14]
	v_add_f64 v[15:16], v[9:10], -v[18:19]
	v_mul_f64 v[18:19], v[9:10], v[13:14]
	v_add_f64 v[5:6], v[5:6], -v[15:16]
	v_fma_f64 v[15:16], v[13:14], v[9:10], -v[18:19]
	v_fma_f64 v[5:6], v[13:14], v[5:6], v[15:16]
	v_add_f64 v[15:16], v[18:19], v[5:6]
	v_add_f64 v[20:21], -v[15:16], 1.0
	v_add_f64 v[18:19], v[15:16], -v[18:19]
	v_add_f64 v[22:23], -v[20:21], 1.0
	v_add_f64 v[5:6], v[18:19], -v[5:6]
	v_add_f64 v[15:16], v[22:23], -v[15:16]
	v_add_f64 v[5:6], v[5:6], v[15:16]
	v_add_f64 v[5:6], v[20:21], v[5:6]
	v_mul_f64 v[5:6], v[13:14], v[5:6]
	v_add_f64 v[5:6], v[13:14], v[5:6]
	v_and_b32_e32 v13, 0x80000000, v2
	v_mov_b32_e32 v2, 0x7ff80000
	v_xor_b32_e32 v1, 0x80000000, v6
	v_cndmask_b32_e32 v5, v5, v9, vcc
	v_cndmask_b32_e32 v6, v1, v10, vcc
	v_cndmask_b32_e64 v1, 0, v5, s[4:5]
	v_xor_b32_e32 v5, v6, v13
	v_cndmask_b32_e64 v2, v2, v5, s[4:5]
	v_div_scale_f64 v[5:6], s[4:5], v[1:2], v[1:2], s[22:23]
	v_div_scale_f64 v[14:15], vcc, s[22:23], v[1:2], s[22:23]
	v_rcp_f64_e32 v[9:10], v[5:6]
	v_fma_f64 v[12:13], -v[5:6], v[9:10], 1.0
	v_fma_f64 v[9:10], v[9:10], v[12:13], v[9:10]
	v_fma_f64 v[12:13], -v[5:6], v[9:10], 1.0
	v_fma_f64 v[9:10], v[9:10], v[12:13], v[9:10]
	v_mul_f64 v[12:13], v[14:15], v[9:10]
	v_fma_f64 v[5:6], -v[5:6], v[12:13], v[14:15]
	v_div_fmas_f64 v[5:6], v[5:6], v[9:10], v[12:13]
	v_div_fixup_f64 v[1:2], v[5:6], v[1:2], s[22:23]
	v_cvt_f32_f64_e32 v5, v[1:2]
.LBB34_11:
	s_or_b64 exec, exec, s[18:19]
	s_orn2_b64 s[18:19], s[20:21], exec
.LBB34_12:
	s_or_b64 exec, exec, s[16:17]
	v_mov_b32_e32 v1, 0x7fc0
	v_mov_b32_e32 v2, 0
	s_and_saveexec_b64 s[4:5], s[18:19]
	s_cbranch_execz .LBB34_24
; %bb.13:
	s_mov_b32 s20, 0x41200000
	v_cmp_gt_f32_e32 vcc, s20, v11
	s_and_saveexec_b64 s[16:17], vcc
	s_cbranch_execz .LBB34_17
; %bb.14:
	s_mov_b64 s[18:19], 0
.LBB34_15:                              ; =>This Inner Loop Header: Depth=1
	v_div_scale_f32 v1, s[22:23], v11, v11, 1.0
	v_div_scale_f32 v2, vcc, 1.0, v11, 1.0
	v_rcp_f32_e32 v6, v1
	v_fma_f32 v9, -v1, v6, 1.0
	v_fmac_f32_e32 v6, v9, v6
	v_mul_f32_e32 v9, v2, v6
	v_fma_f32 v10, -v1, v9, v2
	v_fmac_f32_e32 v9, v10, v6
	v_fma_f32 v1, -v1, v9, v2
	v_div_fmas_f32 v1, v1, v6, v9
	v_div_fixup_f32 v1, v1, v11, 1.0
	v_add_f32_e32 v11, 1.0, v11
	v_cmp_ngt_f32_e32 vcc, s20, v11
	s_or_b64 s[18:19], vcc, s[18:19]
	v_sub_f32_e32 v5, v5, v1
	s_andn2_b64 exec, exec, s[18:19]
	s_cbranch_execnz .LBB34_15
; %bb.16:
	s_or_b64 exec, exec, s[18:19]
.LBB34_17:
	s_or_b64 exec, exec, s[16:17]
	s_mov_b32 s16, 0x41200000
	v_cmp_neq_f32_e32 vcc, s16, v11
                                        ; implicit-def: $vgpr1_vgpr2
	s_and_saveexec_b64 s[16:17], vcc
	s_xor_b64 s[16:17], exec, s[16:17]
	s_cbranch_execz .LBB34_21
; %bb.18:
	v_cvt_f64_f32_e32 v[1:2], v11
	s_mov_b32 s18, 0x85d8a000
	s_mov_b32 s19, 0x43763457
	v_cmp_gt_f64_e32 vcc, s[18:19], v[1:2]
	v_mov_b32_e32 v2, 0
	v_mov_b32_e32 v1, 0
	s_and_saveexec_b64 s[18:19], vcc
	s_cbranch_execz .LBB34_20
; %bb.19:
	v_mul_f32_e32 v1, v11, v11
	v_div_scale_f32 v6, s[20:21], v1, v1, 1.0
	v_div_scale_f32 v9, vcc, 1.0, v1, 1.0
	v_mov_b32_e32 v14, 0x3b820821
	v_rcp_f32_e32 v10, v6
	v_fma_f32 v12, -v6, v10, 1.0
	v_fmac_f32_e32 v10, v12, v10
	v_mul_f32_e32 v12, v9, v10
	v_fma_f32 v13, -v6, v12, v9
	v_fmac_f32_e32 v12, v13, v10
	v_fma_f32 v6, -v6, v12, v9
	v_div_fmas_f32 v6, v6, v10, v12
	v_mov_b32_e32 v9, 0x3daaaaab
	v_mov_b32_e32 v10, 0xbcaccacd
	;; [unrolled: 1-line block ×4, first 2 shown]
	v_div_fixup_f32 v1, v6, v1, 1.0
	v_fma_f32 v6, 0, v1, v9
	v_fmac_f32_e32 v10, v1, v6
	v_fmac_f32_e32 v12, v1, v10
	;; [unrolled: 1-line block ×4, first 2 shown]
	v_mov_b32_e32 v6, 0xbc088889
	v_fmac_f32_e32 v6, v1, v14
	v_fmac_f32_e32 v9, v1, v6
	v_mul_f32_e32 v1, v1, v9
.LBB34_20:
	s_or_b64 exec, exec, s[18:19]
	v_div_scale_f32 v6, s[18:19], v11, v11, -0.5
	v_div_scale_f32 v9, vcc, -0.5, v11, -0.5
	s_mov_b32 s18, 0x800000
	s_mov_b32 s19, 0x3f317217
	;; [unrolled: 1-line block ×3, first 2 shown]
	v_rcp_f32_e32 v10, v6
	v_fma_f32 v12, -v6, v10, 1.0
	v_fmac_f32_e32 v10, v12, v10
	v_mul_f32_e32 v12, v9, v10
	v_fma_f32 v13, -v6, v12, v9
	v_fmac_f32_e32 v12, v13, v10
	v_fma_f32 v6, -v6, v12, v9
	v_div_fmas_f32 v6, v6, v10, v12
	v_cmp_gt_f32_e32 vcc, s18, v11
	v_cndmask_b32_e64 v10, 0, 32, vcc
	v_ldexp_f32 v10, v11, v10
	v_log_f32_e32 v10, v10
	v_mov_b32_e32 v9, 0x41b17218
	v_cndmask_b32_e32 v9, 0, v9, vcc
	s_movk_i32 s18, 0x7fff
	v_mul_f32_e32 v13, 0x3f317217, v10
	v_fma_f32 v13, v10, s19, -v13
	v_fmac_f32_e32 v13, 0x3377d1cf, v10
	v_fmac_f32_e32 v13, 0x3f317217, v10
	v_cmp_lt_f32_e64 vcc, |v10|, s20
	v_cndmask_b32_e32 v10, v10, v13, vcc
	v_sub_f32_e32 v9, v10, v9
	v_mov_b32_e32 v12, 0x7fc0
	v_div_fixup_f32 v6, v6, v11, -0.5
	v_add_f32_e32 v6, v9, v6
	v_sub_f32_e32 v1, v6, v1
	v_add_f32_e32 v1, v5, v1
	v_bfe_u32 v5, v1, 16, 1
	v_cmp_o_f32_e32 vcc, v1, v1
	v_add3_u32 v1, v1, v5, s18
	v_cndmask_b32_sdwa v1, v12, v1, vcc dst_sel:DWORD dst_unused:UNUSED_PAD src0_sel:DWORD src1_sel:WORD_1
                                        ; implicit-def: $vgpr5
.LBB34_21:
	s_andn2_saveexec_b64 s[16:17], s[16:17]
; %bb.22:
	v_add_f32_e32 v1, 0x40101cb7, v5
	v_bfe_u32 v2, v1, 16, 1
	s_movk_i32 s18, 0x7fff
	v_add3_u32 v5, v1, v2, s18
	v_cmp_o_f32_e32 vcc, v1, v1
	v_mov_b32_e32 v1, 0x7fc0
	v_mov_b32_e32 v2, 0
	v_cndmask_b32_sdwa v1, v1, v5, vcc dst_sel:DWORD dst_unused:UNUSED_PAD src0_sel:DWORD src1_sel:WORD_1
; %bb.23:
	s_or_b64 exec, exec, s[16:17]
.LBB34_24:
	s_or_b64 exec, exec, s[4:5]
                                        ; implicit-def: $vgpr11
.LBB34_25:
	s_andn2_saveexec_b64 s[4:5], s[14:15]
; %bb.26:
	v_xor_b32_e32 v1, 0x80000000, v11
	v_and_b32_e32 v1, 0x80000000, v1
	v_or_b32_e32 v1, 0x7f800000, v1
	v_lshrrev_b32_e32 v1, 16, v1
	v_mov_b32_e32 v2, 0
; %bb.27:
	s_or_b64 exec, exec, s[4:5]
	v_and_b32_e32 v7, 0xffff0000, v7
	v_cmp_neq_f32_e32 vcc, 0, v7
                                        ; implicit-def: $vgpr5_vgpr6
	s_and_saveexec_b64 s[4:5], vcc
	s_xor_b64 s[14:15], exec, s[4:5]
	s_cbranch_execz .LBB34_49
; %bb.28:
	v_mov_b32_e32 v9, 0
	v_cmp_gt_f32_e32 vcc, 0, v7
	s_mov_b64 s[18:19], -1
	s_and_saveexec_b64 s[16:17], vcc
	s_cbranch_execz .LBB34_36
; %bb.29:
	v_trunc_f32_e32 v5, v7
	v_cmp_neq_f32_e32 vcc, v5, v7
	s_mov_b64 s[20:21], 0
	v_mov_b32_e32 v9, 0
	s_and_saveexec_b64 s[18:19], vcc
	s_cbranch_execz .LBB34_35
; %bb.30:
	v_cvt_f64_f32_e32 v[5:6], v7
	s_mov_b32 s4, 0
	s_mov_b32 s21, 0xc00921fb
	;; [unrolled: 1-line block ×3, first 2 shown]
	v_trunc_f64_e32 v[9:10], v[5:6]
	s_mov_b32 s5, 0x7ff00000
	v_cmp_neq_f64_e64 vcc, |v[5:6]|, s[4:5]
	v_bfrev_b32_e32 v11, 1
	s_mov_b32 s22, 0
	s_mov_b32 s23, 0x41d00000
                                        ; implicit-def: $vgpr13
	v_add_f64 v[9:10], v[5:6], -v[9:10]
	v_mul_f64 v[9:10], |v[9:10]|, s[20:21]
	v_cndmask_b32_e32 v6, v11, v10, vcc
	v_cndmask_b32_e32 v5, 0, v9, vcc
	v_cmp_nlt_f64_e64 s[22:23], |v[5:6]|, s[22:23]
                                        ; implicit-def: $vgpr9_vgpr10
                                        ; implicit-def: $vgpr11_vgpr12
	s_and_saveexec_b64 s[24:25], s[22:23]
	s_xor_b64 s[22:23], exec, s[24:25]
	s_cbranch_execz .LBB34_32
; %bb.31:
	v_trig_preop_f64 v[9:10], |v[5:6]|, 0
	s_mov_b32 s24, 0
	s_mov_b32 s25, 0x7b000000
	s_movk_i32 s21, 0xff80
	v_ldexp_f64 v[13:14], |v[5:6]|, s21
	v_cmp_ge_f64_e64 vcc, |v[5:6]|, s[24:25]
	v_trig_preop_f64 v[11:12], |v[5:6]|, 1
	v_and_b32_e32 v15, 0x7fffffff, v6
	v_trig_preop_f64 v[22:23], |v[5:6]|, 2
	v_mov_b32_e32 v33, 0x40100000
	v_mov_b32_e32 v32, 0
	s_mov_b32 s21, 0x3ff921fb
	v_cndmask_b32_e32 v14, v15, v14, vcc
	v_cndmask_b32_e32 v13, v5, v13, vcc
	v_mul_f64 v[15:16], v[9:10], v[13:14]
	v_mul_f64 v[18:19], v[11:12], v[13:14]
	;; [unrolled: 1-line block ×3, first 2 shown]
	v_fma_f64 v[9:10], v[9:10], v[13:14], -v[15:16]
	v_fma_f64 v[11:12], v[11:12], v[13:14], -v[18:19]
	;; [unrolled: 1-line block ×3, first 2 shown]
	v_add_f64 v[20:21], v[18:19], v[9:10]
	v_add_f64 v[24:25], v[20:21], -v[18:19]
	v_add_f64 v[30:31], v[15:16], v[20:21]
	v_add_f64 v[26:27], v[20:21], -v[24:25]
	v_add_f64 v[9:10], v[9:10], -v[24:25]
	v_add_f64 v[24:25], v[28:29], v[11:12]
	v_add_f64 v[15:16], v[30:31], -v[15:16]
	v_add_f64 v[18:19], v[18:19], -v[26:27]
	v_ldexp_f64 v[26:27], v[30:31], -2
	v_add_f64 v[34:35], v[24:25], -v[28:29]
	v_add_f64 v[15:16], v[20:21], -v[15:16]
	v_add_f64 v[9:10], v[9:10], v[18:19]
	v_fract_f64_e32 v[18:19], v[26:27]
	v_cmp_neq_f64_e64 vcc, |v[26:27]|, s[4:5]
	v_add_f64 v[11:12], v[11:12], -v[34:35]
	v_add_f64 v[20:21], v[24:25], v[9:10]
	v_ldexp_f64 v[18:19], v[18:19], 2
	v_add_f64 v[26:27], v[15:16], v[20:21]
	v_cndmask_b32_e32 v19, 0, v19, vcc
	v_cndmask_b32_e32 v18, 0, v18, vcc
	v_add_f64 v[36:37], v[20:21], -v[24:25]
	v_add_f64 v[30:31], v[26:27], v[18:19]
	v_add_f64 v[15:16], v[26:27], -v[15:16]
	v_add_f64 v[38:39], v[20:21], -v[36:37]
	;; [unrolled: 1-line block ×3, first 2 shown]
	v_cmp_gt_f64_e32 vcc, 0, v[30:31]
	v_add_f64 v[30:31], v[24:25], -v[34:35]
	v_add_f64 v[15:16], v[20:21], -v[15:16]
	;; [unrolled: 1-line block ×3, first 2 shown]
	v_cndmask_b32_e32 v33, 0, v33, vcc
	v_add_f64 v[18:19], v[18:19], v[32:33]
	v_add_f64 v[30:31], v[28:29], -v[30:31]
	v_add_f64 v[9:10], v[9:10], v[24:25]
	v_add_f64 v[40:41], v[26:27], v[18:19]
	;; [unrolled: 1-line block ×3, first 2 shown]
	v_cvt_i32_f64_e32 v35, v[40:41]
	v_add_f64 v[9:10], v[11:12], v[9:10]
	v_cvt_f64_i32_e32 v[33:34], v35
	v_add_f64 v[18:19], v[18:19], -v[33:34]
	v_add_f64 v[9:10], v[13:14], v[9:10]
	v_add_f64 v[11:12], v[26:27], v[18:19]
	;; [unrolled: 1-line block ×3, first 2 shown]
	v_mov_b32_e32 v16, 0x3ff00000
	v_add_f64 v[13:14], v[11:12], -v[18:19]
	v_cmp_le_f64_e32 vcc, 0.5, v[11:12]
	v_add_f64 v[14:15], v[26:27], -v[13:14]
	v_cndmask_b32_e32 v33, 0, v16, vcc
	v_add_f64 v[11:12], v[11:12], -v[32:33]
	v_addc_co_u32_e64 v13, s[4:5], 0, v35, vcc
	s_mov_b32 s4, 0x33145c07
	s_mov_b32 s5, 0x3c91a626
	v_add_f64 v[9:10], v[9:10], v[14:15]
	v_add_f64 v[14:15], v[11:12], v[9:10]
	v_mul_f64 v[18:19], v[14:15], s[20:21]
	v_add_f64 v[11:12], v[14:15], -v[11:12]
	v_fma_f64 v[20:21], v[14:15], s[20:21], -v[18:19]
	v_add_f64 v[9:10], v[9:10], -v[11:12]
	v_fma_f64 v[11:12], v[14:15], s[4:5], v[20:21]
	v_fma_f64 v[11:12], v[9:10], s[20:21], v[11:12]
	v_add_f64 v[9:10], v[18:19], v[11:12]
	v_add_f64 v[14:15], v[9:10], -v[18:19]
	v_add_f64 v[11:12], v[11:12], -v[14:15]
.LBB34_32:
	s_andn2_saveexec_b64 s[4:5], s[22:23]
	s_cbranch_execz .LBB34_34
; %bb.33:
	s_mov_b32 s20, 0x6dc9c883
	s_mov_b32 s21, 0x3fe45f30
	v_mul_f64 v[9:10], |v[5:6]|, s[20:21]
	s_mov_b32 s20, 0x54442d18
	s_mov_b32 s21, 0xbff921fb
	;; [unrolled: 1-line block ×4, first 2 shown]
	v_rndne_f64_e32 v[13:14], v[9:10]
	v_fma_f64 v[9:10], v[13:14], s[20:21], |v[5:6]|
	v_mul_f64 v[11:12], v[13:14], s[22:23]
	s_mov_b32 s20, 0x252049c0
	s_mov_b32 s21, 0xb97b839a
	v_fma_f64 v[20:21], v[13:14], s[22:23], v[9:10]
	v_add_f64 v[15:16], v[9:10], v[11:12]
	s_mov_b32 s23, 0x3c91a626
	v_add_f64 v[18:19], v[9:10], -v[15:16]
	v_add_f64 v[15:16], v[15:16], -v[20:21]
	v_add_f64 v[9:10], v[18:19], v[11:12]
	v_fma_f64 v[11:12], v[13:14], s[22:23], v[11:12]
	v_add_f64 v[9:10], v[15:16], v[9:10]
	v_add_f64 v[9:10], v[9:10], -v[11:12]
	v_fma_f64 v[11:12], v[13:14], s[20:21], v[9:10]
	v_cvt_i32_f64_e32 v13, v[13:14]
	v_add_f64 v[9:10], v[20:21], v[11:12]
	v_add_f64 v[15:16], v[9:10], -v[20:21]
	v_add_f64 v[11:12], v[11:12], -v[15:16]
.LBB34_34:
	s_or_b64 exec, exec, s[4:5]
	v_mul_f64 v[14:15], v[9:10], v[9:10]
	v_add_f64 v[18:19], v[11:12], v[11:12]
	s_mov_b32 s4, 0xc751c08c
	s_mov_b32 s5, 0x3ef5e089
	v_and_b32_e32 v13, 1, v13
	v_cmp_eq_u32_e32 vcc, 0, v13
	s_mov_b32 s22, 0x54442d18
	s_mov_b32 s23, 0xc00921fb
	v_fma_f64 v[20:21], v[9:10], v[9:10], -v[14:15]
	s_mov_b64 s[20:21], exec
	v_sub_f32_e32 v7, 1.0, v7
	v_fma_f64 v[18:19], v[9:10], v[18:19], v[20:21]
	v_add_f64 v[14:15], v[14:15], v[18:19]
	v_mov_b32_e32 v18, 0xa9a29f71
	v_mov_b32_e32 v19, 0xbf078809
	v_fma_f64 v[18:19], v[14:15], s[4:5], v[18:19]
	s_mov_b32 s4, 0x90a8aae0
	s_mov_b32 s5, 0x3f17746f
	v_fma_f64 v[18:19], v[14:15], v[18:19], s[4:5]
	s_mov_b32 s4, 0xa6fbf144
	s_mov_b32 s5, 0xbefbb44d
	;; [unrolled: 3-line block ×12, first 2 shown]
	v_fma_f64 v[18:19], v[14:15], v[18:19], s[4:5]
	s_movk_i32 s4, 0x1f8
	v_cmp_class_f64_e64 s[4:5], v[5:6], s4
	v_mul_f64 v[14:15], v[14:15], v[18:19]
	v_mul_f64 v[18:19], v[9:10], v[14:15]
	v_add_f64 v[20:21], v[9:10], v[18:19]
	v_fma_f64 v[14:15], v[9:10], v[14:15], -v[18:19]
	v_add_f64 v[9:10], v[20:21], -v[9:10]
	v_add_f64 v[11:12], v[11:12], v[14:15]
	v_add_f64 v[9:10], v[18:19], -v[9:10]
	v_add_f64 v[9:10], v[11:12], v[9:10]
	v_add_f64 v[11:12], v[20:21], v[9:10]
	v_rcp_f64_e32 v[14:15], v[11:12]
	v_fma_f64 v[18:19], -v[11:12], v[14:15], 1.0
	v_fma_f64 v[14:15], v[18:19], v[14:15], v[14:15]
	v_fma_f64 v[18:19], -v[11:12], v[14:15], 1.0
	v_fma_f64 v[14:15], v[18:19], v[14:15], v[14:15]
	v_add_f64 v[18:19], v[11:12], -v[20:21]
	v_mul_f64 v[20:21], v[11:12], v[14:15]
	v_add_f64 v[9:10], v[9:10], -v[18:19]
	v_fma_f64 v[18:19], v[14:15], v[11:12], -v[20:21]
	v_fma_f64 v[9:10], v[14:15], v[9:10], v[18:19]
	v_add_f64 v[18:19], v[20:21], v[9:10]
	v_add_f64 v[22:23], -v[18:19], 1.0
	v_add_f64 v[20:21], v[18:19], -v[20:21]
	v_add_f64 v[24:25], -v[22:23], 1.0
	v_add_f64 v[9:10], v[20:21], -v[9:10]
	v_add_f64 v[18:19], v[24:25], -v[18:19]
	v_add_f64 v[9:10], v[9:10], v[18:19]
	v_add_f64 v[9:10], v[22:23], v[9:10]
	v_mul_f64 v[9:10], v[14:15], v[9:10]
	v_add_f64 v[9:10], v[14:15], v[9:10]
	v_and_b32_e32 v14, 0x80000000, v6
	v_mov_b32_e32 v6, 0x7ff80000
	v_xor_b32_e32 v5, 0x80000000, v10
	v_cndmask_b32_e32 v9, v9, v11, vcc
	v_cndmask_b32_e32 v10, v5, v12, vcc
	v_cndmask_b32_e64 v5, 0, v9, s[4:5]
	v_xor_b32_e32 v9, v10, v14
	v_cndmask_b32_e64 v6, v6, v9, s[4:5]
	v_div_scale_f64 v[9:10], s[4:5], v[5:6], v[5:6], s[22:23]
	v_div_scale_f64 v[15:16], vcc, s[22:23], v[5:6], s[22:23]
	v_rcp_f64_e32 v[11:12], v[9:10]
	v_fma_f64 v[13:14], -v[9:10], v[11:12], 1.0
	v_fma_f64 v[11:12], v[11:12], v[13:14], v[11:12]
	v_fma_f64 v[13:14], -v[9:10], v[11:12], 1.0
	v_fma_f64 v[11:12], v[11:12], v[13:14], v[11:12]
	v_mul_f64 v[13:14], v[15:16], v[11:12]
	v_fma_f64 v[9:10], -v[9:10], v[13:14], v[15:16]
	v_div_fmas_f64 v[9:10], v[9:10], v[11:12], v[13:14]
	v_div_fixup_f64 v[5:6], v[9:10], v[5:6], s[22:23]
	v_cvt_f32_f64_e32 v9, v[5:6]
.LBB34_35:
	s_or_b64 exec, exec, s[18:19]
	s_orn2_b64 s[18:19], s[20:21], exec
.LBB34_36:
	s_or_b64 exec, exec, s[16:17]
	v_mov_b32_e32 v5, 0x7fc0
	v_mov_b32_e32 v6, 0
	s_and_saveexec_b64 s[4:5], s[18:19]
	s_cbranch_execz .LBB34_48
; %bb.37:
	s_mov_b32 s20, 0x41200000
	v_cmp_gt_f32_e32 vcc, s20, v7
	s_and_saveexec_b64 s[16:17], vcc
	s_cbranch_execz .LBB34_41
; %bb.38:
	s_mov_b64 s[18:19], 0
.LBB34_39:                              ; =>This Inner Loop Header: Depth=1
	v_div_scale_f32 v5, s[22:23], v7, v7, 1.0
	v_div_scale_f32 v6, vcc, 1.0, v7, 1.0
	v_rcp_f32_e32 v10, v5
	v_fma_f32 v11, -v5, v10, 1.0
	v_fmac_f32_e32 v10, v11, v10
	v_mul_f32_e32 v11, v6, v10
	v_fma_f32 v12, -v5, v11, v6
	v_fmac_f32_e32 v11, v12, v10
	v_fma_f32 v5, -v5, v11, v6
	v_div_fmas_f32 v5, v5, v10, v11
	v_div_fixup_f32 v5, v5, v7, 1.0
	v_add_f32_e32 v7, 1.0, v7
	v_cmp_ngt_f32_e32 vcc, s20, v7
	s_or_b64 s[18:19], vcc, s[18:19]
	v_sub_f32_e32 v9, v9, v5
	s_andn2_b64 exec, exec, s[18:19]
	s_cbranch_execnz .LBB34_39
; %bb.40:
	s_or_b64 exec, exec, s[18:19]
.LBB34_41:
	s_or_b64 exec, exec, s[16:17]
	s_mov_b32 s16, 0x41200000
	v_cmp_neq_f32_e32 vcc, s16, v7
                                        ; implicit-def: $vgpr5_vgpr6
	s_and_saveexec_b64 s[16:17], vcc
	s_xor_b64 s[16:17], exec, s[16:17]
	s_cbranch_execz .LBB34_45
; %bb.42:
	v_cvt_f64_f32_e32 v[5:6], v7
	s_mov_b32 s18, 0x85d8a000
	s_mov_b32 s19, 0x43763457
	v_cmp_gt_f64_e32 vcc, s[18:19], v[5:6]
	v_mov_b32_e32 v5, 0
	s_and_saveexec_b64 s[18:19], vcc
	s_cbranch_execz .LBB34_44
; %bb.43:
	v_mul_f32_e32 v5, v7, v7
	v_div_scale_f32 v6, s[20:21], v5, v5, 1.0
	v_div_scale_f32 v10, vcc, 1.0, v5, 1.0
	v_mov_b32_e32 v14, 0x3b820821
	v_rcp_f32_e32 v11, v6
	v_fma_f32 v12, -v6, v11, 1.0
	v_fmac_f32_e32 v11, v12, v11
	v_mul_f32_e32 v12, v10, v11
	v_fma_f32 v13, -v6, v12, v10
	v_fmac_f32_e32 v12, v13, v11
	v_fma_f32 v6, -v6, v12, v10
	v_div_fmas_f32 v6, v6, v11, v12
	v_mov_b32_e32 v10, 0x3daaaaab
	v_mov_b32_e32 v11, 0xbcaccacd
	;; [unrolled: 1-line block ×4, first 2 shown]
	v_div_fixup_f32 v5, v6, v5, 1.0
	v_fma_f32 v6, 0, v5, v10
	v_fmac_f32_e32 v11, v5, v6
	v_fmac_f32_e32 v12, v5, v11
	;; [unrolled: 1-line block ×4, first 2 shown]
	v_mov_b32_e32 v6, 0xbc088889
	v_fmac_f32_e32 v6, v5, v14
	v_fmac_f32_e32 v10, v5, v6
	v_mul_f32_e32 v5, v5, v10
.LBB34_44:
	s_or_b64 exec, exec, s[18:19]
	v_div_scale_f32 v6, s[18:19], v7, v7, -0.5
	v_div_scale_f32 v10, vcc, -0.5, v7, -0.5
	s_mov_b32 s18, 0x800000
	s_mov_b32 s19, 0x3f317217
	;; [unrolled: 1-line block ×3, first 2 shown]
	v_rcp_f32_e32 v11, v6
	v_fma_f32 v12, -v6, v11, 1.0
	v_fmac_f32_e32 v11, v12, v11
	v_mul_f32_e32 v12, v10, v11
	v_fma_f32 v13, -v6, v12, v10
	v_fmac_f32_e32 v12, v13, v11
	v_fma_f32 v6, -v6, v12, v10
	v_div_fmas_f32 v6, v6, v11, v12
	v_cmp_gt_f32_e32 vcc, s18, v7
	v_cndmask_b32_e64 v11, 0, 32, vcc
	v_ldexp_f32 v11, v7, v11
	v_log_f32_e32 v11, v11
	v_mov_b32_e32 v10, 0x41b17218
	v_cndmask_b32_e32 v10, 0, v10, vcc
	s_movk_i32 s18, 0x7fff
	v_mul_f32_e32 v13, 0x3f317217, v11
	v_fma_f32 v13, v11, s19, -v13
	v_fmac_f32_e32 v13, 0x3377d1cf, v11
	v_fmac_f32_e32 v13, 0x3f317217, v11
	v_cmp_lt_f32_e64 vcc, |v11|, s20
	v_cndmask_b32_e32 v11, v11, v13, vcc
	v_sub_f32_e32 v10, v11, v10
	v_mov_b32_e32 v12, 0x7fc0
	v_div_fixup_f32 v6, v6, v7, -0.5
	v_add_f32_e32 v6, v10, v6
	v_sub_f32_e32 v5, v6, v5
	v_add_f32_e32 v5, v9, v5
	v_bfe_u32 v6, v5, 16, 1
	v_cmp_o_f32_e32 vcc, v5, v5
	v_add3_u32 v5, v5, v6, s18
	v_cndmask_b32_sdwa v5, v12, v5, vcc dst_sel:DWORD dst_unused:UNUSED_PAD src0_sel:DWORD src1_sel:WORD_1
                                        ; implicit-def: $vgpr9
.LBB34_45:
	s_andn2_saveexec_b64 s[16:17], s[16:17]
; %bb.46:
	v_add_f32_e32 v5, 0x40101cb7, v9
	v_bfe_u32 v6, v5, 16, 1
	s_movk_i32 s18, 0x7fff
	v_add3_u32 v6, v5, v6, s18
	v_cmp_o_f32_e32 vcc, v5, v5
	v_mov_b32_e32 v5, 0x7fc0
	v_cndmask_b32_sdwa v5, v5, v6, vcc dst_sel:DWORD dst_unused:UNUSED_PAD src0_sel:DWORD src1_sel:WORD_1
; %bb.47:
	s_or_b64 exec, exec, s[16:17]
.LBB34_48:
	s_or_b64 exec, exec, s[4:5]
                                        ; implicit-def: $vgpr7
.LBB34_49:
	s_andn2_saveexec_b64 s[4:5], s[14:15]
; %bb.50:
	v_xor_b32_e32 v5, 0x80000000, v7
	v_and_b32_e32 v5, 0x80000000, v5
	v_or_b32_e32 v5, 0x7f800000, v5
	v_lshrrev_b32_e32 v5, 16, v5
; %bb.51:
	s_or_b64 exec, exec, s[4:5]
	v_lshlrev_b32_e32 v13, 16, v8
	v_cmp_neq_f32_e32 vcc, 0, v13
                                        ; implicit-def: $vgpr6_vgpr7
	s_and_saveexec_b64 s[4:5], vcc
	s_xor_b64 s[14:15], exec, s[4:5]
	s_cbranch_execz .LBB34_73
; %bb.52:
	v_mov_b32_e32 v9, 0
	v_cmp_gt_f32_e32 vcc, 0, v13
	s_mov_b64 s[18:19], -1
	s_and_saveexec_b64 s[16:17], vcc
	s_cbranch_execz .LBB34_60
; %bb.53:
	v_trunc_f32_e32 v6, v13
	v_cmp_neq_f32_e32 vcc, v6, v13
	s_mov_b64 s[20:21], 0
	v_mov_b32_e32 v9, 0
	s_and_saveexec_b64 s[18:19], vcc
	s_cbranch_execz .LBB34_59
; %bb.54:
	v_cvt_f64_f32_e32 v[6:7], v13
	s_mov_b32 s22, 0
	s_mov_b32 s5, 0xc00921fb
	;; [unrolled: 1-line block ×3, first 2 shown]
	v_trunc_f64_e32 v[9:10], v[6:7]
	s_mov_b32 s23, 0x7ff00000
	v_cmp_neq_f64_e64 vcc, |v[6:7]|, s[22:23]
	v_bfrev_b32_e32 v11, 1
	s_mov_b32 s20, 0
	s_mov_b32 s21, 0x41d00000
                                        ; implicit-def: $vgpr14
	v_add_f64 v[9:10], v[6:7], -v[9:10]
	v_mul_f64 v[9:10], |v[9:10]|, s[4:5]
	v_cndmask_b32_e32 v7, v11, v10, vcc
	v_cndmask_b32_e32 v6, 0, v9, vcc
	v_cmp_nlt_f64_e64 s[20:21], |v[6:7]|, s[20:21]
                                        ; implicit-def: $vgpr9_vgpr10
                                        ; implicit-def: $vgpr11_vgpr12
	s_and_saveexec_b64 s[24:25], s[20:21]
	s_xor_b64 s[20:21], exec, s[24:25]
	s_cbranch_execz .LBB34_56
; %bb.55:
	v_trig_preop_f64 v[9:10], |v[6:7]|, 0
	s_mov_b32 s24, 0
	s_mov_b32 s25, 0x7b000000
	s_movk_i32 s5, 0xff80
	v_ldexp_f64 v[14:15], |v[6:7]|, s5
	v_cmp_ge_f64_e64 vcc, |v[6:7]|, s[24:25]
	v_trig_preop_f64 v[11:12], |v[6:7]|, 1
	v_and_b32_e32 v16, 0x7fffffff, v7
	v_trig_preop_f64 v[24:25], |v[6:7]|, 2
	v_mov_b32_e32 v34, 0
	s_mov_b32 s5, 0x3ff921fb
	v_cndmask_b32_e32 v15, v16, v15, vcc
	v_cndmask_b32_e32 v14, v6, v14, vcc
	v_mov_b32_e32 v16, 0x40100000
	v_mul_f64 v[18:19], v[9:10], v[14:15]
	v_mul_f64 v[20:21], v[11:12], v[14:15]
	;; [unrolled: 1-line block ×3, first 2 shown]
	v_fma_f64 v[9:10], v[9:10], v[14:15], -v[18:19]
	v_fma_f64 v[11:12], v[11:12], v[14:15], -v[20:21]
	;; [unrolled: 1-line block ×3, first 2 shown]
	v_add_f64 v[22:23], v[20:21], v[9:10]
	v_add_f64 v[26:27], v[22:23], -v[20:21]
	v_add_f64 v[32:33], v[18:19], v[22:23]
	v_add_f64 v[28:29], v[22:23], -v[26:27]
	v_add_f64 v[9:10], v[9:10], -v[26:27]
	v_add_f64 v[26:27], v[30:31], v[11:12]
	v_add_f64 v[18:19], v[32:33], -v[18:19]
	v_add_f64 v[20:21], v[20:21], -v[28:29]
	v_ldexp_f64 v[28:29], v[32:33], -2
	v_add_f64 v[36:37], v[26:27], -v[30:31]
	v_add_f64 v[18:19], v[22:23], -v[18:19]
	v_add_f64 v[9:10], v[9:10], v[20:21]
	v_fract_f64_e32 v[20:21], v[28:29]
	v_cmp_neq_f64_e64 vcc, |v[28:29]|, s[22:23]
	v_add_f64 v[11:12], v[11:12], -v[36:37]
	s_mov_b32 s22, 0x33145c07
	s_mov_b32 s23, 0x3c91a626
	v_add_f64 v[22:23], v[26:27], v[9:10]
	v_ldexp_f64 v[20:21], v[20:21], 2
	v_add_f64 v[28:29], v[18:19], v[22:23]
	v_cndmask_b32_e32 v21, 0, v21, vcc
	v_cndmask_b32_e32 v20, 0, v20, vcc
	v_add_f64 v[38:39], v[22:23], -v[26:27]
	v_add_f64 v[32:33], v[28:29], v[20:21]
	v_add_f64 v[18:19], v[28:29], -v[18:19]
	v_add_f64 v[40:41], v[22:23], -v[38:39]
	;; [unrolled: 1-line block ×3, first 2 shown]
	v_cmp_gt_f64_e32 vcc, 0, v[32:33]
	v_add_f64 v[32:33], v[26:27], -v[36:37]
	v_add_f64 v[18:19], v[22:23], -v[18:19]
	;; [unrolled: 1-line block ×3, first 2 shown]
	v_cndmask_b32_e32 v35, 0, v16, vcc
	v_add_f64 v[20:21], v[20:21], v[34:35]
	v_add_f64 v[32:33], v[30:31], -v[32:33]
	v_add_f64 v[9:10], v[9:10], v[26:27]
	v_add_f64 v[42:43], v[28:29], v[20:21]
	;; [unrolled: 1-line block ×3, first 2 shown]
	v_cvt_i32_f64_e32 v16, v[42:43]
	v_add_f64 v[9:10], v[11:12], v[9:10]
	v_cvt_f64_i32_e32 v[35:36], v16
	v_add_f64 v[20:21], v[20:21], -v[35:36]
	v_add_f64 v[9:10], v[14:15], v[9:10]
	v_add_f64 v[11:12], v[28:29], v[20:21]
	;; [unrolled: 1-line block ×3, first 2 shown]
	v_mov_b32_e32 v18, 0x3ff00000
	v_add_f64 v[14:15], v[11:12], -v[20:21]
	v_cmp_le_f64_e32 vcc, 0.5, v[11:12]
	v_add_f64 v[14:15], v[28:29], -v[14:15]
	v_cndmask_b32_e32 v35, 0, v18, vcc
	v_add_f64 v[11:12], v[11:12], -v[34:35]
	v_add_f64 v[9:10], v[9:10], v[14:15]
	v_add_f64 v[14:15], v[11:12], v[9:10]
	v_mul_f64 v[18:19], v[14:15], s[4:5]
	v_add_f64 v[11:12], v[14:15], -v[11:12]
	v_fma_f64 v[20:21], v[14:15], s[4:5], -v[18:19]
	v_add_f64 v[9:10], v[9:10], -v[11:12]
	v_fma_f64 v[11:12], v[14:15], s[22:23], v[20:21]
	v_fma_f64 v[11:12], v[9:10], s[4:5], v[11:12]
	v_add_f64 v[9:10], v[18:19], v[11:12]
	v_add_f64 v[14:15], v[9:10], -v[18:19]
	v_add_f64 v[11:12], v[11:12], -v[14:15]
	v_addc_co_u32_e32 v14, vcc, 0, v16, vcc
.LBB34_56:
	s_andn2_saveexec_b64 s[4:5], s[20:21]
	s_cbranch_execz .LBB34_58
; %bb.57:
	s_mov_b32 s20, 0x6dc9c883
	s_mov_b32 s21, 0x3fe45f30
	v_mul_f64 v[9:10], |v[6:7]|, s[20:21]
	s_mov_b32 s20, 0x54442d18
	s_mov_b32 s21, 0xbff921fb
	;; [unrolled: 1-line block ×4, first 2 shown]
	v_rndne_f64_e32 v[14:15], v[9:10]
	v_fma_f64 v[9:10], v[14:15], s[20:21], |v[6:7]|
	v_mul_f64 v[11:12], v[14:15], s[22:23]
	s_mov_b32 s20, 0x252049c0
	s_mov_b32 s21, 0xb97b839a
	v_fma_f64 v[22:23], v[14:15], s[22:23], v[9:10]
	v_add_f64 v[18:19], v[9:10], v[11:12]
	s_mov_b32 s23, 0x3c91a626
	v_add_f64 v[20:21], v[9:10], -v[18:19]
	v_add_f64 v[18:19], v[18:19], -v[22:23]
	v_add_f64 v[9:10], v[20:21], v[11:12]
	v_fma_f64 v[11:12], v[14:15], s[22:23], v[11:12]
	v_add_f64 v[9:10], v[18:19], v[9:10]
	v_add_f64 v[9:10], v[9:10], -v[11:12]
	v_fma_f64 v[11:12], v[14:15], s[20:21], v[9:10]
	v_cvt_i32_f64_e32 v14, v[14:15]
	v_add_f64 v[9:10], v[22:23], v[11:12]
	v_add_f64 v[18:19], v[9:10], -v[22:23]
	v_add_f64 v[11:12], v[11:12], -v[18:19]
.LBB34_58:
	s_or_b64 exec, exec, s[4:5]
	v_mul_f64 v[15:16], v[9:10], v[9:10]
	v_add_f64 v[18:19], v[11:12], v[11:12]
	s_mov_b32 s4, 0xc751c08c
	s_mov_b32 s5, 0x3ef5e089
	v_and_b32_e32 v14, 1, v14
	v_cmp_eq_u32_e32 vcc, 0, v14
	s_mov_b32 s22, 0x54442d18
	s_mov_b32 s23, 0xc00921fb
	v_fma_f64 v[20:21], v[9:10], v[9:10], -v[15:16]
	s_mov_b64 s[20:21], exec
	v_sub_f32_e32 v13, 1.0, v13
	v_fma_f64 v[18:19], v[9:10], v[18:19], v[20:21]
	v_add_f64 v[15:16], v[15:16], v[18:19]
	v_mov_b32_e32 v18, 0xa9a29f71
	v_mov_b32_e32 v19, 0xbf078809
	v_fma_f64 v[18:19], v[15:16], s[4:5], v[18:19]
	s_mov_b32 s4, 0x90a8aae0
	s_mov_b32 s5, 0x3f17746f
	v_fma_f64 v[18:19], v[15:16], v[18:19], s[4:5]
	s_mov_b32 s4, 0xa6fbf144
	s_mov_b32 s5, 0xbefbb44d
	;; [unrolled: 3-line block ×12, first 2 shown]
	v_fma_f64 v[18:19], v[15:16], v[18:19], s[4:5]
	s_movk_i32 s4, 0x1f8
	v_cmp_class_f64_e64 s[4:5], v[6:7], s4
	v_mul_f64 v[15:16], v[15:16], v[18:19]
	v_mul_f64 v[18:19], v[9:10], v[15:16]
	v_add_f64 v[20:21], v[9:10], v[18:19]
	v_fma_f64 v[15:16], v[9:10], v[15:16], -v[18:19]
	v_add_f64 v[9:10], v[20:21], -v[9:10]
	v_add_f64 v[11:12], v[11:12], v[15:16]
	v_add_f64 v[9:10], v[18:19], -v[9:10]
	v_add_f64 v[9:10], v[11:12], v[9:10]
	v_add_f64 v[11:12], v[20:21], v[9:10]
	v_rcp_f64_e32 v[15:16], v[11:12]
	v_fma_f64 v[18:19], -v[11:12], v[15:16], 1.0
	v_fma_f64 v[15:16], v[18:19], v[15:16], v[15:16]
	v_fma_f64 v[18:19], -v[11:12], v[15:16], 1.0
	v_fma_f64 v[15:16], v[18:19], v[15:16], v[15:16]
	v_add_f64 v[18:19], v[11:12], -v[20:21]
	v_mul_f64 v[20:21], v[11:12], v[15:16]
	v_add_f64 v[9:10], v[9:10], -v[18:19]
	v_fma_f64 v[18:19], v[15:16], v[11:12], -v[20:21]
	v_fma_f64 v[9:10], v[15:16], v[9:10], v[18:19]
	v_add_f64 v[18:19], v[20:21], v[9:10]
	v_add_f64 v[22:23], -v[18:19], 1.0
	v_add_f64 v[20:21], v[18:19], -v[20:21]
	v_add_f64 v[24:25], -v[22:23], 1.0
	v_add_f64 v[9:10], v[20:21], -v[9:10]
	v_add_f64 v[18:19], v[24:25], -v[18:19]
	v_add_f64 v[9:10], v[9:10], v[18:19]
	v_add_f64 v[9:10], v[22:23], v[9:10]
	v_mul_f64 v[9:10], v[15:16], v[9:10]
	v_add_f64 v[9:10], v[15:16], v[9:10]
	v_and_b32_e32 v15, 0x80000000, v7
	v_mov_b32_e32 v7, 0x7ff80000
	v_xor_b32_e32 v6, 0x80000000, v10
	v_cndmask_b32_e32 v9, v9, v11, vcc
	v_cndmask_b32_e32 v10, v6, v12, vcc
	v_cndmask_b32_e64 v6, 0, v9, s[4:5]
	v_xor_b32_e32 v9, v10, v15
	v_cndmask_b32_e64 v7, v7, v9, s[4:5]
	v_div_scale_f64 v[9:10], s[4:5], v[6:7], v[6:7], s[22:23]
	v_div_scale_f64 v[18:19], vcc, s[22:23], v[6:7], s[22:23]
	v_rcp_f64_e32 v[11:12], v[9:10]
	v_fma_f64 v[14:15], -v[9:10], v[11:12], 1.0
	v_fma_f64 v[11:12], v[11:12], v[14:15], v[11:12]
	v_fma_f64 v[14:15], -v[9:10], v[11:12], 1.0
	v_fma_f64 v[11:12], v[11:12], v[14:15], v[11:12]
	v_mul_f64 v[14:15], v[18:19], v[11:12]
	v_fma_f64 v[9:10], -v[9:10], v[14:15], v[18:19]
	v_div_fmas_f64 v[9:10], v[9:10], v[11:12], v[14:15]
	v_div_fixup_f64 v[6:7], v[9:10], v[6:7], s[22:23]
	v_cvt_f32_f64_e32 v9, v[6:7]
.LBB34_59:
	s_or_b64 exec, exec, s[18:19]
	s_orn2_b64 s[18:19], s[20:21], exec
.LBB34_60:
	s_or_b64 exec, exec, s[16:17]
	v_mov_b32_e32 v6, 0x7fc0
	v_mov_b32_e32 v7, 0
	s_and_saveexec_b64 s[4:5], s[18:19]
	s_cbranch_execz .LBB34_72
; %bb.61:
	s_mov_b32 s20, 0x41200000
	v_cmp_gt_f32_e32 vcc, s20, v13
	s_and_saveexec_b64 s[16:17], vcc
	s_cbranch_execz .LBB34_65
; %bb.62:
	s_mov_b64 s[18:19], 0
.LBB34_63:                              ; =>This Inner Loop Header: Depth=1
	v_div_scale_f32 v6, s[22:23], v13, v13, 1.0
	v_div_scale_f32 v7, vcc, 1.0, v13, 1.0
	v_rcp_f32_e32 v10, v6
	v_fma_f32 v11, -v6, v10, 1.0
	v_fmac_f32_e32 v10, v11, v10
	v_mul_f32_e32 v11, v7, v10
	v_fma_f32 v12, -v6, v11, v7
	v_fmac_f32_e32 v11, v12, v10
	v_fma_f32 v6, -v6, v11, v7
	v_div_fmas_f32 v6, v6, v10, v11
	v_div_fixup_f32 v6, v6, v13, 1.0
	v_add_f32_e32 v13, 1.0, v13
	v_cmp_ngt_f32_e32 vcc, s20, v13
	s_or_b64 s[18:19], vcc, s[18:19]
	v_sub_f32_e32 v9, v9, v6
	s_andn2_b64 exec, exec, s[18:19]
	s_cbranch_execnz .LBB34_63
; %bb.64:
	s_or_b64 exec, exec, s[18:19]
.LBB34_65:
	s_or_b64 exec, exec, s[16:17]
	s_mov_b32 s16, 0x41200000
	v_cmp_neq_f32_e32 vcc, s16, v13
                                        ; implicit-def: $vgpr6_vgpr7
	s_and_saveexec_b64 s[16:17], vcc
	s_xor_b64 s[16:17], exec, s[16:17]
	s_cbranch_execz .LBB34_69
; %bb.66:
	v_cvt_f64_f32_e32 v[6:7], v13
	s_mov_b32 s18, 0x85d8a000
	s_mov_b32 s19, 0x43763457
	v_cmp_gt_f64_e32 vcc, s[18:19], v[6:7]
	v_mov_b32_e32 v6, 0
	s_and_saveexec_b64 s[18:19], vcc
	s_cbranch_execz .LBB34_68
; %bb.67:
	v_mul_f32_e32 v6, v13, v13
	v_div_scale_f32 v7, s[20:21], v6, v6, 1.0
	v_div_scale_f32 v10, vcc, 1.0, v6, 1.0
	v_mov_b32_e32 v15, 0x3b820821
	v_rcp_f32_e32 v11, v7
	v_fma_f32 v12, -v7, v11, 1.0
	v_fmac_f32_e32 v11, v12, v11
	v_mul_f32_e32 v12, v10, v11
	v_fma_f32 v14, -v7, v12, v10
	v_fmac_f32_e32 v12, v14, v11
	v_fma_f32 v7, -v7, v12, v10
	v_div_fmas_f32 v7, v7, v11, v12
	v_mov_b32_e32 v10, 0x3daaaaab
	v_mov_b32_e32 v11, 0xbcaccacd
	v_mov_b32_e32 v12, 0x3bf83e10
	v_mov_b32_e32 v14, 0xbb888889
	v_div_fixup_f32 v6, v7, v6, 1.0
	v_fma_f32 v7, 0, v6, v10
	v_fmac_f32_e32 v11, v6, v7
	v_fmac_f32_e32 v12, v6, v11
	;; [unrolled: 1-line block ×4, first 2 shown]
	v_mov_b32_e32 v7, 0xbc088889
	v_fmac_f32_e32 v7, v6, v15
	v_fmac_f32_e32 v10, v6, v7
	v_mul_f32_e32 v6, v6, v10
.LBB34_68:
	s_or_b64 exec, exec, s[18:19]
	v_div_scale_f32 v7, s[18:19], v13, v13, -0.5
	v_div_scale_f32 v10, vcc, -0.5, v13, -0.5
	s_mov_b32 s18, 0x800000
	s_mov_b32 s19, 0x3f317217
	;; [unrolled: 1-line block ×3, first 2 shown]
	v_rcp_f32_e32 v11, v7
	v_fma_f32 v12, -v7, v11, 1.0
	v_fmac_f32_e32 v11, v12, v11
	v_mul_f32_e32 v12, v10, v11
	v_fma_f32 v14, -v7, v12, v10
	v_fmac_f32_e32 v12, v14, v11
	v_fma_f32 v7, -v7, v12, v10
	v_div_fmas_f32 v7, v7, v11, v12
	v_cmp_gt_f32_e32 vcc, s18, v13
	v_cndmask_b32_e64 v11, 0, 32, vcc
	v_ldexp_f32 v11, v13, v11
	v_log_f32_e32 v11, v11
	v_mov_b32_e32 v10, 0x41b17218
	v_cndmask_b32_e32 v10, 0, v10, vcc
	s_movk_i32 s18, 0x7fff
	v_mul_f32_e32 v14, 0x3f317217, v11
	v_fma_f32 v14, v11, s19, -v14
	v_fmac_f32_e32 v14, 0x3377d1cf, v11
	v_fmac_f32_e32 v14, 0x3f317217, v11
	v_cmp_lt_f32_e64 vcc, |v11|, s20
	v_cndmask_b32_e32 v11, v11, v14, vcc
	v_sub_f32_e32 v10, v11, v10
	v_mov_b32_e32 v12, 0x7fc0
	v_div_fixup_f32 v7, v7, v13, -0.5
	v_add_f32_e32 v7, v10, v7
	v_sub_f32_e32 v6, v7, v6
	v_add_f32_e32 v6, v9, v6
	v_bfe_u32 v7, v6, 16, 1
	v_cmp_o_f32_e32 vcc, v6, v6
	v_add3_u32 v6, v6, v7, s18
	v_cndmask_b32_sdwa v6, v12, v6, vcc dst_sel:DWORD dst_unused:UNUSED_PAD src0_sel:DWORD src1_sel:WORD_1
                                        ; implicit-def: $vgpr9
.LBB34_69:
	s_andn2_saveexec_b64 s[16:17], s[16:17]
; %bb.70:
	v_add_f32_e32 v6, 0x40101cb7, v9
	v_bfe_u32 v7, v6, 16, 1
	s_movk_i32 s18, 0x7fff
	v_add3_u32 v7, v6, v7, s18
	v_cmp_o_f32_e32 vcc, v6, v6
	v_mov_b32_e32 v6, 0x7fc0
	v_cndmask_b32_sdwa v6, v6, v7, vcc dst_sel:DWORD dst_unused:UNUSED_PAD src0_sel:DWORD src1_sel:WORD_1
; %bb.71:
	s_or_b64 exec, exec, s[16:17]
.LBB34_72:
	s_or_b64 exec, exec, s[4:5]
                                        ; implicit-def: $vgpr13
.LBB34_73:
	s_andn2_saveexec_b64 s[4:5], s[14:15]
; %bb.74:
	v_xor_b32_e32 v6, 0x80000000, v13
	v_and_b32_e32 v6, 0x80000000, v6
	v_or_b32_e32 v6, 0x7f800000, v6
	v_lshrrev_b32_e32 v6, 16, v6
; %bb.75:
	s_or_b64 exec, exec, s[4:5]
	v_and_b32_e32 v13, 0xffff0000, v8
	v_cmp_neq_f32_e32 vcc, 0, v13
                                        ; implicit-def: $vgpr7_vgpr8
	s_and_saveexec_b64 s[4:5], vcc
	s_xor_b64 s[14:15], exec, s[4:5]
	s_cbranch_execz .LBB34_97
; %bb.76:
	v_mov_b32_e32 v9, 0
	v_cmp_gt_f32_e32 vcc, 0, v13
	s_mov_b64 s[18:19], -1
	s_and_saveexec_b64 s[16:17], vcc
	s_cbranch_execz .LBB34_84
; %bb.77:
	v_trunc_f32_e32 v7, v13
	v_cmp_neq_f32_e32 vcc, v7, v13
	s_mov_b64 s[20:21], 0
	v_mov_b32_e32 v9, 0
	s_and_saveexec_b64 s[18:19], vcc
	s_cbranch_execz .LBB34_83
; %bb.78:
	v_cvt_f64_f32_e32 v[7:8], v13
	s_mov_b32 s22, 0
	s_mov_b32 s5, 0xc00921fb
	;; [unrolled: 1-line block ×3, first 2 shown]
	v_trunc_f64_e32 v[9:10], v[7:8]
	s_mov_b32 s23, 0x7ff00000
	v_cmp_neq_f64_e64 vcc, |v[7:8]|, s[22:23]
	v_bfrev_b32_e32 v11, 1
	s_mov_b32 s20, 0
	s_mov_b32 s21, 0x41d00000
                                        ; implicit-def: $vgpr14
	v_add_f64 v[9:10], v[7:8], -v[9:10]
	v_mul_f64 v[9:10], |v[9:10]|, s[4:5]
	v_cndmask_b32_e32 v8, v11, v10, vcc
	v_cndmask_b32_e32 v7, 0, v9, vcc
	v_cmp_nlt_f64_e64 s[20:21], |v[7:8]|, s[20:21]
                                        ; implicit-def: $vgpr9_vgpr10
                                        ; implicit-def: $vgpr11_vgpr12
	s_and_saveexec_b64 s[24:25], s[20:21]
	s_xor_b64 s[20:21], exec, s[24:25]
	s_cbranch_execz .LBB34_80
; %bb.79:
	v_trig_preop_f64 v[9:10], |v[7:8]|, 0
	s_mov_b32 s24, 0
	s_mov_b32 s25, 0x7b000000
	s_movk_i32 s5, 0xff80
	v_ldexp_f64 v[14:15], |v[7:8]|, s5
	v_cmp_ge_f64_e64 vcc, |v[7:8]|, s[24:25]
	v_trig_preop_f64 v[11:12], |v[7:8]|, 1
	v_and_b32_e32 v16, 0x7fffffff, v8
	v_trig_preop_f64 v[24:25], |v[7:8]|, 2
	v_mov_b32_e32 v34, 0
	s_mov_b32 s5, 0x3ff921fb
	v_cndmask_b32_e32 v15, v16, v15, vcc
	v_cndmask_b32_e32 v14, v7, v14, vcc
	v_mov_b32_e32 v16, 0x40100000
	v_mul_f64 v[18:19], v[9:10], v[14:15]
	v_mul_f64 v[20:21], v[11:12], v[14:15]
	;; [unrolled: 1-line block ×3, first 2 shown]
	v_fma_f64 v[9:10], v[9:10], v[14:15], -v[18:19]
	v_fma_f64 v[11:12], v[11:12], v[14:15], -v[20:21]
	;; [unrolled: 1-line block ×3, first 2 shown]
	v_add_f64 v[22:23], v[20:21], v[9:10]
	v_add_f64 v[26:27], v[22:23], -v[20:21]
	v_add_f64 v[32:33], v[18:19], v[22:23]
	v_add_f64 v[28:29], v[22:23], -v[26:27]
	v_add_f64 v[9:10], v[9:10], -v[26:27]
	v_add_f64 v[26:27], v[30:31], v[11:12]
	v_add_f64 v[18:19], v[32:33], -v[18:19]
	v_add_f64 v[20:21], v[20:21], -v[28:29]
	v_ldexp_f64 v[28:29], v[32:33], -2
	v_add_f64 v[36:37], v[26:27], -v[30:31]
	v_add_f64 v[18:19], v[22:23], -v[18:19]
	v_add_f64 v[9:10], v[9:10], v[20:21]
	v_fract_f64_e32 v[20:21], v[28:29]
	v_cmp_neq_f64_e64 vcc, |v[28:29]|, s[22:23]
	v_add_f64 v[11:12], v[11:12], -v[36:37]
	s_mov_b32 s22, 0x33145c07
	s_mov_b32 s23, 0x3c91a626
	v_add_f64 v[22:23], v[26:27], v[9:10]
	v_ldexp_f64 v[20:21], v[20:21], 2
	v_add_f64 v[28:29], v[18:19], v[22:23]
	v_cndmask_b32_e32 v21, 0, v21, vcc
	v_cndmask_b32_e32 v20, 0, v20, vcc
	v_add_f64 v[38:39], v[22:23], -v[26:27]
	v_add_f64 v[32:33], v[28:29], v[20:21]
	v_add_f64 v[18:19], v[28:29], -v[18:19]
	v_add_f64 v[40:41], v[22:23], -v[38:39]
	;; [unrolled: 1-line block ×3, first 2 shown]
	v_cmp_gt_f64_e32 vcc, 0, v[32:33]
	v_add_f64 v[32:33], v[26:27], -v[36:37]
	v_add_f64 v[18:19], v[22:23], -v[18:19]
	;; [unrolled: 1-line block ×3, first 2 shown]
	v_cndmask_b32_e32 v35, 0, v16, vcc
	v_add_f64 v[20:21], v[20:21], v[34:35]
	v_add_f64 v[32:33], v[30:31], -v[32:33]
	v_add_f64 v[9:10], v[9:10], v[26:27]
	v_add_f64 v[42:43], v[28:29], v[20:21]
	;; [unrolled: 1-line block ×3, first 2 shown]
	v_cvt_i32_f64_e32 v16, v[42:43]
	v_add_f64 v[9:10], v[11:12], v[9:10]
	v_cvt_f64_i32_e32 v[35:36], v16
	v_add_f64 v[20:21], v[20:21], -v[35:36]
	v_add_f64 v[9:10], v[14:15], v[9:10]
	v_add_f64 v[11:12], v[28:29], v[20:21]
	;; [unrolled: 1-line block ×3, first 2 shown]
	v_mov_b32_e32 v18, 0x3ff00000
	v_add_f64 v[14:15], v[11:12], -v[20:21]
	v_cmp_le_f64_e32 vcc, 0.5, v[11:12]
	v_add_f64 v[14:15], v[28:29], -v[14:15]
	v_cndmask_b32_e32 v35, 0, v18, vcc
	v_add_f64 v[11:12], v[11:12], -v[34:35]
	v_add_f64 v[9:10], v[9:10], v[14:15]
	v_add_f64 v[14:15], v[11:12], v[9:10]
	v_mul_f64 v[18:19], v[14:15], s[4:5]
	v_add_f64 v[11:12], v[14:15], -v[11:12]
	v_fma_f64 v[20:21], v[14:15], s[4:5], -v[18:19]
	v_add_f64 v[9:10], v[9:10], -v[11:12]
	v_fma_f64 v[11:12], v[14:15], s[22:23], v[20:21]
	v_fma_f64 v[11:12], v[9:10], s[4:5], v[11:12]
	v_add_f64 v[9:10], v[18:19], v[11:12]
	v_add_f64 v[14:15], v[9:10], -v[18:19]
	v_add_f64 v[11:12], v[11:12], -v[14:15]
	v_addc_co_u32_e32 v14, vcc, 0, v16, vcc
.LBB34_80:
	s_andn2_saveexec_b64 s[4:5], s[20:21]
	s_cbranch_execz .LBB34_82
; %bb.81:
	s_mov_b32 s20, 0x6dc9c883
	s_mov_b32 s21, 0x3fe45f30
	v_mul_f64 v[9:10], |v[7:8]|, s[20:21]
	s_mov_b32 s20, 0x54442d18
	s_mov_b32 s21, 0xbff921fb
	;; [unrolled: 1-line block ×4, first 2 shown]
	v_rndne_f64_e32 v[14:15], v[9:10]
	v_fma_f64 v[9:10], v[14:15], s[20:21], |v[7:8]|
	v_mul_f64 v[11:12], v[14:15], s[22:23]
	s_mov_b32 s20, 0x252049c0
	s_mov_b32 s21, 0xb97b839a
	v_fma_f64 v[22:23], v[14:15], s[22:23], v[9:10]
	v_add_f64 v[18:19], v[9:10], v[11:12]
	s_mov_b32 s23, 0x3c91a626
	v_add_f64 v[20:21], v[9:10], -v[18:19]
	v_add_f64 v[18:19], v[18:19], -v[22:23]
	v_add_f64 v[9:10], v[20:21], v[11:12]
	v_fma_f64 v[11:12], v[14:15], s[22:23], v[11:12]
	v_add_f64 v[9:10], v[18:19], v[9:10]
	v_add_f64 v[9:10], v[9:10], -v[11:12]
	v_fma_f64 v[11:12], v[14:15], s[20:21], v[9:10]
	v_cvt_i32_f64_e32 v14, v[14:15]
	v_add_f64 v[9:10], v[22:23], v[11:12]
	v_add_f64 v[18:19], v[9:10], -v[22:23]
	v_add_f64 v[11:12], v[11:12], -v[18:19]
.LBB34_82:
	s_or_b64 exec, exec, s[4:5]
	v_mul_f64 v[15:16], v[9:10], v[9:10]
	v_add_f64 v[18:19], v[11:12], v[11:12]
	s_mov_b32 s4, 0xc751c08c
	s_mov_b32 s5, 0x3ef5e089
	v_and_b32_e32 v14, 1, v14
	v_cmp_eq_u32_e32 vcc, 0, v14
	s_mov_b32 s22, 0x54442d18
	s_mov_b32 s23, 0xc00921fb
	v_fma_f64 v[20:21], v[9:10], v[9:10], -v[15:16]
	s_mov_b64 s[20:21], exec
	v_sub_f32_e32 v13, 1.0, v13
	v_fma_f64 v[18:19], v[9:10], v[18:19], v[20:21]
	v_add_f64 v[15:16], v[15:16], v[18:19]
	v_mov_b32_e32 v18, 0xa9a29f71
	v_mov_b32_e32 v19, 0xbf078809
	v_fma_f64 v[18:19], v[15:16], s[4:5], v[18:19]
	s_mov_b32 s4, 0x90a8aae0
	s_mov_b32 s5, 0x3f17746f
	v_fma_f64 v[18:19], v[15:16], v[18:19], s[4:5]
	s_mov_b32 s4, 0xa6fbf144
	s_mov_b32 s5, 0xbefbb44d
	;; [unrolled: 3-line block ×12, first 2 shown]
	v_fma_f64 v[18:19], v[15:16], v[18:19], s[4:5]
	s_movk_i32 s4, 0x1f8
	v_cmp_class_f64_e64 s[4:5], v[7:8], s4
	v_mul_f64 v[15:16], v[15:16], v[18:19]
	v_mul_f64 v[18:19], v[9:10], v[15:16]
	v_add_f64 v[20:21], v[9:10], v[18:19]
	v_fma_f64 v[15:16], v[9:10], v[15:16], -v[18:19]
	v_add_f64 v[9:10], v[20:21], -v[9:10]
	v_add_f64 v[11:12], v[11:12], v[15:16]
	v_add_f64 v[9:10], v[18:19], -v[9:10]
	v_add_f64 v[9:10], v[11:12], v[9:10]
	v_add_f64 v[11:12], v[20:21], v[9:10]
	v_rcp_f64_e32 v[15:16], v[11:12]
	v_fma_f64 v[18:19], -v[11:12], v[15:16], 1.0
	v_fma_f64 v[15:16], v[18:19], v[15:16], v[15:16]
	v_fma_f64 v[18:19], -v[11:12], v[15:16], 1.0
	v_fma_f64 v[15:16], v[18:19], v[15:16], v[15:16]
	v_add_f64 v[18:19], v[11:12], -v[20:21]
	v_mul_f64 v[20:21], v[11:12], v[15:16]
	v_add_f64 v[9:10], v[9:10], -v[18:19]
	v_fma_f64 v[18:19], v[15:16], v[11:12], -v[20:21]
	v_fma_f64 v[9:10], v[15:16], v[9:10], v[18:19]
	v_add_f64 v[18:19], v[20:21], v[9:10]
	v_add_f64 v[22:23], -v[18:19], 1.0
	v_add_f64 v[20:21], v[18:19], -v[20:21]
	v_add_f64 v[24:25], -v[22:23], 1.0
	v_add_f64 v[9:10], v[20:21], -v[9:10]
	v_add_f64 v[18:19], v[24:25], -v[18:19]
	v_add_f64 v[9:10], v[9:10], v[18:19]
	v_add_f64 v[9:10], v[22:23], v[9:10]
	v_mul_f64 v[9:10], v[15:16], v[9:10]
	v_add_f64 v[9:10], v[15:16], v[9:10]
	v_and_b32_e32 v15, 0x80000000, v8
	v_mov_b32_e32 v8, 0x7ff80000
	v_xor_b32_e32 v7, 0x80000000, v10
	v_cndmask_b32_e32 v9, v9, v11, vcc
	v_cndmask_b32_e32 v10, v7, v12, vcc
	v_cndmask_b32_e64 v7, 0, v9, s[4:5]
	v_xor_b32_e32 v9, v10, v15
	v_cndmask_b32_e64 v8, v8, v9, s[4:5]
	v_div_scale_f64 v[9:10], s[4:5], v[7:8], v[7:8], s[22:23]
	v_div_scale_f64 v[18:19], vcc, s[22:23], v[7:8], s[22:23]
	v_rcp_f64_e32 v[11:12], v[9:10]
	v_fma_f64 v[14:15], -v[9:10], v[11:12], 1.0
	v_fma_f64 v[11:12], v[11:12], v[14:15], v[11:12]
	v_fma_f64 v[14:15], -v[9:10], v[11:12], 1.0
	v_fma_f64 v[11:12], v[11:12], v[14:15], v[11:12]
	v_mul_f64 v[14:15], v[18:19], v[11:12]
	v_fma_f64 v[9:10], -v[9:10], v[14:15], v[18:19]
	v_div_fmas_f64 v[9:10], v[9:10], v[11:12], v[14:15]
	v_div_fixup_f64 v[7:8], v[9:10], v[7:8], s[22:23]
	v_cvt_f32_f64_e32 v9, v[7:8]
.LBB34_83:
	s_or_b64 exec, exec, s[18:19]
	s_orn2_b64 s[18:19], s[20:21], exec
.LBB34_84:
	s_or_b64 exec, exec, s[16:17]
	v_mov_b32_e32 v7, 0x7fc0
	v_mov_b32_e32 v8, 0
	s_and_saveexec_b64 s[4:5], s[18:19]
	s_cbranch_execz .LBB34_96
; %bb.85:
	s_mov_b32 s20, 0x41200000
	v_cmp_gt_f32_e32 vcc, s20, v13
	s_and_saveexec_b64 s[16:17], vcc
	s_cbranch_execz .LBB34_89
; %bb.86:
	s_mov_b64 s[18:19], 0
.LBB34_87:                              ; =>This Inner Loop Header: Depth=1
	v_div_scale_f32 v7, s[22:23], v13, v13, 1.0
	v_div_scale_f32 v8, vcc, 1.0, v13, 1.0
	v_rcp_f32_e32 v10, v7
	v_fma_f32 v11, -v7, v10, 1.0
	v_fmac_f32_e32 v10, v11, v10
	v_mul_f32_e32 v11, v8, v10
	v_fma_f32 v12, -v7, v11, v8
	v_fmac_f32_e32 v11, v12, v10
	v_fma_f32 v7, -v7, v11, v8
	v_div_fmas_f32 v7, v7, v10, v11
	v_div_fixup_f32 v7, v7, v13, 1.0
	v_add_f32_e32 v13, 1.0, v13
	v_cmp_ngt_f32_e32 vcc, s20, v13
	s_or_b64 s[18:19], vcc, s[18:19]
	v_sub_f32_e32 v9, v9, v7
	s_andn2_b64 exec, exec, s[18:19]
	s_cbranch_execnz .LBB34_87
; %bb.88:
	s_or_b64 exec, exec, s[18:19]
.LBB34_89:
	s_or_b64 exec, exec, s[16:17]
	s_mov_b32 s16, 0x41200000
	v_cmp_neq_f32_e32 vcc, s16, v13
                                        ; implicit-def: $vgpr7_vgpr8
	s_and_saveexec_b64 s[16:17], vcc
	s_xor_b64 s[16:17], exec, s[16:17]
	s_cbranch_execz .LBB34_93
; %bb.90:
	v_cvt_f64_f32_e32 v[7:8], v13
	s_mov_b32 s18, 0x85d8a000
	s_mov_b32 s19, 0x43763457
	v_cmp_gt_f64_e32 vcc, s[18:19], v[7:8]
	v_mov_b32_e32 v7, 0
	s_and_saveexec_b64 s[18:19], vcc
	s_cbranch_execz .LBB34_92
; %bb.91:
	v_mul_f32_e32 v7, v13, v13
	v_div_scale_f32 v8, s[20:21], v7, v7, 1.0
	v_div_scale_f32 v10, vcc, 1.0, v7, 1.0
	v_mov_b32_e32 v15, 0x3b820821
	v_rcp_f32_e32 v11, v8
	v_fma_f32 v12, -v8, v11, 1.0
	v_fmac_f32_e32 v11, v12, v11
	v_mul_f32_e32 v12, v10, v11
	v_fma_f32 v14, -v8, v12, v10
	v_fmac_f32_e32 v12, v14, v11
	v_fma_f32 v8, -v8, v12, v10
	v_div_fmas_f32 v8, v8, v11, v12
	v_mov_b32_e32 v10, 0x3daaaaab
	v_mov_b32_e32 v11, 0xbcaccacd
	;; [unrolled: 1-line block ×4, first 2 shown]
	v_div_fixup_f32 v7, v8, v7, 1.0
	v_fma_f32 v8, 0, v7, v10
	v_fmac_f32_e32 v11, v7, v8
	v_fmac_f32_e32 v12, v7, v11
	;; [unrolled: 1-line block ×4, first 2 shown]
	v_mov_b32_e32 v8, 0xbc088889
	v_fmac_f32_e32 v8, v7, v15
	v_fmac_f32_e32 v10, v7, v8
	v_mul_f32_e32 v7, v7, v10
.LBB34_92:
	s_or_b64 exec, exec, s[18:19]
	v_div_scale_f32 v8, s[18:19], v13, v13, -0.5
	v_div_scale_f32 v10, vcc, -0.5, v13, -0.5
	s_mov_b32 s18, 0x800000
	s_mov_b32 s19, 0x3f317217
	;; [unrolled: 1-line block ×3, first 2 shown]
	v_rcp_f32_e32 v11, v8
	v_fma_f32 v12, -v8, v11, 1.0
	v_fmac_f32_e32 v11, v12, v11
	v_mul_f32_e32 v12, v10, v11
	v_fma_f32 v14, -v8, v12, v10
	v_fmac_f32_e32 v12, v14, v11
	v_fma_f32 v8, -v8, v12, v10
	v_div_fmas_f32 v8, v8, v11, v12
	v_cmp_gt_f32_e32 vcc, s18, v13
	v_cndmask_b32_e64 v11, 0, 32, vcc
	v_ldexp_f32 v11, v13, v11
	v_log_f32_e32 v11, v11
	v_mov_b32_e32 v10, 0x41b17218
	v_cndmask_b32_e32 v10, 0, v10, vcc
	s_movk_i32 s18, 0x7fff
	v_mul_f32_e32 v14, 0x3f317217, v11
	v_fma_f32 v14, v11, s19, -v14
	v_fmac_f32_e32 v14, 0x3377d1cf, v11
	v_fmac_f32_e32 v14, 0x3f317217, v11
	v_cmp_lt_f32_e64 vcc, |v11|, s20
	v_cndmask_b32_e32 v11, v11, v14, vcc
	v_sub_f32_e32 v10, v11, v10
	v_mov_b32_e32 v12, 0x7fc0
	v_div_fixup_f32 v8, v8, v13, -0.5
	v_add_f32_e32 v8, v10, v8
	v_sub_f32_e32 v7, v8, v7
	v_add_f32_e32 v7, v9, v7
	v_bfe_u32 v8, v7, 16, 1
	v_cmp_o_f32_e32 vcc, v7, v7
	v_add3_u32 v7, v7, v8, s18
	v_cndmask_b32_sdwa v7, v12, v7, vcc dst_sel:DWORD dst_unused:UNUSED_PAD src0_sel:DWORD src1_sel:WORD_1
                                        ; implicit-def: $vgpr9
.LBB34_93:
	s_andn2_saveexec_b64 s[16:17], s[16:17]
; %bb.94:
	v_add_f32_e32 v7, 0x40101cb7, v9
	v_bfe_u32 v8, v7, 16, 1
	s_movk_i32 s18, 0x7fff
	v_add3_u32 v8, v7, v8, s18
	v_cmp_o_f32_e32 vcc, v7, v7
	v_mov_b32_e32 v7, 0x7fc0
	v_cndmask_b32_sdwa v7, v7, v8, vcc dst_sel:DWORD dst_unused:UNUSED_PAD src0_sel:DWORD src1_sel:WORD_1
; %bb.95:
	s_or_b64 exec, exec, s[16:17]
.LBB34_96:
	s_or_b64 exec, exec, s[4:5]
                                        ; implicit-def: $vgpr13
.LBB34_97:
	s_andn2_saveexec_b64 s[4:5], s[14:15]
; %bb.98:
	v_xor_b32_e32 v7, 0x80000000, v13
	v_and_b32_e32 v7, 0x80000000, v7
	v_or_b32_e32 v7, 0x7f800000, v7
	v_lshrrev_b32_e32 v7, 16, v7
; %bb.99:
	s_or_b64 exec, exec, s[4:5]
	s_waitcnt vmcnt(0)
	v_lshlrev_b32_e32 v14, 16, v3
	v_cmp_neq_f32_e32 vcc, 0, v14
                                        ; implicit-def: $vgpr8_vgpr9
	s_and_saveexec_b64 s[4:5], vcc
	s_xor_b64 s[14:15], exec, s[4:5]
	s_cbranch_execz .LBB34_121
; %bb.100:
	v_mov_b32_e32 v10, 0
	v_cmp_gt_f32_e32 vcc, 0, v14
	s_mov_b64 s[18:19], -1
	s_and_saveexec_b64 s[16:17], vcc
	s_cbranch_execz .LBB34_108
; %bb.101:
	v_trunc_f32_e32 v8, v14
	v_cmp_neq_f32_e32 vcc, v8, v14
	s_mov_b64 s[20:21], 0
	v_mov_b32_e32 v10, 0
	s_and_saveexec_b64 s[18:19], vcc
	s_cbranch_execz .LBB34_107
; %bb.102:
	v_cvt_f64_f32_e32 v[8:9], v14
	s_mov_b32 s22, 0
	s_mov_b32 s5, 0xc00921fb
	;; [unrolled: 1-line block ×3, first 2 shown]
	v_trunc_f64_e32 v[10:11], v[8:9]
	s_mov_b32 s23, 0x7ff00000
	v_cmp_neq_f64_e64 vcc, |v[8:9]|, s[22:23]
	v_bfrev_b32_e32 v12, 1
	s_mov_b32 s20, 0
	s_mov_b32 s21, 0x41d00000
                                        ; implicit-def: $vgpr15
	v_add_f64 v[10:11], v[8:9], -v[10:11]
	v_mul_f64 v[10:11], |v[10:11]|, s[4:5]
	v_cndmask_b32_e32 v9, v12, v11, vcc
	v_cndmask_b32_e32 v8, 0, v10, vcc
	v_cmp_nlt_f64_e64 s[20:21], |v[8:9]|, s[20:21]
                                        ; implicit-def: $vgpr10_vgpr11
                                        ; implicit-def: $vgpr12_vgpr13
	s_and_saveexec_b64 s[24:25], s[20:21]
	s_xor_b64 s[20:21], exec, s[24:25]
	s_cbranch_execz .LBB34_104
; %bb.103:
	v_trig_preop_f64 v[10:11], |v[8:9]|, 0
	s_mov_b32 s24, 0
	s_mov_b32 s25, 0x7b000000
	s_movk_i32 s5, 0xff80
	v_ldexp_f64 v[15:16], |v[8:9]|, s5
	v_cmp_ge_f64_e64 vcc, |v[8:9]|, s[24:25]
	v_trig_preop_f64 v[12:13], |v[8:9]|, 1
	v_and_b32_e32 v18, 0x7fffffff, v9
	v_trig_preop_f64 v[24:25], |v[8:9]|, 2
	v_mov_b32_e32 v35, 0x40100000
	v_mov_b32_e32 v34, 0
	s_mov_b32 s5, 0x3ff921fb
	v_cndmask_b32_e32 v16, v18, v16, vcc
	v_cndmask_b32_e32 v15, v8, v15, vcc
	v_mul_f64 v[18:19], v[10:11], v[15:16]
	v_mul_f64 v[20:21], v[12:13], v[15:16]
	v_mul_f64 v[30:31], v[24:25], v[15:16]
	v_fma_f64 v[10:11], v[10:11], v[15:16], -v[18:19]
	v_fma_f64 v[12:13], v[12:13], v[15:16], -v[20:21]
	;; [unrolled: 1-line block ×3, first 2 shown]
	v_add_f64 v[22:23], v[20:21], v[10:11]
	v_add_f64 v[26:27], v[22:23], -v[20:21]
	v_add_f64 v[32:33], v[18:19], v[22:23]
	v_add_f64 v[28:29], v[22:23], -v[26:27]
	v_add_f64 v[10:11], v[10:11], -v[26:27]
	v_add_f64 v[26:27], v[30:31], v[12:13]
	v_add_f64 v[18:19], v[32:33], -v[18:19]
	v_add_f64 v[20:21], v[20:21], -v[28:29]
	v_ldexp_f64 v[28:29], v[32:33], -2
	v_add_f64 v[36:37], v[26:27], -v[30:31]
	v_add_f64 v[18:19], v[22:23], -v[18:19]
	v_add_f64 v[10:11], v[10:11], v[20:21]
	v_fract_f64_e32 v[20:21], v[28:29]
	v_cmp_neq_f64_e64 vcc, |v[28:29]|, s[22:23]
	v_add_f64 v[12:13], v[12:13], -v[36:37]
	s_mov_b32 s22, 0x33145c07
	s_mov_b32 s23, 0x3c91a626
	v_add_f64 v[22:23], v[26:27], v[10:11]
	v_ldexp_f64 v[20:21], v[20:21], 2
	v_add_f64 v[28:29], v[18:19], v[22:23]
	v_cndmask_b32_e32 v21, 0, v21, vcc
	v_cndmask_b32_e32 v20, 0, v20, vcc
	v_add_f64 v[38:39], v[22:23], -v[26:27]
	v_add_f64 v[32:33], v[28:29], v[20:21]
	v_add_f64 v[18:19], v[28:29], -v[18:19]
	v_add_f64 v[40:41], v[22:23], -v[38:39]
	;; [unrolled: 1-line block ×3, first 2 shown]
	v_cmp_gt_f64_e32 vcc, 0, v[32:33]
	v_add_f64 v[32:33], v[26:27], -v[36:37]
	v_add_f64 v[18:19], v[22:23], -v[18:19]
	;; [unrolled: 1-line block ×3, first 2 shown]
	v_cndmask_b32_e32 v35, 0, v35, vcc
	v_add_f64 v[20:21], v[20:21], v[34:35]
	v_add_f64 v[32:33], v[30:31], -v[32:33]
	v_add_f64 v[10:11], v[10:11], v[26:27]
	v_add_f64 v[42:43], v[28:29], v[20:21]
	;; [unrolled: 1-line block ×3, first 2 shown]
	v_cvt_i32_f64_e32 v37, v[42:43]
	v_add_f64 v[10:11], v[12:13], v[10:11]
	v_cvt_f64_i32_e32 v[35:36], v37
	v_add_f64 v[20:21], v[20:21], -v[35:36]
	v_add_f64 v[10:11], v[15:16], v[10:11]
	v_add_f64 v[12:13], v[28:29], v[20:21]
	v_add_f64 v[10:11], v[18:19], v[10:11]
	v_mov_b32_e32 v18, 0x3ff00000
	v_add_f64 v[15:16], v[12:13], -v[20:21]
	v_cmp_le_f64_e32 vcc, 0.5, v[12:13]
	v_add_f64 v[15:16], v[28:29], -v[15:16]
	v_cndmask_b32_e32 v35, 0, v18, vcc
	v_add_f64 v[12:13], v[12:13], -v[34:35]
	v_add_f64 v[10:11], v[10:11], v[15:16]
	v_add_f64 v[15:16], v[12:13], v[10:11]
	v_mul_f64 v[18:19], v[15:16], s[4:5]
	v_add_f64 v[12:13], v[15:16], -v[12:13]
	v_fma_f64 v[20:21], v[15:16], s[4:5], -v[18:19]
	v_add_f64 v[10:11], v[10:11], -v[12:13]
	v_fma_f64 v[12:13], v[15:16], s[22:23], v[20:21]
	v_fma_f64 v[12:13], v[10:11], s[4:5], v[12:13]
	v_add_f64 v[10:11], v[18:19], v[12:13]
	v_add_f64 v[15:16], v[10:11], -v[18:19]
	v_add_f64 v[12:13], v[12:13], -v[15:16]
	v_addc_co_u32_e32 v15, vcc, 0, v37, vcc
.LBB34_104:
	s_andn2_saveexec_b64 s[4:5], s[20:21]
	s_cbranch_execz .LBB34_106
; %bb.105:
	s_mov_b32 s20, 0x6dc9c883
	s_mov_b32 s21, 0x3fe45f30
	v_mul_f64 v[10:11], |v[8:9]|, s[20:21]
	s_mov_b32 s20, 0x54442d18
	s_mov_b32 s21, 0xbff921fb
	;; [unrolled: 1-line block ×4, first 2 shown]
	v_rndne_f64_e32 v[15:16], v[10:11]
	v_fma_f64 v[10:11], v[15:16], s[20:21], |v[8:9]|
	v_mul_f64 v[12:13], v[15:16], s[22:23]
	s_mov_b32 s20, 0x252049c0
	s_mov_b32 s21, 0xb97b839a
	v_fma_f64 v[22:23], v[15:16], s[22:23], v[10:11]
	v_add_f64 v[18:19], v[10:11], v[12:13]
	s_mov_b32 s23, 0x3c91a626
	v_add_f64 v[20:21], v[10:11], -v[18:19]
	v_add_f64 v[18:19], v[18:19], -v[22:23]
	v_add_f64 v[10:11], v[20:21], v[12:13]
	v_fma_f64 v[12:13], v[15:16], s[22:23], v[12:13]
	v_add_f64 v[10:11], v[18:19], v[10:11]
	v_add_f64 v[10:11], v[10:11], -v[12:13]
	v_fma_f64 v[12:13], v[15:16], s[20:21], v[10:11]
	v_cvt_i32_f64_e32 v15, v[15:16]
	v_add_f64 v[10:11], v[22:23], v[12:13]
	v_add_f64 v[18:19], v[10:11], -v[22:23]
	v_add_f64 v[12:13], v[12:13], -v[18:19]
.LBB34_106:
	s_or_b64 exec, exec, s[4:5]
	v_mul_f64 v[18:19], v[10:11], v[10:11]
	v_add_f64 v[20:21], v[12:13], v[12:13]
	s_mov_b32 s4, 0xc751c08c
	s_mov_b32 s5, 0x3ef5e089
	v_and_b32_e32 v15, 1, v15
	v_cmp_eq_u32_e32 vcc, 0, v15
	v_and_b32_e32 v16, 0x80000000, v9
	s_mov_b32 s22, 0x54442d18
	v_fma_f64 v[22:23], v[10:11], v[10:11], -v[18:19]
	s_mov_b32 s23, 0xc00921fb
	s_mov_b64 s[20:21], exec
	v_sub_f32_e32 v14, 1.0, v14
	v_fma_f64 v[20:21], v[10:11], v[20:21], v[22:23]
	v_add_f64 v[18:19], v[18:19], v[20:21]
	v_mov_b32_e32 v20, 0xa9a29f71
	v_mov_b32_e32 v21, 0xbf078809
	v_fma_f64 v[20:21], v[18:19], s[4:5], v[20:21]
	s_mov_b32 s4, 0x90a8aae0
	s_mov_b32 s5, 0x3f17746f
	v_fma_f64 v[20:21], v[18:19], v[20:21], s[4:5]
	s_mov_b32 s4, 0xa6fbf144
	s_mov_b32 s5, 0xbefbb44d
	;; [unrolled: 3-line block ×12, first 2 shown]
	v_fma_f64 v[20:21], v[18:19], v[20:21], s[4:5]
	s_movk_i32 s4, 0x1f8
	v_cmp_class_f64_e64 s[4:5], v[8:9], s4
	v_mov_b32_e32 v9, 0x7ff80000
	v_mul_f64 v[18:19], v[18:19], v[20:21]
	v_mul_f64 v[20:21], v[10:11], v[18:19]
	v_add_f64 v[22:23], v[10:11], v[20:21]
	v_fma_f64 v[18:19], v[10:11], v[18:19], -v[20:21]
	v_add_f64 v[10:11], v[22:23], -v[10:11]
	v_add_f64 v[12:13], v[12:13], v[18:19]
	v_add_f64 v[10:11], v[20:21], -v[10:11]
	v_add_f64 v[10:11], v[12:13], v[10:11]
	v_add_f64 v[12:13], v[22:23], v[10:11]
	v_rcp_f64_e32 v[18:19], v[12:13]
	v_fma_f64 v[20:21], -v[12:13], v[18:19], 1.0
	v_fma_f64 v[18:19], v[20:21], v[18:19], v[18:19]
	v_fma_f64 v[20:21], -v[12:13], v[18:19], 1.0
	v_fma_f64 v[18:19], v[20:21], v[18:19], v[18:19]
	v_add_f64 v[20:21], v[12:13], -v[22:23]
	v_mul_f64 v[22:23], v[12:13], v[18:19]
	v_add_f64 v[10:11], v[10:11], -v[20:21]
	v_fma_f64 v[20:21], v[18:19], v[12:13], -v[22:23]
	v_fma_f64 v[10:11], v[18:19], v[10:11], v[20:21]
	v_add_f64 v[20:21], v[22:23], v[10:11]
	v_add_f64 v[24:25], -v[20:21], 1.0
	v_add_f64 v[22:23], v[20:21], -v[22:23]
	v_add_f64 v[26:27], -v[24:25], 1.0
	v_add_f64 v[10:11], v[22:23], -v[10:11]
	v_add_f64 v[20:21], v[26:27], -v[20:21]
	v_add_f64 v[10:11], v[10:11], v[20:21]
	v_add_f64 v[10:11], v[24:25], v[10:11]
	v_mul_f64 v[10:11], v[18:19], v[10:11]
	v_add_f64 v[10:11], v[18:19], v[10:11]
	v_xor_b32_e32 v8, 0x80000000, v11
	v_cndmask_b32_e32 v10, v10, v12, vcc
	v_cndmask_b32_e32 v11, v8, v13, vcc
	v_cndmask_b32_e64 v8, 0, v10, s[4:5]
	v_xor_b32_e32 v10, v11, v16
	v_cndmask_b32_e64 v9, v9, v10, s[4:5]
	v_div_scale_f64 v[10:11], s[4:5], v[8:9], v[8:9], s[22:23]
	v_div_scale_f64 v[18:19], vcc, s[22:23], v[8:9], s[22:23]
	v_rcp_f64_e32 v[12:13], v[10:11]
	v_fma_f64 v[15:16], -v[10:11], v[12:13], 1.0
	v_fma_f64 v[12:13], v[12:13], v[15:16], v[12:13]
	v_fma_f64 v[15:16], -v[10:11], v[12:13], 1.0
	v_fma_f64 v[12:13], v[12:13], v[15:16], v[12:13]
	v_mul_f64 v[15:16], v[18:19], v[12:13]
	v_fma_f64 v[10:11], -v[10:11], v[15:16], v[18:19]
	v_div_fmas_f64 v[10:11], v[10:11], v[12:13], v[15:16]
	v_div_fixup_f64 v[8:9], v[10:11], v[8:9], s[22:23]
	v_cvt_f32_f64_e32 v10, v[8:9]
.LBB34_107:
	s_or_b64 exec, exec, s[18:19]
	s_orn2_b64 s[18:19], s[20:21], exec
.LBB34_108:
	s_or_b64 exec, exec, s[16:17]
	v_mov_b32_e32 v8, 0x7fc0
	v_mov_b32_e32 v9, 0
	s_and_saveexec_b64 s[4:5], s[18:19]
	s_cbranch_execz .LBB34_120
; %bb.109:
	s_mov_b32 s20, 0x41200000
	v_cmp_gt_f32_e32 vcc, s20, v14
	s_and_saveexec_b64 s[16:17], vcc
	s_cbranch_execz .LBB34_113
; %bb.110:
	s_mov_b64 s[18:19], 0
.LBB34_111:                             ; =>This Inner Loop Header: Depth=1
	v_div_scale_f32 v8, s[22:23], v14, v14, 1.0
	v_div_scale_f32 v9, vcc, 1.0, v14, 1.0
	v_rcp_f32_e32 v11, v8
	v_fma_f32 v12, -v8, v11, 1.0
	v_fmac_f32_e32 v11, v12, v11
	v_mul_f32_e32 v12, v9, v11
	v_fma_f32 v13, -v8, v12, v9
	v_fmac_f32_e32 v12, v13, v11
	v_fma_f32 v8, -v8, v12, v9
	v_div_fmas_f32 v8, v8, v11, v12
	v_div_fixup_f32 v8, v8, v14, 1.0
	v_add_f32_e32 v14, 1.0, v14
	v_cmp_ngt_f32_e32 vcc, s20, v14
	s_or_b64 s[18:19], vcc, s[18:19]
	v_sub_f32_e32 v10, v10, v8
	s_andn2_b64 exec, exec, s[18:19]
	s_cbranch_execnz .LBB34_111
; %bb.112:
	s_or_b64 exec, exec, s[18:19]
.LBB34_113:
	s_or_b64 exec, exec, s[16:17]
	s_mov_b32 s16, 0x41200000
	v_cmp_neq_f32_e32 vcc, s16, v14
                                        ; implicit-def: $vgpr8_vgpr9
	s_and_saveexec_b64 s[16:17], vcc
	s_xor_b64 s[16:17], exec, s[16:17]
	s_cbranch_execz .LBB34_117
; %bb.114:
	v_cvt_f64_f32_e32 v[8:9], v14
	s_mov_b32 s18, 0x85d8a000
	s_mov_b32 s19, 0x43763457
	v_cmp_gt_f64_e32 vcc, s[18:19], v[8:9]
	v_mov_b32_e32 v9, 0
	v_mov_b32_e32 v8, 0
	s_and_saveexec_b64 s[18:19], vcc
	s_cbranch_execz .LBB34_116
; %bb.115:
	v_mul_f32_e32 v8, v14, v14
	v_div_scale_f32 v11, s[20:21], v8, v8, 1.0
	v_div_scale_f32 v12, vcc, 1.0, v8, 1.0
	v_mov_b32_e32 v18, 0x3b820821
	v_rcp_f32_e32 v13, v11
	v_fma_f32 v15, -v11, v13, 1.0
	v_fmac_f32_e32 v13, v15, v13
	v_mul_f32_e32 v15, v12, v13
	v_fma_f32 v16, -v11, v15, v12
	v_fmac_f32_e32 v15, v16, v13
	v_fma_f32 v11, -v11, v15, v12
	v_div_fmas_f32 v11, v11, v13, v15
	v_mov_b32_e32 v12, 0x3daaaaab
	v_mov_b32_e32 v13, 0xbcaccacd
	;; [unrolled: 1-line block ×4, first 2 shown]
	v_div_fixup_f32 v8, v11, v8, 1.0
	v_fma_f32 v11, 0, v8, v12
	v_fmac_f32_e32 v13, v8, v11
	v_fmac_f32_e32 v15, v8, v13
	;; [unrolled: 1-line block ×4, first 2 shown]
	v_mov_b32_e32 v11, 0xbc088889
	v_fmac_f32_e32 v11, v8, v18
	v_fmac_f32_e32 v12, v8, v11
	v_mul_f32_e32 v8, v8, v12
.LBB34_116:
	s_or_b64 exec, exec, s[18:19]
	v_div_scale_f32 v11, s[18:19], v14, v14, -0.5
	v_div_scale_f32 v12, vcc, -0.5, v14, -0.5
	s_mov_b32 s18, 0x800000
	s_mov_b32 s19, 0x3f317217
	;; [unrolled: 1-line block ×3, first 2 shown]
	v_rcp_f32_e32 v13, v11
	v_fma_f32 v15, -v11, v13, 1.0
	v_fmac_f32_e32 v13, v15, v13
	v_mul_f32_e32 v15, v12, v13
	v_fma_f32 v16, -v11, v15, v12
	v_fmac_f32_e32 v15, v16, v13
	v_fma_f32 v11, -v11, v15, v12
	v_div_fmas_f32 v11, v11, v13, v15
	v_cmp_gt_f32_e32 vcc, s18, v14
	v_cndmask_b32_e64 v13, 0, 32, vcc
	v_ldexp_f32 v13, v14, v13
	v_log_f32_e32 v13, v13
	v_mov_b32_e32 v12, 0x41b17218
	v_cndmask_b32_e32 v12, 0, v12, vcc
	s_movk_i32 s18, 0x7fff
	v_mul_f32_e32 v16, 0x3f317217, v13
	v_fma_f32 v16, v13, s19, -v16
	v_fmac_f32_e32 v16, 0x3377d1cf, v13
	v_fmac_f32_e32 v16, 0x3f317217, v13
	v_cmp_lt_f32_e64 vcc, |v13|, s20
	v_cndmask_b32_e32 v13, v13, v16, vcc
	v_sub_f32_e32 v12, v13, v12
	v_mov_b32_e32 v15, 0x7fc0
	v_div_fixup_f32 v11, v11, v14, -0.5
	v_add_f32_e32 v11, v12, v11
	v_sub_f32_e32 v8, v11, v8
	v_add_f32_e32 v8, v10, v8
	v_bfe_u32 v10, v8, 16, 1
	v_cmp_o_f32_e32 vcc, v8, v8
	v_add3_u32 v8, v8, v10, s18
	v_cndmask_b32_sdwa v8, v15, v8, vcc dst_sel:DWORD dst_unused:UNUSED_PAD src0_sel:DWORD src1_sel:WORD_1
                                        ; implicit-def: $vgpr10
.LBB34_117:
	s_andn2_saveexec_b64 s[16:17], s[16:17]
; %bb.118:
	v_add_f32_e32 v8, 0x40101cb7, v10
	v_bfe_u32 v9, v8, 16, 1
	s_movk_i32 s18, 0x7fff
	v_add3_u32 v10, v8, v9, s18
	v_cmp_o_f32_e32 vcc, v8, v8
	v_mov_b32_e32 v8, 0x7fc0
	v_mov_b32_e32 v9, 0
	v_cndmask_b32_sdwa v8, v8, v10, vcc dst_sel:DWORD dst_unused:UNUSED_PAD src0_sel:DWORD src1_sel:WORD_1
; %bb.119:
	s_or_b64 exec, exec, s[16:17]
.LBB34_120:
	s_or_b64 exec, exec, s[4:5]
                                        ; implicit-def: $vgpr14
.LBB34_121:
	s_andn2_saveexec_b64 s[4:5], s[14:15]
; %bb.122:
	v_xor_b32_e32 v8, 0x80000000, v14
	v_and_b32_e32 v8, 0x80000000, v8
	v_or_b32_e32 v8, 0x7f800000, v8
	v_lshrrev_b32_e32 v8, 16, v8
	v_mov_b32_e32 v9, 0
; %bb.123:
	s_or_b64 exec, exec, s[4:5]
	v_and_b32_e32 v3, 0xffff0000, v3
	v_cmp_neq_f32_e32 vcc, 0, v3
                                        ; implicit-def: $vgpr10_vgpr11
	s_and_saveexec_b64 s[4:5], vcc
	s_xor_b64 s[14:15], exec, s[4:5]
	s_cbranch_execz .LBB34_145
; %bb.124:
	v_mov_b32_e32 v12, 0
	v_cmp_gt_f32_e32 vcc, 0, v3
	s_mov_b64 s[18:19], -1
	s_and_saveexec_b64 s[16:17], vcc
	s_cbranch_execz .LBB34_132
; %bb.125:
	v_trunc_f32_e32 v10, v3
	v_cmp_neq_f32_e32 vcc, v10, v3
	s_mov_b64 s[20:21], 0
	v_mov_b32_e32 v12, 0
	s_and_saveexec_b64 s[18:19], vcc
	s_cbranch_execz .LBB34_131
; %bb.126:
	v_cvt_f64_f32_e32 v[10:11], v3
	s_mov_b32 s22, 0
	s_mov_b32 s5, 0xc00921fb
	;; [unrolled: 1-line block ×3, first 2 shown]
	v_trunc_f64_e32 v[12:13], v[10:11]
	s_mov_b32 s23, 0x7ff00000
	v_cmp_neq_f64_e64 vcc, |v[10:11]|, s[22:23]
	v_bfrev_b32_e32 v14, 1
	s_mov_b32 s20, 0
	s_mov_b32 s21, 0x41d00000
                                        ; implicit-def: $vgpr16
	v_add_f64 v[12:13], v[10:11], -v[12:13]
	v_mul_f64 v[12:13], |v[12:13]|, s[4:5]
	v_cndmask_b32_e32 v11, v14, v13, vcc
	v_cndmask_b32_e32 v10, 0, v12, vcc
	v_cmp_nlt_f64_e64 s[20:21], |v[10:11]|, s[20:21]
                                        ; implicit-def: $vgpr12_vgpr13
                                        ; implicit-def: $vgpr14_vgpr15
	s_and_saveexec_b64 s[24:25], s[20:21]
	s_xor_b64 s[20:21], exec, s[24:25]
	s_cbranch_execz .LBB34_128
; %bb.127:
	v_trig_preop_f64 v[12:13], |v[10:11]|, 0
	s_mov_b32 s24, 0
	s_mov_b32 s25, 0x7b000000
	s_movk_i32 s5, 0xff80
	v_ldexp_f64 v[18:19], |v[10:11]|, s5
	v_cmp_ge_f64_e64 vcc, |v[10:11]|, s[24:25]
	v_trig_preop_f64 v[14:15], |v[10:11]|, 1
	v_and_b32_e32 v16, 0x7fffffff, v11
	v_trig_preop_f64 v[26:27], |v[10:11]|, 2
	v_mov_b32_e32 v36, 0
	s_mov_b32 s5, 0x3ff921fb
	v_cndmask_b32_e32 v19, v16, v19, vcc
	v_cndmask_b32_e32 v18, v10, v18, vcc
	v_mov_b32_e32 v16, 0x40100000
	v_mul_f64 v[20:21], v[12:13], v[18:19]
	v_mul_f64 v[22:23], v[14:15], v[18:19]
	;; [unrolled: 1-line block ×3, first 2 shown]
	v_fma_f64 v[12:13], v[12:13], v[18:19], -v[20:21]
	v_fma_f64 v[14:15], v[14:15], v[18:19], -v[22:23]
	;; [unrolled: 1-line block ×3, first 2 shown]
	v_add_f64 v[24:25], v[22:23], v[12:13]
	v_add_f64 v[28:29], v[24:25], -v[22:23]
	v_add_f64 v[34:35], v[20:21], v[24:25]
	v_add_f64 v[30:31], v[24:25], -v[28:29]
	v_add_f64 v[12:13], v[12:13], -v[28:29]
	v_add_f64 v[28:29], v[32:33], v[14:15]
	v_add_f64 v[20:21], v[34:35], -v[20:21]
	v_add_f64 v[22:23], v[22:23], -v[30:31]
	v_ldexp_f64 v[30:31], v[34:35], -2
	v_add_f64 v[38:39], v[28:29], -v[32:33]
	v_add_f64 v[20:21], v[24:25], -v[20:21]
	v_add_f64 v[12:13], v[12:13], v[22:23]
	v_fract_f64_e32 v[22:23], v[30:31]
	v_cmp_neq_f64_e64 vcc, |v[30:31]|, s[22:23]
	v_add_f64 v[14:15], v[14:15], -v[38:39]
	s_mov_b32 s22, 0x33145c07
	s_mov_b32 s23, 0x3c91a626
	v_add_f64 v[24:25], v[28:29], v[12:13]
	v_ldexp_f64 v[22:23], v[22:23], 2
	v_add_f64 v[30:31], v[20:21], v[24:25]
	v_cndmask_b32_e32 v23, 0, v23, vcc
	v_cndmask_b32_e32 v22, 0, v22, vcc
	v_add_f64 v[40:41], v[24:25], -v[28:29]
	v_add_f64 v[34:35], v[30:31], v[22:23]
	v_add_f64 v[20:21], v[30:31], -v[20:21]
	v_add_f64 v[42:43], v[24:25], -v[40:41]
	;; [unrolled: 1-line block ×3, first 2 shown]
	v_cmp_gt_f64_e32 vcc, 0, v[34:35]
	v_add_f64 v[34:35], v[28:29], -v[38:39]
	v_add_f64 v[20:21], v[24:25], -v[20:21]
	;; [unrolled: 1-line block ×3, first 2 shown]
	v_cndmask_b32_e32 v37, 0, v16, vcc
	v_add_f64 v[22:23], v[22:23], v[36:37]
	v_add_f64 v[34:35], v[32:33], -v[34:35]
	v_add_f64 v[12:13], v[12:13], v[28:29]
	v_add_f64 v[44:45], v[30:31], v[22:23]
	;; [unrolled: 1-line block ×3, first 2 shown]
	v_cvt_i32_f64_e32 v16, v[44:45]
	v_add_f64 v[12:13], v[14:15], v[12:13]
	v_cvt_f64_i32_e32 v[37:38], v16
	v_add_f64 v[22:23], v[22:23], -v[37:38]
	v_add_f64 v[12:13], v[18:19], v[12:13]
	v_add_f64 v[14:15], v[30:31], v[22:23]
	;; [unrolled: 1-line block ×3, first 2 shown]
	v_mov_b32_e32 v20, 0x3ff00000
	v_add_f64 v[18:19], v[14:15], -v[22:23]
	v_cmp_le_f64_e32 vcc, 0.5, v[14:15]
	v_add_f64 v[18:19], v[30:31], -v[18:19]
	v_cndmask_b32_e32 v37, 0, v20, vcc
	v_add_f64 v[14:15], v[14:15], -v[36:37]
	v_addc_co_u32_e32 v16, vcc, 0, v16, vcc
	v_add_f64 v[12:13], v[12:13], v[18:19]
	v_add_f64 v[18:19], v[14:15], v[12:13]
	v_mul_f64 v[20:21], v[18:19], s[4:5]
	v_add_f64 v[14:15], v[18:19], -v[14:15]
	v_fma_f64 v[22:23], v[18:19], s[4:5], -v[20:21]
	v_add_f64 v[12:13], v[12:13], -v[14:15]
	v_fma_f64 v[14:15], v[18:19], s[22:23], v[22:23]
	v_fma_f64 v[14:15], v[12:13], s[4:5], v[14:15]
	v_add_f64 v[12:13], v[20:21], v[14:15]
	v_add_f64 v[18:19], v[12:13], -v[20:21]
	v_add_f64 v[14:15], v[14:15], -v[18:19]
.LBB34_128:
	s_andn2_saveexec_b64 s[4:5], s[20:21]
	s_cbranch_execz .LBB34_130
; %bb.129:
	s_mov_b32 s20, 0x6dc9c883
	s_mov_b32 s21, 0x3fe45f30
	v_mul_f64 v[12:13], |v[10:11]|, s[20:21]
	s_mov_b32 s20, 0x54442d18
	s_mov_b32 s21, 0xbff921fb
	;; [unrolled: 1-line block ×4, first 2 shown]
	v_rndne_f64_e32 v[18:19], v[12:13]
	v_fma_f64 v[12:13], v[18:19], s[20:21], |v[10:11]|
	v_mul_f64 v[14:15], v[18:19], s[22:23]
	s_mov_b32 s20, 0x252049c0
	s_mov_b32 s21, 0xb97b839a
	v_cvt_i32_f64_e32 v16, v[18:19]
	v_fma_f64 v[24:25], v[18:19], s[22:23], v[12:13]
	v_add_f64 v[20:21], v[12:13], v[14:15]
	s_mov_b32 s23, 0x3c91a626
	v_add_f64 v[22:23], v[12:13], -v[20:21]
	v_add_f64 v[20:21], v[20:21], -v[24:25]
	v_add_f64 v[12:13], v[22:23], v[14:15]
	v_fma_f64 v[14:15], v[18:19], s[22:23], v[14:15]
	v_add_f64 v[12:13], v[20:21], v[12:13]
	v_add_f64 v[12:13], v[12:13], -v[14:15]
	v_fma_f64 v[14:15], v[18:19], s[20:21], v[12:13]
	v_add_f64 v[12:13], v[24:25], v[14:15]
	v_add_f64 v[20:21], v[12:13], -v[24:25]
	v_add_f64 v[14:15], v[14:15], -v[20:21]
.LBB34_130:
	s_or_b64 exec, exec, s[4:5]
	v_mul_f64 v[18:19], v[12:13], v[12:13]
	v_add_f64 v[20:21], v[14:15], v[14:15]
	s_mov_b32 s4, 0xc751c08c
	s_mov_b32 s5, 0x3ef5e089
	v_and_b32_e32 v16, 1, v16
	v_cmp_eq_u32_e32 vcc, 0, v16
	s_mov_b32 s22, 0x54442d18
	s_mov_b32 s23, 0xc00921fb
	v_fma_f64 v[22:23], v[12:13], v[12:13], -v[18:19]
	s_mov_b64 s[20:21], exec
	v_sub_f32_e32 v3, 1.0, v3
	v_fma_f64 v[20:21], v[12:13], v[20:21], v[22:23]
	v_add_f64 v[18:19], v[18:19], v[20:21]
	v_mov_b32_e32 v20, 0xa9a29f71
	v_mov_b32_e32 v21, 0xbf078809
	v_fma_f64 v[20:21], v[18:19], s[4:5], v[20:21]
	s_mov_b32 s4, 0x90a8aae0
	s_mov_b32 s5, 0x3f17746f
	v_fma_f64 v[20:21], v[18:19], v[20:21], s[4:5]
	s_mov_b32 s4, 0xa6fbf144
	s_mov_b32 s5, 0xbefbb44d
	;; [unrolled: 3-line block ×12, first 2 shown]
	v_fma_f64 v[20:21], v[18:19], v[20:21], s[4:5]
	s_movk_i32 s4, 0x1f8
	v_cmp_class_f64_e64 s[4:5], v[10:11], s4
	v_mul_f64 v[18:19], v[18:19], v[20:21]
	v_mul_f64 v[20:21], v[12:13], v[18:19]
	v_add_f64 v[22:23], v[12:13], v[20:21]
	v_fma_f64 v[18:19], v[12:13], v[18:19], -v[20:21]
	v_add_f64 v[12:13], v[22:23], -v[12:13]
	v_add_f64 v[14:15], v[14:15], v[18:19]
	v_add_f64 v[12:13], v[20:21], -v[12:13]
	v_add_f64 v[12:13], v[14:15], v[12:13]
	v_add_f64 v[14:15], v[22:23], v[12:13]
	v_rcp_f64_e32 v[18:19], v[14:15]
	v_fma_f64 v[20:21], -v[14:15], v[18:19], 1.0
	v_fma_f64 v[18:19], v[20:21], v[18:19], v[18:19]
	v_fma_f64 v[20:21], -v[14:15], v[18:19], 1.0
	v_fma_f64 v[18:19], v[20:21], v[18:19], v[18:19]
	v_add_f64 v[20:21], v[14:15], -v[22:23]
	v_mul_f64 v[22:23], v[14:15], v[18:19]
	v_add_f64 v[12:13], v[12:13], -v[20:21]
	v_fma_f64 v[20:21], v[18:19], v[14:15], -v[22:23]
	v_fma_f64 v[12:13], v[18:19], v[12:13], v[20:21]
	v_add_f64 v[20:21], v[22:23], v[12:13]
	v_add_f64 v[24:25], -v[20:21], 1.0
	v_add_f64 v[22:23], v[20:21], -v[22:23]
	v_add_f64 v[26:27], -v[24:25], 1.0
	v_add_f64 v[12:13], v[22:23], -v[12:13]
	v_add_f64 v[20:21], v[26:27], -v[20:21]
	v_add_f64 v[12:13], v[12:13], v[20:21]
	v_add_f64 v[12:13], v[24:25], v[12:13]
	v_mul_f64 v[12:13], v[18:19], v[12:13]
	v_add_f64 v[12:13], v[18:19], v[12:13]
	v_and_b32_e32 v18, 0x80000000, v11
	v_mov_b32_e32 v11, 0x7ff80000
	v_xor_b32_e32 v10, 0x80000000, v13
	v_cndmask_b32_e32 v12, v12, v14, vcc
	v_cndmask_b32_e32 v13, v10, v15, vcc
	v_cndmask_b32_e64 v10, 0, v12, s[4:5]
	v_xor_b32_e32 v12, v13, v18
	v_cndmask_b32_e64 v11, v11, v12, s[4:5]
	v_div_scale_f64 v[12:13], s[4:5], v[10:11], v[10:11], s[22:23]
	v_div_scale_f64 v[20:21], vcc, s[22:23], v[10:11], s[22:23]
	v_rcp_f64_e32 v[14:15], v[12:13]
	v_fma_f64 v[18:19], -v[12:13], v[14:15], 1.0
	v_fma_f64 v[14:15], v[14:15], v[18:19], v[14:15]
	v_fma_f64 v[18:19], -v[12:13], v[14:15], 1.0
	v_fma_f64 v[14:15], v[14:15], v[18:19], v[14:15]
	v_mul_f64 v[18:19], v[20:21], v[14:15]
	v_fma_f64 v[12:13], -v[12:13], v[18:19], v[20:21]
	v_div_fmas_f64 v[12:13], v[12:13], v[14:15], v[18:19]
	v_div_fixup_f64 v[10:11], v[12:13], v[10:11], s[22:23]
	v_cvt_f32_f64_e32 v12, v[10:11]
.LBB34_131:
	s_or_b64 exec, exec, s[18:19]
	s_orn2_b64 s[18:19], s[20:21], exec
.LBB34_132:
	s_or_b64 exec, exec, s[16:17]
	v_mov_b32_e32 v10, 0x7fc0
	v_mov_b32_e32 v11, 0
	s_and_saveexec_b64 s[4:5], s[18:19]
	s_cbranch_execz .LBB34_144
; %bb.133:
	s_mov_b32 s20, 0x41200000
	v_cmp_gt_f32_e32 vcc, s20, v3
	s_and_saveexec_b64 s[16:17], vcc
	s_cbranch_execz .LBB34_137
; %bb.134:
	s_mov_b64 s[18:19], 0
.LBB34_135:                             ; =>This Inner Loop Header: Depth=1
	v_div_scale_f32 v10, s[22:23], v3, v3, 1.0
	v_div_scale_f32 v11, vcc, 1.0, v3, 1.0
	v_rcp_f32_e32 v13, v10
	v_fma_f32 v14, -v10, v13, 1.0
	v_fmac_f32_e32 v13, v14, v13
	v_mul_f32_e32 v14, v11, v13
	v_fma_f32 v15, -v10, v14, v11
	v_fmac_f32_e32 v14, v15, v13
	v_fma_f32 v10, -v10, v14, v11
	v_div_fmas_f32 v10, v10, v13, v14
	v_div_fixup_f32 v10, v10, v3, 1.0
	v_add_f32_e32 v3, 1.0, v3
	v_cmp_ngt_f32_e32 vcc, s20, v3
	s_or_b64 s[18:19], vcc, s[18:19]
	v_sub_f32_e32 v12, v12, v10
	s_andn2_b64 exec, exec, s[18:19]
	s_cbranch_execnz .LBB34_135
; %bb.136:
	s_or_b64 exec, exec, s[18:19]
.LBB34_137:
	s_or_b64 exec, exec, s[16:17]
	s_mov_b32 s16, 0x41200000
	v_cmp_neq_f32_e32 vcc, s16, v3
                                        ; implicit-def: $vgpr10_vgpr11
	s_and_saveexec_b64 s[16:17], vcc
	s_xor_b64 s[16:17], exec, s[16:17]
	s_cbranch_execz .LBB34_141
; %bb.138:
	v_cvt_f64_f32_e32 v[10:11], v3
	s_mov_b32 s18, 0x85d8a000
	s_mov_b32 s19, 0x43763457
	v_cmp_gt_f64_e32 vcc, s[18:19], v[10:11]
	v_mov_b32_e32 v10, 0
	s_and_saveexec_b64 s[18:19], vcc
	s_cbranch_execz .LBB34_140
; %bb.139:
	v_mul_f32_e32 v10, v3, v3
	v_div_scale_f32 v11, s[20:21], v10, v10, 1.0
	v_div_scale_f32 v13, vcc, 1.0, v10, 1.0
	v_mov_b32_e32 v18, 0x3b820821
	v_rcp_f32_e32 v14, v11
	v_fma_f32 v15, -v11, v14, 1.0
	v_fmac_f32_e32 v14, v15, v14
	v_mul_f32_e32 v15, v13, v14
	v_fma_f32 v16, -v11, v15, v13
	v_fmac_f32_e32 v15, v16, v14
	v_fma_f32 v11, -v11, v15, v13
	v_div_fmas_f32 v11, v11, v14, v15
	v_mov_b32_e32 v13, 0x3daaaaab
	v_mov_b32_e32 v14, 0xbcaccacd
	v_mov_b32_e32 v15, 0x3bf83e10
	v_mov_b32_e32 v16, 0xbb888889
	v_div_fixup_f32 v10, v11, v10, 1.0
	v_fma_f32 v11, 0, v10, v13
	v_fmac_f32_e32 v14, v10, v11
	v_fmac_f32_e32 v15, v10, v14
	;; [unrolled: 1-line block ×4, first 2 shown]
	v_mov_b32_e32 v11, 0xbc088889
	v_fmac_f32_e32 v11, v10, v18
	v_fmac_f32_e32 v13, v10, v11
	v_mul_f32_e32 v10, v10, v13
.LBB34_140:
	s_or_b64 exec, exec, s[18:19]
	v_div_scale_f32 v11, s[18:19], v3, v3, -0.5
	v_div_scale_f32 v13, vcc, -0.5, v3, -0.5
	s_mov_b32 s18, 0x800000
	s_mov_b32 s19, 0x3f317217
	;; [unrolled: 1-line block ×3, first 2 shown]
	v_rcp_f32_e32 v14, v11
	v_fma_f32 v15, -v11, v14, 1.0
	v_fmac_f32_e32 v14, v15, v14
	v_mul_f32_e32 v15, v13, v14
	v_fma_f32 v16, -v11, v15, v13
	v_fmac_f32_e32 v15, v16, v14
	v_fma_f32 v11, -v11, v15, v13
	v_div_fmas_f32 v11, v11, v14, v15
	v_cmp_gt_f32_e32 vcc, s18, v3
	v_cndmask_b32_e64 v14, 0, 32, vcc
	v_ldexp_f32 v14, v3, v14
	v_log_f32_e32 v14, v14
	v_mov_b32_e32 v13, 0x41b17218
	v_cndmask_b32_e32 v13, 0, v13, vcc
	s_movk_i32 s18, 0x7fff
	v_mul_f32_e32 v16, 0x3f317217, v14
	v_fma_f32 v16, v14, s19, -v16
	v_fmac_f32_e32 v16, 0x3377d1cf, v14
	v_fmac_f32_e32 v16, 0x3f317217, v14
	v_cmp_lt_f32_e64 vcc, |v14|, s20
	v_cndmask_b32_e32 v14, v14, v16, vcc
	v_sub_f32_e32 v13, v14, v13
	v_mov_b32_e32 v15, 0x7fc0
	v_div_fixup_f32 v3, v11, v3, -0.5
	v_add_f32_e32 v3, v13, v3
	v_sub_f32_e32 v3, v3, v10
	v_add_f32_e32 v3, v12, v3
	v_bfe_u32 v10, v3, 16, 1
	v_cmp_o_f32_e32 vcc, v3, v3
	v_add3_u32 v3, v3, v10, s18
	v_cndmask_b32_sdwa v10, v15, v3, vcc dst_sel:DWORD dst_unused:UNUSED_PAD src0_sel:DWORD src1_sel:WORD_1
                                        ; implicit-def: $vgpr12
.LBB34_141:
	s_andn2_saveexec_b64 s[16:17], s[16:17]
; %bb.142:
	v_add_f32_e32 v3, 0x40101cb7, v12
	v_bfe_u32 v10, v3, 16, 1
	s_movk_i32 s18, 0x7fff
	v_add3_u32 v10, v3, v10, s18
	v_cmp_o_f32_e32 vcc, v3, v3
	v_mov_b32_e32 v3, 0x7fc0
	v_cndmask_b32_sdwa v10, v3, v10, vcc dst_sel:DWORD dst_unused:UNUSED_PAD src0_sel:DWORD src1_sel:WORD_1
; %bb.143:
	s_or_b64 exec, exec, s[16:17]
.LBB34_144:
	s_or_b64 exec, exec, s[4:5]
                                        ; implicit-def: $vgpr3
.LBB34_145:
	s_andn2_saveexec_b64 s[4:5], s[14:15]
; %bb.146:
	v_xor_b32_e32 v3, 0x80000000, v3
	v_and_b32_e32 v3, 0x80000000, v3
	v_or_b32_e32 v3, 0x7f800000, v3
	v_lshrrev_b32_e32 v10, 16, v3
; %bb.147:
	s_or_b64 exec, exec, s[4:5]
	v_lshlrev_b32_e32 v3, 16, v4
	v_cmp_neq_f32_e32 vcc, 0, v3
                                        ; implicit-def: $vgpr11_vgpr12
	s_and_saveexec_b64 s[4:5], vcc
	s_xor_b64 s[14:15], exec, s[4:5]
	s_cbranch_execz .LBB34_169
; %bb.148:
	v_mov_b32_e32 v13, 0
	v_cmp_gt_f32_e32 vcc, 0, v3
	s_mov_b64 s[18:19], -1
	s_and_saveexec_b64 s[16:17], vcc
	s_cbranch_execz .LBB34_156
; %bb.149:
	v_trunc_f32_e32 v11, v3
	v_cmp_neq_f32_e32 vcc, v11, v3
	s_mov_b64 s[20:21], 0
	v_mov_b32_e32 v13, 0
	s_and_saveexec_b64 s[18:19], vcc
	s_cbranch_execz .LBB34_155
; %bb.150:
	v_cvt_f64_f32_e32 v[11:12], v3
	s_mov_b32 s4, 0
	s_mov_b32 s21, 0xc00921fb
	;; [unrolled: 1-line block ×3, first 2 shown]
	v_trunc_f64_e32 v[13:14], v[11:12]
	s_mov_b32 s5, 0x7ff00000
	v_cmp_neq_f64_e64 vcc, |v[11:12]|, s[4:5]
	v_bfrev_b32_e32 v15, 1
	s_mov_b32 s22, 0
	s_mov_b32 s23, 0x41d00000
                                        ; implicit-def: $vgpr18
	v_add_f64 v[13:14], v[11:12], -v[13:14]
	v_mul_f64 v[13:14], |v[13:14]|, s[20:21]
	v_cndmask_b32_e32 v12, v15, v14, vcc
	v_cndmask_b32_e32 v11, 0, v13, vcc
	v_cmp_nlt_f64_e64 s[22:23], |v[11:12]|, s[22:23]
                                        ; implicit-def: $vgpr13_vgpr14
                                        ; implicit-def: $vgpr15_vgpr16
	s_and_saveexec_b64 s[24:25], s[22:23]
	s_xor_b64 s[22:23], exec, s[24:25]
	s_cbranch_execz .LBB34_152
; %bb.151:
	v_trig_preop_f64 v[13:14], |v[11:12]|, 0
	s_mov_b32 s24, 0
	s_mov_b32 s25, 0x7b000000
	s_movk_i32 s21, 0xff80
	v_ldexp_f64 v[18:19], |v[11:12]|, s21
	v_cmp_ge_f64_e64 vcc, |v[11:12]|, s[24:25]
	v_trig_preop_f64 v[15:16], |v[11:12]|, 1
	v_and_b32_e32 v20, 0x7fffffff, v12
	v_trig_preop_f64 v[26:27], |v[11:12]|, 2
	v_mov_b32_e32 v37, 0x40100000
	v_mov_b32_e32 v36, 0
	s_mov_b32 s21, 0x3ff921fb
	v_cndmask_b32_e32 v19, v20, v19, vcc
	v_cndmask_b32_e32 v18, v11, v18, vcc
	v_mul_f64 v[20:21], v[13:14], v[18:19]
	v_mul_f64 v[22:23], v[15:16], v[18:19]
	;; [unrolled: 1-line block ×3, first 2 shown]
	v_fma_f64 v[13:14], v[13:14], v[18:19], -v[20:21]
	v_fma_f64 v[15:16], v[15:16], v[18:19], -v[22:23]
	v_fma_f64 v[18:19], v[26:27], v[18:19], -v[32:33]
	v_add_f64 v[24:25], v[22:23], v[13:14]
	v_add_f64 v[28:29], v[24:25], -v[22:23]
	v_add_f64 v[34:35], v[20:21], v[24:25]
	v_add_f64 v[30:31], v[24:25], -v[28:29]
	v_add_f64 v[13:14], v[13:14], -v[28:29]
	v_add_f64 v[28:29], v[32:33], v[15:16]
	v_add_f64 v[20:21], v[34:35], -v[20:21]
	v_add_f64 v[22:23], v[22:23], -v[30:31]
	v_ldexp_f64 v[30:31], v[34:35], -2
	v_add_f64 v[38:39], v[28:29], -v[32:33]
	v_add_f64 v[20:21], v[24:25], -v[20:21]
	v_add_f64 v[13:14], v[13:14], v[22:23]
	v_fract_f64_e32 v[22:23], v[30:31]
	v_cmp_neq_f64_e64 vcc, |v[30:31]|, s[4:5]
	v_add_f64 v[15:16], v[15:16], -v[38:39]
	v_add_f64 v[24:25], v[28:29], v[13:14]
	v_ldexp_f64 v[22:23], v[22:23], 2
	v_add_f64 v[30:31], v[20:21], v[24:25]
	v_cndmask_b32_e32 v23, 0, v23, vcc
	v_cndmask_b32_e32 v22, 0, v22, vcc
	v_add_f64 v[40:41], v[24:25], -v[28:29]
	v_add_f64 v[34:35], v[30:31], v[22:23]
	v_add_f64 v[20:21], v[30:31], -v[20:21]
	v_add_f64 v[42:43], v[24:25], -v[40:41]
	;; [unrolled: 1-line block ×3, first 2 shown]
	v_cmp_gt_f64_e32 vcc, 0, v[34:35]
	v_add_f64 v[34:35], v[28:29], -v[38:39]
	v_add_f64 v[20:21], v[24:25], -v[20:21]
	;; [unrolled: 1-line block ×3, first 2 shown]
	v_cndmask_b32_e32 v37, 0, v37, vcc
	v_add_f64 v[22:23], v[22:23], v[36:37]
	v_add_f64 v[34:35], v[32:33], -v[34:35]
	v_add_f64 v[13:14], v[13:14], v[28:29]
	v_add_f64 v[44:45], v[30:31], v[22:23]
	;; [unrolled: 1-line block ×3, first 2 shown]
	v_cvt_i32_f64_e32 v39, v[44:45]
	v_add_f64 v[13:14], v[15:16], v[13:14]
	v_cvt_f64_i32_e32 v[37:38], v39
	v_add_f64 v[22:23], v[22:23], -v[37:38]
	v_add_f64 v[13:14], v[18:19], v[13:14]
	v_add_f64 v[15:16], v[30:31], v[22:23]
	;; [unrolled: 1-line block ×3, first 2 shown]
	v_mov_b32_e32 v21, 0x3ff00000
	v_add_f64 v[18:19], v[15:16], -v[22:23]
	v_cmp_le_f64_e32 vcc, 0.5, v[15:16]
	v_add_f64 v[19:20], v[30:31], -v[18:19]
	v_cndmask_b32_e32 v37, 0, v21, vcc
	v_add_f64 v[15:16], v[15:16], -v[36:37]
	v_addc_co_u32_e64 v18, s[4:5], 0, v39, vcc
	s_mov_b32 s4, 0x33145c07
	s_mov_b32 s5, 0x3c91a626
	v_add_f64 v[13:14], v[13:14], v[19:20]
	v_add_f64 v[19:20], v[15:16], v[13:14]
	v_mul_f64 v[21:22], v[19:20], s[20:21]
	v_add_f64 v[15:16], v[19:20], -v[15:16]
	v_fma_f64 v[23:24], v[19:20], s[20:21], -v[21:22]
	v_add_f64 v[13:14], v[13:14], -v[15:16]
	v_fma_f64 v[15:16], v[19:20], s[4:5], v[23:24]
	v_fma_f64 v[15:16], v[13:14], s[20:21], v[15:16]
	v_add_f64 v[13:14], v[21:22], v[15:16]
	v_add_f64 v[19:20], v[13:14], -v[21:22]
	v_add_f64 v[15:16], v[15:16], -v[19:20]
.LBB34_152:
	s_andn2_saveexec_b64 s[4:5], s[22:23]
	s_cbranch_execz .LBB34_154
; %bb.153:
	s_mov_b32 s20, 0x6dc9c883
	s_mov_b32 s21, 0x3fe45f30
	v_mul_f64 v[13:14], |v[11:12]|, s[20:21]
	s_mov_b32 s20, 0x54442d18
	s_mov_b32 s21, 0xbff921fb
	;; [unrolled: 1-line block ×4, first 2 shown]
	v_rndne_f64_e32 v[18:19], v[13:14]
	v_fma_f64 v[13:14], v[18:19], s[20:21], |v[11:12]|
	v_mul_f64 v[15:16], v[18:19], s[22:23]
	s_mov_b32 s20, 0x252049c0
	s_mov_b32 s21, 0xb97b839a
	v_fma_f64 v[24:25], v[18:19], s[22:23], v[13:14]
	v_add_f64 v[20:21], v[13:14], v[15:16]
	s_mov_b32 s23, 0x3c91a626
	v_add_f64 v[22:23], v[13:14], -v[20:21]
	v_add_f64 v[20:21], v[20:21], -v[24:25]
	v_add_f64 v[13:14], v[22:23], v[15:16]
	v_fma_f64 v[15:16], v[18:19], s[22:23], v[15:16]
	v_add_f64 v[13:14], v[20:21], v[13:14]
	v_add_f64 v[13:14], v[13:14], -v[15:16]
	v_fma_f64 v[15:16], v[18:19], s[20:21], v[13:14]
	v_cvt_i32_f64_e32 v18, v[18:19]
	v_add_f64 v[13:14], v[24:25], v[15:16]
	v_add_f64 v[20:21], v[13:14], -v[24:25]
	v_add_f64 v[15:16], v[15:16], -v[20:21]
.LBB34_154:
	s_or_b64 exec, exec, s[4:5]
	v_mul_f64 v[19:20], v[13:14], v[13:14]
	v_add_f64 v[21:22], v[15:16], v[15:16]
	s_mov_b32 s4, 0xc751c08c
	s_mov_b32 s5, 0x3ef5e089
	v_and_b32_e32 v18, 1, v18
	v_cmp_eq_u32_e32 vcc, 0, v18
	s_mov_b32 s22, 0x54442d18
	s_mov_b32 s23, 0xc00921fb
	v_fma_f64 v[23:24], v[13:14], v[13:14], -v[19:20]
	s_mov_b64 s[20:21], exec
	v_sub_f32_e32 v3, 1.0, v3
	v_fma_f64 v[21:22], v[13:14], v[21:22], v[23:24]
	v_add_f64 v[19:20], v[19:20], v[21:22]
	v_mov_b32_e32 v21, 0xa9a29f71
	v_mov_b32_e32 v22, 0xbf078809
	v_fma_f64 v[21:22], v[19:20], s[4:5], v[21:22]
	s_mov_b32 s4, 0x90a8aae0
	s_mov_b32 s5, 0x3f17746f
	v_fma_f64 v[21:22], v[19:20], v[21:22], s[4:5]
	s_mov_b32 s4, 0xa6fbf144
	s_mov_b32 s5, 0xbefbb44d
	;; [unrolled: 3-line block ×12, first 2 shown]
	v_fma_f64 v[21:22], v[19:20], v[21:22], s[4:5]
	s_movk_i32 s4, 0x1f8
	v_cmp_class_f64_e64 s[4:5], v[11:12], s4
	v_mul_f64 v[19:20], v[19:20], v[21:22]
	v_mul_f64 v[21:22], v[13:14], v[19:20]
	v_add_f64 v[23:24], v[13:14], v[21:22]
	v_fma_f64 v[19:20], v[13:14], v[19:20], -v[21:22]
	v_add_f64 v[13:14], v[23:24], -v[13:14]
	v_add_f64 v[15:16], v[15:16], v[19:20]
	v_add_f64 v[13:14], v[21:22], -v[13:14]
	v_add_f64 v[13:14], v[15:16], v[13:14]
	v_add_f64 v[15:16], v[23:24], v[13:14]
	v_rcp_f64_e32 v[19:20], v[15:16]
	v_fma_f64 v[21:22], -v[15:16], v[19:20], 1.0
	v_fma_f64 v[19:20], v[21:22], v[19:20], v[19:20]
	v_fma_f64 v[21:22], -v[15:16], v[19:20], 1.0
	v_fma_f64 v[19:20], v[21:22], v[19:20], v[19:20]
	v_add_f64 v[21:22], v[15:16], -v[23:24]
	v_mul_f64 v[23:24], v[15:16], v[19:20]
	v_add_f64 v[13:14], v[13:14], -v[21:22]
	v_fma_f64 v[21:22], v[19:20], v[15:16], -v[23:24]
	v_fma_f64 v[13:14], v[19:20], v[13:14], v[21:22]
	v_add_f64 v[21:22], v[23:24], v[13:14]
	v_add_f64 v[25:26], -v[21:22], 1.0
	v_add_f64 v[23:24], v[21:22], -v[23:24]
	v_add_f64 v[27:28], -v[25:26], 1.0
	v_add_f64 v[13:14], v[23:24], -v[13:14]
	v_add_f64 v[21:22], v[27:28], -v[21:22]
	v_add_f64 v[13:14], v[13:14], v[21:22]
	v_add_f64 v[13:14], v[25:26], v[13:14]
	v_mul_f64 v[13:14], v[19:20], v[13:14]
	v_add_f64 v[13:14], v[19:20], v[13:14]
	v_and_b32_e32 v19, 0x80000000, v12
	v_mov_b32_e32 v12, 0x7ff80000
	v_xor_b32_e32 v11, 0x80000000, v14
	v_cndmask_b32_e32 v13, v13, v15, vcc
	v_cndmask_b32_e32 v14, v11, v16, vcc
	v_cndmask_b32_e64 v11, 0, v13, s[4:5]
	v_xor_b32_e32 v13, v14, v19
	v_cndmask_b32_e64 v12, v12, v13, s[4:5]
	v_div_scale_f64 v[13:14], s[4:5], v[11:12], v[11:12], s[22:23]
	v_div_scale_f64 v[20:21], vcc, s[22:23], v[11:12], s[22:23]
	v_rcp_f64_e32 v[15:16], v[13:14]
	v_fma_f64 v[18:19], -v[13:14], v[15:16], 1.0
	v_fma_f64 v[15:16], v[15:16], v[18:19], v[15:16]
	v_fma_f64 v[18:19], -v[13:14], v[15:16], 1.0
	v_fma_f64 v[15:16], v[15:16], v[18:19], v[15:16]
	v_mul_f64 v[18:19], v[20:21], v[15:16]
	v_fma_f64 v[13:14], -v[13:14], v[18:19], v[20:21]
	v_div_fmas_f64 v[13:14], v[13:14], v[15:16], v[18:19]
	v_div_fixup_f64 v[11:12], v[13:14], v[11:12], s[22:23]
	v_cvt_f32_f64_e32 v13, v[11:12]
.LBB34_155:
	s_or_b64 exec, exec, s[18:19]
	s_orn2_b64 s[18:19], s[20:21], exec
.LBB34_156:
	s_or_b64 exec, exec, s[16:17]
	v_mov_b32_e32 v11, 0x7fc0
	v_mov_b32_e32 v12, 0
	s_and_saveexec_b64 s[4:5], s[18:19]
	s_cbranch_execz .LBB34_168
; %bb.157:
	s_mov_b32 s20, 0x41200000
	v_cmp_gt_f32_e32 vcc, s20, v3
	s_and_saveexec_b64 s[16:17], vcc
	s_cbranch_execz .LBB34_161
; %bb.158:
	s_mov_b64 s[18:19], 0
.LBB34_159:                             ; =>This Inner Loop Header: Depth=1
	v_div_scale_f32 v11, s[22:23], v3, v3, 1.0
	v_div_scale_f32 v12, vcc, 1.0, v3, 1.0
	v_rcp_f32_e32 v14, v11
	v_fma_f32 v15, -v11, v14, 1.0
	v_fmac_f32_e32 v14, v15, v14
	v_mul_f32_e32 v15, v12, v14
	v_fma_f32 v16, -v11, v15, v12
	v_fmac_f32_e32 v15, v16, v14
	v_fma_f32 v11, -v11, v15, v12
	v_div_fmas_f32 v11, v11, v14, v15
	v_div_fixup_f32 v11, v11, v3, 1.0
	v_add_f32_e32 v3, 1.0, v3
	v_cmp_ngt_f32_e32 vcc, s20, v3
	s_or_b64 s[18:19], vcc, s[18:19]
	v_sub_f32_e32 v13, v13, v11
	s_andn2_b64 exec, exec, s[18:19]
	s_cbranch_execnz .LBB34_159
; %bb.160:
	s_or_b64 exec, exec, s[18:19]
.LBB34_161:
	s_or_b64 exec, exec, s[16:17]
	s_mov_b32 s16, 0x41200000
	v_cmp_neq_f32_e32 vcc, s16, v3
                                        ; implicit-def: $vgpr11_vgpr12
	s_and_saveexec_b64 s[16:17], vcc
	s_xor_b64 s[16:17], exec, s[16:17]
	s_cbranch_execz .LBB34_165
; %bb.162:
	v_cvt_f64_f32_e32 v[11:12], v3
	s_mov_b32 s18, 0x85d8a000
	s_mov_b32 s19, 0x43763457
	v_cmp_gt_f64_e32 vcc, s[18:19], v[11:12]
	v_mov_b32_e32 v11, 0
	s_and_saveexec_b64 s[18:19], vcc
	s_cbranch_execz .LBB34_164
; %bb.163:
	v_mul_f32_e32 v11, v3, v3
	v_div_scale_f32 v12, s[20:21], v11, v11, 1.0
	v_div_scale_f32 v14, vcc, 1.0, v11, 1.0
	v_mov_b32_e32 v19, 0x3b820821
	v_rcp_f32_e32 v15, v12
	v_fma_f32 v16, -v12, v15, 1.0
	v_fmac_f32_e32 v15, v16, v15
	v_mul_f32_e32 v16, v14, v15
	v_fma_f32 v18, -v12, v16, v14
	v_fmac_f32_e32 v16, v18, v15
	v_fma_f32 v12, -v12, v16, v14
	v_div_fmas_f32 v12, v12, v15, v16
	v_mov_b32_e32 v14, 0x3daaaaab
	v_mov_b32_e32 v15, 0xbcaccacd
	;; [unrolled: 1-line block ×4, first 2 shown]
	v_div_fixup_f32 v11, v12, v11, 1.0
	v_fma_f32 v12, 0, v11, v14
	v_fmac_f32_e32 v15, v11, v12
	v_fmac_f32_e32 v16, v11, v15
	;; [unrolled: 1-line block ×4, first 2 shown]
	v_mov_b32_e32 v12, 0xbc088889
	v_fmac_f32_e32 v12, v11, v19
	v_fmac_f32_e32 v14, v11, v12
	v_mul_f32_e32 v11, v11, v14
.LBB34_164:
	s_or_b64 exec, exec, s[18:19]
	v_div_scale_f32 v12, s[18:19], v3, v3, -0.5
	v_div_scale_f32 v14, vcc, -0.5, v3, -0.5
	s_mov_b32 s18, 0x800000
	s_mov_b32 s19, 0x3f317217
	;; [unrolled: 1-line block ×3, first 2 shown]
	v_rcp_f32_e32 v15, v12
	v_fma_f32 v16, -v12, v15, 1.0
	v_fmac_f32_e32 v15, v16, v15
	v_mul_f32_e32 v16, v14, v15
	v_fma_f32 v18, -v12, v16, v14
	v_fmac_f32_e32 v16, v18, v15
	v_fma_f32 v12, -v12, v16, v14
	v_div_fmas_f32 v12, v12, v15, v16
	v_cmp_gt_f32_e32 vcc, s18, v3
	v_cndmask_b32_e64 v15, 0, 32, vcc
	v_ldexp_f32 v15, v3, v15
	v_log_f32_e32 v15, v15
	v_mov_b32_e32 v14, 0x41b17218
	v_cndmask_b32_e32 v14, 0, v14, vcc
	s_movk_i32 s18, 0x7fff
	v_mul_f32_e32 v18, 0x3f317217, v15
	v_fma_f32 v18, v15, s19, -v18
	v_fmac_f32_e32 v18, 0x3377d1cf, v15
	v_fmac_f32_e32 v18, 0x3f317217, v15
	v_cmp_lt_f32_e64 vcc, |v15|, s20
	v_cndmask_b32_e32 v15, v15, v18, vcc
	v_sub_f32_e32 v14, v15, v14
	v_mov_b32_e32 v16, 0x7fc0
	v_div_fixup_f32 v3, v12, v3, -0.5
	v_add_f32_e32 v3, v14, v3
	v_sub_f32_e32 v3, v3, v11
	v_add_f32_e32 v3, v13, v3
	v_bfe_u32 v11, v3, 16, 1
	v_cmp_o_f32_e32 vcc, v3, v3
	v_add3_u32 v3, v3, v11, s18
	v_cndmask_b32_sdwa v11, v16, v3, vcc dst_sel:DWORD dst_unused:UNUSED_PAD src0_sel:DWORD src1_sel:WORD_1
                                        ; implicit-def: $vgpr13
.LBB34_165:
	s_andn2_saveexec_b64 s[16:17], s[16:17]
; %bb.166:
	v_add_f32_e32 v3, 0x40101cb7, v13
	v_bfe_u32 v11, v3, 16, 1
	s_movk_i32 s18, 0x7fff
	v_add3_u32 v11, v3, v11, s18
	v_cmp_o_f32_e32 vcc, v3, v3
	v_mov_b32_e32 v3, 0x7fc0
	v_cndmask_b32_sdwa v11, v3, v11, vcc dst_sel:DWORD dst_unused:UNUSED_PAD src0_sel:DWORD src1_sel:WORD_1
; %bb.167:
	s_or_b64 exec, exec, s[16:17]
.LBB34_168:
	s_or_b64 exec, exec, s[4:5]
                                        ; implicit-def: $vgpr3
.LBB34_169:
	s_andn2_saveexec_b64 s[4:5], s[14:15]
; %bb.170:
	v_xor_b32_e32 v3, 0x80000000, v3
	v_and_b32_e32 v3, 0x80000000, v3
	v_or_b32_e32 v3, 0x7f800000, v3
	v_lshrrev_b32_e32 v11, 16, v3
; %bb.171:
	s_or_b64 exec, exec, s[4:5]
	v_and_b32_e32 v16, 0xffff0000, v4
	v_cmp_neq_f32_e32 vcc, 0, v16
                                        ; implicit-def: $vgpr3_vgpr4
	s_and_saveexec_b64 s[4:5], vcc
	s_xor_b64 s[14:15], exec, s[4:5]
	s_cbranch_execz .LBB34_193
; %bb.172:
	v_mov_b32_e32 v12, 0
	v_cmp_gt_f32_e32 vcc, 0, v16
	s_mov_b64 s[18:19], -1
	s_and_saveexec_b64 s[16:17], vcc
	s_cbranch_execz .LBB34_180
; %bb.173:
	v_trunc_f32_e32 v3, v16
	v_cmp_neq_f32_e32 vcc, v3, v16
	s_mov_b64 s[20:21], 0
	v_mov_b32_e32 v12, 0
	s_and_saveexec_b64 s[18:19], vcc
	s_cbranch_execz .LBB34_179
; %bb.174:
	v_cvt_f64_f32_e32 v[3:4], v16
	s_mov_b32 s4, 0
	s_mov_b32 s21, 0xc00921fb
	;; [unrolled: 1-line block ×3, first 2 shown]
	v_trunc_f64_e32 v[12:13], v[3:4]
	s_mov_b32 s5, 0x7ff00000
	v_cmp_neq_f64_e64 vcc, |v[3:4]|, s[4:5]
	v_bfrev_b32_e32 v14, 1
	s_mov_b32 s22, 0
	s_mov_b32 s23, 0x41d00000
                                        ; implicit-def: $vgpr18
	v_add_f64 v[12:13], v[3:4], -v[12:13]
	v_mul_f64 v[12:13], |v[12:13]|, s[20:21]
	v_cndmask_b32_e32 v4, v14, v13, vcc
	v_cndmask_b32_e32 v3, 0, v12, vcc
	v_cmp_nlt_f64_e64 s[22:23], |v[3:4]|, s[22:23]
                                        ; implicit-def: $vgpr12_vgpr13
                                        ; implicit-def: $vgpr14_vgpr15
	s_and_saveexec_b64 s[24:25], s[22:23]
	s_xor_b64 s[22:23], exec, s[24:25]
	s_cbranch_execz .LBB34_176
; %bb.175:
	v_trig_preop_f64 v[12:13], |v[3:4]|, 0
	s_mov_b32 s24, 0
	s_mov_b32 s25, 0x7b000000
	s_movk_i32 s21, 0xff80
	v_ldexp_f64 v[18:19], |v[3:4]|, s21
	v_cmp_ge_f64_e64 vcc, |v[3:4]|, s[24:25]
	v_trig_preop_f64 v[14:15], |v[3:4]|, 1
	v_and_b32_e32 v20, 0x7fffffff, v4
	v_trig_preop_f64 v[26:27], |v[3:4]|, 2
	v_mov_b32_e32 v37, 0x40100000
	v_mov_b32_e32 v36, 0
	s_mov_b32 s21, 0x3ff921fb
	v_cndmask_b32_e32 v19, v20, v19, vcc
	v_cndmask_b32_e32 v18, v3, v18, vcc
	v_mul_f64 v[20:21], v[12:13], v[18:19]
	v_mul_f64 v[22:23], v[14:15], v[18:19]
	;; [unrolled: 1-line block ×3, first 2 shown]
	v_fma_f64 v[12:13], v[12:13], v[18:19], -v[20:21]
	v_fma_f64 v[14:15], v[14:15], v[18:19], -v[22:23]
	;; [unrolled: 1-line block ×3, first 2 shown]
	v_add_f64 v[24:25], v[22:23], v[12:13]
	v_add_f64 v[28:29], v[24:25], -v[22:23]
	v_add_f64 v[34:35], v[20:21], v[24:25]
	v_add_f64 v[30:31], v[24:25], -v[28:29]
	v_add_f64 v[12:13], v[12:13], -v[28:29]
	v_add_f64 v[28:29], v[32:33], v[14:15]
	v_add_f64 v[20:21], v[34:35], -v[20:21]
	v_add_f64 v[22:23], v[22:23], -v[30:31]
	v_ldexp_f64 v[30:31], v[34:35], -2
	v_add_f64 v[38:39], v[28:29], -v[32:33]
	v_add_f64 v[20:21], v[24:25], -v[20:21]
	v_add_f64 v[12:13], v[12:13], v[22:23]
	v_fract_f64_e32 v[22:23], v[30:31]
	v_cmp_neq_f64_e64 vcc, |v[30:31]|, s[4:5]
	v_add_f64 v[14:15], v[14:15], -v[38:39]
	v_add_f64 v[24:25], v[28:29], v[12:13]
	v_ldexp_f64 v[22:23], v[22:23], 2
	v_add_f64 v[30:31], v[20:21], v[24:25]
	v_cndmask_b32_e32 v23, 0, v23, vcc
	v_cndmask_b32_e32 v22, 0, v22, vcc
	v_add_f64 v[40:41], v[24:25], -v[28:29]
	v_add_f64 v[34:35], v[30:31], v[22:23]
	v_add_f64 v[20:21], v[30:31], -v[20:21]
	v_add_f64 v[42:43], v[24:25], -v[40:41]
	;; [unrolled: 1-line block ×3, first 2 shown]
	v_cmp_gt_f64_e32 vcc, 0, v[34:35]
	v_add_f64 v[34:35], v[28:29], -v[38:39]
	v_add_f64 v[20:21], v[24:25], -v[20:21]
	;; [unrolled: 1-line block ×3, first 2 shown]
	v_cndmask_b32_e32 v37, 0, v37, vcc
	v_add_f64 v[22:23], v[22:23], v[36:37]
	v_add_f64 v[34:35], v[32:33], -v[34:35]
	v_add_f64 v[12:13], v[12:13], v[28:29]
	v_add_f64 v[44:45], v[30:31], v[22:23]
	;; [unrolled: 1-line block ×3, first 2 shown]
	v_cvt_i32_f64_e32 v39, v[44:45]
	v_add_f64 v[12:13], v[14:15], v[12:13]
	v_cvt_f64_i32_e32 v[37:38], v39
	v_add_f64 v[22:23], v[22:23], -v[37:38]
	v_add_f64 v[12:13], v[18:19], v[12:13]
	v_add_f64 v[14:15], v[30:31], v[22:23]
	v_add_f64 v[12:13], v[20:21], v[12:13]
	v_mov_b32_e32 v21, 0x3ff00000
	v_add_f64 v[18:19], v[14:15], -v[22:23]
	v_cmp_le_f64_e32 vcc, 0.5, v[14:15]
	v_add_f64 v[19:20], v[30:31], -v[18:19]
	v_cndmask_b32_e32 v37, 0, v21, vcc
	v_add_f64 v[14:15], v[14:15], -v[36:37]
	v_addc_co_u32_e64 v18, s[4:5], 0, v39, vcc
	s_mov_b32 s4, 0x33145c07
	s_mov_b32 s5, 0x3c91a626
	v_add_f64 v[12:13], v[12:13], v[19:20]
	v_add_f64 v[19:20], v[14:15], v[12:13]
	v_mul_f64 v[21:22], v[19:20], s[20:21]
	v_add_f64 v[14:15], v[19:20], -v[14:15]
	v_fma_f64 v[23:24], v[19:20], s[20:21], -v[21:22]
	v_add_f64 v[12:13], v[12:13], -v[14:15]
	v_fma_f64 v[14:15], v[19:20], s[4:5], v[23:24]
	v_fma_f64 v[14:15], v[12:13], s[20:21], v[14:15]
	v_add_f64 v[12:13], v[21:22], v[14:15]
	v_add_f64 v[19:20], v[12:13], -v[21:22]
	v_add_f64 v[14:15], v[14:15], -v[19:20]
.LBB34_176:
	s_andn2_saveexec_b64 s[4:5], s[22:23]
	s_cbranch_execz .LBB34_178
; %bb.177:
	s_mov_b32 s20, 0x6dc9c883
	s_mov_b32 s21, 0x3fe45f30
	v_mul_f64 v[12:13], |v[3:4]|, s[20:21]
	s_mov_b32 s20, 0x54442d18
	s_mov_b32 s21, 0xbff921fb
	;; [unrolled: 1-line block ×4, first 2 shown]
	v_rndne_f64_e32 v[18:19], v[12:13]
	v_fma_f64 v[12:13], v[18:19], s[20:21], |v[3:4]|
	v_mul_f64 v[14:15], v[18:19], s[22:23]
	s_mov_b32 s20, 0x252049c0
	s_mov_b32 s21, 0xb97b839a
	v_fma_f64 v[24:25], v[18:19], s[22:23], v[12:13]
	v_add_f64 v[20:21], v[12:13], v[14:15]
	s_mov_b32 s23, 0x3c91a626
	v_add_f64 v[22:23], v[12:13], -v[20:21]
	v_add_f64 v[20:21], v[20:21], -v[24:25]
	v_add_f64 v[12:13], v[22:23], v[14:15]
	v_fma_f64 v[14:15], v[18:19], s[22:23], v[14:15]
	v_add_f64 v[12:13], v[20:21], v[12:13]
	v_add_f64 v[12:13], v[12:13], -v[14:15]
	v_fma_f64 v[14:15], v[18:19], s[20:21], v[12:13]
	v_cvt_i32_f64_e32 v18, v[18:19]
	v_add_f64 v[12:13], v[24:25], v[14:15]
	v_add_f64 v[20:21], v[12:13], -v[24:25]
	v_add_f64 v[14:15], v[14:15], -v[20:21]
.LBB34_178:
	s_or_b64 exec, exec, s[4:5]
	v_mul_f64 v[19:20], v[12:13], v[12:13]
	v_add_f64 v[21:22], v[14:15], v[14:15]
	s_mov_b32 s4, 0xc751c08c
	s_mov_b32 s5, 0x3ef5e089
	v_and_b32_e32 v18, 1, v18
	v_cmp_eq_u32_e32 vcc, 0, v18
	s_mov_b32 s22, 0x54442d18
	s_mov_b32 s23, 0xc00921fb
	v_fma_f64 v[23:24], v[12:13], v[12:13], -v[19:20]
	s_mov_b64 s[20:21], exec
	v_sub_f32_e32 v16, 1.0, v16
	v_fma_f64 v[21:22], v[12:13], v[21:22], v[23:24]
	v_add_f64 v[19:20], v[19:20], v[21:22]
	v_mov_b32_e32 v21, 0xa9a29f71
	v_mov_b32_e32 v22, 0xbf078809
	v_fma_f64 v[21:22], v[19:20], s[4:5], v[21:22]
	s_mov_b32 s4, 0x90a8aae0
	s_mov_b32 s5, 0x3f17746f
	v_fma_f64 v[21:22], v[19:20], v[21:22], s[4:5]
	s_mov_b32 s4, 0xa6fbf144
	s_mov_b32 s5, 0xbefbb44d
	;; [unrolled: 3-line block ×12, first 2 shown]
	v_fma_f64 v[21:22], v[19:20], v[21:22], s[4:5]
	s_movk_i32 s4, 0x1f8
	v_cmp_class_f64_e64 s[4:5], v[3:4], s4
	v_mul_f64 v[19:20], v[19:20], v[21:22]
	v_mul_f64 v[21:22], v[12:13], v[19:20]
	v_add_f64 v[23:24], v[12:13], v[21:22]
	v_fma_f64 v[19:20], v[12:13], v[19:20], -v[21:22]
	v_add_f64 v[12:13], v[23:24], -v[12:13]
	v_add_f64 v[14:15], v[14:15], v[19:20]
	v_add_f64 v[12:13], v[21:22], -v[12:13]
	v_add_f64 v[12:13], v[14:15], v[12:13]
	v_add_f64 v[14:15], v[23:24], v[12:13]
	v_rcp_f64_e32 v[19:20], v[14:15]
	v_fma_f64 v[21:22], -v[14:15], v[19:20], 1.0
	v_fma_f64 v[19:20], v[21:22], v[19:20], v[19:20]
	v_fma_f64 v[21:22], -v[14:15], v[19:20], 1.0
	v_fma_f64 v[19:20], v[21:22], v[19:20], v[19:20]
	v_add_f64 v[21:22], v[14:15], -v[23:24]
	v_mul_f64 v[23:24], v[14:15], v[19:20]
	v_add_f64 v[12:13], v[12:13], -v[21:22]
	v_fma_f64 v[21:22], v[19:20], v[14:15], -v[23:24]
	v_fma_f64 v[12:13], v[19:20], v[12:13], v[21:22]
	v_add_f64 v[21:22], v[23:24], v[12:13]
	v_add_f64 v[25:26], -v[21:22], 1.0
	v_add_f64 v[23:24], v[21:22], -v[23:24]
	v_add_f64 v[27:28], -v[25:26], 1.0
	v_add_f64 v[12:13], v[23:24], -v[12:13]
	v_add_f64 v[21:22], v[27:28], -v[21:22]
	v_add_f64 v[12:13], v[12:13], v[21:22]
	v_add_f64 v[12:13], v[25:26], v[12:13]
	v_mul_f64 v[12:13], v[19:20], v[12:13]
	v_add_f64 v[12:13], v[19:20], v[12:13]
	v_and_b32_e32 v19, 0x80000000, v4
	v_mov_b32_e32 v4, 0x7ff80000
	v_xor_b32_e32 v3, 0x80000000, v13
	v_cndmask_b32_e32 v12, v12, v14, vcc
	v_cndmask_b32_e32 v13, v3, v15, vcc
	v_cndmask_b32_e64 v3, 0, v12, s[4:5]
	v_xor_b32_e32 v12, v13, v19
	v_cndmask_b32_e64 v4, v4, v12, s[4:5]
	v_div_scale_f64 v[12:13], s[4:5], v[3:4], v[3:4], s[22:23]
	v_div_scale_f64 v[20:21], vcc, s[22:23], v[3:4], s[22:23]
	v_rcp_f64_e32 v[14:15], v[12:13]
	v_fma_f64 v[18:19], -v[12:13], v[14:15], 1.0
	v_fma_f64 v[14:15], v[14:15], v[18:19], v[14:15]
	v_fma_f64 v[18:19], -v[12:13], v[14:15], 1.0
	v_fma_f64 v[14:15], v[14:15], v[18:19], v[14:15]
	v_mul_f64 v[18:19], v[20:21], v[14:15]
	v_fma_f64 v[12:13], -v[12:13], v[18:19], v[20:21]
	v_div_fmas_f64 v[12:13], v[12:13], v[14:15], v[18:19]
	v_div_fixup_f64 v[3:4], v[12:13], v[3:4], s[22:23]
	v_cvt_f32_f64_e32 v12, v[3:4]
.LBB34_179:
	s_or_b64 exec, exec, s[18:19]
	s_orn2_b64 s[18:19], s[20:21], exec
.LBB34_180:
	s_or_b64 exec, exec, s[16:17]
	v_mov_b32_e32 v3, 0x7fc0
	v_mov_b32_e32 v4, 0
	s_and_saveexec_b64 s[4:5], s[18:19]
	s_cbranch_execz .LBB34_192
; %bb.181:
	s_mov_b32 s20, 0x41200000
	v_cmp_gt_f32_e32 vcc, s20, v16
	s_and_saveexec_b64 s[16:17], vcc
	s_cbranch_execz .LBB34_185
; %bb.182:
	s_mov_b64 s[18:19], 0
.LBB34_183:                             ; =>This Inner Loop Header: Depth=1
	v_div_scale_f32 v3, s[22:23], v16, v16, 1.0
	v_div_scale_f32 v4, vcc, 1.0, v16, 1.0
	v_rcp_f32_e32 v13, v3
	v_fma_f32 v14, -v3, v13, 1.0
	v_fmac_f32_e32 v13, v14, v13
	v_mul_f32_e32 v14, v4, v13
	v_fma_f32 v15, -v3, v14, v4
	v_fmac_f32_e32 v14, v15, v13
	v_fma_f32 v3, -v3, v14, v4
	v_div_fmas_f32 v3, v3, v13, v14
	v_div_fixup_f32 v3, v3, v16, 1.0
	v_add_f32_e32 v16, 1.0, v16
	v_cmp_ngt_f32_e32 vcc, s20, v16
	s_or_b64 s[18:19], vcc, s[18:19]
	v_sub_f32_e32 v12, v12, v3
	s_andn2_b64 exec, exec, s[18:19]
	s_cbranch_execnz .LBB34_183
; %bb.184:
	s_or_b64 exec, exec, s[18:19]
.LBB34_185:
	s_or_b64 exec, exec, s[16:17]
	s_mov_b32 s16, 0x41200000
	v_cmp_neq_f32_e32 vcc, s16, v16
                                        ; implicit-def: $vgpr3_vgpr4
	s_and_saveexec_b64 s[16:17], vcc
	s_xor_b64 s[16:17], exec, s[16:17]
	s_cbranch_execz .LBB34_189
; %bb.186:
	v_cvt_f64_f32_e32 v[3:4], v16
	s_mov_b32 s18, 0x85d8a000
	s_mov_b32 s19, 0x43763457
	v_cmp_gt_f64_e32 vcc, s[18:19], v[3:4]
	v_mov_b32_e32 v3, 0
	s_and_saveexec_b64 s[18:19], vcc
	s_cbranch_execz .LBB34_188
; %bb.187:
	v_mul_f32_e32 v3, v16, v16
	v_div_scale_f32 v4, s[20:21], v3, v3, 1.0
	v_div_scale_f32 v13, vcc, 1.0, v3, 1.0
	v_mov_b32_e32 v19, 0x3b820821
	v_rcp_f32_e32 v14, v4
	v_fma_f32 v15, -v4, v14, 1.0
	v_fmac_f32_e32 v14, v15, v14
	v_mul_f32_e32 v15, v13, v14
	v_fma_f32 v18, -v4, v15, v13
	v_fmac_f32_e32 v15, v18, v14
	v_fma_f32 v4, -v4, v15, v13
	v_div_fmas_f32 v4, v4, v14, v15
	v_mov_b32_e32 v13, 0x3daaaaab
	v_mov_b32_e32 v14, 0xbcaccacd
	;; [unrolled: 1-line block ×4, first 2 shown]
	v_div_fixup_f32 v3, v4, v3, 1.0
	v_fma_f32 v4, 0, v3, v13
	v_fmac_f32_e32 v14, v3, v4
	v_fmac_f32_e32 v15, v3, v14
	;; [unrolled: 1-line block ×4, first 2 shown]
	v_mov_b32_e32 v4, 0xbc088889
	v_fmac_f32_e32 v4, v3, v19
	v_fmac_f32_e32 v13, v3, v4
	v_mul_f32_e32 v3, v3, v13
.LBB34_188:
	s_or_b64 exec, exec, s[18:19]
	v_div_scale_f32 v4, s[18:19], v16, v16, -0.5
	v_div_scale_f32 v13, vcc, -0.5, v16, -0.5
	s_mov_b32 s18, 0x800000
	s_mov_b32 s19, 0x3f317217
	;; [unrolled: 1-line block ×3, first 2 shown]
	v_rcp_f32_e32 v14, v4
	v_fma_f32 v15, -v4, v14, 1.0
	v_fmac_f32_e32 v14, v15, v14
	v_mul_f32_e32 v15, v13, v14
	v_fma_f32 v18, -v4, v15, v13
	v_fmac_f32_e32 v15, v18, v14
	v_fma_f32 v4, -v4, v15, v13
	v_div_fmas_f32 v4, v4, v14, v15
	v_cmp_gt_f32_e32 vcc, s18, v16
	v_cndmask_b32_e64 v14, 0, 32, vcc
	v_ldexp_f32 v14, v16, v14
	v_log_f32_e32 v14, v14
	v_mov_b32_e32 v13, 0x41b17218
	v_cndmask_b32_e32 v13, 0, v13, vcc
	s_movk_i32 s18, 0x7fff
	v_mul_f32_e32 v18, 0x3f317217, v14
	v_fma_f32 v18, v14, s19, -v18
	v_fmac_f32_e32 v18, 0x3377d1cf, v14
	v_fmac_f32_e32 v18, 0x3f317217, v14
	v_cmp_lt_f32_e64 vcc, |v14|, s20
	v_cndmask_b32_e32 v14, v14, v18, vcc
	v_sub_f32_e32 v13, v14, v13
	v_mov_b32_e32 v15, 0x7fc0
	v_div_fixup_f32 v4, v4, v16, -0.5
	v_add_f32_e32 v4, v13, v4
	v_sub_f32_e32 v3, v4, v3
	v_add_f32_e32 v3, v12, v3
	v_bfe_u32 v4, v3, 16, 1
	v_cmp_o_f32_e32 vcc, v3, v3
	v_add3_u32 v3, v3, v4, s18
	v_cndmask_b32_sdwa v3, v15, v3, vcc dst_sel:DWORD dst_unused:UNUSED_PAD src0_sel:DWORD src1_sel:WORD_1
                                        ; implicit-def: $vgpr12
.LBB34_189:
	s_andn2_saveexec_b64 s[16:17], s[16:17]
; %bb.190:
	v_add_f32_e32 v3, 0x40101cb7, v12
	v_bfe_u32 v4, v3, 16, 1
	s_movk_i32 s18, 0x7fff
	v_add3_u32 v4, v3, v4, s18
	v_cmp_o_f32_e32 vcc, v3, v3
	v_mov_b32_e32 v3, 0x7fc0
	v_cndmask_b32_sdwa v3, v3, v4, vcc dst_sel:DWORD dst_unused:UNUSED_PAD src0_sel:DWORD src1_sel:WORD_1
; %bb.191:
	s_or_b64 exec, exec, s[16:17]
.LBB34_192:
	s_or_b64 exec, exec, s[4:5]
                                        ; implicit-def: $vgpr16
.LBB34_193:
	s_andn2_saveexec_b64 s[4:5], s[14:15]
; %bb.194:
	v_xor_b32_e32 v3, 0x80000000, v16
	v_and_b32_e32 v3, 0x80000000, v3
	v_or_b32_e32 v3, 0x7f800000, v3
	v_lshrrev_b32_e32 v3, 16, v3
; %bb.195:
	s_or_b64 exec, exec, s[4:5]
	v_lshlrev_b32_e32 v4, 16, v10
	v_add_co_u32_e32 v4, vcc, v4, v8
	v_addc_co_u32_e32 v8, vcc, 0, v9, vcc
	v_and_b32_e32 v9, 0xffff, v11
	v_add_co_u32_e32 v4, vcc, 0, v4
	v_addc_co_u32_e32 v8, vcc, v8, v9, vcc
	v_lshlrev_b32_e32 v5, 16, v5
	v_add_co_u32_e32 v1, vcc, v5, v1
	v_addc_co_u32_e32 v2, vcc, 0, v2, vcc
	v_and_b32_e32 v5, 0xffff, v6
	v_add_co_u32_e32 v1, vcc, 0, v1
	v_addc_co_u32_e32 v2, vcc, v2, v5, vcc
	v_lshlrev_b32_e32 v5, 16, v7
	v_add_co_u32_e32 v1, vcc, 0, v1
	v_addc_co_u32_e32 v2, vcc, v2, v5, vcc
	s_add_u32 s4, s8, s12
	v_lshlrev_b32_e32 v5, 16, v3
	v_add_co_u32_e32 v3, vcc, 0, v4
	s_addc_u32 s5, s9, s13
	v_addc_co_u32_e32 v4, vcc, v8, v5, vcc
	global_store_dwordx2 v17, v[1:2], s[4:5]
	global_store_dwordx2 v17, v[3:4], s[4:5] offset:2048
	s_branch .LBB34_2
.LBB34_196:
	s_getpc_b64 s[4:5]
	s_add_u32 s4, s4, _ZN2at6native25elementwise_kernel_helperILb0EZZZNS0_19digamma_kernel_cudaERNS_18TensorIteratorBaseEENKUlvE_clEvENKUlvE2_clEvEUlN3c108BFloat16EE_NS0_6memory8policies11unroll_baseILi256ESt5arrayIPcLm2EE23TrivialOffsetCalculatorILi1EjESG_NS9_15LoadWithoutCastENS9_16StoreWithoutCastELi8ELi1EEEEEvT0_T1_@rel32@lo+4
	s_addc_u32 s5, s5, _ZN2at6native25elementwise_kernel_helperILb0EZZZNS0_19digamma_kernel_cudaERNS_18TensorIteratorBaseEENKUlvE_clEvENKUlvE2_clEvEUlN3c108BFloat16EE_NS0_6memory8policies11unroll_baseILi256ESt5arrayIPcLm2EE23TrivialOffsetCalculatorILi1EjESG_NS9_15LoadWithoutCastENS9_16StoreWithoutCastELi8ELi1EEEEEvT0_T1_@rel32@hi+12
	s_mov_b32 s12, s6
	v_mov_b32_e32 v31, v0
	v_mov_b32_e32 v0, s8
	;; [unrolled: 1-line block ×6, first 2 shown]
	s_swappc_b64 s[30:31], s[4:5]
	s_endpgm
	.section	.rodata,"a",@progbits
	.p2align	6, 0x0
	.amdhsa_kernel _ZN2at6native29vectorized_elementwise_kernelILi4EZZZNS0_19digamma_kernel_cudaERNS_18TensorIteratorBaseEENKUlvE_clEvENKUlvE2_clEvEUlN3c108BFloat16EE_St5arrayIPcLm2EEEEviT0_T1_
		.amdhsa_group_segment_fixed_size 0
		.amdhsa_private_segment_fixed_size 0
		.amdhsa_kernarg_size 24
		.amdhsa_user_sgpr_count 6
		.amdhsa_user_sgpr_private_segment_buffer 1
		.amdhsa_user_sgpr_dispatch_ptr 0
		.amdhsa_user_sgpr_queue_ptr 0
		.amdhsa_user_sgpr_kernarg_segment_ptr 1
		.amdhsa_user_sgpr_dispatch_id 0
		.amdhsa_user_sgpr_flat_scratch_init 0
		.amdhsa_user_sgpr_private_segment_size 0
		.amdhsa_uses_dynamic_stack 0
		.amdhsa_system_sgpr_private_segment_wavefront_offset 0
		.amdhsa_system_sgpr_workgroup_id_x 1
		.amdhsa_system_sgpr_workgroup_id_y 0
		.amdhsa_system_sgpr_workgroup_id_z 0
		.amdhsa_system_sgpr_workgroup_info 0
		.amdhsa_system_vgpr_workitem_id 0
		.amdhsa_next_free_vgpr 66
		.amdhsa_next_free_sgpr 33
		.amdhsa_reserve_vcc 1
		.amdhsa_reserve_flat_scratch 0
		.amdhsa_float_round_mode_32 0
		.amdhsa_float_round_mode_16_64 0
		.amdhsa_float_denorm_mode_32 3
		.amdhsa_float_denorm_mode_16_64 3
		.amdhsa_dx10_clamp 1
		.amdhsa_ieee_mode 1
		.amdhsa_fp16_overflow 0
		.amdhsa_exception_fp_ieee_invalid_op 0
		.amdhsa_exception_fp_denorm_src 0
		.amdhsa_exception_fp_ieee_div_zero 0
		.amdhsa_exception_fp_ieee_overflow 0
		.amdhsa_exception_fp_ieee_underflow 0
		.amdhsa_exception_fp_ieee_inexact 0
		.amdhsa_exception_int_div_zero 0
	.end_amdhsa_kernel
	.section	.text._ZN2at6native29vectorized_elementwise_kernelILi4EZZZNS0_19digamma_kernel_cudaERNS_18TensorIteratorBaseEENKUlvE_clEvENKUlvE2_clEvEUlN3c108BFloat16EE_St5arrayIPcLm2EEEEviT0_T1_,"axG",@progbits,_ZN2at6native29vectorized_elementwise_kernelILi4EZZZNS0_19digamma_kernel_cudaERNS_18TensorIteratorBaseEENKUlvE_clEvENKUlvE2_clEvEUlN3c108BFloat16EE_St5arrayIPcLm2EEEEviT0_T1_,comdat
.Lfunc_end34:
	.size	_ZN2at6native29vectorized_elementwise_kernelILi4EZZZNS0_19digamma_kernel_cudaERNS_18TensorIteratorBaseEENKUlvE_clEvENKUlvE2_clEvEUlN3c108BFloat16EE_St5arrayIPcLm2EEEEviT0_T1_, .Lfunc_end34-_ZN2at6native29vectorized_elementwise_kernelILi4EZZZNS0_19digamma_kernel_cudaERNS_18TensorIteratorBaseEENKUlvE_clEvENKUlvE2_clEvEUlN3c108BFloat16EE_St5arrayIPcLm2EEEEviT0_T1_
                                        ; -- End function
	.set _ZN2at6native29vectorized_elementwise_kernelILi4EZZZNS0_19digamma_kernel_cudaERNS_18TensorIteratorBaseEENKUlvE_clEvENKUlvE2_clEvEUlN3c108BFloat16EE_St5arrayIPcLm2EEEEviT0_T1_.num_vgpr, max(46, .L_ZN2at6native25elementwise_kernel_helperILb0EZZZNS0_19digamma_kernel_cudaERNS_18TensorIteratorBaseEENKUlvE_clEvENKUlvE2_clEvEUlN3c108BFloat16EE_NS0_6memory8policies11unroll_baseILi256ESt5arrayIPcLm2EE23TrivialOffsetCalculatorILi1EjESG_NS9_15LoadWithoutCastENS9_16StoreWithoutCastELi8ELi1EEEEEvT0_T1_.num_vgpr)
	.set _ZN2at6native29vectorized_elementwise_kernelILi4EZZZNS0_19digamma_kernel_cudaERNS_18TensorIteratorBaseEENKUlvE_clEvENKUlvE2_clEvEUlN3c108BFloat16EE_St5arrayIPcLm2EEEEviT0_T1_.num_agpr, max(0, .L_ZN2at6native25elementwise_kernel_helperILb0EZZZNS0_19digamma_kernel_cudaERNS_18TensorIteratorBaseEENKUlvE_clEvENKUlvE2_clEvEUlN3c108BFloat16EE_NS0_6memory8policies11unroll_baseILi256ESt5arrayIPcLm2EE23TrivialOffsetCalculatorILi1EjESG_NS9_15LoadWithoutCastENS9_16StoreWithoutCastELi8ELi1EEEEEvT0_T1_.num_agpr)
	.set _ZN2at6native29vectorized_elementwise_kernelILi4EZZZNS0_19digamma_kernel_cudaERNS_18TensorIteratorBaseEENKUlvE_clEvENKUlvE2_clEvEUlN3c108BFloat16EE_St5arrayIPcLm2EEEEviT0_T1_.numbered_sgpr, max(33, .L_ZN2at6native25elementwise_kernel_helperILb0EZZZNS0_19digamma_kernel_cudaERNS_18TensorIteratorBaseEENKUlvE_clEvENKUlvE2_clEvEUlN3c108BFloat16EE_NS0_6memory8policies11unroll_baseILi256ESt5arrayIPcLm2EE23TrivialOffsetCalculatorILi1EjESG_NS9_15LoadWithoutCastENS9_16StoreWithoutCastELi8ELi1EEEEEvT0_T1_.numbered_sgpr)
	.set _ZN2at6native29vectorized_elementwise_kernelILi4EZZZNS0_19digamma_kernel_cudaERNS_18TensorIteratorBaseEENKUlvE_clEvENKUlvE2_clEvEUlN3c108BFloat16EE_St5arrayIPcLm2EEEEviT0_T1_.num_named_barrier, max(0, .L_ZN2at6native25elementwise_kernel_helperILb0EZZZNS0_19digamma_kernel_cudaERNS_18TensorIteratorBaseEENKUlvE_clEvENKUlvE2_clEvEUlN3c108BFloat16EE_NS0_6memory8policies11unroll_baseILi256ESt5arrayIPcLm2EE23TrivialOffsetCalculatorILi1EjESG_NS9_15LoadWithoutCastENS9_16StoreWithoutCastELi8ELi1EEEEEvT0_T1_.num_named_barrier)
	.set _ZN2at6native29vectorized_elementwise_kernelILi4EZZZNS0_19digamma_kernel_cudaERNS_18TensorIteratorBaseEENKUlvE_clEvENKUlvE2_clEvEUlN3c108BFloat16EE_St5arrayIPcLm2EEEEviT0_T1_.private_seg_size, 0+max(.L_ZN2at6native25elementwise_kernel_helperILb0EZZZNS0_19digamma_kernel_cudaERNS_18TensorIteratorBaseEENKUlvE_clEvENKUlvE2_clEvEUlN3c108BFloat16EE_NS0_6memory8policies11unroll_baseILi256ESt5arrayIPcLm2EE23TrivialOffsetCalculatorILi1EjESG_NS9_15LoadWithoutCastENS9_16StoreWithoutCastELi8ELi1EEEEEvT0_T1_.private_seg_size)
	.set _ZN2at6native29vectorized_elementwise_kernelILi4EZZZNS0_19digamma_kernel_cudaERNS_18TensorIteratorBaseEENKUlvE_clEvENKUlvE2_clEvEUlN3c108BFloat16EE_St5arrayIPcLm2EEEEviT0_T1_.uses_vcc, or(1, .L_ZN2at6native25elementwise_kernel_helperILb0EZZZNS0_19digamma_kernel_cudaERNS_18TensorIteratorBaseEENKUlvE_clEvENKUlvE2_clEvEUlN3c108BFloat16EE_NS0_6memory8policies11unroll_baseILi256ESt5arrayIPcLm2EE23TrivialOffsetCalculatorILi1EjESG_NS9_15LoadWithoutCastENS9_16StoreWithoutCastELi8ELi1EEEEEvT0_T1_.uses_vcc)
	.set _ZN2at6native29vectorized_elementwise_kernelILi4EZZZNS0_19digamma_kernel_cudaERNS_18TensorIteratorBaseEENKUlvE_clEvENKUlvE2_clEvEUlN3c108BFloat16EE_St5arrayIPcLm2EEEEviT0_T1_.uses_flat_scratch, or(0, .L_ZN2at6native25elementwise_kernel_helperILb0EZZZNS0_19digamma_kernel_cudaERNS_18TensorIteratorBaseEENKUlvE_clEvENKUlvE2_clEvEUlN3c108BFloat16EE_NS0_6memory8policies11unroll_baseILi256ESt5arrayIPcLm2EE23TrivialOffsetCalculatorILi1EjESG_NS9_15LoadWithoutCastENS9_16StoreWithoutCastELi8ELi1EEEEEvT0_T1_.uses_flat_scratch)
	.set _ZN2at6native29vectorized_elementwise_kernelILi4EZZZNS0_19digamma_kernel_cudaERNS_18TensorIteratorBaseEENKUlvE_clEvENKUlvE2_clEvEUlN3c108BFloat16EE_St5arrayIPcLm2EEEEviT0_T1_.has_dyn_sized_stack, or(0, .L_ZN2at6native25elementwise_kernel_helperILb0EZZZNS0_19digamma_kernel_cudaERNS_18TensorIteratorBaseEENKUlvE_clEvENKUlvE2_clEvEUlN3c108BFloat16EE_NS0_6memory8policies11unroll_baseILi256ESt5arrayIPcLm2EE23TrivialOffsetCalculatorILi1EjESG_NS9_15LoadWithoutCastENS9_16StoreWithoutCastELi8ELi1EEEEEvT0_T1_.has_dyn_sized_stack)
	.set _ZN2at6native29vectorized_elementwise_kernelILi4EZZZNS0_19digamma_kernel_cudaERNS_18TensorIteratorBaseEENKUlvE_clEvENKUlvE2_clEvEUlN3c108BFloat16EE_St5arrayIPcLm2EEEEviT0_T1_.has_recursion, or(0, .L_ZN2at6native25elementwise_kernel_helperILb0EZZZNS0_19digamma_kernel_cudaERNS_18TensorIteratorBaseEENKUlvE_clEvENKUlvE2_clEvEUlN3c108BFloat16EE_NS0_6memory8policies11unroll_baseILi256ESt5arrayIPcLm2EE23TrivialOffsetCalculatorILi1EjESG_NS9_15LoadWithoutCastENS9_16StoreWithoutCastELi8ELi1EEEEEvT0_T1_.has_recursion)
	.set _ZN2at6native29vectorized_elementwise_kernelILi4EZZZNS0_19digamma_kernel_cudaERNS_18TensorIteratorBaseEENKUlvE_clEvENKUlvE2_clEvEUlN3c108BFloat16EE_St5arrayIPcLm2EEEEviT0_T1_.has_indirect_call, or(0, .L_ZN2at6native25elementwise_kernel_helperILb0EZZZNS0_19digamma_kernel_cudaERNS_18TensorIteratorBaseEENKUlvE_clEvENKUlvE2_clEvEUlN3c108BFloat16EE_NS0_6memory8policies11unroll_baseILi256ESt5arrayIPcLm2EE23TrivialOffsetCalculatorILi1EjESG_NS9_15LoadWithoutCastENS9_16StoreWithoutCastELi8ELi1EEEEEvT0_T1_.has_indirect_call)
	.section	.AMDGPU.csdata,"",@progbits
; Kernel info:
; codeLenInByte = 20072
; TotalNumSgprs: 37
; NumVgprs: 66
; ScratchSize: 0
; MemoryBound: 0
; FloatMode: 240
; IeeeMode: 1
; LDSByteSize: 0 bytes/workgroup (compile time only)
; SGPRBlocks: 4
; VGPRBlocks: 16
; NumSGPRsForWavesPerEU: 37
; NumVGPRsForWavesPerEU: 66
; Occupancy: 3
; WaveLimiterHint : 1
; COMPUTE_PGM_RSRC2:SCRATCH_EN: 0
; COMPUTE_PGM_RSRC2:USER_SGPR: 6
; COMPUTE_PGM_RSRC2:TRAP_HANDLER: 0
; COMPUTE_PGM_RSRC2:TGID_X_EN: 1
; COMPUTE_PGM_RSRC2:TGID_Y_EN: 0
; COMPUTE_PGM_RSRC2:TGID_Z_EN: 0
; COMPUTE_PGM_RSRC2:TIDIG_COMP_CNT: 0
	.section	.text._ZN2at6native29vectorized_elementwise_kernelILi2EZZZNS0_19digamma_kernel_cudaERNS_18TensorIteratorBaseEENKUlvE_clEvENKUlvE2_clEvEUlN3c108BFloat16EE_St5arrayIPcLm2EEEEviT0_T1_,"axG",@progbits,_ZN2at6native29vectorized_elementwise_kernelILi2EZZZNS0_19digamma_kernel_cudaERNS_18TensorIteratorBaseEENKUlvE_clEvENKUlvE2_clEvEUlN3c108BFloat16EE_St5arrayIPcLm2EEEEviT0_T1_,comdat
	.globl	_ZN2at6native29vectorized_elementwise_kernelILi2EZZZNS0_19digamma_kernel_cudaERNS_18TensorIteratorBaseEENKUlvE_clEvENKUlvE2_clEvEUlN3c108BFloat16EE_St5arrayIPcLm2EEEEviT0_T1_ ; -- Begin function _ZN2at6native29vectorized_elementwise_kernelILi2EZZZNS0_19digamma_kernel_cudaERNS_18TensorIteratorBaseEENKUlvE_clEvENKUlvE2_clEvEUlN3c108BFloat16EE_St5arrayIPcLm2EEEEviT0_T1_
	.p2align	8
	.type	_ZN2at6native29vectorized_elementwise_kernelILi2EZZZNS0_19digamma_kernel_cudaERNS_18TensorIteratorBaseEENKUlvE_clEvENKUlvE2_clEvEUlN3c108BFloat16EE_St5arrayIPcLm2EEEEviT0_T1_,@function
_ZN2at6native29vectorized_elementwise_kernelILi2EZZZNS0_19digamma_kernel_cudaERNS_18TensorIteratorBaseEENKUlvE_clEvENKUlvE2_clEvEUlN3c108BFloat16EE_St5arrayIPcLm2EEEEviT0_T1_: ; @_ZN2at6native29vectorized_elementwise_kernelILi2EZZZNS0_19digamma_kernel_cudaERNS_18TensorIteratorBaseEENKUlvE_clEvENKUlvE2_clEvEUlN3c108BFloat16EE_St5arrayIPcLm2EEEEviT0_T1_
; %bb.0:
	s_add_u32 s0, s0, s7
	s_load_dword s7, s[4:5], 0x0
	s_load_dwordx4 s[8:11], s[4:5], 0x8
	s_addc_u32 s1, s1, 0
	s_lshl_b32 s4, s6, 11
	s_mov_b64 s[12:13], -1
	s_waitcnt lgkmcnt(0)
	s_sub_i32 s7, s7, s4
	s_cmpk_gt_i32 s7, 0x7ff
	s_mov_b32 s32, 0
	s_cbranch_scc1 .LBB35_3
; %bb.1:
	s_and_b64 vcc, exec, s[12:13]
	s_cbranch_vccnz .LBB35_196
.LBB35_2:
	s_endpgm
.LBB35_3:
	s_ashr_i32 s5, s4, 31
	s_lshl_b64 s[12:13], s[4:5], 1
	s_add_u32 s4, s10, s12
	s_addc_u32 s5, s11, s13
	v_lshlrev_b32_e32 v7, 2, v0
	global_load_dword v10, v7, s[4:5]
	global_load_dword v13, v7, s[4:5] offset:1024
	global_load_dword v12, v7, s[4:5] offset:2048
	;; [unrolled: 1-line block ×3, first 2 shown]
	v_mov_b32_e32 v1, 0
                                        ; implicit-def: $vgpr8
	s_waitcnt vmcnt(3)
	v_lshlrev_b32_e32 v11, 16, v10
	v_cmp_neq_f32_e32 vcc, 0, v11
	s_and_saveexec_b64 s[4:5], vcc
	s_xor_b64 s[14:15], exec, s[4:5]
	s_cbranch_execz .LBB35_25
; %bb.4:
	v_cmp_gt_f32_e32 vcc, 0, v11
	s_mov_b64 s[18:19], -1
	s_and_saveexec_b64 s[16:17], vcc
	s_cbranch_execz .LBB35_12
; %bb.5:
	v_trunc_f32_e32 v1, v11
	v_cmp_neq_f32_e32 vcc, v1, v11
	s_mov_b64 s[20:21], 0
	v_mov_b32_e32 v1, 0
	s_and_saveexec_b64 s[18:19], vcc
	s_cbranch_execz .LBB35_11
; %bb.6:
	v_cvt_f64_f32_e32 v[1:2], v11
	s_mov_b32 s4, 0
	s_mov_b32 s21, 0xc00921fb
	;; [unrolled: 1-line block ×3, first 2 shown]
	v_trunc_f64_e32 v[3:4], v[1:2]
	s_mov_b32 s5, 0x7ff00000
	v_cmp_neq_f64_e64 vcc, |v[1:2]|, s[4:5]
	v_bfrev_b32_e32 v5, 1
	s_mov_b32 s22, 0
	s_mov_b32 s23, 0x41d00000
                                        ; implicit-def: $vgpr8
	v_add_f64 v[3:4], v[1:2], -v[3:4]
	v_mul_f64 v[3:4], |v[3:4]|, s[20:21]
	v_cndmask_b32_e32 v2, v5, v4, vcc
	v_cndmask_b32_e32 v1, 0, v3, vcc
	v_cmp_nlt_f64_e64 s[22:23], |v[1:2]|, s[22:23]
                                        ; implicit-def: $vgpr3_vgpr4
                                        ; implicit-def: $vgpr5_vgpr6
	s_and_saveexec_b64 s[24:25], s[22:23]
	s_xor_b64 s[22:23], exec, s[24:25]
	s_cbranch_execz .LBB35_8
; %bb.7:
	v_trig_preop_f64 v[3:4], |v[1:2]|, 0
	s_mov_b32 s24, 0
	s_mov_b32 s25, 0x7b000000
	s_movk_i32 s21, 0xff80
	v_ldexp_f64 v[14:15], |v[1:2]|, s21
	v_cmp_ge_f64_e64 vcc, |v[1:2]|, s[24:25]
	v_trig_preop_f64 v[5:6], |v[1:2]|, 1
	v_and_b32_e32 v8, 0x7fffffff, v2
	v_trig_preop_f64 v[22:23], |v[1:2]|, 2
	v_mov_b32_e32 v32, 0
	s_mov_b32 s21, 0x3ff921fb
	v_cndmask_b32_e32 v15, v8, v15, vcc
	v_cndmask_b32_e32 v14, v1, v14, vcc
	v_mov_b32_e32 v8, 0x40100000
	v_mul_f64 v[16:17], v[3:4], v[14:15]
	v_mul_f64 v[18:19], v[5:6], v[14:15]
	;; [unrolled: 1-line block ×3, first 2 shown]
	v_fma_f64 v[3:4], v[3:4], v[14:15], -v[16:17]
	v_fma_f64 v[5:6], v[5:6], v[14:15], -v[18:19]
	;; [unrolled: 1-line block ×3, first 2 shown]
	v_add_f64 v[20:21], v[18:19], v[3:4]
	v_add_f64 v[24:25], v[20:21], -v[18:19]
	v_add_f64 v[30:31], v[16:17], v[20:21]
	v_add_f64 v[26:27], v[20:21], -v[24:25]
	v_add_f64 v[3:4], v[3:4], -v[24:25]
	v_add_f64 v[24:25], v[28:29], v[5:6]
	v_add_f64 v[16:17], v[30:31], -v[16:17]
	v_add_f64 v[18:19], v[18:19], -v[26:27]
	v_ldexp_f64 v[26:27], v[30:31], -2
	v_add_f64 v[34:35], v[24:25], -v[28:29]
	v_add_f64 v[16:17], v[20:21], -v[16:17]
	v_add_f64 v[3:4], v[3:4], v[18:19]
	v_fract_f64_e32 v[18:19], v[26:27]
	v_cmp_neq_f64_e64 vcc, |v[26:27]|, s[4:5]
	v_add_f64 v[5:6], v[5:6], -v[34:35]
	v_add_f64 v[20:21], v[24:25], v[3:4]
	v_ldexp_f64 v[18:19], v[18:19], 2
	v_add_f64 v[26:27], v[16:17], v[20:21]
	v_cndmask_b32_e32 v19, 0, v19, vcc
	v_cndmask_b32_e32 v18, 0, v18, vcc
	v_add_f64 v[36:37], v[20:21], -v[24:25]
	v_add_f64 v[30:31], v[26:27], v[18:19]
	v_add_f64 v[16:17], v[26:27], -v[16:17]
	v_add_f64 v[38:39], v[20:21], -v[36:37]
	;; [unrolled: 1-line block ×3, first 2 shown]
	v_cmp_gt_f64_e32 vcc, 0, v[30:31]
	v_add_f64 v[30:31], v[24:25], -v[34:35]
	v_add_f64 v[16:17], v[20:21], -v[16:17]
	;; [unrolled: 1-line block ×3, first 2 shown]
	v_cndmask_b32_e32 v33, 0, v8, vcc
	v_add_f64 v[18:19], v[18:19], v[32:33]
	v_add_f64 v[30:31], v[28:29], -v[30:31]
	v_add_f64 v[3:4], v[3:4], v[24:25]
	v_add_f64 v[40:41], v[26:27], v[18:19]
	;; [unrolled: 1-line block ×3, first 2 shown]
	v_cvt_i32_f64_e32 v8, v[40:41]
	v_add_f64 v[3:4], v[5:6], v[3:4]
	v_cvt_f64_i32_e32 v[33:34], v8
	v_add_f64 v[18:19], v[18:19], -v[33:34]
	v_add_f64 v[3:4], v[14:15], v[3:4]
	v_add_f64 v[5:6], v[26:27], v[18:19]
	;; [unrolled: 1-line block ×3, first 2 shown]
	v_mov_b32_e32 v16, 0x3ff00000
	v_add_f64 v[14:15], v[5:6], -v[18:19]
	v_cmp_le_f64_e32 vcc, 0.5, v[5:6]
	v_add_f64 v[14:15], v[26:27], -v[14:15]
	v_cndmask_b32_e32 v33, 0, v16, vcc
	v_add_f64 v[5:6], v[5:6], -v[32:33]
	v_addc_co_u32_e64 v8, s[4:5], 0, v8, vcc
	s_mov_b32 s4, 0x33145c07
	s_mov_b32 s5, 0x3c91a626
	v_add_f64 v[3:4], v[3:4], v[14:15]
	v_add_f64 v[14:15], v[5:6], v[3:4]
	v_mul_f64 v[16:17], v[14:15], s[20:21]
	v_add_f64 v[5:6], v[14:15], -v[5:6]
	v_fma_f64 v[18:19], v[14:15], s[20:21], -v[16:17]
	v_add_f64 v[3:4], v[3:4], -v[5:6]
	v_fma_f64 v[5:6], v[14:15], s[4:5], v[18:19]
	v_fma_f64 v[5:6], v[3:4], s[20:21], v[5:6]
	v_add_f64 v[3:4], v[16:17], v[5:6]
	v_add_f64 v[14:15], v[3:4], -v[16:17]
	v_add_f64 v[5:6], v[5:6], -v[14:15]
.LBB35_8:
	s_andn2_saveexec_b64 s[4:5], s[22:23]
	s_cbranch_execz .LBB35_10
; %bb.9:
	s_mov_b32 s20, 0x6dc9c883
	s_mov_b32 s21, 0x3fe45f30
	v_mul_f64 v[3:4], |v[1:2]|, s[20:21]
	s_mov_b32 s20, 0x54442d18
	s_mov_b32 s21, 0xbff921fb
	;; [unrolled: 1-line block ×4, first 2 shown]
	v_rndne_f64_e32 v[14:15], v[3:4]
	v_fma_f64 v[3:4], v[14:15], s[20:21], |v[1:2]|
	v_mul_f64 v[5:6], v[14:15], s[22:23]
	s_mov_b32 s20, 0x252049c0
	s_mov_b32 s21, 0xb97b839a
	v_cvt_i32_f64_e32 v8, v[14:15]
	v_fma_f64 v[20:21], v[14:15], s[22:23], v[3:4]
	v_add_f64 v[16:17], v[3:4], v[5:6]
	s_mov_b32 s23, 0x3c91a626
	v_add_f64 v[18:19], v[3:4], -v[16:17]
	v_add_f64 v[16:17], v[16:17], -v[20:21]
	v_add_f64 v[3:4], v[18:19], v[5:6]
	v_fma_f64 v[5:6], v[14:15], s[22:23], v[5:6]
	v_add_f64 v[3:4], v[16:17], v[3:4]
	v_add_f64 v[3:4], v[3:4], -v[5:6]
	v_fma_f64 v[5:6], v[14:15], s[20:21], v[3:4]
	v_add_f64 v[3:4], v[20:21], v[5:6]
	v_add_f64 v[16:17], v[3:4], -v[20:21]
	v_add_f64 v[5:6], v[5:6], -v[16:17]
.LBB35_10:
	s_or_b64 exec, exec, s[4:5]
	v_mul_f64 v[14:15], v[3:4], v[3:4]
	v_add_f64 v[16:17], v[5:6], v[5:6]
	s_mov_b32 s4, 0xc751c08c
	s_mov_b32 s5, 0x3ef5e089
	v_and_b32_e32 v8, 1, v8
	v_cmp_eq_u32_e32 vcc, 0, v8
	s_mov_b32 s22, 0x54442d18
	s_mov_b32 s23, 0xc00921fb
	v_fma_f64 v[18:19], v[3:4], v[3:4], -v[14:15]
	s_mov_b64 s[20:21], exec
	v_sub_f32_e32 v11, 1.0, v11
	v_fma_f64 v[16:17], v[3:4], v[16:17], v[18:19]
	v_add_f64 v[14:15], v[14:15], v[16:17]
	v_mov_b32_e32 v16, 0xa9a29f71
	v_mov_b32_e32 v17, 0xbf078809
	v_fma_f64 v[16:17], v[14:15], s[4:5], v[16:17]
	s_mov_b32 s4, 0x90a8aae0
	s_mov_b32 s5, 0x3f17746f
	v_fma_f64 v[16:17], v[14:15], v[16:17], s[4:5]
	s_mov_b32 s4, 0xa6fbf144
	s_mov_b32 s5, 0xbefbb44d
	;; [unrolled: 3-line block ×12, first 2 shown]
	v_fma_f64 v[16:17], v[14:15], v[16:17], s[4:5]
	s_movk_i32 s4, 0x1f8
	v_cmp_class_f64_e64 s[4:5], v[1:2], s4
	v_mul_f64 v[14:15], v[14:15], v[16:17]
	v_mul_f64 v[16:17], v[3:4], v[14:15]
	v_add_f64 v[18:19], v[3:4], v[16:17]
	v_fma_f64 v[14:15], v[3:4], v[14:15], -v[16:17]
	v_add_f64 v[3:4], v[18:19], -v[3:4]
	v_add_f64 v[5:6], v[5:6], v[14:15]
	v_add_f64 v[3:4], v[16:17], -v[3:4]
	v_add_f64 v[3:4], v[5:6], v[3:4]
	v_add_f64 v[5:6], v[18:19], v[3:4]
	v_rcp_f64_e32 v[14:15], v[5:6]
	v_fma_f64 v[16:17], -v[5:6], v[14:15], 1.0
	v_fma_f64 v[14:15], v[16:17], v[14:15], v[14:15]
	v_fma_f64 v[16:17], -v[5:6], v[14:15], 1.0
	v_fma_f64 v[14:15], v[16:17], v[14:15], v[14:15]
	v_add_f64 v[16:17], v[5:6], -v[18:19]
	v_mul_f64 v[18:19], v[5:6], v[14:15]
	v_add_f64 v[3:4], v[3:4], -v[16:17]
	v_fma_f64 v[16:17], v[14:15], v[5:6], -v[18:19]
	v_fma_f64 v[3:4], v[14:15], v[3:4], v[16:17]
	v_add_f64 v[16:17], v[18:19], v[3:4]
	v_add_f64 v[20:21], -v[16:17], 1.0
	v_add_f64 v[18:19], v[16:17], -v[18:19]
	v_add_f64 v[22:23], -v[20:21], 1.0
	v_add_f64 v[3:4], v[18:19], -v[3:4]
	v_add_f64 v[16:17], v[22:23], -v[16:17]
	v_add_f64 v[3:4], v[3:4], v[16:17]
	v_add_f64 v[3:4], v[20:21], v[3:4]
	v_mul_f64 v[3:4], v[14:15], v[3:4]
	v_add_f64 v[3:4], v[14:15], v[3:4]
	v_and_b32_e32 v14, 0x80000000, v2
	v_mov_b32_e32 v2, 0x7ff80000
	v_xor_b32_e32 v1, 0x80000000, v4
	v_cndmask_b32_e32 v3, v3, v5, vcc
	v_cndmask_b32_e32 v4, v1, v6, vcc
	v_cndmask_b32_e64 v1, 0, v3, s[4:5]
	v_xor_b32_e32 v3, v4, v14
	v_cndmask_b32_e64 v2, v2, v3, s[4:5]
	v_div_scale_f64 v[3:4], s[4:5], v[1:2], v[1:2], s[22:23]
	v_div_scale_f64 v[16:17], vcc, s[22:23], v[1:2], s[22:23]
	v_rcp_f64_e32 v[5:6], v[3:4]
	v_fma_f64 v[14:15], -v[3:4], v[5:6], 1.0
	v_fma_f64 v[5:6], v[5:6], v[14:15], v[5:6]
	v_fma_f64 v[14:15], -v[3:4], v[5:6], 1.0
	v_fma_f64 v[5:6], v[5:6], v[14:15], v[5:6]
	v_mul_f64 v[14:15], v[16:17], v[5:6]
	v_fma_f64 v[3:4], -v[3:4], v[14:15], v[16:17]
	v_div_fmas_f64 v[3:4], v[3:4], v[5:6], v[14:15]
	v_div_fixup_f64 v[1:2], v[3:4], v[1:2], s[22:23]
	v_cvt_f32_f64_e32 v1, v[1:2]
.LBB35_11:
	s_or_b64 exec, exec, s[18:19]
	s_orn2_b64 s[18:19], s[20:21], exec
.LBB35_12:
	s_or_b64 exec, exec, s[16:17]
	v_mov_b32_e32 v8, 0x7fc0
	s_and_saveexec_b64 s[4:5], s[18:19]
	s_cbranch_execz .LBB35_24
; %bb.13:
	s_mov_b32 s20, 0x41200000
	v_cmp_gt_f32_e32 vcc, s20, v11
	s_and_saveexec_b64 s[16:17], vcc
	s_cbranch_execz .LBB35_17
; %bb.14:
	s_mov_b64 s[18:19], 0
.LBB35_15:                              ; =>This Inner Loop Header: Depth=1
	v_div_scale_f32 v2, s[22:23], v11, v11, 1.0
	v_div_scale_f32 v3, vcc, 1.0, v11, 1.0
	v_rcp_f32_e32 v4, v2
	v_fma_f32 v5, -v2, v4, 1.0
	v_fmac_f32_e32 v4, v5, v4
	v_mul_f32_e32 v5, v3, v4
	v_fma_f32 v6, -v2, v5, v3
	v_fmac_f32_e32 v5, v6, v4
	v_fma_f32 v2, -v2, v5, v3
	v_div_fmas_f32 v2, v2, v4, v5
	v_div_fixup_f32 v2, v2, v11, 1.0
	v_add_f32_e32 v11, 1.0, v11
	v_cmp_ngt_f32_e32 vcc, s20, v11
	s_or_b64 s[18:19], vcc, s[18:19]
	v_sub_f32_e32 v1, v1, v2
	s_andn2_b64 exec, exec, s[18:19]
	s_cbranch_execnz .LBB35_15
; %bb.16:
	s_or_b64 exec, exec, s[18:19]
.LBB35_17:
	s_or_b64 exec, exec, s[16:17]
	s_mov_b32 s16, 0x41200000
	v_cmp_neq_f32_e32 vcc, s16, v11
                                        ; implicit-def: $vgpr8
	s_and_saveexec_b64 s[16:17], vcc
	s_xor_b64 s[16:17], exec, s[16:17]
	s_cbranch_execz .LBB35_21
; %bb.18:
	v_cvt_f64_f32_e32 v[2:3], v11
	s_mov_b32 s18, 0x85d8a000
	s_mov_b32 s19, 0x43763457
	v_cmp_gt_f64_e32 vcc, s[18:19], v[2:3]
	v_mov_b32_e32 v2, 0
	s_and_saveexec_b64 s[18:19], vcc
	s_cbranch_execz .LBB35_20
; %bb.19:
	v_mul_f32_e32 v2, v11, v11
	v_div_scale_f32 v3, s[20:21], v2, v2, 1.0
	v_div_scale_f32 v4, vcc, 1.0, v2, 1.0
	v_mov_b32_e32 v14, 0x3b820821
	v_rcp_f32_e32 v5, v3
	v_fma_f32 v6, -v3, v5, 1.0
	v_fmac_f32_e32 v5, v6, v5
	v_mul_f32_e32 v6, v4, v5
	v_fma_f32 v8, -v3, v6, v4
	v_fmac_f32_e32 v6, v8, v5
	v_fma_f32 v3, -v3, v6, v4
	v_div_fmas_f32 v3, v3, v5, v6
	v_mov_b32_e32 v4, 0x3daaaaab
	v_mov_b32_e32 v5, 0xbcaccacd
	;; [unrolled: 1-line block ×4, first 2 shown]
	v_div_fixup_f32 v2, v3, v2, 1.0
	v_fma_f32 v3, 0, v2, v4
	v_fmac_f32_e32 v5, v2, v3
	v_fmac_f32_e32 v6, v2, v5
	;; [unrolled: 1-line block ×4, first 2 shown]
	v_mov_b32_e32 v3, 0xbc088889
	v_fmac_f32_e32 v3, v2, v14
	v_fmac_f32_e32 v4, v2, v3
	v_mul_f32_e32 v2, v2, v4
.LBB35_20:
	s_or_b64 exec, exec, s[18:19]
	v_div_scale_f32 v3, s[18:19], v11, v11, -0.5
	v_div_scale_f32 v4, vcc, -0.5, v11, -0.5
	s_mov_b32 s18, 0x800000
	s_mov_b32 s19, 0x3f317217
	;; [unrolled: 1-line block ×3, first 2 shown]
	v_rcp_f32_e32 v5, v3
	v_fma_f32 v6, -v3, v5, 1.0
	v_fmac_f32_e32 v5, v6, v5
	v_mul_f32_e32 v6, v4, v5
	v_fma_f32 v8, -v3, v6, v4
	v_fmac_f32_e32 v6, v8, v5
	v_fma_f32 v3, -v3, v6, v4
	v_div_fmas_f32 v3, v3, v5, v6
	v_cmp_gt_f32_e32 vcc, s18, v11
	v_cndmask_b32_e64 v5, 0, 32, vcc
	v_ldexp_f32 v5, v11, v5
	v_log_f32_e32 v5, v5
	v_mov_b32_e32 v4, 0x41b17218
	v_cndmask_b32_e32 v4, 0, v4, vcc
	s_movk_i32 s18, 0x7fff
	v_mul_f32_e32 v8, 0x3f317217, v5
	v_fma_f32 v8, v5, s19, -v8
	v_fmac_f32_e32 v8, 0x3377d1cf, v5
	v_fmac_f32_e32 v8, 0x3f317217, v5
	v_cmp_lt_f32_e64 vcc, |v5|, s20
	v_cndmask_b32_e32 v5, v5, v8, vcc
	v_sub_f32_e32 v4, v5, v4
	v_mov_b32_e32 v6, 0x7fc0
	v_div_fixup_f32 v3, v3, v11, -0.5
	v_add_f32_e32 v3, v4, v3
	v_sub_f32_e32 v2, v3, v2
	v_add_f32_e32 v1, v1, v2
	v_bfe_u32 v2, v1, 16, 1
	v_cmp_o_f32_e32 vcc, v1, v1
	v_add3_u32 v1, v1, v2, s18
	v_cndmask_b32_sdwa v8, v6, v1, vcc dst_sel:DWORD dst_unused:UNUSED_PAD src0_sel:DWORD src1_sel:WORD_1
                                        ; implicit-def: $vgpr1
.LBB35_21:
	s_andn2_saveexec_b64 s[16:17], s[16:17]
; %bb.22:
	v_add_f32_e32 v1, 0x40101cb7, v1
	v_bfe_u32 v2, v1, 16, 1
	s_movk_i32 s18, 0x7fff
	v_add3_u32 v2, v1, v2, s18
	v_cmp_o_f32_e32 vcc, v1, v1
	v_mov_b32_e32 v1, 0x7fc0
	v_cndmask_b32_sdwa v8, v1, v2, vcc dst_sel:DWORD dst_unused:UNUSED_PAD src0_sel:DWORD src1_sel:WORD_1
; %bb.23:
	s_or_b64 exec, exec, s[16:17]
.LBB35_24:
	s_or_b64 exec, exec, s[4:5]
                                        ; implicit-def: $vgpr11
.LBB35_25:
	s_andn2_saveexec_b64 s[4:5], s[14:15]
; %bb.26:
	v_xor_b32_e32 v1, 0x80000000, v11
	v_and_b32_e32 v1, 0x80000000, v1
	v_or_b32_e32 v1, 0x7f800000, v1
	v_lshrrev_b32_e32 v8, 16, v1
; %bb.27:
	s_or_b64 exec, exec, s[4:5]
	v_and_b32_e32 v11, 0xffff0000, v10
	v_cmp_neq_f32_e32 vcc, 0, v11
                                        ; implicit-def: $vgpr10
	s_and_saveexec_b64 s[4:5], vcc
	s_xor_b64 s[14:15], exec, s[4:5]
	s_cbranch_execz .LBB35_49
; %bb.28:
	v_mov_b32_e32 v1, 0
	v_cmp_gt_f32_e32 vcc, 0, v11
	s_mov_b64 s[18:19], -1
	s_and_saveexec_b64 s[16:17], vcc
	s_cbranch_execz .LBB35_36
; %bb.29:
	v_trunc_f32_e32 v1, v11
	v_cmp_neq_f32_e32 vcc, v1, v11
	s_mov_b64 s[20:21], 0
	v_mov_b32_e32 v1, 0
	s_and_saveexec_b64 s[18:19], vcc
	s_cbranch_execz .LBB35_35
; %bb.30:
	v_cvt_f64_f32_e32 v[1:2], v11
	s_mov_b32 s4, 0
	s_mov_b32 s21, 0xc00921fb
	;; [unrolled: 1-line block ×3, first 2 shown]
	v_trunc_f64_e32 v[3:4], v[1:2]
	s_mov_b32 s5, 0x7ff00000
	v_cmp_neq_f64_e64 vcc, |v[1:2]|, s[4:5]
	v_bfrev_b32_e32 v5, 1
	s_mov_b32 s22, 0
	s_mov_b32 s23, 0x41d00000
                                        ; implicit-def: $vgpr10
	v_add_f64 v[3:4], v[1:2], -v[3:4]
	v_mul_f64 v[3:4], |v[3:4]|, s[20:21]
	v_cndmask_b32_e32 v2, v5, v4, vcc
	v_cndmask_b32_e32 v1, 0, v3, vcc
	v_cmp_nlt_f64_e64 s[22:23], |v[1:2]|, s[22:23]
                                        ; implicit-def: $vgpr3_vgpr4
                                        ; implicit-def: $vgpr5_vgpr6
	s_and_saveexec_b64 s[24:25], s[22:23]
	s_xor_b64 s[22:23], exec, s[24:25]
	s_cbranch_execz .LBB35_32
; %bb.31:
	v_trig_preop_f64 v[3:4], |v[1:2]|, 0
	s_mov_b32 s24, 0
	s_mov_b32 s25, 0x7b000000
	s_movk_i32 s21, 0xff80
	v_ldexp_f64 v[14:15], |v[1:2]|, s21
	v_cmp_ge_f64_e64 vcc, |v[1:2]|, s[24:25]
	v_trig_preop_f64 v[5:6], |v[1:2]|, 1
	v_and_b32_e32 v10, 0x7fffffff, v2
	v_trig_preop_f64 v[22:23], |v[1:2]|, 2
	v_mov_b32_e32 v32, 0
	s_mov_b32 s21, 0x3ff921fb
	v_cndmask_b32_e32 v15, v10, v15, vcc
	v_cndmask_b32_e32 v14, v1, v14, vcc
	v_mov_b32_e32 v10, 0x40100000
	v_mul_f64 v[16:17], v[3:4], v[14:15]
	v_mul_f64 v[18:19], v[5:6], v[14:15]
	;; [unrolled: 1-line block ×3, first 2 shown]
	v_fma_f64 v[3:4], v[3:4], v[14:15], -v[16:17]
	v_fma_f64 v[5:6], v[5:6], v[14:15], -v[18:19]
	v_fma_f64 v[14:15], v[22:23], v[14:15], -v[28:29]
	v_add_f64 v[20:21], v[18:19], v[3:4]
	v_add_f64 v[24:25], v[20:21], -v[18:19]
	v_add_f64 v[30:31], v[16:17], v[20:21]
	v_add_f64 v[26:27], v[20:21], -v[24:25]
	v_add_f64 v[3:4], v[3:4], -v[24:25]
	v_add_f64 v[24:25], v[28:29], v[5:6]
	v_add_f64 v[16:17], v[30:31], -v[16:17]
	v_add_f64 v[18:19], v[18:19], -v[26:27]
	v_ldexp_f64 v[26:27], v[30:31], -2
	v_add_f64 v[34:35], v[24:25], -v[28:29]
	v_add_f64 v[16:17], v[20:21], -v[16:17]
	v_add_f64 v[3:4], v[3:4], v[18:19]
	v_fract_f64_e32 v[18:19], v[26:27]
	v_cmp_neq_f64_e64 vcc, |v[26:27]|, s[4:5]
	v_add_f64 v[5:6], v[5:6], -v[34:35]
	v_add_f64 v[20:21], v[24:25], v[3:4]
	v_ldexp_f64 v[18:19], v[18:19], 2
	v_add_f64 v[26:27], v[16:17], v[20:21]
	v_cndmask_b32_e32 v19, 0, v19, vcc
	v_cndmask_b32_e32 v18, 0, v18, vcc
	v_add_f64 v[36:37], v[20:21], -v[24:25]
	v_add_f64 v[30:31], v[26:27], v[18:19]
	v_add_f64 v[16:17], v[26:27], -v[16:17]
	v_add_f64 v[38:39], v[20:21], -v[36:37]
	;; [unrolled: 1-line block ×3, first 2 shown]
	v_cmp_gt_f64_e32 vcc, 0, v[30:31]
	v_add_f64 v[30:31], v[24:25], -v[34:35]
	v_add_f64 v[16:17], v[20:21], -v[16:17]
	;; [unrolled: 1-line block ×3, first 2 shown]
	v_cndmask_b32_e32 v33, 0, v10, vcc
	v_add_f64 v[18:19], v[18:19], v[32:33]
	v_add_f64 v[30:31], v[28:29], -v[30:31]
	v_add_f64 v[3:4], v[3:4], v[24:25]
	v_add_f64 v[40:41], v[26:27], v[18:19]
	;; [unrolled: 1-line block ×3, first 2 shown]
	v_cvt_i32_f64_e32 v10, v[40:41]
	v_add_f64 v[3:4], v[5:6], v[3:4]
	v_cvt_f64_i32_e32 v[33:34], v10
	v_add_f64 v[18:19], v[18:19], -v[33:34]
	v_add_f64 v[3:4], v[14:15], v[3:4]
	v_add_f64 v[5:6], v[26:27], v[18:19]
	;; [unrolled: 1-line block ×3, first 2 shown]
	v_mov_b32_e32 v16, 0x3ff00000
	v_add_f64 v[14:15], v[5:6], -v[18:19]
	v_cmp_le_f64_e32 vcc, 0.5, v[5:6]
	v_add_f64 v[14:15], v[26:27], -v[14:15]
	v_cndmask_b32_e32 v33, 0, v16, vcc
	v_add_f64 v[5:6], v[5:6], -v[32:33]
	v_addc_co_u32_e64 v10, s[4:5], 0, v10, vcc
	s_mov_b32 s4, 0x33145c07
	s_mov_b32 s5, 0x3c91a626
	v_add_f64 v[3:4], v[3:4], v[14:15]
	v_add_f64 v[14:15], v[5:6], v[3:4]
	v_mul_f64 v[16:17], v[14:15], s[20:21]
	v_add_f64 v[5:6], v[14:15], -v[5:6]
	v_fma_f64 v[18:19], v[14:15], s[20:21], -v[16:17]
	v_add_f64 v[3:4], v[3:4], -v[5:6]
	v_fma_f64 v[5:6], v[14:15], s[4:5], v[18:19]
	v_fma_f64 v[5:6], v[3:4], s[20:21], v[5:6]
	v_add_f64 v[3:4], v[16:17], v[5:6]
	v_add_f64 v[14:15], v[3:4], -v[16:17]
	v_add_f64 v[5:6], v[5:6], -v[14:15]
.LBB35_32:
	s_andn2_saveexec_b64 s[4:5], s[22:23]
	s_cbranch_execz .LBB35_34
; %bb.33:
	s_mov_b32 s20, 0x6dc9c883
	s_mov_b32 s21, 0x3fe45f30
	v_mul_f64 v[3:4], |v[1:2]|, s[20:21]
	s_mov_b32 s20, 0x54442d18
	s_mov_b32 s21, 0xbff921fb
	;; [unrolled: 1-line block ×4, first 2 shown]
	v_rndne_f64_e32 v[14:15], v[3:4]
	v_fma_f64 v[3:4], v[14:15], s[20:21], |v[1:2]|
	v_mul_f64 v[5:6], v[14:15], s[22:23]
	s_mov_b32 s20, 0x252049c0
	s_mov_b32 s21, 0xb97b839a
	v_cvt_i32_f64_e32 v10, v[14:15]
	v_fma_f64 v[20:21], v[14:15], s[22:23], v[3:4]
	v_add_f64 v[16:17], v[3:4], v[5:6]
	s_mov_b32 s23, 0x3c91a626
	v_add_f64 v[18:19], v[3:4], -v[16:17]
	v_add_f64 v[16:17], v[16:17], -v[20:21]
	v_add_f64 v[3:4], v[18:19], v[5:6]
	v_fma_f64 v[5:6], v[14:15], s[22:23], v[5:6]
	v_add_f64 v[3:4], v[16:17], v[3:4]
	v_add_f64 v[3:4], v[3:4], -v[5:6]
	v_fma_f64 v[5:6], v[14:15], s[20:21], v[3:4]
	v_add_f64 v[3:4], v[20:21], v[5:6]
	v_add_f64 v[16:17], v[3:4], -v[20:21]
	v_add_f64 v[5:6], v[5:6], -v[16:17]
.LBB35_34:
	s_or_b64 exec, exec, s[4:5]
	v_mul_f64 v[14:15], v[3:4], v[3:4]
	v_add_f64 v[16:17], v[5:6], v[5:6]
	s_mov_b32 s4, 0xc751c08c
	s_mov_b32 s5, 0x3ef5e089
	v_and_b32_e32 v10, 1, v10
	v_cmp_eq_u32_e32 vcc, 0, v10
	s_mov_b32 s22, 0x54442d18
	s_mov_b32 s23, 0xc00921fb
	v_fma_f64 v[18:19], v[3:4], v[3:4], -v[14:15]
	s_mov_b64 s[20:21], exec
	v_sub_f32_e32 v11, 1.0, v11
	v_fma_f64 v[16:17], v[3:4], v[16:17], v[18:19]
	v_add_f64 v[14:15], v[14:15], v[16:17]
	v_mov_b32_e32 v16, 0xa9a29f71
	v_mov_b32_e32 v17, 0xbf078809
	v_fma_f64 v[16:17], v[14:15], s[4:5], v[16:17]
	s_mov_b32 s4, 0x90a8aae0
	s_mov_b32 s5, 0x3f17746f
	v_fma_f64 v[16:17], v[14:15], v[16:17], s[4:5]
	s_mov_b32 s4, 0xa6fbf144
	s_mov_b32 s5, 0xbefbb44d
	;; [unrolled: 3-line block ×12, first 2 shown]
	v_fma_f64 v[16:17], v[14:15], v[16:17], s[4:5]
	s_movk_i32 s4, 0x1f8
	v_cmp_class_f64_e64 s[4:5], v[1:2], s4
	v_mul_f64 v[14:15], v[14:15], v[16:17]
	v_mul_f64 v[16:17], v[3:4], v[14:15]
	v_add_f64 v[18:19], v[3:4], v[16:17]
	v_fma_f64 v[14:15], v[3:4], v[14:15], -v[16:17]
	v_add_f64 v[3:4], v[18:19], -v[3:4]
	v_add_f64 v[5:6], v[5:6], v[14:15]
	v_add_f64 v[3:4], v[16:17], -v[3:4]
	v_add_f64 v[3:4], v[5:6], v[3:4]
	v_add_f64 v[5:6], v[18:19], v[3:4]
	v_rcp_f64_e32 v[14:15], v[5:6]
	v_fma_f64 v[16:17], -v[5:6], v[14:15], 1.0
	v_fma_f64 v[14:15], v[16:17], v[14:15], v[14:15]
	v_fma_f64 v[16:17], -v[5:6], v[14:15], 1.0
	v_fma_f64 v[14:15], v[16:17], v[14:15], v[14:15]
	v_add_f64 v[16:17], v[5:6], -v[18:19]
	v_mul_f64 v[18:19], v[5:6], v[14:15]
	v_add_f64 v[3:4], v[3:4], -v[16:17]
	v_fma_f64 v[16:17], v[14:15], v[5:6], -v[18:19]
	v_fma_f64 v[3:4], v[14:15], v[3:4], v[16:17]
	v_add_f64 v[16:17], v[18:19], v[3:4]
	v_add_f64 v[20:21], -v[16:17], 1.0
	v_add_f64 v[18:19], v[16:17], -v[18:19]
	v_add_f64 v[22:23], -v[20:21], 1.0
	v_add_f64 v[3:4], v[18:19], -v[3:4]
	v_add_f64 v[16:17], v[22:23], -v[16:17]
	v_add_f64 v[3:4], v[3:4], v[16:17]
	v_add_f64 v[3:4], v[20:21], v[3:4]
	v_mul_f64 v[3:4], v[14:15], v[3:4]
	v_add_f64 v[3:4], v[14:15], v[3:4]
	v_and_b32_e32 v14, 0x80000000, v2
	v_mov_b32_e32 v2, 0x7ff80000
	v_xor_b32_e32 v1, 0x80000000, v4
	v_cndmask_b32_e32 v3, v3, v5, vcc
	v_cndmask_b32_e32 v4, v1, v6, vcc
	v_cndmask_b32_e64 v1, 0, v3, s[4:5]
	v_xor_b32_e32 v3, v4, v14
	v_cndmask_b32_e64 v2, v2, v3, s[4:5]
	v_div_scale_f64 v[3:4], s[4:5], v[1:2], v[1:2], s[22:23]
	v_div_scale_f64 v[16:17], vcc, s[22:23], v[1:2], s[22:23]
	v_rcp_f64_e32 v[5:6], v[3:4]
	v_fma_f64 v[14:15], -v[3:4], v[5:6], 1.0
	v_fma_f64 v[5:6], v[5:6], v[14:15], v[5:6]
	v_fma_f64 v[14:15], -v[3:4], v[5:6], 1.0
	v_fma_f64 v[5:6], v[5:6], v[14:15], v[5:6]
	v_mul_f64 v[14:15], v[16:17], v[5:6]
	v_fma_f64 v[3:4], -v[3:4], v[14:15], v[16:17]
	v_div_fmas_f64 v[3:4], v[3:4], v[5:6], v[14:15]
	v_div_fixup_f64 v[1:2], v[3:4], v[1:2], s[22:23]
	v_cvt_f32_f64_e32 v1, v[1:2]
.LBB35_35:
	s_or_b64 exec, exec, s[18:19]
	s_orn2_b64 s[18:19], s[20:21], exec
.LBB35_36:
	s_or_b64 exec, exec, s[16:17]
	v_mov_b32_e32 v10, 0x7fc00000
	s_and_saveexec_b64 s[4:5], s[18:19]
	s_cbranch_execz .LBB35_48
; %bb.37:
	s_mov_b32 s20, 0x41200000
	v_cmp_gt_f32_e32 vcc, s20, v11
	s_and_saveexec_b64 s[16:17], vcc
	s_cbranch_execz .LBB35_41
; %bb.38:
	s_mov_b64 s[18:19], 0
.LBB35_39:                              ; =>This Inner Loop Header: Depth=1
	v_div_scale_f32 v2, s[22:23], v11, v11, 1.0
	v_div_scale_f32 v3, vcc, 1.0, v11, 1.0
	v_rcp_f32_e32 v4, v2
	v_fma_f32 v5, -v2, v4, 1.0
	v_fmac_f32_e32 v4, v5, v4
	v_mul_f32_e32 v5, v3, v4
	v_fma_f32 v6, -v2, v5, v3
	v_fmac_f32_e32 v5, v6, v4
	v_fma_f32 v2, -v2, v5, v3
	v_div_fmas_f32 v2, v2, v4, v5
	v_div_fixup_f32 v2, v2, v11, 1.0
	v_add_f32_e32 v11, 1.0, v11
	v_cmp_ngt_f32_e32 vcc, s20, v11
	s_or_b64 s[18:19], vcc, s[18:19]
	v_sub_f32_e32 v1, v1, v2
	s_andn2_b64 exec, exec, s[18:19]
	s_cbranch_execnz .LBB35_39
; %bb.40:
	s_or_b64 exec, exec, s[18:19]
.LBB35_41:
	s_or_b64 exec, exec, s[16:17]
	s_mov_b32 s16, 0x41200000
	v_cmp_neq_f32_e32 vcc, s16, v11
                                        ; implicit-def: $vgpr10
	s_and_saveexec_b64 s[16:17], vcc
	s_xor_b64 s[16:17], exec, s[16:17]
	s_cbranch_execz .LBB35_45
; %bb.42:
	v_cvt_f64_f32_e32 v[2:3], v11
	s_mov_b32 s18, 0x85d8a000
	s_mov_b32 s19, 0x43763457
	v_cmp_gt_f64_e32 vcc, s[18:19], v[2:3]
	v_mov_b32_e32 v2, 0
	s_and_saveexec_b64 s[18:19], vcc
	s_cbranch_execz .LBB35_44
; %bb.43:
	v_mul_f32_e32 v2, v11, v11
	v_div_scale_f32 v3, s[20:21], v2, v2, 1.0
	v_div_scale_f32 v4, vcc, 1.0, v2, 1.0
	v_mov_b32_e32 v14, 0x3b820821
	v_rcp_f32_e32 v5, v3
	v_fma_f32 v6, -v3, v5, 1.0
	v_fmac_f32_e32 v5, v6, v5
	v_mul_f32_e32 v6, v4, v5
	v_fma_f32 v10, -v3, v6, v4
	v_fmac_f32_e32 v6, v10, v5
	v_fma_f32 v3, -v3, v6, v4
	v_div_fmas_f32 v3, v3, v5, v6
	v_mov_b32_e32 v4, 0x3daaaaab
	v_mov_b32_e32 v5, 0xbcaccacd
	;; [unrolled: 1-line block ×4, first 2 shown]
	v_div_fixup_f32 v2, v3, v2, 1.0
	v_fma_f32 v3, 0, v2, v4
	v_fmac_f32_e32 v5, v2, v3
	v_fmac_f32_e32 v6, v2, v5
	;; [unrolled: 1-line block ×4, first 2 shown]
	v_mov_b32_e32 v3, 0xbc088889
	v_fmac_f32_e32 v3, v2, v14
	v_fmac_f32_e32 v4, v2, v3
	v_mul_f32_e32 v2, v2, v4
.LBB35_44:
	s_or_b64 exec, exec, s[18:19]
	v_div_scale_f32 v3, s[18:19], v11, v11, -0.5
	v_div_scale_f32 v4, vcc, -0.5, v11, -0.5
	s_mov_b32 s18, 0x800000
	s_mov_b32 s19, 0x3f317217
	;; [unrolled: 1-line block ×3, first 2 shown]
	v_rcp_f32_e32 v5, v3
	v_fma_f32 v6, -v3, v5, 1.0
	v_fmac_f32_e32 v5, v6, v5
	v_mul_f32_e32 v6, v4, v5
	v_fma_f32 v10, -v3, v6, v4
	v_fmac_f32_e32 v6, v10, v5
	v_fma_f32 v3, -v3, v6, v4
	v_div_fmas_f32 v3, v3, v5, v6
	v_cmp_gt_f32_e32 vcc, s18, v11
	v_cndmask_b32_e64 v5, 0, 32, vcc
	v_ldexp_f32 v5, v11, v5
	v_log_f32_e32 v5, v5
	v_mov_b32_e32 v4, 0x41b17218
	v_cndmask_b32_e32 v4, 0, v4, vcc
	s_movk_i32 s18, 0x7fff
	v_mul_f32_e32 v10, 0x3f317217, v5
	v_fma_f32 v10, v5, s19, -v10
	v_fmac_f32_e32 v10, 0x3377d1cf, v5
	v_fmac_f32_e32 v10, 0x3f317217, v5
	v_cmp_lt_f32_e64 vcc, |v5|, s20
	v_cndmask_b32_e32 v5, v5, v10, vcc
	v_sub_f32_e32 v4, v5, v4
	v_mov_b32_e32 v6, 0x7fc00000
	v_div_fixup_f32 v3, v3, v11, -0.5
	v_add_f32_e32 v3, v4, v3
	v_sub_f32_e32 v2, v3, v2
	v_add_f32_e32 v1, v1, v2
	v_bfe_u32 v2, v1, 16, 1
	v_add3_u32 v2, v1, v2, s18
	v_and_b32_e32 v2, 0xffff0000, v2
	v_cmp_o_f32_e32 vcc, v1, v1
	v_cndmask_b32_e32 v10, v6, v2, vcc
                                        ; implicit-def: $vgpr1
.LBB35_45:
	s_andn2_saveexec_b64 s[16:17], s[16:17]
; %bb.46:
	v_add_f32_e32 v1, 0x40101cb7, v1
	v_bfe_u32 v2, v1, 16, 1
	s_movk_i32 s18, 0x7fff
	v_add3_u32 v2, v1, v2, s18
	v_and_b32_e32 v2, 0xffff0000, v2
	v_mov_b32_e32 v3, 0x7fc00000
	v_cmp_o_f32_e32 vcc, v1, v1
	v_cndmask_b32_e32 v10, v3, v2, vcc
; %bb.47:
	s_or_b64 exec, exec, s[16:17]
.LBB35_48:
	s_or_b64 exec, exec, s[4:5]
                                        ; implicit-def: $vgpr11
.LBB35_49:
	s_andn2_saveexec_b64 s[4:5], s[14:15]
; %bb.50:
	v_xor_b32_e32 v1, 0x80000000, v11
	v_and_b32_e32 v1, 0x80000000, v1
	v_or_b32_e32 v10, 0x7f800000, v1
; %bb.51:
	s_or_b64 exec, exec, s[4:5]
	s_waitcnt vmcnt(2)
	v_lshlrev_b32_e32 v14, 16, v13
	v_cmp_neq_f32_e32 vcc, 0, v14
                                        ; implicit-def: $vgpr11
	s_and_saveexec_b64 s[4:5], vcc
	s_xor_b64 s[14:15], exec, s[4:5]
	s_cbranch_execz .LBB35_73
; %bb.52:
	v_mov_b32_e32 v1, 0
	v_cmp_gt_f32_e32 vcc, 0, v14
	s_mov_b64 s[18:19], -1
	s_and_saveexec_b64 s[16:17], vcc
	s_cbranch_execz .LBB35_60
; %bb.53:
	v_trunc_f32_e32 v1, v14
	v_cmp_neq_f32_e32 vcc, v1, v14
	s_mov_b64 s[20:21], 0
	v_mov_b32_e32 v1, 0
	s_and_saveexec_b64 s[18:19], vcc
	s_cbranch_execz .LBB35_59
; %bb.54:
	v_cvt_f64_f32_e32 v[1:2], v14
	s_mov_b32 s22, 0
	s_mov_b32 s5, 0xc00921fb
	;; [unrolled: 1-line block ×3, first 2 shown]
	v_trunc_f64_e32 v[3:4], v[1:2]
	s_mov_b32 s23, 0x7ff00000
	v_cmp_neq_f64_e64 vcc, |v[1:2]|, s[22:23]
	v_bfrev_b32_e32 v5, 1
	s_mov_b32 s20, 0
	s_mov_b32 s21, 0x41d00000
                                        ; implicit-def: $vgpr11
	v_add_f64 v[3:4], v[1:2], -v[3:4]
	v_mul_f64 v[3:4], |v[3:4]|, s[4:5]
	v_cndmask_b32_e32 v2, v5, v4, vcc
	v_cndmask_b32_e32 v1, 0, v3, vcc
	v_cmp_nlt_f64_e64 s[20:21], |v[1:2]|, s[20:21]
                                        ; implicit-def: $vgpr3_vgpr4
                                        ; implicit-def: $vgpr5_vgpr6
	s_and_saveexec_b64 s[24:25], s[20:21]
	s_xor_b64 s[20:21], exec, s[24:25]
	s_cbranch_execz .LBB35_56
; %bb.55:
	v_trig_preop_f64 v[3:4], |v[1:2]|, 0
	s_mov_b32 s24, 0
	s_mov_b32 s25, 0x7b000000
	s_movk_i32 s5, 0xff80
	v_ldexp_f64 v[15:16], |v[1:2]|, s5
	v_cmp_ge_f64_e64 vcc, |v[1:2]|, s[24:25]
	v_trig_preop_f64 v[5:6], |v[1:2]|, 1
	v_and_b32_e32 v11, 0x7fffffff, v2
	v_trig_preop_f64 v[23:24], |v[1:2]|, 2
	v_mov_b32_e32 v33, 0
	s_mov_b32 s5, 0x3ff921fb
	v_cndmask_b32_e32 v16, v11, v16, vcc
	v_cndmask_b32_e32 v15, v1, v15, vcc
	v_mov_b32_e32 v11, 0x40100000
	v_mul_f64 v[17:18], v[3:4], v[15:16]
	v_mul_f64 v[19:20], v[5:6], v[15:16]
	;; [unrolled: 1-line block ×3, first 2 shown]
	v_fma_f64 v[3:4], v[3:4], v[15:16], -v[17:18]
	v_fma_f64 v[5:6], v[5:6], v[15:16], -v[19:20]
	;; [unrolled: 1-line block ×3, first 2 shown]
	v_add_f64 v[21:22], v[19:20], v[3:4]
	v_add_f64 v[25:26], v[21:22], -v[19:20]
	v_add_f64 v[31:32], v[17:18], v[21:22]
	v_add_f64 v[27:28], v[21:22], -v[25:26]
	v_add_f64 v[3:4], v[3:4], -v[25:26]
	v_add_f64 v[25:26], v[29:30], v[5:6]
	v_add_f64 v[17:18], v[31:32], -v[17:18]
	v_add_f64 v[19:20], v[19:20], -v[27:28]
	v_ldexp_f64 v[27:28], v[31:32], -2
	v_add_f64 v[35:36], v[25:26], -v[29:30]
	v_add_f64 v[17:18], v[21:22], -v[17:18]
	v_add_f64 v[3:4], v[3:4], v[19:20]
	v_fract_f64_e32 v[19:20], v[27:28]
	v_cmp_neq_f64_e64 vcc, |v[27:28]|, s[22:23]
	v_add_f64 v[5:6], v[5:6], -v[35:36]
	s_mov_b32 s22, 0x33145c07
	s_mov_b32 s23, 0x3c91a626
	v_add_f64 v[21:22], v[25:26], v[3:4]
	v_ldexp_f64 v[19:20], v[19:20], 2
	v_add_f64 v[27:28], v[17:18], v[21:22]
	v_cndmask_b32_e32 v20, 0, v20, vcc
	v_cndmask_b32_e32 v19, 0, v19, vcc
	v_add_f64 v[37:38], v[21:22], -v[25:26]
	v_add_f64 v[31:32], v[27:28], v[19:20]
	v_add_f64 v[17:18], v[27:28], -v[17:18]
	v_add_f64 v[39:40], v[21:22], -v[37:38]
	;; [unrolled: 1-line block ×3, first 2 shown]
	v_cmp_gt_f64_e32 vcc, 0, v[31:32]
	v_add_f64 v[31:32], v[25:26], -v[35:36]
	v_add_f64 v[17:18], v[21:22], -v[17:18]
	;; [unrolled: 1-line block ×3, first 2 shown]
	v_cndmask_b32_e32 v34, 0, v11, vcc
	v_add_f64 v[19:20], v[19:20], v[33:34]
	v_add_f64 v[31:32], v[29:30], -v[31:32]
	v_add_f64 v[3:4], v[3:4], v[25:26]
	v_add_f64 v[41:42], v[27:28], v[19:20]
	;; [unrolled: 1-line block ×3, first 2 shown]
	v_cvt_i32_f64_e32 v11, v[41:42]
	v_add_f64 v[3:4], v[5:6], v[3:4]
	v_cvt_f64_i32_e32 v[34:35], v11
	v_add_f64 v[19:20], v[19:20], -v[34:35]
	v_add_f64 v[3:4], v[15:16], v[3:4]
	v_add_f64 v[5:6], v[27:28], v[19:20]
	;; [unrolled: 1-line block ×3, first 2 shown]
	v_mov_b32_e32 v17, 0x3ff00000
	v_add_f64 v[15:16], v[5:6], -v[19:20]
	v_cmp_le_f64_e32 vcc, 0.5, v[5:6]
	v_add_f64 v[15:16], v[27:28], -v[15:16]
	v_cndmask_b32_e32 v34, 0, v17, vcc
	v_add_f64 v[5:6], v[5:6], -v[33:34]
	v_addc_co_u32_e32 v11, vcc, 0, v11, vcc
	v_add_f64 v[3:4], v[3:4], v[15:16]
	v_add_f64 v[15:16], v[5:6], v[3:4]
	v_mul_f64 v[17:18], v[15:16], s[4:5]
	v_add_f64 v[5:6], v[15:16], -v[5:6]
	v_fma_f64 v[19:20], v[15:16], s[4:5], -v[17:18]
	v_add_f64 v[3:4], v[3:4], -v[5:6]
	v_fma_f64 v[5:6], v[15:16], s[22:23], v[19:20]
	v_fma_f64 v[5:6], v[3:4], s[4:5], v[5:6]
	v_add_f64 v[3:4], v[17:18], v[5:6]
	v_add_f64 v[15:16], v[3:4], -v[17:18]
	v_add_f64 v[5:6], v[5:6], -v[15:16]
.LBB35_56:
	s_andn2_saveexec_b64 s[4:5], s[20:21]
	s_cbranch_execz .LBB35_58
; %bb.57:
	s_mov_b32 s20, 0x6dc9c883
	s_mov_b32 s21, 0x3fe45f30
	v_mul_f64 v[3:4], |v[1:2]|, s[20:21]
	s_mov_b32 s20, 0x54442d18
	s_mov_b32 s21, 0xbff921fb
	;; [unrolled: 1-line block ×4, first 2 shown]
	v_rndne_f64_e32 v[15:16], v[3:4]
	v_fma_f64 v[3:4], v[15:16], s[20:21], |v[1:2]|
	v_mul_f64 v[5:6], v[15:16], s[22:23]
	s_mov_b32 s20, 0x252049c0
	s_mov_b32 s21, 0xb97b839a
	v_cvt_i32_f64_e32 v11, v[15:16]
	v_fma_f64 v[21:22], v[15:16], s[22:23], v[3:4]
	v_add_f64 v[17:18], v[3:4], v[5:6]
	s_mov_b32 s23, 0x3c91a626
	v_add_f64 v[19:20], v[3:4], -v[17:18]
	v_add_f64 v[17:18], v[17:18], -v[21:22]
	v_add_f64 v[3:4], v[19:20], v[5:6]
	v_fma_f64 v[5:6], v[15:16], s[22:23], v[5:6]
	v_add_f64 v[3:4], v[17:18], v[3:4]
	v_add_f64 v[3:4], v[3:4], -v[5:6]
	v_fma_f64 v[5:6], v[15:16], s[20:21], v[3:4]
	v_add_f64 v[3:4], v[21:22], v[5:6]
	v_add_f64 v[17:18], v[3:4], -v[21:22]
	v_add_f64 v[5:6], v[5:6], -v[17:18]
.LBB35_58:
	s_or_b64 exec, exec, s[4:5]
	v_mul_f64 v[15:16], v[3:4], v[3:4]
	v_add_f64 v[17:18], v[5:6], v[5:6]
	s_mov_b32 s4, 0xc751c08c
	s_mov_b32 s5, 0x3ef5e089
	v_and_b32_e32 v11, 1, v11
	v_cmp_eq_u32_e32 vcc, 0, v11
	s_mov_b32 s22, 0x54442d18
	s_mov_b32 s23, 0xc00921fb
	v_fma_f64 v[19:20], v[3:4], v[3:4], -v[15:16]
	s_mov_b64 s[20:21], exec
	v_sub_f32_e32 v14, 1.0, v14
	v_fma_f64 v[17:18], v[3:4], v[17:18], v[19:20]
	v_add_f64 v[15:16], v[15:16], v[17:18]
	v_mov_b32_e32 v17, 0xa9a29f71
	v_mov_b32_e32 v18, 0xbf078809
	v_fma_f64 v[17:18], v[15:16], s[4:5], v[17:18]
	s_mov_b32 s4, 0x90a8aae0
	s_mov_b32 s5, 0x3f17746f
	v_fma_f64 v[17:18], v[15:16], v[17:18], s[4:5]
	s_mov_b32 s4, 0xa6fbf144
	s_mov_b32 s5, 0xbefbb44d
	;; [unrolled: 3-line block ×12, first 2 shown]
	v_fma_f64 v[17:18], v[15:16], v[17:18], s[4:5]
	s_movk_i32 s4, 0x1f8
	v_cmp_class_f64_e64 s[4:5], v[1:2], s4
	v_mul_f64 v[15:16], v[15:16], v[17:18]
	v_mul_f64 v[17:18], v[3:4], v[15:16]
	v_add_f64 v[19:20], v[3:4], v[17:18]
	v_fma_f64 v[15:16], v[3:4], v[15:16], -v[17:18]
	v_add_f64 v[3:4], v[19:20], -v[3:4]
	v_add_f64 v[5:6], v[5:6], v[15:16]
	v_add_f64 v[3:4], v[17:18], -v[3:4]
	v_add_f64 v[3:4], v[5:6], v[3:4]
	v_add_f64 v[5:6], v[19:20], v[3:4]
	v_rcp_f64_e32 v[15:16], v[5:6]
	v_fma_f64 v[17:18], -v[5:6], v[15:16], 1.0
	v_fma_f64 v[15:16], v[17:18], v[15:16], v[15:16]
	v_fma_f64 v[17:18], -v[5:6], v[15:16], 1.0
	v_fma_f64 v[15:16], v[17:18], v[15:16], v[15:16]
	v_add_f64 v[17:18], v[5:6], -v[19:20]
	v_mul_f64 v[19:20], v[5:6], v[15:16]
	v_add_f64 v[3:4], v[3:4], -v[17:18]
	v_fma_f64 v[17:18], v[15:16], v[5:6], -v[19:20]
	v_fma_f64 v[3:4], v[15:16], v[3:4], v[17:18]
	v_add_f64 v[17:18], v[19:20], v[3:4]
	v_add_f64 v[21:22], -v[17:18], 1.0
	v_add_f64 v[19:20], v[17:18], -v[19:20]
	v_add_f64 v[23:24], -v[21:22], 1.0
	v_add_f64 v[3:4], v[19:20], -v[3:4]
	v_add_f64 v[17:18], v[23:24], -v[17:18]
	v_add_f64 v[3:4], v[3:4], v[17:18]
	v_add_f64 v[3:4], v[21:22], v[3:4]
	v_mul_f64 v[3:4], v[15:16], v[3:4]
	v_add_f64 v[3:4], v[15:16], v[3:4]
	v_and_b32_e32 v15, 0x80000000, v2
	v_mov_b32_e32 v2, 0x7ff80000
	v_xor_b32_e32 v1, 0x80000000, v4
	v_cndmask_b32_e32 v3, v3, v5, vcc
	v_cndmask_b32_e32 v4, v1, v6, vcc
	v_cndmask_b32_e64 v1, 0, v3, s[4:5]
	v_xor_b32_e32 v3, v4, v15
	v_cndmask_b32_e64 v2, v2, v3, s[4:5]
	v_div_scale_f64 v[3:4], s[4:5], v[1:2], v[1:2], s[22:23]
	v_div_scale_f64 v[17:18], vcc, s[22:23], v[1:2], s[22:23]
	v_rcp_f64_e32 v[5:6], v[3:4]
	v_fma_f64 v[15:16], -v[3:4], v[5:6], 1.0
	v_fma_f64 v[5:6], v[5:6], v[15:16], v[5:6]
	v_fma_f64 v[15:16], -v[3:4], v[5:6], 1.0
	v_fma_f64 v[5:6], v[5:6], v[15:16], v[5:6]
	v_mul_f64 v[15:16], v[17:18], v[5:6]
	v_fma_f64 v[3:4], -v[3:4], v[15:16], v[17:18]
	v_div_fmas_f64 v[3:4], v[3:4], v[5:6], v[15:16]
	v_div_fixup_f64 v[1:2], v[3:4], v[1:2], s[22:23]
	v_cvt_f32_f64_e32 v1, v[1:2]
.LBB35_59:
	s_or_b64 exec, exec, s[18:19]
	s_orn2_b64 s[18:19], s[20:21], exec
.LBB35_60:
	s_or_b64 exec, exec, s[16:17]
	v_mov_b32_e32 v11, 0x7fc0
	s_and_saveexec_b64 s[4:5], s[18:19]
	s_cbranch_execz .LBB35_72
; %bb.61:
	s_mov_b32 s20, 0x41200000
	v_cmp_gt_f32_e32 vcc, s20, v14
	s_and_saveexec_b64 s[16:17], vcc
	s_cbranch_execz .LBB35_65
; %bb.62:
	s_mov_b64 s[18:19], 0
.LBB35_63:                              ; =>This Inner Loop Header: Depth=1
	v_div_scale_f32 v2, s[22:23], v14, v14, 1.0
	v_div_scale_f32 v3, vcc, 1.0, v14, 1.0
	v_rcp_f32_e32 v4, v2
	v_fma_f32 v5, -v2, v4, 1.0
	v_fmac_f32_e32 v4, v5, v4
	v_mul_f32_e32 v5, v3, v4
	v_fma_f32 v6, -v2, v5, v3
	v_fmac_f32_e32 v5, v6, v4
	v_fma_f32 v2, -v2, v5, v3
	v_div_fmas_f32 v2, v2, v4, v5
	v_div_fixup_f32 v2, v2, v14, 1.0
	v_add_f32_e32 v14, 1.0, v14
	v_cmp_ngt_f32_e32 vcc, s20, v14
	s_or_b64 s[18:19], vcc, s[18:19]
	v_sub_f32_e32 v1, v1, v2
	s_andn2_b64 exec, exec, s[18:19]
	s_cbranch_execnz .LBB35_63
; %bb.64:
	s_or_b64 exec, exec, s[18:19]
.LBB35_65:
	s_or_b64 exec, exec, s[16:17]
	s_mov_b32 s16, 0x41200000
	v_cmp_neq_f32_e32 vcc, s16, v14
                                        ; implicit-def: $vgpr11
	s_and_saveexec_b64 s[16:17], vcc
	s_xor_b64 s[16:17], exec, s[16:17]
	s_cbranch_execz .LBB35_69
; %bb.66:
	v_cvt_f64_f32_e32 v[2:3], v14
	s_mov_b32 s18, 0x85d8a000
	s_mov_b32 s19, 0x43763457
	v_cmp_gt_f64_e32 vcc, s[18:19], v[2:3]
	v_mov_b32_e32 v2, 0
	s_and_saveexec_b64 s[18:19], vcc
	s_cbranch_execz .LBB35_68
; %bb.67:
	v_mul_f32_e32 v2, v14, v14
	v_div_scale_f32 v3, s[20:21], v2, v2, 1.0
	v_div_scale_f32 v4, vcc, 1.0, v2, 1.0
	v_mov_b32_e32 v15, 0x3b820821
	v_rcp_f32_e32 v5, v3
	v_fma_f32 v6, -v3, v5, 1.0
	v_fmac_f32_e32 v5, v6, v5
	v_mul_f32_e32 v6, v4, v5
	v_fma_f32 v11, -v3, v6, v4
	v_fmac_f32_e32 v6, v11, v5
	v_fma_f32 v3, -v3, v6, v4
	v_div_fmas_f32 v3, v3, v5, v6
	v_mov_b32_e32 v4, 0x3daaaaab
	v_mov_b32_e32 v5, 0xbcaccacd
	;; [unrolled: 1-line block ×4, first 2 shown]
	v_div_fixup_f32 v2, v3, v2, 1.0
	v_fma_f32 v3, 0, v2, v4
	v_fmac_f32_e32 v5, v2, v3
	v_fmac_f32_e32 v6, v2, v5
	;; [unrolled: 1-line block ×4, first 2 shown]
	v_mov_b32_e32 v3, 0xbc088889
	v_fmac_f32_e32 v3, v2, v15
	v_fmac_f32_e32 v4, v2, v3
	v_mul_f32_e32 v2, v2, v4
.LBB35_68:
	s_or_b64 exec, exec, s[18:19]
	v_div_scale_f32 v3, s[18:19], v14, v14, -0.5
	v_div_scale_f32 v4, vcc, -0.5, v14, -0.5
	s_mov_b32 s18, 0x800000
	s_mov_b32 s19, 0x3f317217
	;; [unrolled: 1-line block ×3, first 2 shown]
	v_rcp_f32_e32 v5, v3
	v_fma_f32 v6, -v3, v5, 1.0
	v_fmac_f32_e32 v5, v6, v5
	v_mul_f32_e32 v6, v4, v5
	v_fma_f32 v11, -v3, v6, v4
	v_fmac_f32_e32 v6, v11, v5
	v_fma_f32 v3, -v3, v6, v4
	v_div_fmas_f32 v3, v3, v5, v6
	v_cmp_gt_f32_e32 vcc, s18, v14
	v_cndmask_b32_e64 v5, 0, 32, vcc
	v_ldexp_f32 v5, v14, v5
	v_log_f32_e32 v5, v5
	v_mov_b32_e32 v4, 0x41b17218
	v_cndmask_b32_e32 v4, 0, v4, vcc
	s_movk_i32 s18, 0x7fff
	v_mul_f32_e32 v11, 0x3f317217, v5
	v_fma_f32 v11, v5, s19, -v11
	v_fmac_f32_e32 v11, 0x3377d1cf, v5
	v_fmac_f32_e32 v11, 0x3f317217, v5
	v_cmp_lt_f32_e64 vcc, |v5|, s20
	v_cndmask_b32_e32 v5, v5, v11, vcc
	v_sub_f32_e32 v4, v5, v4
	v_mov_b32_e32 v6, 0x7fc0
	v_div_fixup_f32 v3, v3, v14, -0.5
	v_add_f32_e32 v3, v4, v3
	v_sub_f32_e32 v2, v3, v2
	v_add_f32_e32 v1, v1, v2
	v_bfe_u32 v2, v1, 16, 1
	v_cmp_o_f32_e32 vcc, v1, v1
	v_add3_u32 v1, v1, v2, s18
	v_cndmask_b32_sdwa v11, v6, v1, vcc dst_sel:DWORD dst_unused:UNUSED_PAD src0_sel:DWORD src1_sel:WORD_1
                                        ; implicit-def: $vgpr1
.LBB35_69:
	s_andn2_saveexec_b64 s[16:17], s[16:17]
; %bb.70:
	v_add_f32_e32 v1, 0x40101cb7, v1
	v_bfe_u32 v2, v1, 16, 1
	s_movk_i32 s18, 0x7fff
	v_add3_u32 v2, v1, v2, s18
	v_cmp_o_f32_e32 vcc, v1, v1
	v_mov_b32_e32 v1, 0x7fc0
	v_cndmask_b32_sdwa v11, v1, v2, vcc dst_sel:DWORD dst_unused:UNUSED_PAD src0_sel:DWORD src1_sel:WORD_1
; %bb.71:
	s_or_b64 exec, exec, s[16:17]
.LBB35_72:
	s_or_b64 exec, exec, s[4:5]
                                        ; implicit-def: $vgpr14
.LBB35_73:
	s_andn2_saveexec_b64 s[4:5], s[14:15]
; %bb.74:
	v_xor_b32_e32 v1, 0x80000000, v14
	v_and_b32_e32 v1, 0x80000000, v1
	v_or_b32_e32 v1, 0x7f800000, v1
	v_lshrrev_b32_e32 v11, 16, v1
; %bb.75:
	s_or_b64 exec, exec, s[4:5]
	v_and_b32_e32 v14, 0xffff0000, v13
	v_cmp_neq_f32_e32 vcc, 0, v14
                                        ; implicit-def: $vgpr13
	s_and_saveexec_b64 s[4:5], vcc
	s_xor_b64 s[14:15], exec, s[4:5]
	s_cbranch_execz .LBB35_97
; %bb.76:
	v_mov_b32_e32 v1, 0
	v_cmp_gt_f32_e32 vcc, 0, v14
	s_mov_b64 s[18:19], -1
	s_and_saveexec_b64 s[16:17], vcc
	s_cbranch_execz .LBB35_84
; %bb.77:
	v_trunc_f32_e32 v1, v14
	v_cmp_neq_f32_e32 vcc, v1, v14
	s_mov_b64 s[20:21], 0
	v_mov_b32_e32 v1, 0
	s_and_saveexec_b64 s[18:19], vcc
	s_cbranch_execz .LBB35_83
; %bb.78:
	v_cvt_f64_f32_e32 v[1:2], v14
	s_mov_b32 s22, 0
	s_mov_b32 s5, 0xc00921fb
	;; [unrolled: 1-line block ×3, first 2 shown]
	v_trunc_f64_e32 v[3:4], v[1:2]
	s_mov_b32 s23, 0x7ff00000
	v_cmp_neq_f64_e64 vcc, |v[1:2]|, s[22:23]
	v_bfrev_b32_e32 v5, 1
	s_mov_b32 s20, 0
	s_mov_b32 s21, 0x41d00000
                                        ; implicit-def: $vgpr13
	v_add_f64 v[3:4], v[1:2], -v[3:4]
	v_mul_f64 v[3:4], |v[3:4]|, s[4:5]
	v_cndmask_b32_e32 v2, v5, v4, vcc
	v_cndmask_b32_e32 v1, 0, v3, vcc
	v_cmp_nlt_f64_e64 s[20:21], |v[1:2]|, s[20:21]
                                        ; implicit-def: $vgpr3_vgpr4
                                        ; implicit-def: $vgpr5_vgpr6
	s_and_saveexec_b64 s[24:25], s[20:21]
	s_xor_b64 s[20:21], exec, s[24:25]
	s_cbranch_execz .LBB35_80
; %bb.79:
	v_trig_preop_f64 v[3:4], |v[1:2]|, 0
	s_mov_b32 s24, 0
	s_mov_b32 s25, 0x7b000000
	s_movk_i32 s5, 0xff80
	v_ldexp_f64 v[15:16], |v[1:2]|, s5
	v_cmp_ge_f64_e64 vcc, |v[1:2]|, s[24:25]
	v_trig_preop_f64 v[5:6], |v[1:2]|, 1
	v_and_b32_e32 v13, 0x7fffffff, v2
	v_trig_preop_f64 v[23:24], |v[1:2]|, 2
	v_mov_b32_e32 v33, 0
	s_mov_b32 s5, 0x3ff921fb
	v_cndmask_b32_e32 v16, v13, v16, vcc
	v_cndmask_b32_e32 v15, v1, v15, vcc
	v_mov_b32_e32 v13, 0x40100000
	v_mul_f64 v[17:18], v[3:4], v[15:16]
	v_mul_f64 v[19:20], v[5:6], v[15:16]
	;; [unrolled: 1-line block ×3, first 2 shown]
	v_fma_f64 v[3:4], v[3:4], v[15:16], -v[17:18]
	v_fma_f64 v[5:6], v[5:6], v[15:16], -v[19:20]
	;; [unrolled: 1-line block ×3, first 2 shown]
	v_add_f64 v[21:22], v[19:20], v[3:4]
	v_add_f64 v[25:26], v[21:22], -v[19:20]
	v_add_f64 v[31:32], v[17:18], v[21:22]
	v_add_f64 v[27:28], v[21:22], -v[25:26]
	v_add_f64 v[3:4], v[3:4], -v[25:26]
	v_add_f64 v[25:26], v[29:30], v[5:6]
	v_add_f64 v[17:18], v[31:32], -v[17:18]
	v_add_f64 v[19:20], v[19:20], -v[27:28]
	v_ldexp_f64 v[27:28], v[31:32], -2
	v_add_f64 v[35:36], v[25:26], -v[29:30]
	v_add_f64 v[17:18], v[21:22], -v[17:18]
	v_add_f64 v[3:4], v[3:4], v[19:20]
	v_fract_f64_e32 v[19:20], v[27:28]
	v_cmp_neq_f64_e64 vcc, |v[27:28]|, s[22:23]
	v_add_f64 v[5:6], v[5:6], -v[35:36]
	s_mov_b32 s22, 0x33145c07
	s_mov_b32 s23, 0x3c91a626
	v_add_f64 v[21:22], v[25:26], v[3:4]
	v_ldexp_f64 v[19:20], v[19:20], 2
	v_add_f64 v[27:28], v[17:18], v[21:22]
	v_cndmask_b32_e32 v20, 0, v20, vcc
	v_cndmask_b32_e32 v19, 0, v19, vcc
	v_add_f64 v[37:38], v[21:22], -v[25:26]
	v_add_f64 v[31:32], v[27:28], v[19:20]
	v_add_f64 v[17:18], v[27:28], -v[17:18]
	v_add_f64 v[39:40], v[21:22], -v[37:38]
	v_add_f64 v[3:4], v[3:4], -v[37:38]
	v_cmp_gt_f64_e32 vcc, 0, v[31:32]
	v_add_f64 v[31:32], v[25:26], -v[35:36]
	v_add_f64 v[17:18], v[21:22], -v[17:18]
	;; [unrolled: 1-line block ×3, first 2 shown]
	v_cndmask_b32_e32 v34, 0, v13, vcc
	v_add_f64 v[19:20], v[19:20], v[33:34]
	v_add_f64 v[31:32], v[29:30], -v[31:32]
	v_add_f64 v[3:4], v[3:4], v[25:26]
	v_add_f64 v[41:42], v[27:28], v[19:20]
	;; [unrolled: 1-line block ×3, first 2 shown]
	v_cvt_i32_f64_e32 v13, v[41:42]
	v_add_f64 v[3:4], v[5:6], v[3:4]
	v_cvt_f64_i32_e32 v[34:35], v13
	v_add_f64 v[19:20], v[19:20], -v[34:35]
	v_add_f64 v[3:4], v[15:16], v[3:4]
	v_add_f64 v[5:6], v[27:28], v[19:20]
	;; [unrolled: 1-line block ×3, first 2 shown]
	v_mov_b32_e32 v17, 0x3ff00000
	v_add_f64 v[15:16], v[5:6], -v[19:20]
	v_cmp_le_f64_e32 vcc, 0.5, v[5:6]
	v_add_f64 v[15:16], v[27:28], -v[15:16]
	v_cndmask_b32_e32 v34, 0, v17, vcc
	v_add_f64 v[5:6], v[5:6], -v[33:34]
	v_addc_co_u32_e32 v13, vcc, 0, v13, vcc
	v_add_f64 v[3:4], v[3:4], v[15:16]
	v_add_f64 v[15:16], v[5:6], v[3:4]
	v_mul_f64 v[17:18], v[15:16], s[4:5]
	v_add_f64 v[5:6], v[15:16], -v[5:6]
	v_fma_f64 v[19:20], v[15:16], s[4:5], -v[17:18]
	v_add_f64 v[3:4], v[3:4], -v[5:6]
	v_fma_f64 v[5:6], v[15:16], s[22:23], v[19:20]
	v_fma_f64 v[5:6], v[3:4], s[4:5], v[5:6]
	v_add_f64 v[3:4], v[17:18], v[5:6]
	v_add_f64 v[15:16], v[3:4], -v[17:18]
	v_add_f64 v[5:6], v[5:6], -v[15:16]
.LBB35_80:
	s_andn2_saveexec_b64 s[4:5], s[20:21]
	s_cbranch_execz .LBB35_82
; %bb.81:
	s_mov_b32 s20, 0x6dc9c883
	s_mov_b32 s21, 0x3fe45f30
	v_mul_f64 v[3:4], |v[1:2]|, s[20:21]
	s_mov_b32 s20, 0x54442d18
	s_mov_b32 s21, 0xbff921fb
	;; [unrolled: 1-line block ×4, first 2 shown]
	v_rndne_f64_e32 v[15:16], v[3:4]
	v_fma_f64 v[3:4], v[15:16], s[20:21], |v[1:2]|
	v_mul_f64 v[5:6], v[15:16], s[22:23]
	s_mov_b32 s20, 0x252049c0
	s_mov_b32 s21, 0xb97b839a
	v_cvt_i32_f64_e32 v13, v[15:16]
	v_fma_f64 v[21:22], v[15:16], s[22:23], v[3:4]
	v_add_f64 v[17:18], v[3:4], v[5:6]
	s_mov_b32 s23, 0x3c91a626
	v_add_f64 v[19:20], v[3:4], -v[17:18]
	v_add_f64 v[17:18], v[17:18], -v[21:22]
	v_add_f64 v[3:4], v[19:20], v[5:6]
	v_fma_f64 v[5:6], v[15:16], s[22:23], v[5:6]
	v_add_f64 v[3:4], v[17:18], v[3:4]
	v_add_f64 v[3:4], v[3:4], -v[5:6]
	v_fma_f64 v[5:6], v[15:16], s[20:21], v[3:4]
	v_add_f64 v[3:4], v[21:22], v[5:6]
	v_add_f64 v[17:18], v[3:4], -v[21:22]
	v_add_f64 v[5:6], v[5:6], -v[17:18]
.LBB35_82:
	s_or_b64 exec, exec, s[4:5]
	v_mul_f64 v[15:16], v[3:4], v[3:4]
	v_add_f64 v[17:18], v[5:6], v[5:6]
	s_mov_b32 s4, 0xc751c08c
	s_mov_b32 s5, 0x3ef5e089
	v_and_b32_e32 v13, 1, v13
	v_cmp_eq_u32_e32 vcc, 0, v13
	s_mov_b32 s22, 0x54442d18
	s_mov_b32 s23, 0xc00921fb
	v_fma_f64 v[19:20], v[3:4], v[3:4], -v[15:16]
	s_mov_b64 s[20:21], exec
	v_sub_f32_e32 v14, 1.0, v14
	v_fma_f64 v[17:18], v[3:4], v[17:18], v[19:20]
	v_add_f64 v[15:16], v[15:16], v[17:18]
	v_mov_b32_e32 v17, 0xa9a29f71
	v_mov_b32_e32 v18, 0xbf078809
	v_fma_f64 v[17:18], v[15:16], s[4:5], v[17:18]
	s_mov_b32 s4, 0x90a8aae0
	s_mov_b32 s5, 0x3f17746f
	v_fma_f64 v[17:18], v[15:16], v[17:18], s[4:5]
	s_mov_b32 s4, 0xa6fbf144
	s_mov_b32 s5, 0xbefbb44d
	;; [unrolled: 3-line block ×12, first 2 shown]
	v_fma_f64 v[17:18], v[15:16], v[17:18], s[4:5]
	s_movk_i32 s4, 0x1f8
	v_cmp_class_f64_e64 s[4:5], v[1:2], s4
	v_mul_f64 v[15:16], v[15:16], v[17:18]
	v_mul_f64 v[17:18], v[3:4], v[15:16]
	v_add_f64 v[19:20], v[3:4], v[17:18]
	v_fma_f64 v[15:16], v[3:4], v[15:16], -v[17:18]
	v_add_f64 v[3:4], v[19:20], -v[3:4]
	v_add_f64 v[5:6], v[5:6], v[15:16]
	v_add_f64 v[3:4], v[17:18], -v[3:4]
	v_add_f64 v[3:4], v[5:6], v[3:4]
	v_add_f64 v[5:6], v[19:20], v[3:4]
	v_rcp_f64_e32 v[15:16], v[5:6]
	v_fma_f64 v[17:18], -v[5:6], v[15:16], 1.0
	v_fma_f64 v[15:16], v[17:18], v[15:16], v[15:16]
	v_fma_f64 v[17:18], -v[5:6], v[15:16], 1.0
	v_fma_f64 v[15:16], v[17:18], v[15:16], v[15:16]
	v_add_f64 v[17:18], v[5:6], -v[19:20]
	v_mul_f64 v[19:20], v[5:6], v[15:16]
	v_add_f64 v[3:4], v[3:4], -v[17:18]
	v_fma_f64 v[17:18], v[15:16], v[5:6], -v[19:20]
	v_fma_f64 v[3:4], v[15:16], v[3:4], v[17:18]
	v_add_f64 v[17:18], v[19:20], v[3:4]
	v_add_f64 v[21:22], -v[17:18], 1.0
	v_add_f64 v[19:20], v[17:18], -v[19:20]
	v_add_f64 v[23:24], -v[21:22], 1.0
	v_add_f64 v[3:4], v[19:20], -v[3:4]
	v_add_f64 v[17:18], v[23:24], -v[17:18]
	v_add_f64 v[3:4], v[3:4], v[17:18]
	v_add_f64 v[3:4], v[21:22], v[3:4]
	v_mul_f64 v[3:4], v[15:16], v[3:4]
	v_add_f64 v[3:4], v[15:16], v[3:4]
	v_and_b32_e32 v15, 0x80000000, v2
	v_mov_b32_e32 v2, 0x7ff80000
	v_xor_b32_e32 v1, 0x80000000, v4
	v_cndmask_b32_e32 v3, v3, v5, vcc
	v_cndmask_b32_e32 v4, v1, v6, vcc
	v_cndmask_b32_e64 v1, 0, v3, s[4:5]
	v_xor_b32_e32 v3, v4, v15
	v_cndmask_b32_e64 v2, v2, v3, s[4:5]
	v_div_scale_f64 v[3:4], s[4:5], v[1:2], v[1:2], s[22:23]
	v_div_scale_f64 v[17:18], vcc, s[22:23], v[1:2], s[22:23]
	v_rcp_f64_e32 v[5:6], v[3:4]
	v_fma_f64 v[15:16], -v[3:4], v[5:6], 1.0
	v_fma_f64 v[5:6], v[5:6], v[15:16], v[5:6]
	v_fma_f64 v[15:16], -v[3:4], v[5:6], 1.0
	v_fma_f64 v[5:6], v[5:6], v[15:16], v[5:6]
	v_mul_f64 v[15:16], v[17:18], v[5:6]
	v_fma_f64 v[3:4], -v[3:4], v[15:16], v[17:18]
	v_div_fmas_f64 v[3:4], v[3:4], v[5:6], v[15:16]
	v_div_fixup_f64 v[1:2], v[3:4], v[1:2], s[22:23]
	v_cvt_f32_f64_e32 v1, v[1:2]
.LBB35_83:
	s_or_b64 exec, exec, s[18:19]
	s_orn2_b64 s[18:19], s[20:21], exec
.LBB35_84:
	s_or_b64 exec, exec, s[16:17]
	v_mov_b32_e32 v13, 0x7fc00000
	s_and_saveexec_b64 s[4:5], s[18:19]
	s_cbranch_execz .LBB35_96
; %bb.85:
	s_mov_b32 s20, 0x41200000
	v_cmp_gt_f32_e32 vcc, s20, v14
	s_and_saveexec_b64 s[16:17], vcc
	s_cbranch_execz .LBB35_89
; %bb.86:
	s_mov_b64 s[18:19], 0
.LBB35_87:                              ; =>This Inner Loop Header: Depth=1
	v_div_scale_f32 v2, s[22:23], v14, v14, 1.0
	v_div_scale_f32 v3, vcc, 1.0, v14, 1.0
	v_rcp_f32_e32 v4, v2
	v_fma_f32 v5, -v2, v4, 1.0
	v_fmac_f32_e32 v4, v5, v4
	v_mul_f32_e32 v5, v3, v4
	v_fma_f32 v6, -v2, v5, v3
	v_fmac_f32_e32 v5, v6, v4
	v_fma_f32 v2, -v2, v5, v3
	v_div_fmas_f32 v2, v2, v4, v5
	v_div_fixup_f32 v2, v2, v14, 1.0
	v_add_f32_e32 v14, 1.0, v14
	v_cmp_ngt_f32_e32 vcc, s20, v14
	s_or_b64 s[18:19], vcc, s[18:19]
	v_sub_f32_e32 v1, v1, v2
	s_andn2_b64 exec, exec, s[18:19]
	s_cbranch_execnz .LBB35_87
; %bb.88:
	s_or_b64 exec, exec, s[18:19]
.LBB35_89:
	s_or_b64 exec, exec, s[16:17]
	s_mov_b32 s16, 0x41200000
	v_cmp_neq_f32_e32 vcc, s16, v14
                                        ; implicit-def: $vgpr13
	s_and_saveexec_b64 s[16:17], vcc
	s_xor_b64 s[16:17], exec, s[16:17]
	s_cbranch_execz .LBB35_93
; %bb.90:
	v_cvt_f64_f32_e32 v[2:3], v14
	s_mov_b32 s18, 0x85d8a000
	s_mov_b32 s19, 0x43763457
	v_cmp_gt_f64_e32 vcc, s[18:19], v[2:3]
	v_mov_b32_e32 v2, 0
	s_and_saveexec_b64 s[18:19], vcc
	s_cbranch_execz .LBB35_92
; %bb.91:
	v_mul_f32_e32 v2, v14, v14
	v_div_scale_f32 v3, s[20:21], v2, v2, 1.0
	v_div_scale_f32 v4, vcc, 1.0, v2, 1.0
	v_mov_b32_e32 v15, 0x3b820821
	v_rcp_f32_e32 v5, v3
	v_fma_f32 v6, -v3, v5, 1.0
	v_fmac_f32_e32 v5, v6, v5
	v_mul_f32_e32 v6, v4, v5
	v_fma_f32 v13, -v3, v6, v4
	v_fmac_f32_e32 v6, v13, v5
	v_fma_f32 v3, -v3, v6, v4
	v_div_fmas_f32 v3, v3, v5, v6
	v_mov_b32_e32 v4, 0x3daaaaab
	v_mov_b32_e32 v5, 0xbcaccacd
	;; [unrolled: 1-line block ×4, first 2 shown]
	v_div_fixup_f32 v2, v3, v2, 1.0
	v_fma_f32 v3, 0, v2, v4
	v_fmac_f32_e32 v5, v2, v3
	v_fmac_f32_e32 v6, v2, v5
	;; [unrolled: 1-line block ×4, first 2 shown]
	v_mov_b32_e32 v3, 0xbc088889
	v_fmac_f32_e32 v3, v2, v15
	v_fmac_f32_e32 v4, v2, v3
	v_mul_f32_e32 v2, v2, v4
.LBB35_92:
	s_or_b64 exec, exec, s[18:19]
	v_div_scale_f32 v3, s[18:19], v14, v14, -0.5
	v_div_scale_f32 v4, vcc, -0.5, v14, -0.5
	s_mov_b32 s18, 0x800000
	s_mov_b32 s19, 0x3f317217
	;; [unrolled: 1-line block ×3, first 2 shown]
	v_rcp_f32_e32 v5, v3
	v_fma_f32 v6, -v3, v5, 1.0
	v_fmac_f32_e32 v5, v6, v5
	v_mul_f32_e32 v6, v4, v5
	v_fma_f32 v13, -v3, v6, v4
	v_fmac_f32_e32 v6, v13, v5
	v_fma_f32 v3, -v3, v6, v4
	v_div_fmas_f32 v3, v3, v5, v6
	v_cmp_gt_f32_e32 vcc, s18, v14
	v_cndmask_b32_e64 v5, 0, 32, vcc
	v_ldexp_f32 v5, v14, v5
	v_log_f32_e32 v5, v5
	v_mov_b32_e32 v4, 0x41b17218
	v_cndmask_b32_e32 v4, 0, v4, vcc
	s_movk_i32 s18, 0x7fff
	v_mul_f32_e32 v13, 0x3f317217, v5
	v_fma_f32 v13, v5, s19, -v13
	v_fmac_f32_e32 v13, 0x3377d1cf, v5
	v_fmac_f32_e32 v13, 0x3f317217, v5
	v_cmp_lt_f32_e64 vcc, |v5|, s20
	v_cndmask_b32_e32 v5, v5, v13, vcc
	v_sub_f32_e32 v4, v5, v4
	v_mov_b32_e32 v6, 0x7fc00000
	v_div_fixup_f32 v3, v3, v14, -0.5
	v_add_f32_e32 v3, v4, v3
	v_sub_f32_e32 v2, v3, v2
	v_add_f32_e32 v1, v1, v2
	v_bfe_u32 v2, v1, 16, 1
	v_add3_u32 v2, v1, v2, s18
	v_and_b32_e32 v2, 0xffff0000, v2
	v_cmp_o_f32_e32 vcc, v1, v1
	v_cndmask_b32_e32 v13, v6, v2, vcc
                                        ; implicit-def: $vgpr1
.LBB35_93:
	s_andn2_saveexec_b64 s[16:17], s[16:17]
; %bb.94:
	v_add_f32_e32 v1, 0x40101cb7, v1
	v_bfe_u32 v2, v1, 16, 1
	s_movk_i32 s18, 0x7fff
	v_add3_u32 v2, v1, v2, s18
	v_and_b32_e32 v2, 0xffff0000, v2
	v_mov_b32_e32 v3, 0x7fc00000
	v_cmp_o_f32_e32 vcc, v1, v1
	v_cndmask_b32_e32 v13, v3, v2, vcc
; %bb.95:
	s_or_b64 exec, exec, s[16:17]
.LBB35_96:
	s_or_b64 exec, exec, s[4:5]
                                        ; implicit-def: $vgpr14
.LBB35_97:
	s_andn2_saveexec_b64 s[4:5], s[14:15]
; %bb.98:
	v_xor_b32_e32 v1, 0x80000000, v14
	v_and_b32_e32 v1, 0x80000000, v1
	v_or_b32_e32 v13, 0x7f800000, v1
; %bb.99:
	s_or_b64 exec, exec, s[4:5]
	s_waitcnt vmcnt(1)
	v_lshlrev_b32_e32 v15, 16, v12
	v_cmp_neq_f32_e32 vcc, 0, v15
                                        ; implicit-def: $vgpr14
	s_and_saveexec_b64 s[4:5], vcc
	s_xor_b64 s[14:15], exec, s[4:5]
	s_cbranch_execz .LBB35_121
; %bb.100:
	v_mov_b32_e32 v1, 0
	v_cmp_gt_f32_e32 vcc, 0, v15
	s_mov_b64 s[18:19], -1
	s_and_saveexec_b64 s[16:17], vcc
	s_cbranch_execz .LBB35_108
; %bb.101:
	v_trunc_f32_e32 v1, v15
	v_cmp_neq_f32_e32 vcc, v1, v15
	s_mov_b64 s[20:21], 0
	v_mov_b32_e32 v1, 0
	s_and_saveexec_b64 s[18:19], vcc
	s_cbranch_execz .LBB35_107
; %bb.102:
	v_cvt_f64_f32_e32 v[1:2], v15
	s_mov_b32 s22, 0
	s_mov_b32 s5, 0xc00921fb
	;; [unrolled: 1-line block ×3, first 2 shown]
	v_trunc_f64_e32 v[3:4], v[1:2]
	s_mov_b32 s23, 0x7ff00000
	v_cmp_neq_f64_e64 vcc, |v[1:2]|, s[22:23]
	v_bfrev_b32_e32 v5, 1
	s_mov_b32 s20, 0
	s_mov_b32 s21, 0x41d00000
                                        ; implicit-def: $vgpr14
	v_add_f64 v[3:4], v[1:2], -v[3:4]
	v_mul_f64 v[3:4], |v[3:4]|, s[4:5]
	v_cndmask_b32_e32 v2, v5, v4, vcc
	v_cndmask_b32_e32 v1, 0, v3, vcc
	v_cmp_nlt_f64_e64 s[20:21], |v[1:2]|, s[20:21]
                                        ; implicit-def: $vgpr3_vgpr4
                                        ; implicit-def: $vgpr5_vgpr6
	s_and_saveexec_b64 s[24:25], s[20:21]
	s_xor_b64 s[20:21], exec, s[24:25]
	s_cbranch_execz .LBB35_104
; %bb.103:
	v_trig_preop_f64 v[3:4], |v[1:2]|, 0
	s_mov_b32 s24, 0
	s_mov_b32 s25, 0x7b000000
	s_movk_i32 s5, 0xff80
	v_ldexp_f64 v[16:17], |v[1:2]|, s5
	v_cmp_ge_f64_e64 vcc, |v[1:2]|, s[24:25]
	v_trig_preop_f64 v[5:6], |v[1:2]|, 1
	v_and_b32_e32 v14, 0x7fffffff, v2
	v_trig_preop_f64 v[24:25], |v[1:2]|, 2
	v_mov_b32_e32 v34, 0
	s_mov_b32 s5, 0x3ff921fb
	v_cndmask_b32_e32 v17, v14, v17, vcc
	v_cndmask_b32_e32 v16, v1, v16, vcc
	v_mov_b32_e32 v14, 0x40100000
	v_mul_f64 v[18:19], v[3:4], v[16:17]
	v_mul_f64 v[20:21], v[5:6], v[16:17]
	;; [unrolled: 1-line block ×3, first 2 shown]
	v_fma_f64 v[3:4], v[3:4], v[16:17], -v[18:19]
	v_fma_f64 v[5:6], v[5:6], v[16:17], -v[20:21]
	;; [unrolled: 1-line block ×3, first 2 shown]
	v_add_f64 v[22:23], v[20:21], v[3:4]
	v_add_f64 v[26:27], v[22:23], -v[20:21]
	v_add_f64 v[32:33], v[18:19], v[22:23]
	v_add_f64 v[28:29], v[22:23], -v[26:27]
	v_add_f64 v[3:4], v[3:4], -v[26:27]
	v_add_f64 v[26:27], v[30:31], v[5:6]
	v_add_f64 v[18:19], v[32:33], -v[18:19]
	v_add_f64 v[20:21], v[20:21], -v[28:29]
	v_ldexp_f64 v[28:29], v[32:33], -2
	v_add_f64 v[36:37], v[26:27], -v[30:31]
	v_add_f64 v[18:19], v[22:23], -v[18:19]
	v_add_f64 v[3:4], v[3:4], v[20:21]
	v_fract_f64_e32 v[20:21], v[28:29]
	v_cmp_neq_f64_e64 vcc, |v[28:29]|, s[22:23]
	v_add_f64 v[5:6], v[5:6], -v[36:37]
	s_mov_b32 s22, 0x33145c07
	s_mov_b32 s23, 0x3c91a626
	v_add_f64 v[22:23], v[26:27], v[3:4]
	v_ldexp_f64 v[20:21], v[20:21], 2
	v_add_f64 v[28:29], v[18:19], v[22:23]
	v_cndmask_b32_e32 v21, 0, v21, vcc
	v_cndmask_b32_e32 v20, 0, v20, vcc
	v_add_f64 v[38:39], v[22:23], -v[26:27]
	v_add_f64 v[32:33], v[28:29], v[20:21]
	v_add_f64 v[18:19], v[28:29], -v[18:19]
	v_add_f64 v[40:41], v[22:23], -v[38:39]
	;; [unrolled: 1-line block ×3, first 2 shown]
	v_cmp_gt_f64_e32 vcc, 0, v[32:33]
	v_add_f64 v[32:33], v[26:27], -v[36:37]
	v_add_f64 v[18:19], v[22:23], -v[18:19]
	;; [unrolled: 1-line block ×3, first 2 shown]
	v_cndmask_b32_e32 v35, 0, v14, vcc
	v_add_f64 v[20:21], v[20:21], v[34:35]
	v_add_f64 v[32:33], v[30:31], -v[32:33]
	v_add_f64 v[3:4], v[3:4], v[26:27]
	v_add_f64 v[42:43], v[28:29], v[20:21]
	;; [unrolled: 1-line block ×3, first 2 shown]
	v_cvt_i32_f64_e32 v14, v[42:43]
	v_add_f64 v[3:4], v[5:6], v[3:4]
	v_cvt_f64_i32_e32 v[35:36], v14
	v_add_f64 v[20:21], v[20:21], -v[35:36]
	v_add_f64 v[3:4], v[16:17], v[3:4]
	v_add_f64 v[5:6], v[28:29], v[20:21]
	;; [unrolled: 1-line block ×3, first 2 shown]
	v_mov_b32_e32 v18, 0x3ff00000
	v_add_f64 v[16:17], v[5:6], -v[20:21]
	v_cmp_le_f64_e32 vcc, 0.5, v[5:6]
	v_add_f64 v[16:17], v[28:29], -v[16:17]
	v_cndmask_b32_e32 v35, 0, v18, vcc
	v_add_f64 v[5:6], v[5:6], -v[34:35]
	v_addc_co_u32_e32 v14, vcc, 0, v14, vcc
	v_add_f64 v[3:4], v[3:4], v[16:17]
	v_add_f64 v[16:17], v[5:6], v[3:4]
	v_mul_f64 v[18:19], v[16:17], s[4:5]
	v_add_f64 v[5:6], v[16:17], -v[5:6]
	v_fma_f64 v[20:21], v[16:17], s[4:5], -v[18:19]
	v_add_f64 v[3:4], v[3:4], -v[5:6]
	v_fma_f64 v[5:6], v[16:17], s[22:23], v[20:21]
	v_fma_f64 v[5:6], v[3:4], s[4:5], v[5:6]
	v_add_f64 v[3:4], v[18:19], v[5:6]
	v_add_f64 v[16:17], v[3:4], -v[18:19]
	v_add_f64 v[5:6], v[5:6], -v[16:17]
.LBB35_104:
	s_andn2_saveexec_b64 s[4:5], s[20:21]
	s_cbranch_execz .LBB35_106
; %bb.105:
	s_mov_b32 s20, 0x6dc9c883
	s_mov_b32 s21, 0x3fe45f30
	v_mul_f64 v[3:4], |v[1:2]|, s[20:21]
	s_mov_b32 s20, 0x54442d18
	s_mov_b32 s21, 0xbff921fb
	;; [unrolled: 1-line block ×4, first 2 shown]
	v_rndne_f64_e32 v[16:17], v[3:4]
	v_fma_f64 v[3:4], v[16:17], s[20:21], |v[1:2]|
	v_mul_f64 v[5:6], v[16:17], s[22:23]
	s_mov_b32 s20, 0x252049c0
	s_mov_b32 s21, 0xb97b839a
	v_cvt_i32_f64_e32 v14, v[16:17]
	v_fma_f64 v[22:23], v[16:17], s[22:23], v[3:4]
	v_add_f64 v[18:19], v[3:4], v[5:6]
	s_mov_b32 s23, 0x3c91a626
	v_add_f64 v[20:21], v[3:4], -v[18:19]
	v_add_f64 v[18:19], v[18:19], -v[22:23]
	v_add_f64 v[3:4], v[20:21], v[5:6]
	v_fma_f64 v[5:6], v[16:17], s[22:23], v[5:6]
	v_add_f64 v[3:4], v[18:19], v[3:4]
	v_add_f64 v[3:4], v[3:4], -v[5:6]
	v_fma_f64 v[5:6], v[16:17], s[20:21], v[3:4]
	v_add_f64 v[3:4], v[22:23], v[5:6]
	v_add_f64 v[18:19], v[3:4], -v[22:23]
	v_add_f64 v[5:6], v[5:6], -v[18:19]
.LBB35_106:
	s_or_b64 exec, exec, s[4:5]
	v_mul_f64 v[16:17], v[3:4], v[3:4]
	v_add_f64 v[18:19], v[5:6], v[5:6]
	s_mov_b32 s4, 0xc751c08c
	s_mov_b32 s5, 0x3ef5e089
	v_and_b32_e32 v14, 1, v14
	v_cmp_eq_u32_e32 vcc, 0, v14
	s_mov_b32 s22, 0x54442d18
	s_mov_b32 s23, 0xc00921fb
	v_fma_f64 v[20:21], v[3:4], v[3:4], -v[16:17]
	s_mov_b64 s[20:21], exec
	v_sub_f32_e32 v15, 1.0, v15
	v_fma_f64 v[18:19], v[3:4], v[18:19], v[20:21]
	v_add_f64 v[16:17], v[16:17], v[18:19]
	v_mov_b32_e32 v18, 0xa9a29f71
	v_mov_b32_e32 v19, 0xbf078809
	v_fma_f64 v[18:19], v[16:17], s[4:5], v[18:19]
	s_mov_b32 s4, 0x90a8aae0
	s_mov_b32 s5, 0x3f17746f
	v_fma_f64 v[18:19], v[16:17], v[18:19], s[4:5]
	s_mov_b32 s4, 0xa6fbf144
	s_mov_b32 s5, 0xbefbb44d
	;; [unrolled: 3-line block ×12, first 2 shown]
	v_fma_f64 v[18:19], v[16:17], v[18:19], s[4:5]
	s_movk_i32 s4, 0x1f8
	v_cmp_class_f64_e64 s[4:5], v[1:2], s4
	v_mul_f64 v[16:17], v[16:17], v[18:19]
	v_mul_f64 v[18:19], v[3:4], v[16:17]
	v_add_f64 v[20:21], v[3:4], v[18:19]
	v_fma_f64 v[16:17], v[3:4], v[16:17], -v[18:19]
	v_add_f64 v[3:4], v[20:21], -v[3:4]
	v_add_f64 v[5:6], v[5:6], v[16:17]
	v_add_f64 v[3:4], v[18:19], -v[3:4]
	v_add_f64 v[3:4], v[5:6], v[3:4]
	v_add_f64 v[5:6], v[20:21], v[3:4]
	v_rcp_f64_e32 v[16:17], v[5:6]
	v_fma_f64 v[18:19], -v[5:6], v[16:17], 1.0
	v_fma_f64 v[16:17], v[18:19], v[16:17], v[16:17]
	v_fma_f64 v[18:19], -v[5:6], v[16:17], 1.0
	v_fma_f64 v[16:17], v[18:19], v[16:17], v[16:17]
	v_add_f64 v[18:19], v[5:6], -v[20:21]
	v_mul_f64 v[20:21], v[5:6], v[16:17]
	v_add_f64 v[3:4], v[3:4], -v[18:19]
	v_fma_f64 v[18:19], v[16:17], v[5:6], -v[20:21]
	v_fma_f64 v[3:4], v[16:17], v[3:4], v[18:19]
	v_add_f64 v[18:19], v[20:21], v[3:4]
	v_add_f64 v[22:23], -v[18:19], 1.0
	v_add_f64 v[20:21], v[18:19], -v[20:21]
	v_add_f64 v[24:25], -v[22:23], 1.0
	v_add_f64 v[3:4], v[20:21], -v[3:4]
	v_add_f64 v[18:19], v[24:25], -v[18:19]
	v_add_f64 v[3:4], v[3:4], v[18:19]
	v_add_f64 v[3:4], v[22:23], v[3:4]
	v_mul_f64 v[3:4], v[16:17], v[3:4]
	v_add_f64 v[3:4], v[16:17], v[3:4]
	v_and_b32_e32 v16, 0x80000000, v2
	v_mov_b32_e32 v2, 0x7ff80000
	v_xor_b32_e32 v1, 0x80000000, v4
	v_cndmask_b32_e32 v3, v3, v5, vcc
	v_cndmask_b32_e32 v4, v1, v6, vcc
	v_cndmask_b32_e64 v1, 0, v3, s[4:5]
	v_xor_b32_e32 v3, v4, v16
	v_cndmask_b32_e64 v2, v2, v3, s[4:5]
	v_div_scale_f64 v[3:4], s[4:5], v[1:2], v[1:2], s[22:23]
	v_div_scale_f64 v[18:19], vcc, s[22:23], v[1:2], s[22:23]
	v_rcp_f64_e32 v[5:6], v[3:4]
	v_fma_f64 v[16:17], -v[3:4], v[5:6], 1.0
	v_fma_f64 v[5:6], v[5:6], v[16:17], v[5:6]
	v_fma_f64 v[16:17], -v[3:4], v[5:6], 1.0
	v_fma_f64 v[5:6], v[5:6], v[16:17], v[5:6]
	v_mul_f64 v[16:17], v[18:19], v[5:6]
	v_fma_f64 v[3:4], -v[3:4], v[16:17], v[18:19]
	v_div_fmas_f64 v[3:4], v[3:4], v[5:6], v[16:17]
	v_div_fixup_f64 v[1:2], v[3:4], v[1:2], s[22:23]
	v_cvt_f32_f64_e32 v1, v[1:2]
.LBB35_107:
	s_or_b64 exec, exec, s[18:19]
	s_orn2_b64 s[18:19], s[20:21], exec
.LBB35_108:
	s_or_b64 exec, exec, s[16:17]
	v_mov_b32_e32 v14, 0x7fc0
	s_and_saveexec_b64 s[4:5], s[18:19]
	s_cbranch_execz .LBB35_120
; %bb.109:
	s_mov_b32 s20, 0x41200000
	v_cmp_gt_f32_e32 vcc, s20, v15
	s_and_saveexec_b64 s[16:17], vcc
	s_cbranch_execz .LBB35_113
; %bb.110:
	s_mov_b64 s[18:19], 0
.LBB35_111:                             ; =>This Inner Loop Header: Depth=1
	v_div_scale_f32 v2, s[22:23], v15, v15, 1.0
	v_div_scale_f32 v3, vcc, 1.0, v15, 1.0
	v_rcp_f32_e32 v4, v2
	v_fma_f32 v5, -v2, v4, 1.0
	v_fmac_f32_e32 v4, v5, v4
	v_mul_f32_e32 v5, v3, v4
	v_fma_f32 v6, -v2, v5, v3
	v_fmac_f32_e32 v5, v6, v4
	v_fma_f32 v2, -v2, v5, v3
	v_div_fmas_f32 v2, v2, v4, v5
	v_div_fixup_f32 v2, v2, v15, 1.0
	v_add_f32_e32 v15, 1.0, v15
	v_cmp_ngt_f32_e32 vcc, s20, v15
	s_or_b64 s[18:19], vcc, s[18:19]
	v_sub_f32_e32 v1, v1, v2
	s_andn2_b64 exec, exec, s[18:19]
	s_cbranch_execnz .LBB35_111
; %bb.112:
	s_or_b64 exec, exec, s[18:19]
.LBB35_113:
	s_or_b64 exec, exec, s[16:17]
	s_mov_b32 s16, 0x41200000
	v_cmp_neq_f32_e32 vcc, s16, v15
                                        ; implicit-def: $vgpr14
	s_and_saveexec_b64 s[16:17], vcc
	s_xor_b64 s[16:17], exec, s[16:17]
	s_cbranch_execz .LBB35_117
; %bb.114:
	v_cvt_f64_f32_e32 v[2:3], v15
	s_mov_b32 s18, 0x85d8a000
	s_mov_b32 s19, 0x43763457
	v_cmp_gt_f64_e32 vcc, s[18:19], v[2:3]
	v_mov_b32_e32 v2, 0
	s_and_saveexec_b64 s[18:19], vcc
	s_cbranch_execz .LBB35_116
; %bb.115:
	v_mul_f32_e32 v2, v15, v15
	v_div_scale_f32 v3, s[20:21], v2, v2, 1.0
	v_div_scale_f32 v4, vcc, 1.0, v2, 1.0
	v_mov_b32_e32 v16, 0x3b820821
	v_rcp_f32_e32 v5, v3
	v_fma_f32 v6, -v3, v5, 1.0
	v_fmac_f32_e32 v5, v6, v5
	v_mul_f32_e32 v6, v4, v5
	v_fma_f32 v14, -v3, v6, v4
	v_fmac_f32_e32 v6, v14, v5
	v_fma_f32 v3, -v3, v6, v4
	v_div_fmas_f32 v3, v3, v5, v6
	v_mov_b32_e32 v4, 0x3daaaaab
	v_mov_b32_e32 v5, 0xbcaccacd
	;; [unrolled: 1-line block ×4, first 2 shown]
	v_div_fixup_f32 v2, v3, v2, 1.0
	v_fma_f32 v3, 0, v2, v4
	v_fmac_f32_e32 v5, v2, v3
	v_fmac_f32_e32 v6, v2, v5
	;; [unrolled: 1-line block ×4, first 2 shown]
	v_mov_b32_e32 v3, 0xbc088889
	v_fmac_f32_e32 v3, v2, v16
	v_fmac_f32_e32 v4, v2, v3
	v_mul_f32_e32 v2, v2, v4
.LBB35_116:
	s_or_b64 exec, exec, s[18:19]
	v_div_scale_f32 v3, s[18:19], v15, v15, -0.5
	v_div_scale_f32 v4, vcc, -0.5, v15, -0.5
	s_mov_b32 s18, 0x800000
	s_mov_b32 s19, 0x3f317217
	s_mov_b32 s20, 0x7f800000
	v_rcp_f32_e32 v5, v3
	v_fma_f32 v6, -v3, v5, 1.0
	v_fmac_f32_e32 v5, v6, v5
	v_mul_f32_e32 v6, v4, v5
	v_fma_f32 v14, -v3, v6, v4
	v_fmac_f32_e32 v6, v14, v5
	v_fma_f32 v3, -v3, v6, v4
	v_div_fmas_f32 v3, v3, v5, v6
	v_cmp_gt_f32_e32 vcc, s18, v15
	v_cndmask_b32_e64 v5, 0, 32, vcc
	v_ldexp_f32 v5, v15, v5
	v_log_f32_e32 v5, v5
	v_mov_b32_e32 v4, 0x41b17218
	v_cndmask_b32_e32 v4, 0, v4, vcc
	s_movk_i32 s18, 0x7fff
	v_mul_f32_e32 v14, 0x3f317217, v5
	v_fma_f32 v14, v5, s19, -v14
	v_fmac_f32_e32 v14, 0x3377d1cf, v5
	v_fmac_f32_e32 v14, 0x3f317217, v5
	v_cmp_lt_f32_e64 vcc, |v5|, s20
	v_cndmask_b32_e32 v5, v5, v14, vcc
	v_sub_f32_e32 v4, v5, v4
	v_mov_b32_e32 v6, 0x7fc0
	v_div_fixup_f32 v3, v3, v15, -0.5
	v_add_f32_e32 v3, v4, v3
	v_sub_f32_e32 v2, v3, v2
	v_add_f32_e32 v1, v1, v2
	v_bfe_u32 v2, v1, 16, 1
	v_cmp_o_f32_e32 vcc, v1, v1
	v_add3_u32 v1, v1, v2, s18
	v_cndmask_b32_sdwa v14, v6, v1, vcc dst_sel:DWORD dst_unused:UNUSED_PAD src0_sel:DWORD src1_sel:WORD_1
                                        ; implicit-def: $vgpr1
.LBB35_117:
	s_andn2_saveexec_b64 s[16:17], s[16:17]
; %bb.118:
	v_add_f32_e32 v1, 0x40101cb7, v1
	v_bfe_u32 v2, v1, 16, 1
	s_movk_i32 s18, 0x7fff
	v_add3_u32 v2, v1, v2, s18
	v_cmp_o_f32_e32 vcc, v1, v1
	v_mov_b32_e32 v1, 0x7fc0
	v_cndmask_b32_sdwa v14, v1, v2, vcc dst_sel:DWORD dst_unused:UNUSED_PAD src0_sel:DWORD src1_sel:WORD_1
; %bb.119:
	s_or_b64 exec, exec, s[16:17]
.LBB35_120:
	s_or_b64 exec, exec, s[4:5]
                                        ; implicit-def: $vgpr15
.LBB35_121:
	s_andn2_saveexec_b64 s[4:5], s[14:15]
; %bb.122:
	v_xor_b32_e32 v1, 0x80000000, v15
	v_and_b32_e32 v1, 0x80000000, v1
	v_or_b32_e32 v1, 0x7f800000, v1
	v_lshrrev_b32_e32 v14, 16, v1
; %bb.123:
	s_or_b64 exec, exec, s[4:5]
	v_and_b32_e32 v15, 0xffff0000, v12
	v_cmp_neq_f32_e32 vcc, 0, v15
                                        ; implicit-def: $vgpr12
	s_and_saveexec_b64 s[4:5], vcc
	s_xor_b64 s[14:15], exec, s[4:5]
	s_cbranch_execz .LBB35_145
; %bb.124:
	v_mov_b32_e32 v1, 0
	v_cmp_gt_f32_e32 vcc, 0, v15
	s_mov_b64 s[18:19], -1
	s_and_saveexec_b64 s[16:17], vcc
	s_cbranch_execz .LBB35_132
; %bb.125:
	v_trunc_f32_e32 v1, v15
	v_cmp_neq_f32_e32 vcc, v1, v15
	s_mov_b64 s[20:21], 0
	v_mov_b32_e32 v1, 0
	s_and_saveexec_b64 s[18:19], vcc
	s_cbranch_execz .LBB35_131
; %bb.126:
	v_cvt_f64_f32_e32 v[1:2], v15
	s_mov_b32 s22, 0
	s_mov_b32 s5, 0xc00921fb
	;; [unrolled: 1-line block ×3, first 2 shown]
	v_trunc_f64_e32 v[3:4], v[1:2]
	s_mov_b32 s23, 0x7ff00000
	v_cmp_neq_f64_e64 vcc, |v[1:2]|, s[22:23]
	v_bfrev_b32_e32 v5, 1
	s_mov_b32 s20, 0
	s_mov_b32 s21, 0x41d00000
                                        ; implicit-def: $vgpr12
	v_add_f64 v[3:4], v[1:2], -v[3:4]
	v_mul_f64 v[3:4], |v[3:4]|, s[4:5]
	v_cndmask_b32_e32 v2, v5, v4, vcc
	v_cndmask_b32_e32 v1, 0, v3, vcc
	v_cmp_nlt_f64_e64 s[20:21], |v[1:2]|, s[20:21]
                                        ; implicit-def: $vgpr3_vgpr4
                                        ; implicit-def: $vgpr5_vgpr6
	s_and_saveexec_b64 s[24:25], s[20:21]
	s_xor_b64 s[20:21], exec, s[24:25]
	s_cbranch_execz .LBB35_128
; %bb.127:
	v_trig_preop_f64 v[3:4], |v[1:2]|, 0
	s_mov_b32 s24, 0
	s_mov_b32 s25, 0x7b000000
	s_movk_i32 s5, 0xff80
	v_ldexp_f64 v[16:17], |v[1:2]|, s5
	v_cmp_ge_f64_e64 vcc, |v[1:2]|, s[24:25]
	v_trig_preop_f64 v[5:6], |v[1:2]|, 1
	v_and_b32_e32 v12, 0x7fffffff, v2
	v_trig_preop_f64 v[24:25], |v[1:2]|, 2
	v_mov_b32_e32 v34, 0
	s_mov_b32 s5, 0x3ff921fb
	v_cndmask_b32_e32 v17, v12, v17, vcc
	v_cndmask_b32_e32 v16, v1, v16, vcc
	v_mov_b32_e32 v12, 0x40100000
	v_mul_f64 v[18:19], v[3:4], v[16:17]
	v_mul_f64 v[20:21], v[5:6], v[16:17]
	;; [unrolled: 1-line block ×3, first 2 shown]
	v_fma_f64 v[3:4], v[3:4], v[16:17], -v[18:19]
	v_fma_f64 v[5:6], v[5:6], v[16:17], -v[20:21]
	;; [unrolled: 1-line block ×3, first 2 shown]
	v_add_f64 v[22:23], v[20:21], v[3:4]
	v_add_f64 v[26:27], v[22:23], -v[20:21]
	v_add_f64 v[32:33], v[18:19], v[22:23]
	v_add_f64 v[28:29], v[22:23], -v[26:27]
	v_add_f64 v[3:4], v[3:4], -v[26:27]
	v_add_f64 v[26:27], v[30:31], v[5:6]
	v_add_f64 v[18:19], v[32:33], -v[18:19]
	v_add_f64 v[20:21], v[20:21], -v[28:29]
	v_ldexp_f64 v[28:29], v[32:33], -2
	v_add_f64 v[36:37], v[26:27], -v[30:31]
	v_add_f64 v[18:19], v[22:23], -v[18:19]
	v_add_f64 v[3:4], v[3:4], v[20:21]
	v_fract_f64_e32 v[20:21], v[28:29]
	v_cmp_neq_f64_e64 vcc, |v[28:29]|, s[22:23]
	v_add_f64 v[5:6], v[5:6], -v[36:37]
	s_mov_b32 s22, 0x33145c07
	s_mov_b32 s23, 0x3c91a626
	v_add_f64 v[22:23], v[26:27], v[3:4]
	v_ldexp_f64 v[20:21], v[20:21], 2
	v_add_f64 v[28:29], v[18:19], v[22:23]
	v_cndmask_b32_e32 v21, 0, v21, vcc
	v_cndmask_b32_e32 v20, 0, v20, vcc
	v_add_f64 v[38:39], v[22:23], -v[26:27]
	v_add_f64 v[32:33], v[28:29], v[20:21]
	v_add_f64 v[18:19], v[28:29], -v[18:19]
	v_add_f64 v[40:41], v[22:23], -v[38:39]
	;; [unrolled: 1-line block ×3, first 2 shown]
	v_cmp_gt_f64_e32 vcc, 0, v[32:33]
	v_add_f64 v[32:33], v[26:27], -v[36:37]
	v_add_f64 v[18:19], v[22:23], -v[18:19]
	;; [unrolled: 1-line block ×3, first 2 shown]
	v_cndmask_b32_e32 v35, 0, v12, vcc
	v_add_f64 v[20:21], v[20:21], v[34:35]
	v_add_f64 v[32:33], v[30:31], -v[32:33]
	v_add_f64 v[3:4], v[3:4], v[26:27]
	v_add_f64 v[42:43], v[28:29], v[20:21]
	;; [unrolled: 1-line block ×3, first 2 shown]
	v_cvt_i32_f64_e32 v12, v[42:43]
	v_add_f64 v[3:4], v[5:6], v[3:4]
	v_cvt_f64_i32_e32 v[35:36], v12
	v_add_f64 v[20:21], v[20:21], -v[35:36]
	v_add_f64 v[3:4], v[16:17], v[3:4]
	v_add_f64 v[5:6], v[28:29], v[20:21]
	;; [unrolled: 1-line block ×3, first 2 shown]
	v_mov_b32_e32 v18, 0x3ff00000
	v_add_f64 v[16:17], v[5:6], -v[20:21]
	v_cmp_le_f64_e32 vcc, 0.5, v[5:6]
	v_add_f64 v[16:17], v[28:29], -v[16:17]
	v_cndmask_b32_e32 v35, 0, v18, vcc
	v_add_f64 v[5:6], v[5:6], -v[34:35]
	v_addc_co_u32_e32 v12, vcc, 0, v12, vcc
	v_add_f64 v[3:4], v[3:4], v[16:17]
	v_add_f64 v[16:17], v[5:6], v[3:4]
	v_mul_f64 v[18:19], v[16:17], s[4:5]
	v_add_f64 v[5:6], v[16:17], -v[5:6]
	v_fma_f64 v[20:21], v[16:17], s[4:5], -v[18:19]
	v_add_f64 v[3:4], v[3:4], -v[5:6]
	v_fma_f64 v[5:6], v[16:17], s[22:23], v[20:21]
	v_fma_f64 v[5:6], v[3:4], s[4:5], v[5:6]
	v_add_f64 v[3:4], v[18:19], v[5:6]
	v_add_f64 v[16:17], v[3:4], -v[18:19]
	v_add_f64 v[5:6], v[5:6], -v[16:17]
.LBB35_128:
	s_andn2_saveexec_b64 s[4:5], s[20:21]
	s_cbranch_execz .LBB35_130
; %bb.129:
	s_mov_b32 s20, 0x6dc9c883
	s_mov_b32 s21, 0x3fe45f30
	v_mul_f64 v[3:4], |v[1:2]|, s[20:21]
	s_mov_b32 s20, 0x54442d18
	s_mov_b32 s21, 0xbff921fb
	;; [unrolled: 1-line block ×4, first 2 shown]
	v_rndne_f64_e32 v[16:17], v[3:4]
	v_fma_f64 v[3:4], v[16:17], s[20:21], |v[1:2]|
	v_mul_f64 v[5:6], v[16:17], s[22:23]
	s_mov_b32 s20, 0x252049c0
	s_mov_b32 s21, 0xb97b839a
	v_cvt_i32_f64_e32 v12, v[16:17]
	v_fma_f64 v[22:23], v[16:17], s[22:23], v[3:4]
	v_add_f64 v[18:19], v[3:4], v[5:6]
	s_mov_b32 s23, 0x3c91a626
	v_add_f64 v[20:21], v[3:4], -v[18:19]
	v_add_f64 v[18:19], v[18:19], -v[22:23]
	v_add_f64 v[3:4], v[20:21], v[5:6]
	v_fma_f64 v[5:6], v[16:17], s[22:23], v[5:6]
	v_add_f64 v[3:4], v[18:19], v[3:4]
	v_add_f64 v[3:4], v[3:4], -v[5:6]
	v_fma_f64 v[5:6], v[16:17], s[20:21], v[3:4]
	v_add_f64 v[3:4], v[22:23], v[5:6]
	v_add_f64 v[18:19], v[3:4], -v[22:23]
	v_add_f64 v[5:6], v[5:6], -v[18:19]
.LBB35_130:
	s_or_b64 exec, exec, s[4:5]
	v_mul_f64 v[16:17], v[3:4], v[3:4]
	v_add_f64 v[18:19], v[5:6], v[5:6]
	s_mov_b32 s4, 0xc751c08c
	s_mov_b32 s5, 0x3ef5e089
	v_and_b32_e32 v12, 1, v12
	v_cmp_eq_u32_e32 vcc, 0, v12
	s_mov_b32 s22, 0x54442d18
	s_mov_b32 s23, 0xc00921fb
	v_fma_f64 v[20:21], v[3:4], v[3:4], -v[16:17]
	s_mov_b64 s[20:21], exec
	v_sub_f32_e32 v15, 1.0, v15
	v_fma_f64 v[18:19], v[3:4], v[18:19], v[20:21]
	v_add_f64 v[16:17], v[16:17], v[18:19]
	v_mov_b32_e32 v18, 0xa9a29f71
	v_mov_b32_e32 v19, 0xbf078809
	v_fma_f64 v[18:19], v[16:17], s[4:5], v[18:19]
	s_mov_b32 s4, 0x90a8aae0
	s_mov_b32 s5, 0x3f17746f
	v_fma_f64 v[18:19], v[16:17], v[18:19], s[4:5]
	s_mov_b32 s4, 0xa6fbf144
	s_mov_b32 s5, 0xbefbb44d
	;; [unrolled: 3-line block ×12, first 2 shown]
	v_fma_f64 v[18:19], v[16:17], v[18:19], s[4:5]
	s_movk_i32 s4, 0x1f8
	v_cmp_class_f64_e64 s[4:5], v[1:2], s4
	v_mul_f64 v[16:17], v[16:17], v[18:19]
	v_mul_f64 v[18:19], v[3:4], v[16:17]
	v_add_f64 v[20:21], v[3:4], v[18:19]
	v_fma_f64 v[16:17], v[3:4], v[16:17], -v[18:19]
	v_add_f64 v[3:4], v[20:21], -v[3:4]
	v_add_f64 v[5:6], v[5:6], v[16:17]
	v_add_f64 v[3:4], v[18:19], -v[3:4]
	v_add_f64 v[3:4], v[5:6], v[3:4]
	v_add_f64 v[5:6], v[20:21], v[3:4]
	v_rcp_f64_e32 v[16:17], v[5:6]
	v_fma_f64 v[18:19], -v[5:6], v[16:17], 1.0
	v_fma_f64 v[16:17], v[18:19], v[16:17], v[16:17]
	v_fma_f64 v[18:19], -v[5:6], v[16:17], 1.0
	v_fma_f64 v[16:17], v[18:19], v[16:17], v[16:17]
	v_add_f64 v[18:19], v[5:6], -v[20:21]
	v_mul_f64 v[20:21], v[5:6], v[16:17]
	v_add_f64 v[3:4], v[3:4], -v[18:19]
	v_fma_f64 v[18:19], v[16:17], v[5:6], -v[20:21]
	v_fma_f64 v[3:4], v[16:17], v[3:4], v[18:19]
	v_add_f64 v[18:19], v[20:21], v[3:4]
	v_add_f64 v[22:23], -v[18:19], 1.0
	v_add_f64 v[20:21], v[18:19], -v[20:21]
	v_add_f64 v[24:25], -v[22:23], 1.0
	v_add_f64 v[3:4], v[20:21], -v[3:4]
	v_add_f64 v[18:19], v[24:25], -v[18:19]
	v_add_f64 v[3:4], v[3:4], v[18:19]
	v_add_f64 v[3:4], v[22:23], v[3:4]
	v_mul_f64 v[3:4], v[16:17], v[3:4]
	v_add_f64 v[3:4], v[16:17], v[3:4]
	v_and_b32_e32 v16, 0x80000000, v2
	v_mov_b32_e32 v2, 0x7ff80000
	v_xor_b32_e32 v1, 0x80000000, v4
	v_cndmask_b32_e32 v3, v3, v5, vcc
	v_cndmask_b32_e32 v4, v1, v6, vcc
	v_cndmask_b32_e64 v1, 0, v3, s[4:5]
	v_xor_b32_e32 v3, v4, v16
	v_cndmask_b32_e64 v2, v2, v3, s[4:5]
	v_div_scale_f64 v[3:4], s[4:5], v[1:2], v[1:2], s[22:23]
	v_div_scale_f64 v[18:19], vcc, s[22:23], v[1:2], s[22:23]
	v_rcp_f64_e32 v[5:6], v[3:4]
	v_fma_f64 v[16:17], -v[3:4], v[5:6], 1.0
	v_fma_f64 v[5:6], v[5:6], v[16:17], v[5:6]
	v_fma_f64 v[16:17], -v[3:4], v[5:6], 1.0
	v_fma_f64 v[5:6], v[5:6], v[16:17], v[5:6]
	v_mul_f64 v[16:17], v[18:19], v[5:6]
	v_fma_f64 v[3:4], -v[3:4], v[16:17], v[18:19]
	v_div_fmas_f64 v[3:4], v[3:4], v[5:6], v[16:17]
	v_div_fixup_f64 v[1:2], v[3:4], v[1:2], s[22:23]
	v_cvt_f32_f64_e32 v1, v[1:2]
.LBB35_131:
	s_or_b64 exec, exec, s[18:19]
	s_orn2_b64 s[18:19], s[20:21], exec
.LBB35_132:
	s_or_b64 exec, exec, s[16:17]
	v_mov_b32_e32 v12, 0x7fc00000
	s_and_saveexec_b64 s[4:5], s[18:19]
	s_cbranch_execz .LBB35_144
; %bb.133:
	s_mov_b32 s20, 0x41200000
	v_cmp_gt_f32_e32 vcc, s20, v15
	s_and_saveexec_b64 s[16:17], vcc
	s_cbranch_execz .LBB35_137
; %bb.134:
	s_mov_b64 s[18:19], 0
.LBB35_135:                             ; =>This Inner Loop Header: Depth=1
	v_div_scale_f32 v2, s[22:23], v15, v15, 1.0
	v_div_scale_f32 v3, vcc, 1.0, v15, 1.0
	v_rcp_f32_e32 v4, v2
	v_fma_f32 v5, -v2, v4, 1.0
	v_fmac_f32_e32 v4, v5, v4
	v_mul_f32_e32 v5, v3, v4
	v_fma_f32 v6, -v2, v5, v3
	v_fmac_f32_e32 v5, v6, v4
	v_fma_f32 v2, -v2, v5, v3
	v_div_fmas_f32 v2, v2, v4, v5
	v_div_fixup_f32 v2, v2, v15, 1.0
	v_add_f32_e32 v15, 1.0, v15
	v_cmp_ngt_f32_e32 vcc, s20, v15
	s_or_b64 s[18:19], vcc, s[18:19]
	v_sub_f32_e32 v1, v1, v2
	s_andn2_b64 exec, exec, s[18:19]
	s_cbranch_execnz .LBB35_135
; %bb.136:
	s_or_b64 exec, exec, s[18:19]
.LBB35_137:
	s_or_b64 exec, exec, s[16:17]
	s_mov_b32 s16, 0x41200000
	v_cmp_neq_f32_e32 vcc, s16, v15
                                        ; implicit-def: $vgpr12
	s_and_saveexec_b64 s[16:17], vcc
	s_xor_b64 s[16:17], exec, s[16:17]
	s_cbranch_execz .LBB35_141
; %bb.138:
	v_cvt_f64_f32_e32 v[2:3], v15
	s_mov_b32 s18, 0x85d8a000
	s_mov_b32 s19, 0x43763457
	v_cmp_gt_f64_e32 vcc, s[18:19], v[2:3]
	v_mov_b32_e32 v2, 0
	s_and_saveexec_b64 s[18:19], vcc
	s_cbranch_execz .LBB35_140
; %bb.139:
	v_mul_f32_e32 v2, v15, v15
	v_div_scale_f32 v3, s[20:21], v2, v2, 1.0
	v_div_scale_f32 v4, vcc, 1.0, v2, 1.0
	v_mov_b32_e32 v16, 0x3b820821
	v_rcp_f32_e32 v5, v3
	v_fma_f32 v6, -v3, v5, 1.0
	v_fmac_f32_e32 v5, v6, v5
	v_mul_f32_e32 v6, v4, v5
	v_fma_f32 v12, -v3, v6, v4
	v_fmac_f32_e32 v6, v12, v5
	v_fma_f32 v3, -v3, v6, v4
	v_div_fmas_f32 v3, v3, v5, v6
	v_mov_b32_e32 v4, 0x3daaaaab
	v_mov_b32_e32 v5, 0xbcaccacd
	v_mov_b32_e32 v6, 0x3bf83e10
	v_mov_b32_e32 v12, 0xbb888889
	v_div_fixup_f32 v2, v3, v2, 1.0
	v_fma_f32 v3, 0, v2, v4
	v_fmac_f32_e32 v5, v2, v3
	v_fmac_f32_e32 v6, v2, v5
	;; [unrolled: 1-line block ×4, first 2 shown]
	v_mov_b32_e32 v3, 0xbc088889
	v_fmac_f32_e32 v3, v2, v16
	v_fmac_f32_e32 v4, v2, v3
	v_mul_f32_e32 v2, v2, v4
.LBB35_140:
	s_or_b64 exec, exec, s[18:19]
	v_div_scale_f32 v3, s[18:19], v15, v15, -0.5
	v_div_scale_f32 v4, vcc, -0.5, v15, -0.5
	s_mov_b32 s18, 0x800000
	s_mov_b32 s19, 0x3f317217
	;; [unrolled: 1-line block ×3, first 2 shown]
	v_rcp_f32_e32 v5, v3
	v_fma_f32 v6, -v3, v5, 1.0
	v_fmac_f32_e32 v5, v6, v5
	v_mul_f32_e32 v6, v4, v5
	v_fma_f32 v12, -v3, v6, v4
	v_fmac_f32_e32 v6, v12, v5
	v_fma_f32 v3, -v3, v6, v4
	v_div_fmas_f32 v3, v3, v5, v6
	v_cmp_gt_f32_e32 vcc, s18, v15
	v_cndmask_b32_e64 v5, 0, 32, vcc
	v_ldexp_f32 v5, v15, v5
	v_log_f32_e32 v5, v5
	v_mov_b32_e32 v4, 0x41b17218
	v_cndmask_b32_e32 v4, 0, v4, vcc
	s_movk_i32 s18, 0x7fff
	v_mul_f32_e32 v12, 0x3f317217, v5
	v_fma_f32 v12, v5, s19, -v12
	v_fmac_f32_e32 v12, 0x3377d1cf, v5
	v_fmac_f32_e32 v12, 0x3f317217, v5
	v_cmp_lt_f32_e64 vcc, |v5|, s20
	v_cndmask_b32_e32 v5, v5, v12, vcc
	v_sub_f32_e32 v4, v5, v4
	v_mov_b32_e32 v6, 0x7fc00000
	v_div_fixup_f32 v3, v3, v15, -0.5
	v_add_f32_e32 v3, v4, v3
	v_sub_f32_e32 v2, v3, v2
	v_add_f32_e32 v1, v1, v2
	v_bfe_u32 v2, v1, 16, 1
	v_add3_u32 v2, v1, v2, s18
	v_and_b32_e32 v2, 0xffff0000, v2
	v_cmp_o_f32_e32 vcc, v1, v1
	v_cndmask_b32_e32 v12, v6, v2, vcc
                                        ; implicit-def: $vgpr1
.LBB35_141:
	s_andn2_saveexec_b64 s[16:17], s[16:17]
; %bb.142:
	v_add_f32_e32 v1, 0x40101cb7, v1
	v_bfe_u32 v2, v1, 16, 1
	s_movk_i32 s18, 0x7fff
	v_add3_u32 v2, v1, v2, s18
	v_and_b32_e32 v2, 0xffff0000, v2
	v_mov_b32_e32 v3, 0x7fc00000
	v_cmp_o_f32_e32 vcc, v1, v1
	v_cndmask_b32_e32 v12, v3, v2, vcc
; %bb.143:
	s_or_b64 exec, exec, s[16:17]
.LBB35_144:
	s_or_b64 exec, exec, s[4:5]
                                        ; implicit-def: $vgpr15
.LBB35_145:
	s_andn2_saveexec_b64 s[4:5], s[14:15]
; %bb.146:
	v_xor_b32_e32 v1, 0x80000000, v15
	v_and_b32_e32 v1, 0x80000000, v1
	v_or_b32_e32 v12, 0x7f800000, v1
; %bb.147:
	s_or_b64 exec, exec, s[4:5]
	s_waitcnt vmcnt(0)
	v_lshlrev_b32_e32 v16, 16, v9
	v_cmp_neq_f32_e32 vcc, 0, v16
                                        ; implicit-def: $vgpr15
	s_and_saveexec_b64 s[4:5], vcc
	s_xor_b64 s[14:15], exec, s[4:5]
	s_cbranch_execz .LBB35_169
; %bb.148:
	v_mov_b32_e32 v1, 0
	v_cmp_gt_f32_e32 vcc, 0, v16
	s_mov_b64 s[18:19], -1
	s_and_saveexec_b64 s[16:17], vcc
	s_cbranch_execz .LBB35_156
; %bb.149:
	v_trunc_f32_e32 v1, v16
	v_cmp_neq_f32_e32 vcc, v1, v16
	s_mov_b64 s[20:21], 0
	v_mov_b32_e32 v1, 0
	s_and_saveexec_b64 s[18:19], vcc
	s_cbranch_execz .LBB35_155
; %bb.150:
	v_cvt_f64_f32_e32 v[1:2], v16
	s_mov_b32 s22, 0
	s_mov_b32 s5, 0xc00921fb
	s_mov_b32 s4, 0x54442d18
	v_trunc_f64_e32 v[3:4], v[1:2]
	s_mov_b32 s23, 0x7ff00000
	v_cmp_neq_f64_e64 vcc, |v[1:2]|, s[22:23]
	v_bfrev_b32_e32 v5, 1
	s_mov_b32 s20, 0
	s_mov_b32 s21, 0x41d00000
                                        ; implicit-def: $vgpr15
	v_add_f64 v[3:4], v[1:2], -v[3:4]
	v_mul_f64 v[3:4], |v[3:4]|, s[4:5]
	v_cndmask_b32_e32 v2, v5, v4, vcc
	v_cndmask_b32_e32 v1, 0, v3, vcc
	v_cmp_nlt_f64_e64 s[20:21], |v[1:2]|, s[20:21]
                                        ; implicit-def: $vgpr3_vgpr4
                                        ; implicit-def: $vgpr5_vgpr6
	s_and_saveexec_b64 s[24:25], s[20:21]
	s_xor_b64 s[20:21], exec, s[24:25]
	s_cbranch_execz .LBB35_152
; %bb.151:
	v_trig_preop_f64 v[3:4], |v[1:2]|, 0
	s_mov_b32 s24, 0
	s_mov_b32 s25, 0x7b000000
	s_movk_i32 s5, 0xff80
	v_ldexp_f64 v[17:18], |v[1:2]|, s5
	v_cmp_ge_f64_e64 vcc, |v[1:2]|, s[24:25]
	v_trig_preop_f64 v[5:6], |v[1:2]|, 1
	v_and_b32_e32 v15, 0x7fffffff, v2
	v_trig_preop_f64 v[25:26], |v[1:2]|, 2
	v_mov_b32_e32 v35, 0
	s_mov_b32 s5, 0x3ff921fb
	v_cndmask_b32_e32 v18, v15, v18, vcc
	v_cndmask_b32_e32 v17, v1, v17, vcc
	v_mov_b32_e32 v15, 0x40100000
	v_mul_f64 v[19:20], v[3:4], v[17:18]
	v_mul_f64 v[21:22], v[5:6], v[17:18]
	;; [unrolled: 1-line block ×3, first 2 shown]
	v_fma_f64 v[3:4], v[3:4], v[17:18], -v[19:20]
	v_fma_f64 v[5:6], v[5:6], v[17:18], -v[21:22]
	;; [unrolled: 1-line block ×3, first 2 shown]
	v_add_f64 v[23:24], v[21:22], v[3:4]
	v_add_f64 v[27:28], v[23:24], -v[21:22]
	v_add_f64 v[33:34], v[19:20], v[23:24]
	v_add_f64 v[29:30], v[23:24], -v[27:28]
	v_add_f64 v[3:4], v[3:4], -v[27:28]
	v_add_f64 v[27:28], v[31:32], v[5:6]
	v_add_f64 v[19:20], v[33:34], -v[19:20]
	v_add_f64 v[21:22], v[21:22], -v[29:30]
	v_ldexp_f64 v[29:30], v[33:34], -2
	v_add_f64 v[37:38], v[27:28], -v[31:32]
	v_add_f64 v[19:20], v[23:24], -v[19:20]
	v_add_f64 v[3:4], v[3:4], v[21:22]
	v_fract_f64_e32 v[21:22], v[29:30]
	v_cmp_neq_f64_e64 vcc, |v[29:30]|, s[22:23]
	v_add_f64 v[5:6], v[5:6], -v[37:38]
	s_mov_b32 s22, 0x33145c07
	s_mov_b32 s23, 0x3c91a626
	v_add_f64 v[23:24], v[27:28], v[3:4]
	v_ldexp_f64 v[21:22], v[21:22], 2
	v_add_f64 v[29:30], v[19:20], v[23:24]
	v_cndmask_b32_e32 v22, 0, v22, vcc
	v_cndmask_b32_e32 v21, 0, v21, vcc
	v_add_f64 v[39:40], v[23:24], -v[27:28]
	v_add_f64 v[33:34], v[29:30], v[21:22]
	v_add_f64 v[19:20], v[29:30], -v[19:20]
	v_add_f64 v[41:42], v[23:24], -v[39:40]
	;; [unrolled: 1-line block ×3, first 2 shown]
	v_cmp_gt_f64_e32 vcc, 0, v[33:34]
	v_add_f64 v[33:34], v[27:28], -v[37:38]
	v_add_f64 v[19:20], v[23:24], -v[19:20]
	;; [unrolled: 1-line block ×3, first 2 shown]
	v_cndmask_b32_e32 v36, 0, v15, vcc
	v_add_f64 v[21:22], v[21:22], v[35:36]
	v_add_f64 v[33:34], v[31:32], -v[33:34]
	v_add_f64 v[3:4], v[3:4], v[27:28]
	v_add_f64 v[43:44], v[29:30], v[21:22]
	;; [unrolled: 1-line block ×3, first 2 shown]
	v_cvt_i32_f64_e32 v15, v[43:44]
	v_add_f64 v[3:4], v[5:6], v[3:4]
	v_cvt_f64_i32_e32 v[36:37], v15
	v_add_f64 v[21:22], v[21:22], -v[36:37]
	v_add_f64 v[3:4], v[17:18], v[3:4]
	v_add_f64 v[5:6], v[29:30], v[21:22]
	v_add_f64 v[3:4], v[19:20], v[3:4]
	v_mov_b32_e32 v19, 0x3ff00000
	v_add_f64 v[17:18], v[5:6], -v[21:22]
	v_cmp_le_f64_e32 vcc, 0.5, v[5:6]
	v_add_f64 v[17:18], v[29:30], -v[17:18]
	v_cndmask_b32_e32 v36, 0, v19, vcc
	v_add_f64 v[5:6], v[5:6], -v[35:36]
	v_addc_co_u32_e32 v15, vcc, 0, v15, vcc
	v_add_f64 v[3:4], v[3:4], v[17:18]
	v_add_f64 v[17:18], v[5:6], v[3:4]
	v_mul_f64 v[19:20], v[17:18], s[4:5]
	v_add_f64 v[5:6], v[17:18], -v[5:6]
	v_fma_f64 v[21:22], v[17:18], s[4:5], -v[19:20]
	v_add_f64 v[3:4], v[3:4], -v[5:6]
	v_fma_f64 v[5:6], v[17:18], s[22:23], v[21:22]
	v_fma_f64 v[5:6], v[3:4], s[4:5], v[5:6]
	v_add_f64 v[3:4], v[19:20], v[5:6]
	v_add_f64 v[17:18], v[3:4], -v[19:20]
	v_add_f64 v[5:6], v[5:6], -v[17:18]
.LBB35_152:
	s_andn2_saveexec_b64 s[4:5], s[20:21]
	s_cbranch_execz .LBB35_154
; %bb.153:
	s_mov_b32 s20, 0x6dc9c883
	s_mov_b32 s21, 0x3fe45f30
	v_mul_f64 v[3:4], |v[1:2]|, s[20:21]
	s_mov_b32 s20, 0x54442d18
	s_mov_b32 s21, 0xbff921fb
	;; [unrolled: 1-line block ×4, first 2 shown]
	v_rndne_f64_e32 v[17:18], v[3:4]
	v_fma_f64 v[3:4], v[17:18], s[20:21], |v[1:2]|
	v_mul_f64 v[5:6], v[17:18], s[22:23]
	s_mov_b32 s20, 0x252049c0
	s_mov_b32 s21, 0xb97b839a
	v_cvt_i32_f64_e32 v15, v[17:18]
	v_fma_f64 v[23:24], v[17:18], s[22:23], v[3:4]
	v_add_f64 v[19:20], v[3:4], v[5:6]
	s_mov_b32 s23, 0x3c91a626
	v_add_f64 v[21:22], v[3:4], -v[19:20]
	v_add_f64 v[19:20], v[19:20], -v[23:24]
	v_add_f64 v[3:4], v[21:22], v[5:6]
	v_fma_f64 v[5:6], v[17:18], s[22:23], v[5:6]
	v_add_f64 v[3:4], v[19:20], v[3:4]
	v_add_f64 v[3:4], v[3:4], -v[5:6]
	v_fma_f64 v[5:6], v[17:18], s[20:21], v[3:4]
	v_add_f64 v[3:4], v[23:24], v[5:6]
	v_add_f64 v[19:20], v[3:4], -v[23:24]
	v_add_f64 v[5:6], v[5:6], -v[19:20]
.LBB35_154:
	s_or_b64 exec, exec, s[4:5]
	v_mul_f64 v[17:18], v[3:4], v[3:4]
	v_add_f64 v[19:20], v[5:6], v[5:6]
	s_mov_b32 s4, 0xc751c08c
	s_mov_b32 s5, 0x3ef5e089
	v_and_b32_e32 v15, 1, v15
	v_cmp_eq_u32_e32 vcc, 0, v15
	s_mov_b32 s22, 0x54442d18
	s_mov_b32 s23, 0xc00921fb
	v_fma_f64 v[21:22], v[3:4], v[3:4], -v[17:18]
	s_mov_b64 s[20:21], exec
	v_sub_f32_e32 v16, 1.0, v16
	v_fma_f64 v[19:20], v[3:4], v[19:20], v[21:22]
	v_add_f64 v[17:18], v[17:18], v[19:20]
	v_mov_b32_e32 v19, 0xa9a29f71
	v_mov_b32_e32 v20, 0xbf078809
	v_fma_f64 v[19:20], v[17:18], s[4:5], v[19:20]
	s_mov_b32 s4, 0x90a8aae0
	s_mov_b32 s5, 0x3f17746f
	v_fma_f64 v[19:20], v[17:18], v[19:20], s[4:5]
	s_mov_b32 s4, 0xa6fbf144
	s_mov_b32 s5, 0xbefbb44d
	v_fma_f64 v[19:20], v[17:18], v[19:20], s[4:5]
	s_mov_b32 s4, 0xa7943acf
	s_mov_b32 s5, 0x3f21e634
	v_fma_f64 v[19:20], v[17:18], v[19:20], s[4:5]
	s_mov_b32 s4, 0xdeb68feb
	s_mov_b32 s5, 0x3f2d250f
	v_fma_f64 v[19:20], v[17:18], v[19:20], s[4:5]
	s_mov_b32 s4, 0xb58c4d95
	s_mov_b32 s5, 0x3f437fd9
	v_fma_f64 v[19:20], v[17:18], v[19:20], s[4:5]
	s_mov_b32 s4, 0x15120e2c
	s_mov_b32 s5, 0x3f57d5af
	v_fma_f64 v[19:20], v[17:18], v[19:20], s[4:5]
	s_mov_b32 s4, 0xe09491df
	s_mov_b32 s5, 0x3f6d6d93
	v_fma_f64 v[19:20], v[17:18], v[19:20], s[4:5]
	s_mov_b32 s4, 0x2033784d
	s_mov_b32 s5, 0x3f8226e1
	v_fma_f64 v[19:20], v[17:18], v[19:20], s[4:5]
	s_mov_b32 s4, 0x9ac36ae2
	s_mov_b32 s5, 0x3f9664f4
	v_fma_f64 v[19:20], v[17:18], v[19:20], s[4:5]
	s_mov_b32 s4, 0x1b451c21
	s_mov_b32 s5, 0x3faba1ba
	v_fma_f64 v[19:20], v[17:18], v[19:20], s[4:5]
	s_mov_b32 s4, 0x111185b7
	s_mov_b32 s5, 0x3fc11111
	v_fma_f64 v[19:20], v[17:18], v[19:20], s[4:5]
	s_mov_b32 s4, 0x555554ee
	s_mov_b32 s5, 0x3fd55555
	v_fma_f64 v[19:20], v[17:18], v[19:20], s[4:5]
	s_movk_i32 s4, 0x1f8
	v_cmp_class_f64_e64 s[4:5], v[1:2], s4
	v_mul_f64 v[17:18], v[17:18], v[19:20]
	v_mul_f64 v[19:20], v[3:4], v[17:18]
	v_add_f64 v[21:22], v[3:4], v[19:20]
	v_fma_f64 v[17:18], v[3:4], v[17:18], -v[19:20]
	v_add_f64 v[3:4], v[21:22], -v[3:4]
	v_add_f64 v[5:6], v[5:6], v[17:18]
	v_add_f64 v[3:4], v[19:20], -v[3:4]
	v_add_f64 v[3:4], v[5:6], v[3:4]
	v_add_f64 v[5:6], v[21:22], v[3:4]
	v_rcp_f64_e32 v[17:18], v[5:6]
	v_fma_f64 v[19:20], -v[5:6], v[17:18], 1.0
	v_fma_f64 v[17:18], v[19:20], v[17:18], v[17:18]
	v_fma_f64 v[19:20], -v[5:6], v[17:18], 1.0
	v_fma_f64 v[17:18], v[19:20], v[17:18], v[17:18]
	v_add_f64 v[19:20], v[5:6], -v[21:22]
	v_mul_f64 v[21:22], v[5:6], v[17:18]
	v_add_f64 v[3:4], v[3:4], -v[19:20]
	v_fma_f64 v[19:20], v[17:18], v[5:6], -v[21:22]
	v_fma_f64 v[3:4], v[17:18], v[3:4], v[19:20]
	v_add_f64 v[19:20], v[21:22], v[3:4]
	v_add_f64 v[23:24], -v[19:20], 1.0
	v_add_f64 v[21:22], v[19:20], -v[21:22]
	v_add_f64 v[25:26], -v[23:24], 1.0
	v_add_f64 v[3:4], v[21:22], -v[3:4]
	v_add_f64 v[19:20], v[25:26], -v[19:20]
	v_add_f64 v[3:4], v[3:4], v[19:20]
	v_add_f64 v[3:4], v[23:24], v[3:4]
	v_mul_f64 v[3:4], v[17:18], v[3:4]
	v_add_f64 v[3:4], v[17:18], v[3:4]
	v_and_b32_e32 v17, 0x80000000, v2
	v_mov_b32_e32 v2, 0x7ff80000
	v_xor_b32_e32 v1, 0x80000000, v4
	v_cndmask_b32_e32 v3, v3, v5, vcc
	v_cndmask_b32_e32 v4, v1, v6, vcc
	v_cndmask_b32_e64 v1, 0, v3, s[4:5]
	v_xor_b32_e32 v3, v4, v17
	v_cndmask_b32_e64 v2, v2, v3, s[4:5]
	v_div_scale_f64 v[3:4], s[4:5], v[1:2], v[1:2], s[22:23]
	v_div_scale_f64 v[19:20], vcc, s[22:23], v[1:2], s[22:23]
	v_rcp_f64_e32 v[5:6], v[3:4]
	v_fma_f64 v[17:18], -v[3:4], v[5:6], 1.0
	v_fma_f64 v[5:6], v[5:6], v[17:18], v[5:6]
	v_fma_f64 v[17:18], -v[3:4], v[5:6], 1.0
	v_fma_f64 v[5:6], v[5:6], v[17:18], v[5:6]
	v_mul_f64 v[17:18], v[19:20], v[5:6]
	v_fma_f64 v[3:4], -v[3:4], v[17:18], v[19:20]
	v_div_fmas_f64 v[3:4], v[3:4], v[5:6], v[17:18]
	v_div_fixup_f64 v[1:2], v[3:4], v[1:2], s[22:23]
	v_cvt_f32_f64_e32 v1, v[1:2]
.LBB35_155:
	s_or_b64 exec, exec, s[18:19]
	s_orn2_b64 s[18:19], s[20:21], exec
.LBB35_156:
	s_or_b64 exec, exec, s[16:17]
	v_mov_b32_e32 v15, 0x7fc0
	s_and_saveexec_b64 s[4:5], s[18:19]
	s_cbranch_execz .LBB35_168
; %bb.157:
	s_mov_b32 s20, 0x41200000
	v_cmp_gt_f32_e32 vcc, s20, v16
	s_and_saveexec_b64 s[16:17], vcc
	s_cbranch_execz .LBB35_161
; %bb.158:
	s_mov_b64 s[18:19], 0
.LBB35_159:                             ; =>This Inner Loop Header: Depth=1
	v_div_scale_f32 v2, s[22:23], v16, v16, 1.0
	v_div_scale_f32 v3, vcc, 1.0, v16, 1.0
	v_rcp_f32_e32 v4, v2
	v_fma_f32 v5, -v2, v4, 1.0
	v_fmac_f32_e32 v4, v5, v4
	v_mul_f32_e32 v5, v3, v4
	v_fma_f32 v6, -v2, v5, v3
	v_fmac_f32_e32 v5, v6, v4
	v_fma_f32 v2, -v2, v5, v3
	v_div_fmas_f32 v2, v2, v4, v5
	v_div_fixup_f32 v2, v2, v16, 1.0
	v_add_f32_e32 v16, 1.0, v16
	v_cmp_ngt_f32_e32 vcc, s20, v16
	s_or_b64 s[18:19], vcc, s[18:19]
	v_sub_f32_e32 v1, v1, v2
	s_andn2_b64 exec, exec, s[18:19]
	s_cbranch_execnz .LBB35_159
; %bb.160:
	s_or_b64 exec, exec, s[18:19]
.LBB35_161:
	s_or_b64 exec, exec, s[16:17]
	s_mov_b32 s16, 0x41200000
	v_cmp_neq_f32_e32 vcc, s16, v16
                                        ; implicit-def: $vgpr15
	s_and_saveexec_b64 s[16:17], vcc
	s_xor_b64 s[16:17], exec, s[16:17]
	s_cbranch_execz .LBB35_165
; %bb.162:
	v_cvt_f64_f32_e32 v[2:3], v16
	s_mov_b32 s18, 0x85d8a000
	s_mov_b32 s19, 0x43763457
	v_cmp_gt_f64_e32 vcc, s[18:19], v[2:3]
	v_mov_b32_e32 v2, 0
	s_and_saveexec_b64 s[18:19], vcc
	s_cbranch_execz .LBB35_164
; %bb.163:
	v_mul_f32_e32 v2, v16, v16
	v_div_scale_f32 v3, s[20:21], v2, v2, 1.0
	v_div_scale_f32 v4, vcc, 1.0, v2, 1.0
	v_mov_b32_e32 v17, 0x3b820821
	v_rcp_f32_e32 v5, v3
	v_fma_f32 v6, -v3, v5, 1.0
	v_fmac_f32_e32 v5, v6, v5
	v_mul_f32_e32 v6, v4, v5
	v_fma_f32 v15, -v3, v6, v4
	v_fmac_f32_e32 v6, v15, v5
	v_fma_f32 v3, -v3, v6, v4
	v_div_fmas_f32 v3, v3, v5, v6
	v_mov_b32_e32 v4, 0x3daaaaab
	v_mov_b32_e32 v5, 0xbcaccacd
	;; [unrolled: 1-line block ×4, first 2 shown]
	v_div_fixup_f32 v2, v3, v2, 1.0
	v_fma_f32 v3, 0, v2, v4
	v_fmac_f32_e32 v5, v2, v3
	v_fmac_f32_e32 v6, v2, v5
	;; [unrolled: 1-line block ×4, first 2 shown]
	v_mov_b32_e32 v3, 0xbc088889
	v_fmac_f32_e32 v3, v2, v17
	v_fmac_f32_e32 v4, v2, v3
	v_mul_f32_e32 v2, v2, v4
.LBB35_164:
	s_or_b64 exec, exec, s[18:19]
	v_div_scale_f32 v3, s[18:19], v16, v16, -0.5
	v_div_scale_f32 v4, vcc, -0.5, v16, -0.5
	s_mov_b32 s18, 0x800000
	s_mov_b32 s19, 0x3f317217
	;; [unrolled: 1-line block ×3, first 2 shown]
	v_rcp_f32_e32 v5, v3
	v_fma_f32 v6, -v3, v5, 1.0
	v_fmac_f32_e32 v5, v6, v5
	v_mul_f32_e32 v6, v4, v5
	v_fma_f32 v15, -v3, v6, v4
	v_fmac_f32_e32 v6, v15, v5
	v_fma_f32 v3, -v3, v6, v4
	v_div_fmas_f32 v3, v3, v5, v6
	v_cmp_gt_f32_e32 vcc, s18, v16
	v_cndmask_b32_e64 v5, 0, 32, vcc
	v_ldexp_f32 v5, v16, v5
	v_log_f32_e32 v5, v5
	v_mov_b32_e32 v4, 0x41b17218
	v_cndmask_b32_e32 v4, 0, v4, vcc
	s_movk_i32 s18, 0x7fff
	v_mul_f32_e32 v15, 0x3f317217, v5
	v_fma_f32 v15, v5, s19, -v15
	v_fmac_f32_e32 v15, 0x3377d1cf, v5
	v_fmac_f32_e32 v15, 0x3f317217, v5
	v_cmp_lt_f32_e64 vcc, |v5|, s20
	v_cndmask_b32_e32 v5, v5, v15, vcc
	v_sub_f32_e32 v4, v5, v4
	v_mov_b32_e32 v6, 0x7fc0
	v_div_fixup_f32 v3, v3, v16, -0.5
	v_add_f32_e32 v3, v4, v3
	v_sub_f32_e32 v2, v3, v2
	v_add_f32_e32 v1, v1, v2
	v_bfe_u32 v2, v1, 16, 1
	v_cmp_o_f32_e32 vcc, v1, v1
	v_add3_u32 v1, v1, v2, s18
	v_cndmask_b32_sdwa v15, v6, v1, vcc dst_sel:DWORD dst_unused:UNUSED_PAD src0_sel:DWORD src1_sel:WORD_1
                                        ; implicit-def: $vgpr1
.LBB35_165:
	s_andn2_saveexec_b64 s[16:17], s[16:17]
; %bb.166:
	v_add_f32_e32 v1, 0x40101cb7, v1
	v_bfe_u32 v2, v1, 16, 1
	s_movk_i32 s18, 0x7fff
	v_add3_u32 v2, v1, v2, s18
	v_cmp_o_f32_e32 vcc, v1, v1
	v_mov_b32_e32 v1, 0x7fc0
	v_cndmask_b32_sdwa v15, v1, v2, vcc dst_sel:DWORD dst_unused:UNUSED_PAD src0_sel:DWORD src1_sel:WORD_1
; %bb.167:
	s_or_b64 exec, exec, s[16:17]
.LBB35_168:
	s_or_b64 exec, exec, s[4:5]
                                        ; implicit-def: $vgpr16
.LBB35_169:
	s_andn2_saveexec_b64 s[4:5], s[14:15]
; %bb.170:
	v_xor_b32_e32 v1, 0x80000000, v16
	v_and_b32_e32 v1, 0x80000000, v1
	v_or_b32_e32 v1, 0x7f800000, v1
	v_lshrrev_b32_e32 v15, 16, v1
; %bb.171:
	s_or_b64 exec, exec, s[4:5]
	v_and_b32_e32 v9, 0xffff0000, v9
	v_cmp_neq_f32_e32 vcc, 0, v9
                                        ; implicit-def: $vgpr2
	s_and_saveexec_b64 s[4:5], vcc
	s_xor_b64 s[14:15], exec, s[4:5]
	s_cbranch_execz .LBB35_193
; %bb.172:
	v_mov_b32_e32 v1, 0
	v_cmp_gt_f32_e32 vcc, 0, v9
	s_mov_b64 s[18:19], -1
	s_and_saveexec_b64 s[16:17], vcc
	s_cbranch_execz .LBB35_180
; %bb.173:
	v_trunc_f32_e32 v1, v9
	v_cmp_neq_f32_e32 vcc, v1, v9
	s_mov_b64 s[20:21], 0
	v_mov_b32_e32 v1, 0
	s_and_saveexec_b64 s[18:19], vcc
	s_cbranch_execz .LBB35_179
; %bb.174:
	v_cvt_f64_f32_e32 v[1:2], v9
	s_mov_b32 s22, 0
	s_mov_b32 s5, 0xc00921fb
	;; [unrolled: 1-line block ×3, first 2 shown]
	v_trunc_f64_e32 v[3:4], v[1:2]
	s_mov_b32 s23, 0x7ff00000
	v_cmp_neq_f64_e64 vcc, |v[1:2]|, s[22:23]
	v_bfrev_b32_e32 v5, 1
	s_mov_b32 s20, 0
	s_mov_b32 s21, 0x41d00000
                                        ; implicit-def: $vgpr16
	v_add_f64 v[3:4], v[1:2], -v[3:4]
	v_mul_f64 v[3:4], |v[3:4]|, s[4:5]
	v_cndmask_b32_e32 v2, v5, v4, vcc
	v_cndmask_b32_e32 v1, 0, v3, vcc
	v_cmp_nlt_f64_e64 s[20:21], |v[1:2]|, s[20:21]
                                        ; implicit-def: $vgpr3_vgpr4
                                        ; implicit-def: $vgpr5_vgpr6
	s_and_saveexec_b64 s[24:25], s[20:21]
	s_xor_b64 s[20:21], exec, s[24:25]
	s_cbranch_execz .LBB35_176
; %bb.175:
	v_trig_preop_f64 v[3:4], |v[1:2]|, 0
	s_mov_b32 s24, 0
	s_mov_b32 s25, 0x7b000000
	s_movk_i32 s5, 0xff80
	v_ldexp_f64 v[16:17], |v[1:2]|, s5
	v_cmp_ge_f64_e64 vcc, |v[1:2]|, s[24:25]
	v_trig_preop_f64 v[5:6], |v[1:2]|, 1
	v_and_b32_e32 v18, 0x7fffffff, v2
	v_trig_preop_f64 v[24:25], |v[1:2]|, 2
	v_mov_b32_e32 v35, 0x40100000
	v_mov_b32_e32 v34, 0
	s_mov_b32 s5, 0x3ff921fb
	v_cndmask_b32_e32 v17, v18, v17, vcc
	v_cndmask_b32_e32 v16, v1, v16, vcc
	v_mul_f64 v[18:19], v[3:4], v[16:17]
	v_mul_f64 v[20:21], v[5:6], v[16:17]
	;; [unrolled: 1-line block ×3, first 2 shown]
	v_fma_f64 v[3:4], v[3:4], v[16:17], -v[18:19]
	v_fma_f64 v[5:6], v[5:6], v[16:17], -v[20:21]
	;; [unrolled: 1-line block ×3, first 2 shown]
	v_add_f64 v[22:23], v[20:21], v[3:4]
	v_add_f64 v[26:27], v[22:23], -v[20:21]
	v_add_f64 v[32:33], v[18:19], v[22:23]
	v_add_f64 v[28:29], v[22:23], -v[26:27]
	v_add_f64 v[3:4], v[3:4], -v[26:27]
	v_add_f64 v[26:27], v[30:31], v[5:6]
	v_add_f64 v[18:19], v[32:33], -v[18:19]
	v_add_f64 v[20:21], v[20:21], -v[28:29]
	v_ldexp_f64 v[28:29], v[32:33], -2
	v_add_f64 v[36:37], v[26:27], -v[30:31]
	v_add_f64 v[18:19], v[22:23], -v[18:19]
	v_add_f64 v[3:4], v[3:4], v[20:21]
	v_fract_f64_e32 v[20:21], v[28:29]
	v_cmp_neq_f64_e64 vcc, |v[28:29]|, s[22:23]
	v_add_f64 v[5:6], v[5:6], -v[36:37]
	s_mov_b32 s22, 0x33145c07
	s_mov_b32 s23, 0x3c91a626
	v_add_f64 v[22:23], v[26:27], v[3:4]
	v_ldexp_f64 v[20:21], v[20:21], 2
	v_add_f64 v[28:29], v[18:19], v[22:23]
	v_cndmask_b32_e32 v21, 0, v21, vcc
	v_cndmask_b32_e32 v20, 0, v20, vcc
	v_add_f64 v[38:39], v[22:23], -v[26:27]
	v_add_f64 v[32:33], v[28:29], v[20:21]
	v_add_f64 v[18:19], v[28:29], -v[18:19]
	v_add_f64 v[40:41], v[22:23], -v[38:39]
	;; [unrolled: 1-line block ×3, first 2 shown]
	v_cmp_gt_f64_e32 vcc, 0, v[32:33]
	v_add_f64 v[32:33], v[26:27], -v[36:37]
	v_add_f64 v[18:19], v[22:23], -v[18:19]
	;; [unrolled: 1-line block ×3, first 2 shown]
	v_cndmask_b32_e32 v35, 0, v35, vcc
	v_add_f64 v[20:21], v[20:21], v[34:35]
	v_add_f64 v[32:33], v[30:31], -v[32:33]
	v_add_f64 v[3:4], v[3:4], v[26:27]
	v_add_f64 v[42:43], v[28:29], v[20:21]
	;; [unrolled: 1-line block ×3, first 2 shown]
	v_cvt_i32_f64_e32 v37, v[42:43]
	v_add_f64 v[3:4], v[5:6], v[3:4]
	v_cvt_f64_i32_e32 v[35:36], v37
	v_add_f64 v[20:21], v[20:21], -v[35:36]
	v_add_f64 v[3:4], v[16:17], v[3:4]
	v_add_f64 v[5:6], v[28:29], v[20:21]
	;; [unrolled: 1-line block ×3, first 2 shown]
	v_mov_b32_e32 v18, 0x3ff00000
	v_add_f64 v[16:17], v[5:6], -v[20:21]
	v_cmp_le_f64_e32 vcc, 0.5, v[5:6]
	v_add_f64 v[16:17], v[28:29], -v[16:17]
	v_cndmask_b32_e32 v35, 0, v18, vcc
	v_add_f64 v[5:6], v[5:6], -v[34:35]
	v_add_f64 v[3:4], v[3:4], v[16:17]
	v_add_f64 v[16:17], v[5:6], v[3:4]
	v_mul_f64 v[18:19], v[16:17], s[4:5]
	v_add_f64 v[5:6], v[16:17], -v[5:6]
	v_fma_f64 v[20:21], v[16:17], s[4:5], -v[18:19]
	v_add_f64 v[3:4], v[3:4], -v[5:6]
	v_fma_f64 v[5:6], v[16:17], s[22:23], v[20:21]
	v_fma_f64 v[5:6], v[3:4], s[4:5], v[5:6]
	v_add_f64 v[3:4], v[18:19], v[5:6]
	v_add_f64 v[16:17], v[3:4], -v[18:19]
	v_add_f64 v[5:6], v[5:6], -v[16:17]
	v_addc_co_u32_e32 v16, vcc, 0, v37, vcc
.LBB35_176:
	s_andn2_saveexec_b64 s[4:5], s[20:21]
	s_cbranch_execz .LBB35_178
; %bb.177:
	s_mov_b32 s20, 0x6dc9c883
	s_mov_b32 s21, 0x3fe45f30
	v_mul_f64 v[3:4], |v[1:2]|, s[20:21]
	s_mov_b32 s20, 0x54442d18
	s_mov_b32 s21, 0xbff921fb
	s_mov_b32 s23, 0xbc91a626
	s_mov_b32 s22, 0x33145c00
	v_rndne_f64_e32 v[16:17], v[3:4]
	v_fma_f64 v[3:4], v[16:17], s[20:21], |v[1:2]|
	v_mul_f64 v[5:6], v[16:17], s[22:23]
	s_mov_b32 s20, 0x252049c0
	s_mov_b32 s21, 0xb97b839a
	v_fma_f64 v[22:23], v[16:17], s[22:23], v[3:4]
	v_add_f64 v[18:19], v[3:4], v[5:6]
	s_mov_b32 s23, 0x3c91a626
	v_add_f64 v[20:21], v[3:4], -v[18:19]
	v_add_f64 v[18:19], v[18:19], -v[22:23]
	v_add_f64 v[3:4], v[20:21], v[5:6]
	v_fma_f64 v[5:6], v[16:17], s[22:23], v[5:6]
	v_add_f64 v[3:4], v[18:19], v[3:4]
	v_add_f64 v[3:4], v[3:4], -v[5:6]
	v_fma_f64 v[5:6], v[16:17], s[20:21], v[3:4]
	v_cvt_i32_f64_e32 v16, v[16:17]
	v_add_f64 v[3:4], v[22:23], v[5:6]
	v_add_f64 v[18:19], v[3:4], -v[22:23]
	v_add_f64 v[5:6], v[5:6], -v[18:19]
.LBB35_178:
	s_or_b64 exec, exec, s[4:5]
	v_mul_f64 v[17:18], v[3:4], v[3:4]
	v_add_f64 v[19:20], v[5:6], v[5:6]
	s_mov_b32 s4, 0xc751c08c
	s_mov_b32 s5, 0x3ef5e089
	v_and_b32_e32 v16, 1, v16
	v_cmp_eq_u32_e32 vcc, 0, v16
	s_mov_b32 s22, 0x54442d18
	s_mov_b32 s23, 0xc00921fb
	v_fma_f64 v[21:22], v[3:4], v[3:4], -v[17:18]
	s_mov_b64 s[20:21], exec
	v_sub_f32_e32 v9, 1.0, v9
	v_fma_f64 v[19:20], v[3:4], v[19:20], v[21:22]
	v_add_f64 v[17:18], v[17:18], v[19:20]
	v_mov_b32_e32 v19, 0xa9a29f71
	v_mov_b32_e32 v20, 0xbf078809
	v_fma_f64 v[19:20], v[17:18], s[4:5], v[19:20]
	s_mov_b32 s4, 0x90a8aae0
	s_mov_b32 s5, 0x3f17746f
	v_fma_f64 v[19:20], v[17:18], v[19:20], s[4:5]
	s_mov_b32 s4, 0xa6fbf144
	s_mov_b32 s5, 0xbefbb44d
	;; [unrolled: 3-line block ×12, first 2 shown]
	v_fma_f64 v[19:20], v[17:18], v[19:20], s[4:5]
	s_movk_i32 s4, 0x1f8
	v_cmp_class_f64_e64 s[4:5], v[1:2], s4
	v_mul_f64 v[17:18], v[17:18], v[19:20]
	v_mul_f64 v[19:20], v[3:4], v[17:18]
	v_add_f64 v[21:22], v[3:4], v[19:20]
	v_fma_f64 v[17:18], v[3:4], v[17:18], -v[19:20]
	v_add_f64 v[3:4], v[21:22], -v[3:4]
	v_add_f64 v[5:6], v[5:6], v[17:18]
	v_add_f64 v[3:4], v[19:20], -v[3:4]
	v_add_f64 v[3:4], v[5:6], v[3:4]
	v_add_f64 v[5:6], v[21:22], v[3:4]
	v_rcp_f64_e32 v[17:18], v[5:6]
	v_fma_f64 v[19:20], -v[5:6], v[17:18], 1.0
	v_fma_f64 v[17:18], v[19:20], v[17:18], v[17:18]
	v_fma_f64 v[19:20], -v[5:6], v[17:18], 1.0
	v_fma_f64 v[17:18], v[19:20], v[17:18], v[17:18]
	v_add_f64 v[19:20], v[5:6], -v[21:22]
	v_mul_f64 v[21:22], v[5:6], v[17:18]
	v_add_f64 v[3:4], v[3:4], -v[19:20]
	v_fma_f64 v[19:20], v[17:18], v[5:6], -v[21:22]
	v_fma_f64 v[3:4], v[17:18], v[3:4], v[19:20]
	v_add_f64 v[19:20], v[21:22], v[3:4]
	v_add_f64 v[23:24], -v[19:20], 1.0
	v_add_f64 v[21:22], v[19:20], -v[21:22]
	v_add_f64 v[25:26], -v[23:24], 1.0
	v_add_f64 v[3:4], v[21:22], -v[3:4]
	v_add_f64 v[19:20], v[25:26], -v[19:20]
	v_add_f64 v[3:4], v[3:4], v[19:20]
	v_add_f64 v[3:4], v[23:24], v[3:4]
	v_mul_f64 v[3:4], v[17:18], v[3:4]
	v_add_f64 v[3:4], v[17:18], v[3:4]
	v_and_b32_e32 v17, 0x80000000, v2
	v_mov_b32_e32 v2, 0x7ff80000
	v_xor_b32_e32 v1, 0x80000000, v4
	v_cndmask_b32_e32 v3, v3, v5, vcc
	v_cndmask_b32_e32 v4, v1, v6, vcc
	v_cndmask_b32_e64 v1, 0, v3, s[4:5]
	v_xor_b32_e32 v3, v4, v17
	v_cndmask_b32_e64 v2, v2, v3, s[4:5]
	v_div_scale_f64 v[3:4], s[4:5], v[1:2], v[1:2], s[22:23]
	v_div_scale_f64 v[18:19], vcc, s[22:23], v[1:2], s[22:23]
	v_rcp_f64_e32 v[5:6], v[3:4]
	v_fma_f64 v[16:17], -v[3:4], v[5:6], 1.0
	v_fma_f64 v[5:6], v[5:6], v[16:17], v[5:6]
	v_fma_f64 v[16:17], -v[3:4], v[5:6], 1.0
	v_fma_f64 v[5:6], v[5:6], v[16:17], v[5:6]
	v_mul_f64 v[16:17], v[18:19], v[5:6]
	v_fma_f64 v[3:4], -v[3:4], v[16:17], v[18:19]
	v_div_fmas_f64 v[3:4], v[3:4], v[5:6], v[16:17]
	v_div_fixup_f64 v[1:2], v[3:4], v[1:2], s[22:23]
	v_cvt_f32_f64_e32 v1, v[1:2]
.LBB35_179:
	s_or_b64 exec, exec, s[18:19]
	s_orn2_b64 s[18:19], s[20:21], exec
.LBB35_180:
	s_or_b64 exec, exec, s[16:17]
	v_mov_b32_e32 v2, 0x7fc00000
	s_and_saveexec_b64 s[4:5], s[18:19]
	s_cbranch_execz .LBB35_192
; %bb.181:
	s_mov_b32 s20, 0x41200000
	v_cmp_gt_f32_e32 vcc, s20, v9
	s_and_saveexec_b64 s[16:17], vcc
	s_cbranch_execz .LBB35_185
; %bb.182:
	s_mov_b64 s[18:19], 0
.LBB35_183:                             ; =>This Inner Loop Header: Depth=1
	v_div_scale_f32 v2, s[22:23], v9, v9, 1.0
	v_div_scale_f32 v3, vcc, 1.0, v9, 1.0
	v_rcp_f32_e32 v4, v2
	v_fma_f32 v5, -v2, v4, 1.0
	v_fmac_f32_e32 v4, v5, v4
	v_mul_f32_e32 v5, v3, v4
	v_fma_f32 v6, -v2, v5, v3
	v_fmac_f32_e32 v5, v6, v4
	v_fma_f32 v2, -v2, v5, v3
	v_div_fmas_f32 v2, v2, v4, v5
	v_div_fixup_f32 v2, v2, v9, 1.0
	v_add_f32_e32 v9, 1.0, v9
	v_cmp_ngt_f32_e32 vcc, s20, v9
	s_or_b64 s[18:19], vcc, s[18:19]
	v_sub_f32_e32 v1, v1, v2
	s_andn2_b64 exec, exec, s[18:19]
	s_cbranch_execnz .LBB35_183
; %bb.184:
	s_or_b64 exec, exec, s[18:19]
.LBB35_185:
	s_or_b64 exec, exec, s[16:17]
	s_mov_b32 s16, 0x41200000
	v_cmp_neq_f32_e32 vcc, s16, v9
                                        ; implicit-def: $vgpr2
	s_and_saveexec_b64 s[16:17], vcc
	s_xor_b64 s[16:17], exec, s[16:17]
	s_cbranch_execz .LBB35_189
; %bb.186:
	v_cvt_f64_f32_e32 v[2:3], v9
	s_mov_b32 s18, 0x85d8a000
	s_mov_b32 s19, 0x43763457
	v_cmp_gt_f64_e32 vcc, s[18:19], v[2:3]
	v_mov_b32_e32 v2, 0
	s_and_saveexec_b64 s[18:19], vcc
	s_cbranch_execz .LBB35_188
; %bb.187:
	v_mul_f32_e32 v2, v9, v9
	v_div_scale_f32 v3, s[20:21], v2, v2, 1.0
	v_div_scale_f32 v4, vcc, 1.0, v2, 1.0
	v_mov_b32_e32 v17, 0x3b820821
	v_rcp_f32_e32 v5, v3
	v_fma_f32 v6, -v3, v5, 1.0
	v_fmac_f32_e32 v5, v6, v5
	v_mul_f32_e32 v6, v4, v5
	v_fma_f32 v16, -v3, v6, v4
	v_fmac_f32_e32 v6, v16, v5
	v_fma_f32 v3, -v3, v6, v4
	v_div_fmas_f32 v3, v3, v5, v6
	v_mov_b32_e32 v4, 0x3daaaaab
	v_mov_b32_e32 v5, 0xbcaccacd
	;; [unrolled: 1-line block ×4, first 2 shown]
	v_div_fixup_f32 v2, v3, v2, 1.0
	v_fma_f32 v3, 0, v2, v4
	v_fmac_f32_e32 v5, v2, v3
	v_fmac_f32_e32 v6, v2, v5
	;; [unrolled: 1-line block ×4, first 2 shown]
	v_mov_b32_e32 v3, 0xbc088889
	v_fmac_f32_e32 v3, v2, v17
	v_fmac_f32_e32 v4, v2, v3
	v_mul_f32_e32 v2, v2, v4
.LBB35_188:
	s_or_b64 exec, exec, s[18:19]
	v_div_scale_f32 v3, s[18:19], v9, v9, -0.5
	v_div_scale_f32 v4, vcc, -0.5, v9, -0.5
	s_mov_b32 s18, 0x800000
	s_mov_b32 s19, 0x3f317217
	;; [unrolled: 1-line block ×3, first 2 shown]
	v_rcp_f32_e32 v5, v3
	v_fma_f32 v6, -v3, v5, 1.0
	v_fmac_f32_e32 v5, v6, v5
	v_mul_f32_e32 v6, v4, v5
	v_fma_f32 v16, -v3, v6, v4
	v_fmac_f32_e32 v6, v16, v5
	v_fma_f32 v3, -v3, v6, v4
	v_div_fmas_f32 v3, v3, v5, v6
	v_cmp_gt_f32_e32 vcc, s18, v9
	v_cndmask_b32_e64 v5, 0, 32, vcc
	v_ldexp_f32 v5, v9, v5
	v_log_f32_e32 v5, v5
	v_mov_b32_e32 v4, 0x41b17218
	v_cndmask_b32_e32 v4, 0, v4, vcc
	s_movk_i32 s18, 0x7fff
	v_mul_f32_e32 v16, 0x3f317217, v5
	v_fma_f32 v16, v5, s19, -v16
	v_fmac_f32_e32 v16, 0x3377d1cf, v5
	v_fmac_f32_e32 v16, 0x3f317217, v5
	v_cmp_lt_f32_e64 vcc, |v5|, s20
	v_cndmask_b32_e32 v5, v5, v16, vcc
	v_sub_f32_e32 v4, v5, v4
	v_mov_b32_e32 v6, 0x7fc00000
	v_div_fixup_f32 v3, v3, v9, -0.5
	v_add_f32_e32 v3, v4, v3
	v_sub_f32_e32 v2, v3, v2
	v_add_f32_e32 v1, v1, v2
	v_bfe_u32 v2, v1, 16, 1
	v_add3_u32 v2, v1, v2, s18
	v_and_b32_e32 v2, 0xffff0000, v2
	v_cmp_o_f32_e32 vcc, v1, v1
	v_cndmask_b32_e32 v2, v6, v2, vcc
                                        ; implicit-def: $vgpr1
.LBB35_189:
	s_andn2_saveexec_b64 s[16:17], s[16:17]
; %bb.190:
	v_add_f32_e32 v1, 0x40101cb7, v1
	v_bfe_u32 v2, v1, 16, 1
	s_movk_i32 s18, 0x7fff
	v_add3_u32 v2, v1, v2, s18
	v_and_b32_e32 v2, 0xffff0000, v2
	v_mov_b32_e32 v3, 0x7fc00000
	v_cmp_o_f32_e32 vcc, v1, v1
	v_cndmask_b32_e32 v2, v3, v2, vcc
; %bb.191:
	s_or_b64 exec, exec, s[16:17]
.LBB35_192:
	s_or_b64 exec, exec, s[4:5]
                                        ; implicit-def: $vgpr9
.LBB35_193:
	s_andn2_saveexec_b64 s[4:5], s[14:15]
; %bb.194:
	v_xor_b32_e32 v1, 0x80000000, v9
	v_and_b32_e32 v1, 0x80000000, v1
	v_or_b32_e32 v2, 0x7f800000, v1
; %bb.195:
	s_or_b64 exec, exec, s[4:5]
	s_add_u32 s4, s8, s12
	v_or_b32_e32 v4, v10, v8
	s_addc_u32 s5, s9, s13
	v_or_b32_e32 v1, v12, v14
	v_or_b32_e32 v3, v13, v11
	;; [unrolled: 1-line block ×3, first 2 shown]
	global_store_dword v7, v4, s[4:5]
	global_store_dword v7, v3, s[4:5] offset:1024
	global_store_dword v7, v1, s[4:5] offset:2048
	;; [unrolled: 1-line block ×3, first 2 shown]
	s_branch .LBB35_2
.LBB35_196:
	s_getpc_b64 s[4:5]
	s_add_u32 s4, s4, _ZN2at6native25elementwise_kernel_helperILb0EZZZNS0_19digamma_kernel_cudaERNS_18TensorIteratorBaseEENKUlvE_clEvENKUlvE2_clEvEUlN3c108BFloat16EE_NS0_6memory8policies11unroll_baseILi256ESt5arrayIPcLm2EE23TrivialOffsetCalculatorILi1EjESG_NS9_15LoadWithoutCastENS9_16StoreWithoutCastELi8ELi1EEEEEvT0_T1_@rel32@lo+4
	s_addc_u32 s5, s5, _ZN2at6native25elementwise_kernel_helperILb0EZZZNS0_19digamma_kernel_cudaERNS_18TensorIteratorBaseEENKUlvE_clEvENKUlvE2_clEvEUlN3c108BFloat16EE_NS0_6memory8policies11unroll_baseILi256ESt5arrayIPcLm2EE23TrivialOffsetCalculatorILi1EjESG_NS9_15LoadWithoutCastENS9_16StoreWithoutCastELi8ELi1EEEEEvT0_T1_@rel32@hi+12
	s_mov_b32 s12, s6
	v_mov_b32_e32 v31, v0
	v_mov_b32_e32 v0, s8
	;; [unrolled: 1-line block ×6, first 2 shown]
	s_swappc_b64 s[30:31], s[4:5]
	s_endpgm
	.section	.rodata,"a",@progbits
	.p2align	6, 0x0
	.amdhsa_kernel _ZN2at6native29vectorized_elementwise_kernelILi2EZZZNS0_19digamma_kernel_cudaERNS_18TensorIteratorBaseEENKUlvE_clEvENKUlvE2_clEvEUlN3c108BFloat16EE_St5arrayIPcLm2EEEEviT0_T1_
		.amdhsa_group_segment_fixed_size 0
		.amdhsa_private_segment_fixed_size 0
		.amdhsa_kernarg_size 24
		.amdhsa_user_sgpr_count 6
		.amdhsa_user_sgpr_private_segment_buffer 1
		.amdhsa_user_sgpr_dispatch_ptr 0
		.amdhsa_user_sgpr_queue_ptr 0
		.amdhsa_user_sgpr_kernarg_segment_ptr 1
		.amdhsa_user_sgpr_dispatch_id 0
		.amdhsa_user_sgpr_flat_scratch_init 0
		.amdhsa_user_sgpr_private_segment_size 0
		.amdhsa_uses_dynamic_stack 0
		.amdhsa_system_sgpr_private_segment_wavefront_offset 0
		.amdhsa_system_sgpr_workgroup_id_x 1
		.amdhsa_system_sgpr_workgroup_id_y 0
		.amdhsa_system_sgpr_workgroup_id_z 0
		.amdhsa_system_sgpr_workgroup_info 0
		.amdhsa_system_vgpr_workitem_id 0
		.amdhsa_next_free_vgpr 66
		.amdhsa_next_free_sgpr 33
		.amdhsa_reserve_vcc 1
		.amdhsa_reserve_flat_scratch 0
		.amdhsa_float_round_mode_32 0
		.amdhsa_float_round_mode_16_64 0
		.amdhsa_float_denorm_mode_32 3
		.amdhsa_float_denorm_mode_16_64 3
		.amdhsa_dx10_clamp 1
		.amdhsa_ieee_mode 1
		.amdhsa_fp16_overflow 0
		.amdhsa_exception_fp_ieee_invalid_op 0
		.amdhsa_exception_fp_denorm_src 0
		.amdhsa_exception_fp_ieee_div_zero 0
		.amdhsa_exception_fp_ieee_overflow 0
		.amdhsa_exception_fp_ieee_underflow 0
		.amdhsa_exception_fp_ieee_inexact 0
		.amdhsa_exception_int_div_zero 0
	.end_amdhsa_kernel
	.section	.text._ZN2at6native29vectorized_elementwise_kernelILi2EZZZNS0_19digamma_kernel_cudaERNS_18TensorIteratorBaseEENKUlvE_clEvENKUlvE2_clEvEUlN3c108BFloat16EE_St5arrayIPcLm2EEEEviT0_T1_,"axG",@progbits,_ZN2at6native29vectorized_elementwise_kernelILi2EZZZNS0_19digamma_kernel_cudaERNS_18TensorIteratorBaseEENKUlvE_clEvENKUlvE2_clEvEUlN3c108BFloat16EE_St5arrayIPcLm2EEEEviT0_T1_,comdat
.Lfunc_end35:
	.size	_ZN2at6native29vectorized_elementwise_kernelILi2EZZZNS0_19digamma_kernel_cudaERNS_18TensorIteratorBaseEENKUlvE_clEvENKUlvE2_clEvEUlN3c108BFloat16EE_St5arrayIPcLm2EEEEviT0_T1_, .Lfunc_end35-_ZN2at6native29vectorized_elementwise_kernelILi2EZZZNS0_19digamma_kernel_cudaERNS_18TensorIteratorBaseEENKUlvE_clEvENKUlvE2_clEvEUlN3c108BFloat16EE_St5arrayIPcLm2EEEEviT0_T1_
                                        ; -- End function
	.set _ZN2at6native29vectorized_elementwise_kernelILi2EZZZNS0_19digamma_kernel_cudaERNS_18TensorIteratorBaseEENKUlvE_clEvENKUlvE2_clEvEUlN3c108BFloat16EE_St5arrayIPcLm2EEEEviT0_T1_.num_vgpr, max(45, .L_ZN2at6native25elementwise_kernel_helperILb0EZZZNS0_19digamma_kernel_cudaERNS_18TensorIteratorBaseEENKUlvE_clEvENKUlvE2_clEvEUlN3c108BFloat16EE_NS0_6memory8policies11unroll_baseILi256ESt5arrayIPcLm2EE23TrivialOffsetCalculatorILi1EjESG_NS9_15LoadWithoutCastENS9_16StoreWithoutCastELi8ELi1EEEEEvT0_T1_.num_vgpr)
	.set _ZN2at6native29vectorized_elementwise_kernelILi2EZZZNS0_19digamma_kernel_cudaERNS_18TensorIteratorBaseEENKUlvE_clEvENKUlvE2_clEvEUlN3c108BFloat16EE_St5arrayIPcLm2EEEEviT0_T1_.num_agpr, max(0, .L_ZN2at6native25elementwise_kernel_helperILb0EZZZNS0_19digamma_kernel_cudaERNS_18TensorIteratorBaseEENKUlvE_clEvENKUlvE2_clEvEUlN3c108BFloat16EE_NS0_6memory8policies11unroll_baseILi256ESt5arrayIPcLm2EE23TrivialOffsetCalculatorILi1EjESG_NS9_15LoadWithoutCastENS9_16StoreWithoutCastELi8ELi1EEEEEvT0_T1_.num_agpr)
	.set _ZN2at6native29vectorized_elementwise_kernelILi2EZZZNS0_19digamma_kernel_cudaERNS_18TensorIteratorBaseEENKUlvE_clEvENKUlvE2_clEvEUlN3c108BFloat16EE_St5arrayIPcLm2EEEEviT0_T1_.numbered_sgpr, max(33, .L_ZN2at6native25elementwise_kernel_helperILb0EZZZNS0_19digamma_kernel_cudaERNS_18TensorIteratorBaseEENKUlvE_clEvENKUlvE2_clEvEUlN3c108BFloat16EE_NS0_6memory8policies11unroll_baseILi256ESt5arrayIPcLm2EE23TrivialOffsetCalculatorILi1EjESG_NS9_15LoadWithoutCastENS9_16StoreWithoutCastELi8ELi1EEEEEvT0_T1_.numbered_sgpr)
	.set _ZN2at6native29vectorized_elementwise_kernelILi2EZZZNS0_19digamma_kernel_cudaERNS_18TensorIteratorBaseEENKUlvE_clEvENKUlvE2_clEvEUlN3c108BFloat16EE_St5arrayIPcLm2EEEEviT0_T1_.num_named_barrier, max(0, .L_ZN2at6native25elementwise_kernel_helperILb0EZZZNS0_19digamma_kernel_cudaERNS_18TensorIteratorBaseEENKUlvE_clEvENKUlvE2_clEvEUlN3c108BFloat16EE_NS0_6memory8policies11unroll_baseILi256ESt5arrayIPcLm2EE23TrivialOffsetCalculatorILi1EjESG_NS9_15LoadWithoutCastENS9_16StoreWithoutCastELi8ELi1EEEEEvT0_T1_.num_named_barrier)
	.set _ZN2at6native29vectorized_elementwise_kernelILi2EZZZNS0_19digamma_kernel_cudaERNS_18TensorIteratorBaseEENKUlvE_clEvENKUlvE2_clEvEUlN3c108BFloat16EE_St5arrayIPcLm2EEEEviT0_T1_.private_seg_size, 0+max(.L_ZN2at6native25elementwise_kernel_helperILb0EZZZNS0_19digamma_kernel_cudaERNS_18TensorIteratorBaseEENKUlvE_clEvENKUlvE2_clEvEUlN3c108BFloat16EE_NS0_6memory8policies11unroll_baseILi256ESt5arrayIPcLm2EE23TrivialOffsetCalculatorILi1EjESG_NS9_15LoadWithoutCastENS9_16StoreWithoutCastELi8ELi1EEEEEvT0_T1_.private_seg_size)
	.set _ZN2at6native29vectorized_elementwise_kernelILi2EZZZNS0_19digamma_kernel_cudaERNS_18TensorIteratorBaseEENKUlvE_clEvENKUlvE2_clEvEUlN3c108BFloat16EE_St5arrayIPcLm2EEEEviT0_T1_.uses_vcc, or(1, .L_ZN2at6native25elementwise_kernel_helperILb0EZZZNS0_19digamma_kernel_cudaERNS_18TensorIteratorBaseEENKUlvE_clEvENKUlvE2_clEvEUlN3c108BFloat16EE_NS0_6memory8policies11unroll_baseILi256ESt5arrayIPcLm2EE23TrivialOffsetCalculatorILi1EjESG_NS9_15LoadWithoutCastENS9_16StoreWithoutCastELi8ELi1EEEEEvT0_T1_.uses_vcc)
	.set _ZN2at6native29vectorized_elementwise_kernelILi2EZZZNS0_19digamma_kernel_cudaERNS_18TensorIteratorBaseEENKUlvE_clEvENKUlvE2_clEvEUlN3c108BFloat16EE_St5arrayIPcLm2EEEEviT0_T1_.uses_flat_scratch, or(0, .L_ZN2at6native25elementwise_kernel_helperILb0EZZZNS0_19digamma_kernel_cudaERNS_18TensorIteratorBaseEENKUlvE_clEvENKUlvE2_clEvEUlN3c108BFloat16EE_NS0_6memory8policies11unroll_baseILi256ESt5arrayIPcLm2EE23TrivialOffsetCalculatorILi1EjESG_NS9_15LoadWithoutCastENS9_16StoreWithoutCastELi8ELi1EEEEEvT0_T1_.uses_flat_scratch)
	.set _ZN2at6native29vectorized_elementwise_kernelILi2EZZZNS0_19digamma_kernel_cudaERNS_18TensorIteratorBaseEENKUlvE_clEvENKUlvE2_clEvEUlN3c108BFloat16EE_St5arrayIPcLm2EEEEviT0_T1_.has_dyn_sized_stack, or(0, .L_ZN2at6native25elementwise_kernel_helperILb0EZZZNS0_19digamma_kernel_cudaERNS_18TensorIteratorBaseEENKUlvE_clEvENKUlvE2_clEvEUlN3c108BFloat16EE_NS0_6memory8policies11unroll_baseILi256ESt5arrayIPcLm2EE23TrivialOffsetCalculatorILi1EjESG_NS9_15LoadWithoutCastENS9_16StoreWithoutCastELi8ELi1EEEEEvT0_T1_.has_dyn_sized_stack)
	.set _ZN2at6native29vectorized_elementwise_kernelILi2EZZZNS0_19digamma_kernel_cudaERNS_18TensorIteratorBaseEENKUlvE_clEvENKUlvE2_clEvEUlN3c108BFloat16EE_St5arrayIPcLm2EEEEviT0_T1_.has_recursion, or(0, .L_ZN2at6native25elementwise_kernel_helperILb0EZZZNS0_19digamma_kernel_cudaERNS_18TensorIteratorBaseEENKUlvE_clEvENKUlvE2_clEvEUlN3c108BFloat16EE_NS0_6memory8policies11unroll_baseILi256ESt5arrayIPcLm2EE23TrivialOffsetCalculatorILi1EjESG_NS9_15LoadWithoutCastENS9_16StoreWithoutCastELi8ELi1EEEEEvT0_T1_.has_recursion)
	.set _ZN2at6native29vectorized_elementwise_kernelILi2EZZZNS0_19digamma_kernel_cudaERNS_18TensorIteratorBaseEENKUlvE_clEvENKUlvE2_clEvEUlN3c108BFloat16EE_St5arrayIPcLm2EEEEviT0_T1_.has_indirect_call, or(0, .L_ZN2at6native25elementwise_kernel_helperILb0EZZZNS0_19digamma_kernel_cudaERNS_18TensorIteratorBaseEENKUlvE_clEvENKUlvE2_clEvEUlN3c108BFloat16EE_NS0_6memory8policies11unroll_baseILi256ESt5arrayIPcLm2EE23TrivialOffsetCalculatorILi1EjESG_NS9_15LoadWithoutCastENS9_16StoreWithoutCastELi8ELi1EEEEEvT0_T1_.has_indirect_call)
	.section	.AMDGPU.csdata,"",@progbits
; Kernel info:
; codeLenInByte = 20000
; TotalNumSgprs: 37
; NumVgprs: 66
; ScratchSize: 0
; MemoryBound: 0
; FloatMode: 240
; IeeeMode: 1
; LDSByteSize: 0 bytes/workgroup (compile time only)
; SGPRBlocks: 4
; VGPRBlocks: 16
; NumSGPRsForWavesPerEU: 37
; NumVGPRsForWavesPerEU: 66
; Occupancy: 3
; WaveLimiterHint : 1
; COMPUTE_PGM_RSRC2:SCRATCH_EN: 0
; COMPUTE_PGM_RSRC2:USER_SGPR: 6
; COMPUTE_PGM_RSRC2:TRAP_HANDLER: 0
; COMPUTE_PGM_RSRC2:TGID_X_EN: 1
; COMPUTE_PGM_RSRC2:TGID_Y_EN: 0
; COMPUTE_PGM_RSRC2:TGID_Z_EN: 0
; COMPUTE_PGM_RSRC2:TIDIG_COMP_CNT: 0
	.section	.text._ZN2at6native27unrolled_elementwise_kernelIZZZNS0_19digamma_kernel_cudaERNS_18TensorIteratorBaseEENKUlvE_clEvENKUlvE2_clEvEUlN3c108BFloat16EE_St5arrayIPcLm2EELi4E23TrivialOffsetCalculatorILi1EjESD_NS0_6memory15LoadWithoutCastENSE_16StoreWithoutCastEEEviT_T0_T2_T3_T4_T5_,"axG",@progbits,_ZN2at6native27unrolled_elementwise_kernelIZZZNS0_19digamma_kernel_cudaERNS_18TensorIteratorBaseEENKUlvE_clEvENKUlvE2_clEvEUlN3c108BFloat16EE_St5arrayIPcLm2EELi4E23TrivialOffsetCalculatorILi1EjESD_NS0_6memory15LoadWithoutCastENSE_16StoreWithoutCastEEEviT_T0_T2_T3_T4_T5_,comdat
	.globl	_ZN2at6native27unrolled_elementwise_kernelIZZZNS0_19digamma_kernel_cudaERNS_18TensorIteratorBaseEENKUlvE_clEvENKUlvE2_clEvEUlN3c108BFloat16EE_St5arrayIPcLm2EELi4E23TrivialOffsetCalculatorILi1EjESD_NS0_6memory15LoadWithoutCastENSE_16StoreWithoutCastEEEviT_T0_T2_T3_T4_T5_ ; -- Begin function _ZN2at6native27unrolled_elementwise_kernelIZZZNS0_19digamma_kernel_cudaERNS_18TensorIteratorBaseEENKUlvE_clEvENKUlvE2_clEvEUlN3c108BFloat16EE_St5arrayIPcLm2EELi4E23TrivialOffsetCalculatorILi1EjESD_NS0_6memory15LoadWithoutCastENSE_16StoreWithoutCastEEEviT_T0_T2_T3_T4_T5_
	.p2align	8
	.type	_ZN2at6native27unrolled_elementwise_kernelIZZZNS0_19digamma_kernel_cudaERNS_18TensorIteratorBaseEENKUlvE_clEvENKUlvE2_clEvEUlN3c108BFloat16EE_St5arrayIPcLm2EELi4E23TrivialOffsetCalculatorILi1EjESD_NS0_6memory15LoadWithoutCastENSE_16StoreWithoutCastEEEviT_T0_T2_T3_T4_T5_,@function
_ZN2at6native27unrolled_elementwise_kernelIZZZNS0_19digamma_kernel_cudaERNS_18TensorIteratorBaseEENKUlvE_clEvENKUlvE2_clEvEUlN3c108BFloat16EE_St5arrayIPcLm2EELi4E23TrivialOffsetCalculatorILi1EjESD_NS0_6memory15LoadWithoutCastENSE_16StoreWithoutCastEEEviT_T0_T2_T3_T4_T5_: ; @_ZN2at6native27unrolled_elementwise_kernelIZZZNS0_19digamma_kernel_cudaERNS_18TensorIteratorBaseEENKUlvE_clEvENKUlvE2_clEvEUlN3c108BFloat16EE_St5arrayIPcLm2EELi4E23TrivialOffsetCalculatorILi1EjESD_NS0_6memory15LoadWithoutCastENSE_16StoreWithoutCastEEEviT_T0_T2_T3_T4_T5_
; %bb.0:
	s_load_dword s0, s[4:5], 0x0
	s_load_dwordx4 s[8:11], s[4:5], 0x8
	s_lshl_b32 s18, s6, 10
	v_mov_b32_e32 v13, 0
	v_or_b32_e32 v1, s18, v0
	s_waitcnt lgkmcnt(0)
	s_sub_i32 s19, s0, s18
	v_cmp_gt_i32_e64 s[0:1], s19, v0
	v_mov_b32_e32 v10, 0
	v_mov_b32_e32 v2, v0
	s_and_saveexec_b64 s[2:3], s[0:1]
	s_cbranch_execz .LBB36_2
; %bb.1:
	v_mov_b32_e32 v2, 0
	v_lshlrev_b64 v[2:3], 1, v[1:2]
	v_mov_b32_e32 v4, s11
	v_add_co_u32_e32 v2, vcc, s10, v2
	v_addc_co_u32_e32 v3, vcc, v4, v3, vcc
	global_load_ushort v3, v[2:3], off
	v_or_b32_e32 v2, 0x100, v0
	s_waitcnt vmcnt(0)
	v_lshlrev_b32_e32 v10, 16, v3
.LBB36_2:
	s_or_b64 exec, exec, s[2:3]
	v_cmp_gt_i32_e32 vcc, s19, v2
	s_and_saveexec_b64 s[2:3], vcc
	s_cbranch_execz .LBB36_4
; %bb.3:
	v_add_u32_e32 v3, s18, v2
	v_mov_b32_e32 v4, 0
	v_lshlrev_b64 v[3:4], 1, v[3:4]
	v_mov_b32_e32 v5, s11
	v_add_co_u32_e32 v3, vcc, s10, v3
	v_addc_co_u32_e32 v4, vcc, v5, v4, vcc
	global_load_ushort v3, v[3:4], off
	v_add_u32_e32 v2, 0x100, v2
	s_waitcnt vmcnt(0)
	v_lshlrev_b32_e32 v13, 16, v3
.LBB36_4:
	s_or_b64 exec, exec, s[2:3]
	v_cmp_gt_i32_e32 vcc, s19, v2
	v_mov_b32_e32 v8, 0
	v_mov_b32_e32 v11, 0
	s_and_saveexec_b64 s[2:3], vcc
	s_cbranch_execnz .LBB36_7
; %bb.5:
	s_or_b64 exec, exec, s[2:3]
	v_cmp_gt_i32_e32 vcc, s19, v2
	s_and_saveexec_b64 s[2:3], vcc
	s_cbranch_execnz .LBB36_8
.LBB36_6:
	s_or_b64 exec, exec, s[2:3]
                                        ; implicit-def: $vgpr9
	s_and_saveexec_b64 s[4:5], s[0:1]
	s_cbranch_execnz .LBB36_9
	s_branch .LBB36_34
.LBB36_7:
	v_add_u32_e32 v3, s18, v2
	v_mov_b32_e32 v4, 0
	v_lshlrev_b64 v[3:4], 1, v[3:4]
	v_mov_b32_e32 v5, s11
	v_add_co_u32_e32 v3, vcc, s10, v3
	v_addc_co_u32_e32 v4, vcc, v5, v4, vcc
	global_load_ushort v3, v[3:4], off
	v_add_u32_e32 v2, 0x100, v2
	s_waitcnt vmcnt(0)
	v_lshlrev_b32_e32 v11, 16, v3
	s_or_b64 exec, exec, s[2:3]
	v_cmp_gt_i32_e32 vcc, s19, v2
	s_and_saveexec_b64 s[2:3], vcc
	s_cbranch_execz .LBB36_6
.LBB36_8:
	v_add_u32_e32 v2, s18, v2
	v_mov_b32_e32 v3, 0
	v_lshlrev_b64 v[2:3], 1, v[2:3]
	v_mov_b32_e32 v4, s11
	v_add_co_u32_e32 v2, vcc, s10, v2
	v_addc_co_u32_e32 v3, vcc, v4, v3, vcc
	global_load_ushort v2, v[2:3], off
	s_waitcnt vmcnt(0)
	v_lshlrev_b32_e32 v8, 16, v2
	s_or_b64 exec, exec, s[2:3]
                                        ; implicit-def: $vgpr9
	s_and_saveexec_b64 s[4:5], s[0:1]
	s_cbranch_execz .LBB36_34
.LBB36_9:
	v_cmp_neq_f32_e32 vcc, 0, v10
                                        ; implicit-def: $vgpr9
	s_and_saveexec_b64 s[2:3], vcc
	s_xor_b64 s[6:7], exec, s[2:3]
	s_cbranch_execz .LBB36_31
; %bb.10:
	v_mov_b32_e32 v2, 0
	v_cmp_gt_f32_e32 vcc, 0, v10
	s_mov_b64 s[12:13], -1
	s_and_saveexec_b64 s[10:11], vcc
	s_cbranch_execz .LBB36_18
; %bb.11:
	v_trunc_f32_e32 v2, v10
	v_cmp_neq_f32_e32 vcc, v2, v10
	s_mov_b64 s[14:15], 0
	v_mov_b32_e32 v2, 0
	s_and_saveexec_b64 s[12:13], vcc
	s_cbranch_execz .LBB36_17
; %bb.12:
	v_cvt_f64_f32_e32 v[2:3], v10
	s_mov_b32 s2, 0
	s_mov_b32 s15, 0xc00921fb
	;; [unrolled: 1-line block ×3, first 2 shown]
	v_trunc_f64_e32 v[4:5], v[2:3]
	s_mov_b32 s3, 0x7ff00000
	v_cmp_neq_f64_e64 vcc, |v[2:3]|, s[2:3]
	v_bfrev_b32_e32 v6, 1
	s_mov_b32 s16, 0
	s_mov_b32 s17, 0x41d00000
                                        ; implicit-def: $vgpr9
	v_add_f64 v[4:5], v[2:3], -v[4:5]
	v_mul_f64 v[4:5], |v[4:5]|, s[14:15]
	v_cndmask_b32_e32 v3, v6, v5, vcc
	v_cndmask_b32_e32 v2, 0, v4, vcc
	v_cmp_nlt_f64_e64 s[16:17], |v[2:3]|, s[16:17]
                                        ; implicit-def: $vgpr4_vgpr5
                                        ; implicit-def: $vgpr6_vgpr7
	s_and_saveexec_b64 s[20:21], s[16:17]
	s_xor_b64 s[16:17], exec, s[20:21]
	s_cbranch_execz .LBB36_14
; %bb.13:
	v_trig_preop_f64 v[4:5], |v[2:3]|, 0
	s_mov_b32 s20, 0
	s_mov_b32 s21, 0x7b000000
	s_movk_i32 s15, 0xff80
	v_ldexp_f64 v[14:15], |v[2:3]|, s15
	v_cmp_ge_f64_e64 vcc, |v[2:3]|, s[20:21]
	v_trig_preop_f64 v[6:7], |v[2:3]|, 1
	v_and_b32_e32 v9, 0x7fffffff, v3
	v_trig_preop_f64 v[20:21], |v[2:3]|, 2
	v_mov_b32_e32 v12, 0x3ff00000
	s_mov_b32 s15, 0x3ff921fb
	v_cndmask_b32_e32 v15, v9, v15, vcc
	v_cndmask_b32_e32 v14, v2, v14, vcc
	v_mov_b32_e32 v9, 0x40100000
	v_mul_f64 v[16:17], v[4:5], v[14:15]
	v_mul_f64 v[18:19], v[6:7], v[14:15]
	;; [unrolled: 1-line block ×3, first 2 shown]
	v_fma_f64 v[4:5], v[4:5], v[14:15], -v[16:17]
	v_fma_f64 v[6:7], v[6:7], v[14:15], -v[18:19]
	;; [unrolled: 1-line block ×3, first 2 shown]
	v_add_f64 v[22:23], v[18:19], v[4:5]
	v_add_f64 v[24:25], v[22:23], -v[18:19]
	v_add_f64 v[20:21], v[16:17], v[22:23]
	v_add_f64 v[4:5], v[4:5], -v[24:25]
	v_add_f64 v[24:25], v[22:23], -v[24:25]
	v_add_f64 v[16:17], v[20:21], -v[16:17]
	v_ldexp_f64 v[20:21], v[20:21], -2
	v_add_f64 v[18:19], v[18:19], -v[24:25]
	v_add_f64 v[24:25], v[26:27], v[6:7]
	v_add_f64 v[16:17], v[22:23], -v[16:17]
	v_fract_f64_e32 v[22:23], v[20:21]
	v_cmp_neq_f64_e64 vcc, |v[20:21]|, s[2:3]
	v_add_f64 v[4:5], v[4:5], v[18:19]
	v_add_f64 v[18:19], v[24:25], -v[26:27]
	v_ldexp_f64 v[22:23], v[22:23], 2
	v_add_f64 v[6:7], v[6:7], -v[18:19]
	v_add_f64 v[18:19], v[24:25], -v[18:19]
	v_add_f64 v[18:19], v[26:27], -v[18:19]
	v_add_f64 v[26:27], v[24:25], v[4:5]
	v_add_f64 v[6:7], v[6:7], v[18:19]
	v_add_f64 v[20:21], v[26:27], -v[24:25]
	v_cndmask_b32_e32 v19, 0, v23, vcc
	v_cndmask_b32_e32 v18, 0, v22, vcc
	v_add_f64 v[22:23], v[16:17], v[26:27]
	v_add_f64 v[4:5], v[4:5], -v[20:21]
	v_add_f64 v[20:21], v[26:27], -v[20:21]
	;; [unrolled: 1-line block ×4, first 2 shown]
	v_add_f64 v[24:25], v[22:23], v[18:19]
	v_add_f64 v[16:17], v[26:27], -v[16:17]
	v_add_f64 v[4:5], v[4:5], v[20:21]
	v_cmp_gt_f64_e32 vcc, 0, v[24:25]
	v_mov_b32_e32 v24, 0
	v_add_f64 v[4:5], v[6:7], v[4:5]
	v_cndmask_b32_e32 v25, 0, v9, vcc
	v_add_f64 v[18:19], v[18:19], v[24:25]
	v_add_f64 v[4:5], v[14:15], v[4:5]
	;; [unrolled: 1-line block ×4, first 2 shown]
	v_cvt_i32_f64_e32 v9, v[20:21]
	v_cvt_f64_i32_e32 v[20:21], v9
	v_add_f64 v[18:19], v[18:19], -v[20:21]
	v_add_f64 v[6:7], v[22:23], v[18:19]
	v_add_f64 v[14:15], v[6:7], -v[18:19]
	v_cmp_le_f64_e32 vcc, 0.5, v[6:7]
	v_add_f64 v[14:15], v[22:23], -v[14:15]
	v_cndmask_b32_e32 v25, 0, v12, vcc
	v_add_f64 v[6:7], v[6:7], -v[24:25]
	v_addc_co_u32_e64 v9, s[2:3], 0, v9, vcc
	s_mov_b32 s2, 0x33145c07
	s_mov_b32 s3, 0x3c91a626
	v_add_f64 v[4:5], v[4:5], v[14:15]
	v_add_f64 v[14:15], v[6:7], v[4:5]
	v_mul_f64 v[16:17], v[14:15], s[14:15]
	v_add_f64 v[6:7], v[14:15], -v[6:7]
	v_fma_f64 v[18:19], v[14:15], s[14:15], -v[16:17]
	v_add_f64 v[4:5], v[4:5], -v[6:7]
	v_fma_f64 v[6:7], v[14:15], s[2:3], v[18:19]
	v_fma_f64 v[6:7], v[4:5], s[14:15], v[6:7]
	v_add_f64 v[4:5], v[16:17], v[6:7]
	v_add_f64 v[14:15], v[4:5], -v[16:17]
	v_add_f64 v[6:7], v[6:7], -v[14:15]
.LBB36_14:
	s_andn2_saveexec_b64 s[2:3], s[16:17]
	s_cbranch_execz .LBB36_16
; %bb.15:
	s_mov_b32 s14, 0x6dc9c883
	s_mov_b32 s15, 0x3fe45f30
	v_mul_f64 v[4:5], |v[2:3]|, s[14:15]
	s_mov_b32 s14, 0x54442d18
	s_mov_b32 s15, 0xbff921fb
	;; [unrolled: 1-line block ×4, first 2 shown]
	v_rndne_f64_e32 v[14:15], v[4:5]
	v_fma_f64 v[4:5], v[14:15], s[14:15], |v[2:3]|
	v_mul_f64 v[6:7], v[14:15], s[16:17]
	s_mov_b32 s14, 0x252049c0
	s_mov_b32 s15, 0xb97b839a
	v_cvt_i32_f64_e32 v9, v[14:15]
	v_fma_f64 v[20:21], v[14:15], s[16:17], v[4:5]
	v_add_f64 v[16:17], v[4:5], v[6:7]
	s_mov_b32 s17, 0x3c91a626
	v_add_f64 v[18:19], v[4:5], -v[16:17]
	v_add_f64 v[16:17], v[16:17], -v[20:21]
	v_add_f64 v[4:5], v[18:19], v[6:7]
	v_fma_f64 v[6:7], v[14:15], s[16:17], v[6:7]
	v_add_f64 v[4:5], v[16:17], v[4:5]
	v_add_f64 v[4:5], v[4:5], -v[6:7]
	v_fma_f64 v[6:7], v[14:15], s[14:15], v[4:5]
	v_add_f64 v[4:5], v[20:21], v[6:7]
	v_add_f64 v[16:17], v[4:5], -v[20:21]
	v_add_f64 v[6:7], v[6:7], -v[16:17]
.LBB36_16:
	s_or_b64 exec, exec, s[2:3]
	v_mul_f64 v[14:15], v[4:5], v[4:5]
	v_add_f64 v[16:17], v[6:7], v[6:7]
	s_mov_b32 s2, 0xc751c08c
	s_mov_b32 s3, 0x3ef5e089
	v_and_b32_e32 v9, 1, v9
	v_cmp_eq_u32_e32 vcc, 0, v9
	v_and_b32_e32 v12, 0x80000000, v3
	s_mov_b32 s16, 0x54442d18
	v_fma_f64 v[18:19], v[4:5], v[4:5], -v[14:15]
	s_mov_b32 s17, 0xc00921fb
	s_mov_b64 s[14:15], exec
	v_sub_f32_e32 v10, 1.0, v10
	v_fma_f64 v[16:17], v[4:5], v[16:17], v[18:19]
	v_add_f64 v[14:15], v[14:15], v[16:17]
	v_mov_b32_e32 v16, 0xa9a29f71
	v_mov_b32_e32 v17, 0xbf078809
	v_fma_f64 v[16:17], v[14:15], s[2:3], v[16:17]
	s_mov_b32 s2, 0x90a8aae0
	s_mov_b32 s3, 0x3f17746f
	v_fma_f64 v[16:17], v[14:15], v[16:17], s[2:3]
	s_mov_b32 s2, 0xa6fbf144
	s_mov_b32 s3, 0xbefbb44d
	;; [unrolled: 3-line block ×12, first 2 shown]
	v_fma_f64 v[16:17], v[14:15], v[16:17], s[2:3]
	s_movk_i32 s2, 0x1f8
	v_cmp_class_f64_e64 s[2:3], v[2:3], s2
	v_mov_b32_e32 v3, 0x7ff80000
	v_mul_f64 v[14:15], v[14:15], v[16:17]
	v_mul_f64 v[16:17], v[4:5], v[14:15]
	v_add_f64 v[18:19], v[4:5], v[16:17]
	v_fma_f64 v[14:15], v[4:5], v[14:15], -v[16:17]
	v_add_f64 v[4:5], v[18:19], -v[4:5]
	v_add_f64 v[6:7], v[6:7], v[14:15]
	v_add_f64 v[4:5], v[16:17], -v[4:5]
	v_add_f64 v[4:5], v[6:7], v[4:5]
	v_add_f64 v[6:7], v[18:19], v[4:5]
	v_rcp_f64_e32 v[14:15], v[6:7]
	v_fma_f64 v[16:17], -v[6:7], v[14:15], 1.0
	v_fma_f64 v[14:15], v[16:17], v[14:15], v[14:15]
	v_fma_f64 v[16:17], -v[6:7], v[14:15], 1.0
	v_fma_f64 v[14:15], v[16:17], v[14:15], v[14:15]
	v_add_f64 v[16:17], v[6:7], -v[18:19]
	v_mul_f64 v[18:19], v[6:7], v[14:15]
	v_add_f64 v[4:5], v[4:5], -v[16:17]
	v_fma_f64 v[16:17], v[14:15], v[6:7], -v[18:19]
	v_fma_f64 v[4:5], v[14:15], v[4:5], v[16:17]
	v_add_f64 v[16:17], v[18:19], v[4:5]
	v_add_f64 v[20:21], -v[16:17], 1.0
	v_add_f64 v[18:19], v[16:17], -v[18:19]
	v_add_f64 v[22:23], -v[20:21], 1.0
	v_add_f64 v[4:5], v[18:19], -v[4:5]
	v_add_f64 v[16:17], v[22:23], -v[16:17]
	v_add_f64 v[4:5], v[4:5], v[16:17]
	v_add_f64 v[4:5], v[20:21], v[4:5]
	v_mul_f64 v[4:5], v[14:15], v[4:5]
	v_add_f64 v[4:5], v[14:15], v[4:5]
	v_xor_b32_e32 v2, 0x80000000, v5
	v_cndmask_b32_e32 v4, v4, v6, vcc
	v_cndmask_b32_e32 v5, v2, v7, vcc
	v_cndmask_b32_e64 v2, 0, v4, s[2:3]
	v_xor_b32_e32 v4, v5, v12
	v_cndmask_b32_e64 v3, v3, v4, s[2:3]
	v_div_scale_f64 v[4:5], s[2:3], v[2:3], v[2:3], s[16:17]
	v_div_scale_f64 v[16:17], vcc, s[16:17], v[2:3], s[16:17]
	v_rcp_f64_e32 v[6:7], v[4:5]
	v_fma_f64 v[14:15], -v[4:5], v[6:7], 1.0
	v_fma_f64 v[6:7], v[6:7], v[14:15], v[6:7]
	v_fma_f64 v[14:15], -v[4:5], v[6:7], 1.0
	v_fma_f64 v[6:7], v[6:7], v[14:15], v[6:7]
	v_mul_f64 v[14:15], v[16:17], v[6:7]
	v_fma_f64 v[4:5], -v[4:5], v[14:15], v[16:17]
	v_div_fmas_f64 v[4:5], v[4:5], v[6:7], v[14:15]
	v_div_fixup_f64 v[2:3], v[4:5], v[2:3], s[16:17]
	v_cvt_f32_f64_e32 v2, v[2:3]
.LBB36_17:
	s_or_b64 exec, exec, s[12:13]
	s_orn2_b64 s[12:13], s[14:15], exec
.LBB36_18:
	s_or_b64 exec, exec, s[10:11]
	v_mov_b32_e32 v9, 0x7fc0
	s_and_saveexec_b64 s[2:3], s[12:13]
	s_cbranch_execz .LBB36_30
; %bb.19:
	s_mov_b32 s14, 0x41200000
	v_cmp_gt_f32_e32 vcc, s14, v10
	s_and_saveexec_b64 s[10:11], vcc
	s_cbranch_execz .LBB36_23
; %bb.20:
	s_mov_b64 s[12:13], 0
.LBB36_21:                              ; =>This Inner Loop Header: Depth=1
	v_div_scale_f32 v3, s[16:17], v10, v10, 1.0
	v_div_scale_f32 v4, vcc, 1.0, v10, 1.0
	v_rcp_f32_e32 v5, v3
	v_fma_f32 v6, -v3, v5, 1.0
	v_fmac_f32_e32 v5, v6, v5
	v_mul_f32_e32 v6, v4, v5
	v_fma_f32 v7, -v3, v6, v4
	v_fmac_f32_e32 v6, v7, v5
	v_fma_f32 v3, -v3, v6, v4
	v_div_fmas_f32 v3, v3, v5, v6
	v_div_fixup_f32 v3, v3, v10, 1.0
	v_add_f32_e32 v10, 1.0, v10
	v_cmp_ngt_f32_e32 vcc, s14, v10
	s_or_b64 s[12:13], vcc, s[12:13]
	v_sub_f32_e32 v2, v2, v3
	s_andn2_b64 exec, exec, s[12:13]
	s_cbranch_execnz .LBB36_21
; %bb.22:
	s_or_b64 exec, exec, s[12:13]
.LBB36_23:
	s_or_b64 exec, exec, s[10:11]
	s_mov_b32 s10, 0x41200000
	v_cmp_neq_f32_e32 vcc, s10, v10
                                        ; implicit-def: $vgpr9
	s_and_saveexec_b64 s[10:11], vcc
	s_xor_b64 s[10:11], exec, s[10:11]
	s_cbranch_execz .LBB36_27
; %bb.24:
	v_cvt_f64_f32_e32 v[3:4], v10
	s_mov_b32 s12, 0x85d8a000
	s_mov_b32 s13, 0x43763457
	v_cmp_gt_f64_e32 vcc, s[12:13], v[3:4]
	v_mov_b32_e32 v3, 0
	s_and_saveexec_b64 s[12:13], vcc
	s_cbranch_execz .LBB36_26
; %bb.25:
	v_mul_f32_e32 v3, v10, v10
	v_div_scale_f32 v4, s[14:15], v3, v3, 1.0
	v_div_scale_f32 v5, vcc, 1.0, v3, 1.0
	v_mov_b32_e32 v12, 0x3b820821
	v_rcp_f32_e32 v6, v4
	v_fma_f32 v7, -v4, v6, 1.0
	v_fmac_f32_e32 v6, v7, v6
	v_mul_f32_e32 v7, v5, v6
	v_fma_f32 v9, -v4, v7, v5
	v_fmac_f32_e32 v7, v9, v6
	v_fma_f32 v4, -v4, v7, v5
	v_div_fmas_f32 v4, v4, v6, v7
	v_mov_b32_e32 v5, 0x3daaaaab
	v_mov_b32_e32 v6, 0xbcaccacd
	;; [unrolled: 1-line block ×4, first 2 shown]
	v_div_fixup_f32 v3, v4, v3, 1.0
	v_fma_f32 v4, 0, v3, v5
	v_fmac_f32_e32 v6, v3, v4
	v_fmac_f32_e32 v7, v3, v6
	;; [unrolled: 1-line block ×4, first 2 shown]
	v_mov_b32_e32 v4, 0xbc088889
	v_fmac_f32_e32 v4, v3, v12
	v_fmac_f32_e32 v5, v3, v4
	v_mul_f32_e32 v3, v3, v5
.LBB36_26:
	s_or_b64 exec, exec, s[12:13]
	v_div_scale_f32 v4, s[12:13], v10, v10, -0.5
	v_div_scale_f32 v5, vcc, -0.5, v10, -0.5
	s_mov_b32 s12, 0x800000
	s_mov_b32 s13, 0x3f317217
	;; [unrolled: 1-line block ×3, first 2 shown]
	v_rcp_f32_e32 v6, v4
	v_fma_f32 v7, -v4, v6, 1.0
	v_fmac_f32_e32 v6, v7, v6
	v_mul_f32_e32 v7, v5, v6
	v_fma_f32 v9, -v4, v7, v5
	v_fmac_f32_e32 v7, v9, v6
	v_fma_f32 v4, -v4, v7, v5
	v_div_fmas_f32 v4, v4, v6, v7
	v_cmp_gt_f32_e32 vcc, s12, v10
	v_cndmask_b32_e64 v6, 0, 32, vcc
	v_ldexp_f32 v6, v10, v6
	v_log_f32_e32 v6, v6
	v_mov_b32_e32 v5, 0x41b17218
	v_cndmask_b32_e32 v5, 0, v5, vcc
	s_movk_i32 s12, 0x7fff
	v_mul_f32_e32 v9, 0x3f317217, v6
	v_fma_f32 v9, v6, s13, -v9
	v_fmac_f32_e32 v9, 0x3377d1cf, v6
	v_fmac_f32_e32 v9, 0x3f317217, v6
	v_cmp_lt_f32_e64 vcc, |v6|, s14
	v_cndmask_b32_e32 v6, v6, v9, vcc
	v_sub_f32_e32 v5, v6, v5
	v_mov_b32_e32 v7, 0x7fc0
	v_div_fixup_f32 v4, v4, v10, -0.5
	v_add_f32_e32 v4, v5, v4
	v_sub_f32_e32 v3, v4, v3
	v_add_f32_e32 v2, v2, v3
	v_bfe_u32 v3, v2, 16, 1
	v_cmp_o_f32_e32 vcc, v2, v2
	v_add3_u32 v2, v2, v3, s12
	v_cndmask_b32_sdwa v9, v7, v2, vcc dst_sel:DWORD dst_unused:UNUSED_PAD src0_sel:DWORD src1_sel:WORD_1
                                        ; implicit-def: $vgpr2
.LBB36_27:
	s_andn2_saveexec_b64 s[10:11], s[10:11]
; %bb.28:
	v_add_f32_e32 v2, 0x40101cb7, v2
	v_bfe_u32 v3, v2, 16, 1
	s_movk_i32 s12, 0x7fff
	v_add3_u32 v3, v2, v3, s12
	v_cmp_o_f32_e32 vcc, v2, v2
	v_mov_b32_e32 v2, 0x7fc0
	v_cndmask_b32_sdwa v9, v2, v3, vcc dst_sel:DWORD dst_unused:UNUSED_PAD src0_sel:DWORD src1_sel:WORD_1
; %bb.29:
	s_or_b64 exec, exec, s[10:11]
.LBB36_30:
	s_or_b64 exec, exec, s[2:3]
                                        ; implicit-def: $vgpr10
.LBB36_31:
	s_andn2_saveexec_b64 s[2:3], s[6:7]
; %bb.32:
	v_xor_b32_e32 v2, 0x80000000, v10
	v_and_b32_e32 v2, 0x80000000, v2
	v_or_b32_e32 v2, 0x7f800000, v2
	v_lshrrev_b32_e32 v9, 16, v2
; %bb.33:
	s_or_b64 exec, exec, s[2:3]
.LBB36_34:
	s_or_b64 exec, exec, s[4:5]
	v_or_b32_e32 v10, 0x100, v0
	v_cmp_gt_i32_e32 vcc, s19, v10
                                        ; implicit-def: $vgpr12
	s_and_saveexec_b64 s[4:5], vcc
	s_cbranch_execz .LBB36_60
; %bb.35:
	v_cmp_neq_f32_e32 vcc, 0, v13
                                        ; implicit-def: $vgpr12
	s_and_saveexec_b64 s[2:3], vcc
	s_xor_b64 s[6:7], exec, s[2:3]
	s_cbranch_execz .LBB36_57
; %bb.36:
	v_mov_b32_e32 v2, 0
	v_cmp_gt_f32_e32 vcc, 0, v13
	s_mov_b64 s[12:13], -1
	s_and_saveexec_b64 s[10:11], vcc
	s_cbranch_execz .LBB36_44
; %bb.37:
	v_trunc_f32_e32 v2, v13
	v_cmp_neq_f32_e32 vcc, v2, v13
	s_mov_b64 s[14:15], 0
	v_mov_b32_e32 v2, 0
	s_and_saveexec_b64 s[12:13], vcc
	s_cbranch_execz .LBB36_43
; %bb.38:
	v_cvt_f64_f32_e32 v[2:3], v13
	s_mov_b32 s16, 0
	s_mov_b32 s3, 0xc00921fb
	;; [unrolled: 1-line block ×3, first 2 shown]
	v_trunc_f64_e32 v[4:5], v[2:3]
	s_mov_b32 s17, 0x7ff00000
	v_cmp_neq_f64_e64 vcc, |v[2:3]|, s[16:17]
	v_bfrev_b32_e32 v6, 1
	s_mov_b32 s14, 0
	s_mov_b32 s15, 0x41d00000
                                        ; implicit-def: $vgpr12
	v_add_f64 v[4:5], v[2:3], -v[4:5]
	v_mul_f64 v[4:5], |v[4:5]|, s[2:3]
	v_cndmask_b32_e32 v3, v6, v5, vcc
	v_cndmask_b32_e32 v2, 0, v4, vcc
	v_cmp_nlt_f64_e64 s[14:15], |v[2:3]|, s[14:15]
                                        ; implicit-def: $vgpr4_vgpr5
                                        ; implicit-def: $vgpr6_vgpr7
	s_and_saveexec_b64 s[20:21], s[14:15]
	s_xor_b64 s[14:15], exec, s[20:21]
	s_cbranch_execz .LBB36_40
; %bb.39:
	v_trig_preop_f64 v[4:5], |v[2:3]|, 0
	s_mov_b32 s20, 0
	s_mov_b32 s21, 0x7b000000
	s_movk_i32 s3, 0xff80
	v_ldexp_f64 v[6:7], |v[2:3]|, s3
	v_cmp_ge_f64_e64 vcc, |v[2:3]|, s[20:21]
	v_trig_preop_f64 v[14:15], |v[2:3]|, 1
	v_and_b32_e32 v12, 0x7fffffff, v3
	v_trig_preop_f64 v[20:21], |v[2:3]|, 2
	s_mov_b32 s3, 0x3ff921fb
	v_cndmask_b32_e32 v7, v12, v7, vcc
	v_cndmask_b32_e32 v6, v2, v6, vcc
	v_mov_b32_e32 v12, 0x40100000
	v_mul_f64 v[16:17], v[4:5], v[6:7]
	v_mul_f64 v[18:19], v[14:15], v[6:7]
	;; [unrolled: 1-line block ×3, first 2 shown]
	v_fma_f64 v[4:5], v[4:5], v[6:7], -v[16:17]
	v_fma_f64 v[14:15], v[14:15], v[6:7], -v[18:19]
	;; [unrolled: 1-line block ×3, first 2 shown]
	v_add_f64 v[22:23], v[18:19], v[4:5]
	v_add_f64 v[24:25], v[22:23], -v[18:19]
	v_add_f64 v[20:21], v[16:17], v[22:23]
	v_add_f64 v[4:5], v[4:5], -v[24:25]
	v_add_f64 v[24:25], v[22:23], -v[24:25]
	;; [unrolled: 1-line block ×3, first 2 shown]
	v_ldexp_f64 v[20:21], v[20:21], -2
	v_add_f64 v[18:19], v[18:19], -v[24:25]
	v_add_f64 v[24:25], v[26:27], v[14:15]
	v_add_f64 v[16:17], v[22:23], -v[16:17]
	v_fract_f64_e32 v[22:23], v[20:21]
	v_cmp_neq_f64_e64 vcc, |v[20:21]|, s[16:17]
	s_mov_b32 s16, 0x33145c07
	s_mov_b32 s17, 0x3c91a626
	v_add_f64 v[4:5], v[4:5], v[18:19]
	v_add_f64 v[18:19], v[24:25], -v[26:27]
	v_ldexp_f64 v[20:21], v[22:23], 2
	v_add_f64 v[14:15], v[14:15], -v[18:19]
	v_add_f64 v[18:19], v[24:25], -v[18:19]
	;; [unrolled: 1-line block ×3, first 2 shown]
	v_add_f64 v[26:27], v[24:25], v[4:5]
	v_add_f64 v[14:15], v[14:15], v[18:19]
	;; [unrolled: 1-line block ×3, first 2 shown]
	v_cndmask_b32_e32 v19, 0, v21, vcc
	v_cndmask_b32_e32 v18, 0, v20, vcc
	v_add_f64 v[20:21], v[22:23], v[18:19]
	v_add_f64 v[16:17], v[22:23], -v[16:17]
	v_cmp_gt_f64_e32 vcc, 0, v[20:21]
	v_add_f64 v[20:21], v[26:27], -v[24:25]
	v_add_f64 v[16:17], v[26:27], -v[16:17]
	;; [unrolled: 1-line block ×5, first 2 shown]
	v_mov_b32_e32 v24, 0
	v_cndmask_b32_e32 v25, 0, v12, vcc
	v_add_f64 v[18:19], v[18:19], v[24:25]
	v_add_f64 v[4:5], v[4:5], v[20:21]
	;; [unrolled: 1-line block ×4, first 2 shown]
	v_cvt_i32_f64_e32 v12, v[28:29]
	v_cvt_f64_i32_e32 v[20:21], v12
	v_add_f64 v[4:5], v[6:7], v[4:5]
	v_add_f64 v[18:19], v[18:19], -v[20:21]
	v_add_f64 v[4:5], v[16:17], v[4:5]
	v_mov_b32_e32 v16, 0x3ff00000
	v_add_f64 v[14:15], v[22:23], v[18:19]
	v_add_f64 v[6:7], v[14:15], -v[18:19]
	v_cmp_le_f64_e32 vcc, 0.5, v[14:15]
	v_add_f64 v[6:7], v[22:23], -v[6:7]
	v_cndmask_b32_e32 v25, 0, v16, vcc
	v_addc_co_u32_e32 v12, vcc, 0, v12, vcc
	v_add_f64 v[4:5], v[4:5], v[6:7]
	v_add_f64 v[6:7], v[14:15], -v[24:25]
	v_add_f64 v[14:15], v[6:7], v[4:5]
	v_mul_f64 v[16:17], v[14:15], s[2:3]
	v_add_f64 v[6:7], v[14:15], -v[6:7]
	v_fma_f64 v[18:19], v[14:15], s[2:3], -v[16:17]
	v_add_f64 v[4:5], v[4:5], -v[6:7]
	v_fma_f64 v[6:7], v[14:15], s[16:17], v[18:19]
	v_fma_f64 v[6:7], v[4:5], s[2:3], v[6:7]
	v_add_f64 v[4:5], v[16:17], v[6:7]
	v_add_f64 v[14:15], v[4:5], -v[16:17]
	v_add_f64 v[6:7], v[6:7], -v[14:15]
.LBB36_40:
	s_andn2_saveexec_b64 s[2:3], s[14:15]
	s_cbranch_execz .LBB36_42
; %bb.41:
	s_mov_b32 s14, 0x6dc9c883
	s_mov_b32 s15, 0x3fe45f30
	v_mul_f64 v[4:5], |v[2:3]|, s[14:15]
	s_mov_b32 s14, 0x54442d18
	s_mov_b32 s15, 0xbff921fb
	;; [unrolled: 1-line block ×4, first 2 shown]
	v_rndne_f64_e32 v[14:15], v[4:5]
	v_fma_f64 v[4:5], v[14:15], s[14:15], |v[2:3]|
	v_mul_f64 v[6:7], v[14:15], s[16:17]
	s_mov_b32 s14, 0x252049c0
	s_mov_b32 s15, 0xb97b839a
	v_cvt_i32_f64_e32 v12, v[14:15]
	v_fma_f64 v[20:21], v[14:15], s[16:17], v[4:5]
	v_add_f64 v[16:17], v[4:5], v[6:7]
	s_mov_b32 s17, 0x3c91a626
	v_add_f64 v[18:19], v[4:5], -v[16:17]
	v_add_f64 v[16:17], v[16:17], -v[20:21]
	v_add_f64 v[4:5], v[18:19], v[6:7]
	v_fma_f64 v[6:7], v[14:15], s[16:17], v[6:7]
	v_add_f64 v[4:5], v[16:17], v[4:5]
	v_add_f64 v[4:5], v[4:5], -v[6:7]
	v_fma_f64 v[6:7], v[14:15], s[14:15], v[4:5]
	v_add_f64 v[4:5], v[20:21], v[6:7]
	v_add_f64 v[16:17], v[4:5], -v[20:21]
	v_add_f64 v[6:7], v[6:7], -v[16:17]
.LBB36_42:
	s_or_b64 exec, exec, s[2:3]
	v_mul_f64 v[14:15], v[4:5], v[4:5]
	v_add_f64 v[16:17], v[6:7], v[6:7]
	s_mov_b32 s2, 0xc751c08c
	s_mov_b32 s3, 0x3ef5e089
	v_and_b32_e32 v12, 1, v12
	v_cmp_eq_u32_e32 vcc, 0, v12
	s_mov_b32 s16, 0x54442d18
	s_mov_b32 s17, 0xc00921fb
	v_fma_f64 v[18:19], v[4:5], v[4:5], -v[14:15]
	s_mov_b64 s[14:15], exec
	v_sub_f32_e32 v13, 1.0, v13
	v_fma_f64 v[16:17], v[4:5], v[16:17], v[18:19]
	v_add_f64 v[14:15], v[14:15], v[16:17]
	v_mov_b32_e32 v16, 0xa9a29f71
	v_mov_b32_e32 v17, 0xbf078809
	v_fma_f64 v[16:17], v[14:15], s[2:3], v[16:17]
	s_mov_b32 s2, 0x90a8aae0
	s_mov_b32 s3, 0x3f17746f
	v_fma_f64 v[16:17], v[14:15], v[16:17], s[2:3]
	s_mov_b32 s2, 0xa6fbf144
	s_mov_b32 s3, 0xbefbb44d
	;; [unrolled: 3-line block ×12, first 2 shown]
	v_fma_f64 v[16:17], v[14:15], v[16:17], s[2:3]
	s_movk_i32 s2, 0x1f8
	v_cmp_class_f64_e64 s[2:3], v[2:3], s2
	v_mul_f64 v[14:15], v[14:15], v[16:17]
	v_mul_f64 v[16:17], v[4:5], v[14:15]
	v_add_f64 v[18:19], v[4:5], v[16:17]
	v_fma_f64 v[14:15], v[4:5], v[14:15], -v[16:17]
	v_add_f64 v[4:5], v[18:19], -v[4:5]
	v_add_f64 v[6:7], v[6:7], v[14:15]
	v_add_f64 v[4:5], v[16:17], -v[4:5]
	v_add_f64 v[4:5], v[6:7], v[4:5]
	v_add_f64 v[6:7], v[18:19], v[4:5]
	v_rcp_f64_e32 v[14:15], v[6:7]
	v_fma_f64 v[16:17], -v[6:7], v[14:15], 1.0
	v_fma_f64 v[14:15], v[16:17], v[14:15], v[14:15]
	v_fma_f64 v[16:17], -v[6:7], v[14:15], 1.0
	v_fma_f64 v[14:15], v[16:17], v[14:15], v[14:15]
	v_add_f64 v[16:17], v[6:7], -v[18:19]
	v_mul_f64 v[18:19], v[6:7], v[14:15]
	v_add_f64 v[4:5], v[4:5], -v[16:17]
	v_fma_f64 v[16:17], v[14:15], v[6:7], -v[18:19]
	v_fma_f64 v[4:5], v[14:15], v[4:5], v[16:17]
	v_add_f64 v[16:17], v[18:19], v[4:5]
	v_add_f64 v[20:21], -v[16:17], 1.0
	v_add_f64 v[18:19], v[16:17], -v[18:19]
	v_add_f64 v[22:23], -v[20:21], 1.0
	v_add_f64 v[4:5], v[18:19], -v[4:5]
	v_add_f64 v[16:17], v[22:23], -v[16:17]
	v_add_f64 v[4:5], v[4:5], v[16:17]
	v_add_f64 v[4:5], v[20:21], v[4:5]
	v_mul_f64 v[4:5], v[14:15], v[4:5]
	v_add_f64 v[4:5], v[14:15], v[4:5]
	v_and_b32_e32 v14, 0x80000000, v3
	v_mov_b32_e32 v3, 0x7ff80000
	v_xor_b32_e32 v2, 0x80000000, v5
	v_cndmask_b32_e32 v4, v4, v6, vcc
	v_cndmask_b32_e32 v5, v2, v7, vcc
	v_cndmask_b32_e64 v2, 0, v4, s[2:3]
	v_xor_b32_e32 v4, v5, v14
	v_cndmask_b32_e64 v3, v3, v4, s[2:3]
	v_div_scale_f64 v[4:5], s[2:3], v[2:3], v[2:3], s[16:17]
	v_div_scale_f64 v[16:17], vcc, s[16:17], v[2:3], s[16:17]
	v_rcp_f64_e32 v[6:7], v[4:5]
	v_fma_f64 v[14:15], -v[4:5], v[6:7], 1.0
	v_fma_f64 v[6:7], v[6:7], v[14:15], v[6:7]
	v_fma_f64 v[14:15], -v[4:5], v[6:7], 1.0
	v_fma_f64 v[6:7], v[6:7], v[14:15], v[6:7]
	v_mul_f64 v[14:15], v[16:17], v[6:7]
	v_fma_f64 v[4:5], -v[4:5], v[14:15], v[16:17]
	v_div_fmas_f64 v[4:5], v[4:5], v[6:7], v[14:15]
	v_div_fixup_f64 v[2:3], v[4:5], v[2:3], s[16:17]
	v_cvt_f32_f64_e32 v2, v[2:3]
.LBB36_43:
	s_or_b64 exec, exec, s[12:13]
	s_orn2_b64 s[12:13], s[14:15], exec
.LBB36_44:
	s_or_b64 exec, exec, s[10:11]
	v_mov_b32_e32 v12, 0x7fc0
	s_and_saveexec_b64 s[2:3], s[12:13]
	s_cbranch_execz .LBB36_56
; %bb.45:
	s_mov_b32 s14, 0x41200000
	v_cmp_gt_f32_e32 vcc, s14, v13
	s_and_saveexec_b64 s[10:11], vcc
	s_cbranch_execz .LBB36_49
; %bb.46:
	s_mov_b64 s[12:13], 0
.LBB36_47:                              ; =>This Inner Loop Header: Depth=1
	v_div_scale_f32 v3, s[16:17], v13, v13, 1.0
	v_div_scale_f32 v4, vcc, 1.0, v13, 1.0
	v_rcp_f32_e32 v5, v3
	v_fma_f32 v6, -v3, v5, 1.0
	v_fmac_f32_e32 v5, v6, v5
	v_mul_f32_e32 v6, v4, v5
	v_fma_f32 v7, -v3, v6, v4
	v_fmac_f32_e32 v6, v7, v5
	v_fma_f32 v3, -v3, v6, v4
	v_div_fmas_f32 v3, v3, v5, v6
	v_div_fixup_f32 v3, v3, v13, 1.0
	v_add_f32_e32 v13, 1.0, v13
	v_cmp_ngt_f32_e32 vcc, s14, v13
	s_or_b64 s[12:13], vcc, s[12:13]
	v_sub_f32_e32 v2, v2, v3
	s_andn2_b64 exec, exec, s[12:13]
	s_cbranch_execnz .LBB36_47
; %bb.48:
	s_or_b64 exec, exec, s[12:13]
.LBB36_49:
	s_or_b64 exec, exec, s[10:11]
	s_mov_b32 s10, 0x41200000
	v_cmp_neq_f32_e32 vcc, s10, v13
                                        ; implicit-def: $vgpr12
	s_and_saveexec_b64 s[10:11], vcc
	s_xor_b64 s[10:11], exec, s[10:11]
	s_cbranch_execz .LBB36_53
; %bb.50:
	v_cvt_f64_f32_e32 v[3:4], v13
	s_mov_b32 s12, 0x85d8a000
	s_mov_b32 s13, 0x43763457
	v_cmp_gt_f64_e32 vcc, s[12:13], v[3:4]
	v_mov_b32_e32 v3, 0
	s_and_saveexec_b64 s[12:13], vcc
	s_cbranch_execz .LBB36_52
; %bb.51:
	v_mul_f32_e32 v3, v13, v13
	v_div_scale_f32 v4, s[14:15], v3, v3, 1.0
	v_div_scale_f32 v5, vcc, 1.0, v3, 1.0
	v_mov_b32_e32 v14, 0x3b820821
	v_rcp_f32_e32 v6, v4
	v_fma_f32 v7, -v4, v6, 1.0
	v_fmac_f32_e32 v6, v7, v6
	v_mul_f32_e32 v7, v5, v6
	v_fma_f32 v12, -v4, v7, v5
	v_fmac_f32_e32 v7, v12, v6
	v_fma_f32 v4, -v4, v7, v5
	v_div_fmas_f32 v4, v4, v6, v7
	v_mov_b32_e32 v5, 0x3daaaaab
	v_mov_b32_e32 v6, 0xbcaccacd
	v_mov_b32_e32 v7, 0x3bf83e10
	v_mov_b32_e32 v12, 0xbb888889
	v_div_fixup_f32 v3, v4, v3, 1.0
	v_fma_f32 v4, 0, v3, v5
	v_fmac_f32_e32 v6, v3, v4
	v_fmac_f32_e32 v7, v3, v6
	;; [unrolled: 1-line block ×4, first 2 shown]
	v_mov_b32_e32 v4, 0xbc088889
	v_fmac_f32_e32 v4, v3, v14
	v_fmac_f32_e32 v5, v3, v4
	v_mul_f32_e32 v3, v3, v5
.LBB36_52:
	s_or_b64 exec, exec, s[12:13]
	v_div_scale_f32 v4, s[12:13], v13, v13, -0.5
	v_div_scale_f32 v5, vcc, -0.5, v13, -0.5
	s_mov_b32 s12, 0x800000
	s_mov_b32 s13, 0x3f317217
	;; [unrolled: 1-line block ×3, first 2 shown]
	v_rcp_f32_e32 v6, v4
	v_fma_f32 v7, -v4, v6, 1.0
	v_fmac_f32_e32 v6, v7, v6
	v_mul_f32_e32 v7, v5, v6
	v_fma_f32 v12, -v4, v7, v5
	v_fmac_f32_e32 v7, v12, v6
	v_fma_f32 v4, -v4, v7, v5
	v_div_fmas_f32 v4, v4, v6, v7
	v_cmp_gt_f32_e32 vcc, s12, v13
	v_cndmask_b32_e64 v6, 0, 32, vcc
	v_ldexp_f32 v6, v13, v6
	v_log_f32_e32 v6, v6
	v_mov_b32_e32 v5, 0x41b17218
	v_cndmask_b32_e32 v5, 0, v5, vcc
	s_movk_i32 s12, 0x7fff
	v_mul_f32_e32 v12, 0x3f317217, v6
	v_fma_f32 v12, v6, s13, -v12
	v_fmac_f32_e32 v12, 0x3377d1cf, v6
	v_fmac_f32_e32 v12, 0x3f317217, v6
	v_cmp_lt_f32_e64 vcc, |v6|, s14
	v_cndmask_b32_e32 v6, v6, v12, vcc
	v_sub_f32_e32 v5, v6, v5
	v_mov_b32_e32 v7, 0x7fc0
	v_div_fixup_f32 v4, v4, v13, -0.5
	v_add_f32_e32 v4, v5, v4
	v_sub_f32_e32 v3, v4, v3
	v_add_f32_e32 v2, v2, v3
	v_bfe_u32 v3, v2, 16, 1
	v_cmp_o_f32_e32 vcc, v2, v2
	v_add3_u32 v2, v2, v3, s12
	v_cndmask_b32_sdwa v12, v7, v2, vcc dst_sel:DWORD dst_unused:UNUSED_PAD src0_sel:DWORD src1_sel:WORD_1
                                        ; implicit-def: $vgpr2
.LBB36_53:
	s_andn2_saveexec_b64 s[10:11], s[10:11]
; %bb.54:
	v_add_f32_e32 v2, 0x40101cb7, v2
	v_bfe_u32 v3, v2, 16, 1
	s_movk_i32 s12, 0x7fff
	v_add3_u32 v3, v2, v3, s12
	v_cmp_o_f32_e32 vcc, v2, v2
	v_mov_b32_e32 v2, 0x7fc0
	v_cndmask_b32_sdwa v12, v2, v3, vcc dst_sel:DWORD dst_unused:UNUSED_PAD src0_sel:DWORD src1_sel:WORD_1
; %bb.55:
	s_or_b64 exec, exec, s[10:11]
.LBB36_56:
	s_or_b64 exec, exec, s[2:3]
                                        ; implicit-def: $vgpr13
.LBB36_57:
	s_andn2_saveexec_b64 s[2:3], s[6:7]
; %bb.58:
	v_xor_b32_e32 v2, 0x80000000, v13
	v_and_b32_e32 v2, 0x80000000, v2
	v_or_b32_e32 v2, 0x7f800000, v2
	v_lshrrev_b32_e32 v12, 16, v2
; %bb.59:
	s_or_b64 exec, exec, s[2:3]
.LBB36_60:
	s_or_b64 exec, exec, s[4:5]
	v_or_b32_e32 v2, 0x200, v0
	v_cmp_gt_i32_e32 vcc, s19, v2
                                        ; implicit-def: $vgpr13
	s_and_saveexec_b64 s[4:5], vcc
	s_cbranch_execz .LBB36_86
; %bb.61:
	v_cmp_neq_f32_e32 vcc, 0, v11
                                        ; implicit-def: $vgpr13
	s_and_saveexec_b64 s[2:3], vcc
	s_xor_b64 s[6:7], exec, s[2:3]
	s_cbranch_execz .LBB36_83
; %bb.62:
	v_mov_b32_e32 v2, 0
	v_cmp_gt_f32_e32 vcc, 0, v11
	s_mov_b64 s[12:13], -1
	s_and_saveexec_b64 s[10:11], vcc
	s_cbranch_execz .LBB36_70
; %bb.63:
	v_trunc_f32_e32 v2, v11
	v_cmp_neq_f32_e32 vcc, v2, v11
	s_mov_b64 s[14:15], 0
	v_mov_b32_e32 v2, 0
	s_and_saveexec_b64 s[12:13], vcc
	s_cbranch_execz .LBB36_69
; %bb.64:
	v_cvt_f64_f32_e32 v[2:3], v11
	s_mov_b32 s16, 0
	s_mov_b32 s3, 0xc00921fb
	;; [unrolled: 1-line block ×3, first 2 shown]
	v_trunc_f64_e32 v[4:5], v[2:3]
	s_mov_b32 s17, 0x7ff00000
	v_cmp_neq_f64_e64 vcc, |v[2:3]|, s[16:17]
	v_bfrev_b32_e32 v6, 1
	s_mov_b32 s14, 0
	s_mov_b32 s15, 0x41d00000
                                        ; implicit-def: $vgpr13
	v_add_f64 v[4:5], v[2:3], -v[4:5]
	v_mul_f64 v[4:5], |v[4:5]|, s[2:3]
	v_cndmask_b32_e32 v3, v6, v5, vcc
	v_cndmask_b32_e32 v2, 0, v4, vcc
	v_cmp_nlt_f64_e64 s[14:15], |v[2:3]|, s[14:15]
                                        ; implicit-def: $vgpr4_vgpr5
                                        ; implicit-def: $vgpr6_vgpr7
	s_and_saveexec_b64 s[20:21], s[14:15]
	s_xor_b64 s[14:15], exec, s[20:21]
	s_cbranch_execz .LBB36_66
; %bb.65:
	v_trig_preop_f64 v[4:5], |v[2:3]|, 0
	s_mov_b32 s20, 0
	s_mov_b32 s21, 0x7b000000
	s_movk_i32 s3, 0xff80
	v_cmp_ge_f64_e64 vcc, |v[2:3]|, s[20:21]
	v_ldexp_f64 v[6:7], |v[2:3]|, s3
	v_trig_preop_f64 v[13:14], |v[2:3]|, 1
	v_and_b32_e32 v15, 0x7fffffff, v3
	v_trig_preop_f64 v[19:20], |v[2:3]|, 2
	v_mov_b32_e32 v27, 0x40100000
	s_mov_b32 s3, 0x3ff921fb
	v_cndmask_b32_e32 v7, v15, v7, vcc
	v_cndmask_b32_e32 v6, v2, v6, vcc
	v_mul_f64 v[15:16], v[4:5], v[6:7]
	v_mul_f64 v[17:18], v[13:14], v[6:7]
	;; [unrolled: 1-line block ×3, first 2 shown]
	v_fma_f64 v[4:5], v[4:5], v[6:7], -v[15:16]
	v_fma_f64 v[13:14], v[13:14], v[6:7], -v[17:18]
	;; [unrolled: 1-line block ×3, first 2 shown]
	v_add_f64 v[21:22], v[17:18], v[4:5]
	v_add_f64 v[23:24], v[21:22], -v[17:18]
	v_add_f64 v[19:20], v[15:16], v[21:22]
	v_add_f64 v[4:5], v[4:5], -v[23:24]
	v_add_f64 v[23:24], v[21:22], -v[23:24]
	;; [unrolled: 1-line block ×3, first 2 shown]
	v_ldexp_f64 v[19:20], v[19:20], -2
	v_add_f64 v[17:18], v[17:18], -v[23:24]
	v_add_f64 v[23:24], v[25:26], v[13:14]
	v_add_f64 v[15:16], v[21:22], -v[15:16]
	v_fract_f64_e32 v[21:22], v[19:20]
	v_cmp_neq_f64_e64 vcc, |v[19:20]|, s[16:17]
	s_mov_b32 s16, 0x33145c07
	s_mov_b32 s17, 0x3c91a626
	v_add_f64 v[4:5], v[4:5], v[17:18]
	v_add_f64 v[17:18], v[23:24], -v[25:26]
	v_ldexp_f64 v[19:20], v[21:22], 2
	v_add_f64 v[13:14], v[13:14], -v[17:18]
	v_add_f64 v[17:18], v[23:24], -v[17:18]
	;; [unrolled: 1-line block ×3, first 2 shown]
	v_add_f64 v[25:26], v[23:24], v[4:5]
	v_add_f64 v[13:14], v[13:14], v[17:18]
	;; [unrolled: 1-line block ×3, first 2 shown]
	v_cndmask_b32_e32 v18, 0, v20, vcc
	v_cndmask_b32_e32 v17, 0, v19, vcc
	v_add_f64 v[19:20], v[21:22], v[17:18]
	v_add_f64 v[15:16], v[21:22], -v[15:16]
	v_cmp_gt_f64_e32 vcc, 0, v[19:20]
	v_add_f64 v[19:20], v[25:26], -v[23:24]
	v_add_f64 v[15:16], v[25:26], -v[15:16]
	;; [unrolled: 1-line block ×5, first 2 shown]
	v_mov_b32_e32 v23, 0
	v_cndmask_b32_e32 v24, 0, v27, vcc
	v_add_f64 v[17:18], v[17:18], v[23:24]
	v_add_f64 v[4:5], v[4:5], v[19:20]
	;; [unrolled: 1-line block ×4, first 2 shown]
	v_cvt_i32_f64_e32 v27, v[27:28]
	v_cvt_f64_i32_e32 v[19:20], v27
	v_add_f64 v[4:5], v[6:7], v[4:5]
	v_add_f64 v[17:18], v[17:18], -v[19:20]
	v_add_f64 v[4:5], v[15:16], v[4:5]
	v_mov_b32_e32 v15, 0x3ff00000
	v_add_f64 v[13:14], v[21:22], v[17:18]
	v_add_f64 v[6:7], v[13:14], -v[17:18]
	v_cmp_le_f64_e32 vcc, 0.5, v[13:14]
	v_add_f64 v[6:7], v[21:22], -v[6:7]
	v_cndmask_b32_e32 v24, 0, v15, vcc
	v_add_f64 v[4:5], v[4:5], v[6:7]
	v_add_f64 v[6:7], v[13:14], -v[23:24]
	v_add_f64 v[13:14], v[6:7], v[4:5]
	v_mul_f64 v[15:16], v[13:14], s[2:3]
	v_add_f64 v[6:7], v[13:14], -v[6:7]
	v_fma_f64 v[17:18], v[13:14], s[2:3], -v[15:16]
	v_add_f64 v[4:5], v[4:5], -v[6:7]
	v_fma_f64 v[6:7], v[13:14], s[16:17], v[17:18]
	v_fma_f64 v[6:7], v[4:5], s[2:3], v[6:7]
	v_add_f64 v[4:5], v[15:16], v[6:7]
	v_add_f64 v[13:14], v[4:5], -v[15:16]
	v_add_f64 v[6:7], v[6:7], -v[13:14]
	v_addc_co_u32_e32 v13, vcc, 0, v27, vcc
.LBB36_66:
	s_andn2_saveexec_b64 s[2:3], s[14:15]
	s_cbranch_execz .LBB36_68
; %bb.67:
	s_mov_b32 s14, 0x6dc9c883
	s_mov_b32 s15, 0x3fe45f30
	v_mul_f64 v[4:5], |v[2:3]|, s[14:15]
	s_mov_b32 s14, 0x54442d18
	s_mov_b32 s15, 0xbff921fb
	;; [unrolled: 1-line block ×4, first 2 shown]
	v_rndne_f64_e32 v[13:14], v[4:5]
	v_fma_f64 v[4:5], v[13:14], s[14:15], |v[2:3]|
	v_mul_f64 v[6:7], v[13:14], s[16:17]
	s_mov_b32 s14, 0x252049c0
	s_mov_b32 s15, 0xb97b839a
	v_fma_f64 v[19:20], v[13:14], s[16:17], v[4:5]
	v_add_f64 v[15:16], v[4:5], v[6:7]
	s_mov_b32 s17, 0x3c91a626
	v_add_f64 v[17:18], v[4:5], -v[15:16]
	v_add_f64 v[15:16], v[15:16], -v[19:20]
	v_add_f64 v[4:5], v[17:18], v[6:7]
	v_fma_f64 v[6:7], v[13:14], s[16:17], v[6:7]
	v_add_f64 v[4:5], v[15:16], v[4:5]
	v_add_f64 v[4:5], v[4:5], -v[6:7]
	v_fma_f64 v[6:7], v[13:14], s[14:15], v[4:5]
	v_cvt_i32_f64_e32 v13, v[13:14]
	v_add_f64 v[4:5], v[19:20], v[6:7]
	v_add_f64 v[15:16], v[4:5], -v[19:20]
	v_add_f64 v[6:7], v[6:7], -v[15:16]
.LBB36_68:
	s_or_b64 exec, exec, s[2:3]
	v_mul_f64 v[14:15], v[4:5], v[4:5]
	v_add_f64 v[16:17], v[6:7], v[6:7]
	s_mov_b32 s2, 0xc751c08c
	s_mov_b32 s3, 0x3ef5e089
	v_and_b32_e32 v13, 1, v13
	v_cmp_eq_u32_e32 vcc, 0, v13
	s_mov_b32 s16, 0x54442d18
	s_mov_b32 s17, 0xc00921fb
	v_fma_f64 v[18:19], v[4:5], v[4:5], -v[14:15]
	s_mov_b64 s[14:15], exec
	v_sub_f32_e32 v11, 1.0, v11
	v_fma_f64 v[16:17], v[4:5], v[16:17], v[18:19]
	v_add_f64 v[14:15], v[14:15], v[16:17]
	v_mov_b32_e32 v16, 0xa9a29f71
	v_mov_b32_e32 v17, 0xbf078809
	v_fma_f64 v[16:17], v[14:15], s[2:3], v[16:17]
	s_mov_b32 s2, 0x90a8aae0
	s_mov_b32 s3, 0x3f17746f
	v_fma_f64 v[16:17], v[14:15], v[16:17], s[2:3]
	s_mov_b32 s2, 0xa6fbf144
	s_mov_b32 s3, 0xbefbb44d
	v_fma_f64 v[16:17], v[14:15], v[16:17], s[2:3]
	s_mov_b32 s2, 0xa7943acf
	s_mov_b32 s3, 0x3f21e634
	v_fma_f64 v[16:17], v[14:15], v[16:17], s[2:3]
	s_mov_b32 s2, 0xdeb68feb
	s_mov_b32 s3, 0x3f2d250f
	v_fma_f64 v[16:17], v[14:15], v[16:17], s[2:3]
	s_mov_b32 s2, 0xb58c4d95
	s_mov_b32 s3, 0x3f437fd9
	v_fma_f64 v[16:17], v[14:15], v[16:17], s[2:3]
	s_mov_b32 s2, 0x15120e2c
	s_mov_b32 s3, 0x3f57d5af
	v_fma_f64 v[16:17], v[14:15], v[16:17], s[2:3]
	s_mov_b32 s2, 0xe09491df
	s_mov_b32 s3, 0x3f6d6d93
	v_fma_f64 v[16:17], v[14:15], v[16:17], s[2:3]
	s_mov_b32 s2, 0x2033784d
	s_mov_b32 s3, 0x3f8226e1
	v_fma_f64 v[16:17], v[14:15], v[16:17], s[2:3]
	s_mov_b32 s2, 0x9ac36ae2
	s_mov_b32 s3, 0x3f9664f4
	v_fma_f64 v[16:17], v[14:15], v[16:17], s[2:3]
	s_mov_b32 s2, 0x1b451c21
	s_mov_b32 s3, 0x3faba1ba
	v_fma_f64 v[16:17], v[14:15], v[16:17], s[2:3]
	s_mov_b32 s2, 0x111185b7
	s_mov_b32 s3, 0x3fc11111
	v_fma_f64 v[16:17], v[14:15], v[16:17], s[2:3]
	s_mov_b32 s2, 0x555554ee
	s_mov_b32 s3, 0x3fd55555
	v_fma_f64 v[16:17], v[14:15], v[16:17], s[2:3]
	s_movk_i32 s2, 0x1f8
	v_cmp_class_f64_e64 s[2:3], v[2:3], s2
	v_mul_f64 v[14:15], v[14:15], v[16:17]
	v_mul_f64 v[16:17], v[4:5], v[14:15]
	v_add_f64 v[18:19], v[4:5], v[16:17]
	v_fma_f64 v[14:15], v[4:5], v[14:15], -v[16:17]
	v_add_f64 v[4:5], v[18:19], -v[4:5]
	v_add_f64 v[6:7], v[6:7], v[14:15]
	v_add_f64 v[4:5], v[16:17], -v[4:5]
	v_add_f64 v[4:5], v[6:7], v[4:5]
	v_add_f64 v[6:7], v[18:19], v[4:5]
	v_rcp_f64_e32 v[14:15], v[6:7]
	v_fma_f64 v[16:17], -v[6:7], v[14:15], 1.0
	v_fma_f64 v[14:15], v[16:17], v[14:15], v[14:15]
	v_fma_f64 v[16:17], -v[6:7], v[14:15], 1.0
	v_fma_f64 v[14:15], v[16:17], v[14:15], v[14:15]
	v_add_f64 v[16:17], v[6:7], -v[18:19]
	v_mul_f64 v[18:19], v[6:7], v[14:15]
	v_add_f64 v[4:5], v[4:5], -v[16:17]
	v_fma_f64 v[16:17], v[14:15], v[6:7], -v[18:19]
	v_fma_f64 v[4:5], v[14:15], v[4:5], v[16:17]
	v_add_f64 v[16:17], v[18:19], v[4:5]
	v_add_f64 v[20:21], -v[16:17], 1.0
	v_add_f64 v[18:19], v[16:17], -v[18:19]
	v_add_f64 v[22:23], -v[20:21], 1.0
	v_add_f64 v[4:5], v[18:19], -v[4:5]
	v_add_f64 v[16:17], v[22:23], -v[16:17]
	v_add_f64 v[4:5], v[4:5], v[16:17]
	v_add_f64 v[4:5], v[20:21], v[4:5]
	v_mul_f64 v[4:5], v[14:15], v[4:5]
	v_add_f64 v[4:5], v[14:15], v[4:5]
	v_and_b32_e32 v14, 0x80000000, v3
	v_mov_b32_e32 v3, 0x7ff80000
	v_xor_b32_e32 v2, 0x80000000, v5
	v_cndmask_b32_e32 v4, v4, v6, vcc
	v_cndmask_b32_e32 v5, v2, v7, vcc
	v_cndmask_b32_e64 v2, 0, v4, s[2:3]
	v_xor_b32_e32 v4, v5, v14
	v_cndmask_b32_e64 v3, v3, v4, s[2:3]
	v_div_scale_f64 v[4:5], s[2:3], v[2:3], v[2:3], s[16:17]
	v_div_scale_f64 v[15:16], vcc, s[16:17], v[2:3], s[16:17]
	v_rcp_f64_e32 v[6:7], v[4:5]
	v_fma_f64 v[13:14], -v[4:5], v[6:7], 1.0
	v_fma_f64 v[6:7], v[6:7], v[13:14], v[6:7]
	v_fma_f64 v[13:14], -v[4:5], v[6:7], 1.0
	v_fma_f64 v[6:7], v[6:7], v[13:14], v[6:7]
	v_mul_f64 v[13:14], v[15:16], v[6:7]
	v_fma_f64 v[4:5], -v[4:5], v[13:14], v[15:16]
	v_div_fmas_f64 v[4:5], v[4:5], v[6:7], v[13:14]
	v_div_fixup_f64 v[2:3], v[4:5], v[2:3], s[16:17]
	v_cvt_f32_f64_e32 v2, v[2:3]
.LBB36_69:
	s_or_b64 exec, exec, s[12:13]
	s_orn2_b64 s[12:13], s[14:15], exec
.LBB36_70:
	s_or_b64 exec, exec, s[10:11]
	v_mov_b32_e32 v13, 0x7fc0
	s_and_saveexec_b64 s[2:3], s[12:13]
	s_cbranch_execz .LBB36_82
; %bb.71:
	s_mov_b32 s14, 0x41200000
	v_cmp_gt_f32_e32 vcc, s14, v11
	s_and_saveexec_b64 s[10:11], vcc
	s_cbranch_execz .LBB36_75
; %bb.72:
	s_mov_b64 s[12:13], 0
.LBB36_73:                              ; =>This Inner Loop Header: Depth=1
	v_div_scale_f32 v3, s[16:17], v11, v11, 1.0
	v_div_scale_f32 v4, vcc, 1.0, v11, 1.0
	v_rcp_f32_e32 v5, v3
	v_fma_f32 v6, -v3, v5, 1.0
	v_fmac_f32_e32 v5, v6, v5
	v_mul_f32_e32 v6, v4, v5
	v_fma_f32 v7, -v3, v6, v4
	v_fmac_f32_e32 v6, v7, v5
	v_fma_f32 v3, -v3, v6, v4
	v_div_fmas_f32 v3, v3, v5, v6
	v_div_fixup_f32 v3, v3, v11, 1.0
	v_add_f32_e32 v11, 1.0, v11
	v_cmp_ngt_f32_e32 vcc, s14, v11
	s_or_b64 s[12:13], vcc, s[12:13]
	v_sub_f32_e32 v2, v2, v3
	s_andn2_b64 exec, exec, s[12:13]
	s_cbranch_execnz .LBB36_73
; %bb.74:
	s_or_b64 exec, exec, s[12:13]
.LBB36_75:
	s_or_b64 exec, exec, s[10:11]
	s_mov_b32 s10, 0x41200000
	v_cmp_neq_f32_e32 vcc, s10, v11
                                        ; implicit-def: $vgpr13
	s_and_saveexec_b64 s[10:11], vcc
	s_xor_b64 s[10:11], exec, s[10:11]
	s_cbranch_execz .LBB36_79
; %bb.76:
	v_cvt_f64_f32_e32 v[3:4], v11
	s_mov_b32 s12, 0x85d8a000
	s_mov_b32 s13, 0x43763457
	v_cmp_gt_f64_e32 vcc, s[12:13], v[3:4]
	v_mov_b32_e32 v3, 0
	s_and_saveexec_b64 s[12:13], vcc
	s_cbranch_execz .LBB36_78
; %bb.77:
	v_mul_f32_e32 v3, v11, v11
	v_div_scale_f32 v4, s[14:15], v3, v3, 1.0
	v_div_scale_f32 v5, vcc, 1.0, v3, 1.0
	v_mov_b32_e32 v14, 0x3b820821
	v_rcp_f32_e32 v6, v4
	v_fma_f32 v7, -v4, v6, 1.0
	v_fmac_f32_e32 v6, v7, v6
	v_mul_f32_e32 v7, v5, v6
	v_fma_f32 v13, -v4, v7, v5
	v_fmac_f32_e32 v7, v13, v6
	v_fma_f32 v4, -v4, v7, v5
	v_div_fmas_f32 v4, v4, v6, v7
	v_mov_b32_e32 v5, 0x3daaaaab
	v_mov_b32_e32 v6, 0xbcaccacd
	;; [unrolled: 1-line block ×4, first 2 shown]
	v_div_fixup_f32 v3, v4, v3, 1.0
	v_fma_f32 v4, 0, v3, v5
	v_fmac_f32_e32 v6, v3, v4
	v_fmac_f32_e32 v7, v3, v6
	;; [unrolled: 1-line block ×4, first 2 shown]
	v_mov_b32_e32 v4, 0xbc088889
	v_fmac_f32_e32 v4, v3, v14
	v_fmac_f32_e32 v5, v3, v4
	v_mul_f32_e32 v3, v3, v5
.LBB36_78:
	s_or_b64 exec, exec, s[12:13]
	v_div_scale_f32 v4, s[12:13], v11, v11, -0.5
	v_div_scale_f32 v5, vcc, -0.5, v11, -0.5
	s_mov_b32 s12, 0x800000
	s_mov_b32 s13, 0x3f317217
	;; [unrolled: 1-line block ×3, first 2 shown]
	v_rcp_f32_e32 v6, v4
	v_fma_f32 v7, -v4, v6, 1.0
	v_fmac_f32_e32 v6, v7, v6
	v_mul_f32_e32 v7, v5, v6
	v_fma_f32 v13, -v4, v7, v5
	v_fmac_f32_e32 v7, v13, v6
	v_fma_f32 v4, -v4, v7, v5
	v_div_fmas_f32 v4, v4, v6, v7
	v_cmp_gt_f32_e32 vcc, s12, v11
	v_cndmask_b32_e64 v6, 0, 32, vcc
	v_ldexp_f32 v6, v11, v6
	v_log_f32_e32 v6, v6
	v_mov_b32_e32 v5, 0x41b17218
	v_cndmask_b32_e32 v5, 0, v5, vcc
	s_movk_i32 s12, 0x7fff
	v_mul_f32_e32 v13, 0x3f317217, v6
	v_fma_f32 v13, v6, s13, -v13
	v_fmac_f32_e32 v13, 0x3377d1cf, v6
	v_fmac_f32_e32 v13, 0x3f317217, v6
	v_cmp_lt_f32_e64 vcc, |v6|, s14
	v_cndmask_b32_e32 v6, v6, v13, vcc
	v_sub_f32_e32 v5, v6, v5
	v_mov_b32_e32 v7, 0x7fc0
	v_div_fixup_f32 v4, v4, v11, -0.5
	v_add_f32_e32 v4, v5, v4
	v_sub_f32_e32 v3, v4, v3
	v_add_f32_e32 v2, v2, v3
	v_bfe_u32 v3, v2, 16, 1
	v_cmp_o_f32_e32 vcc, v2, v2
	v_add3_u32 v2, v2, v3, s12
	v_cndmask_b32_sdwa v13, v7, v2, vcc dst_sel:DWORD dst_unused:UNUSED_PAD src0_sel:DWORD src1_sel:WORD_1
                                        ; implicit-def: $vgpr2
.LBB36_79:
	s_andn2_saveexec_b64 s[10:11], s[10:11]
; %bb.80:
	v_add_f32_e32 v2, 0x40101cb7, v2
	v_bfe_u32 v3, v2, 16, 1
	s_movk_i32 s12, 0x7fff
	v_add3_u32 v3, v2, v3, s12
	v_cmp_o_f32_e32 vcc, v2, v2
	v_mov_b32_e32 v2, 0x7fc0
	v_cndmask_b32_sdwa v13, v2, v3, vcc dst_sel:DWORD dst_unused:UNUSED_PAD src0_sel:DWORD src1_sel:WORD_1
; %bb.81:
	s_or_b64 exec, exec, s[10:11]
.LBB36_82:
	s_or_b64 exec, exec, s[2:3]
                                        ; implicit-def: $vgpr11
.LBB36_83:
	s_andn2_saveexec_b64 s[2:3], s[6:7]
; %bb.84:
	v_xor_b32_e32 v2, 0x80000000, v11
	v_and_b32_e32 v2, 0x80000000, v2
	v_or_b32_e32 v2, 0x7f800000, v2
	v_lshrrev_b32_e32 v13, 16, v2
; %bb.85:
	s_or_b64 exec, exec, s[2:3]
.LBB36_86:
	s_or_b64 exec, exec, s[4:5]
	v_or_b32_e32 v2, 0x300, v0
	v_cmp_gt_i32_e32 vcc, s19, v2
                                        ; implicit-def: $vgpr3
	s_and_saveexec_b64 s[4:5], vcc
	s_cbranch_execnz .LBB36_92
; %bb.87:
	s_or_b64 exec, exec, s[4:5]
	s_and_saveexec_b64 s[2:3], s[0:1]
	s_xor_b64 s[0:1], exec, s[2:3]
	s_cbranch_execnz .LBB36_117
.LBB36_88:
	s_or_b64 exec, exec, s[0:1]
	v_cmp_gt_i32_e32 vcc, s19, v0
	s_and_saveexec_b64 s[0:1], vcc
	s_cbranch_execnz .LBB36_118
.LBB36_89:
	s_or_b64 exec, exec, s[0:1]
	v_cmp_gt_i32_e32 vcc, s19, v0
	s_and_saveexec_b64 s[0:1], vcc
	s_cbranch_execnz .LBB36_119
.LBB36_90:
	s_or_b64 exec, exec, s[0:1]
	v_cmp_gt_i32_e32 vcc, s19, v0
	s_and_saveexec_b64 s[0:1], vcc
	s_cbranch_execnz .LBB36_120
.LBB36_91:
	s_endpgm
.LBB36_92:
	v_cmp_neq_f32_e32 vcc, 0, v8
                                        ; implicit-def: $vgpr3
	s_and_saveexec_b64 s[2:3], vcc
	s_xor_b64 s[6:7], exec, s[2:3]
	s_cbranch_execz .LBB36_114
; %bb.93:
	v_mov_b32_e32 v2, 0
	v_cmp_gt_f32_e32 vcc, 0, v8
	s_mov_b64 s[12:13], -1
	s_and_saveexec_b64 s[10:11], vcc
	s_cbranch_execz .LBB36_101
; %bb.94:
	v_trunc_f32_e32 v2, v8
	v_cmp_neq_f32_e32 vcc, v2, v8
	s_mov_b64 s[14:15], 0
	v_mov_b32_e32 v2, 0
	s_and_saveexec_b64 s[12:13], vcc
	s_cbranch_execz .LBB36_100
; %bb.95:
	v_cvt_f64_f32_e32 v[2:3], v8
	s_mov_b32 s16, 0
	s_mov_b32 s3, 0xc00921fb
	s_mov_b32 s2, 0x54442d18
	v_trunc_f64_e32 v[4:5], v[2:3]
	s_mov_b32 s17, 0x7ff00000
	v_cmp_neq_f64_e64 vcc, |v[2:3]|, s[16:17]
	v_bfrev_b32_e32 v6, 1
	s_mov_b32 s14, 0
	s_mov_b32 s15, 0x41d00000
                                        ; implicit-def: $vgpr11
	v_add_f64 v[4:5], v[2:3], -v[4:5]
	v_mul_f64 v[4:5], |v[4:5]|, s[2:3]
	v_cndmask_b32_e32 v3, v6, v5, vcc
	v_cndmask_b32_e32 v2, 0, v4, vcc
	v_cmp_nlt_f64_e64 s[14:15], |v[2:3]|, s[14:15]
                                        ; implicit-def: $vgpr4_vgpr5
                                        ; implicit-def: $vgpr6_vgpr7
	s_and_saveexec_b64 s[20:21], s[14:15]
	s_xor_b64 s[14:15], exec, s[20:21]
	s_cbranch_execz .LBB36_97
; %bb.96:
	v_trig_preop_f64 v[4:5], |v[2:3]|, 0
	s_mov_b32 s20, 0
	s_mov_b32 s21, 0x7b000000
	s_movk_i32 s3, 0xff80
	v_cmp_ge_f64_e64 vcc, |v[2:3]|, s[20:21]
	v_ldexp_f64 v[6:7], |v[2:3]|, s3
	v_trig_preop_f64 v[14:15], |v[2:3]|, 1
	v_and_b32_e32 v11, 0x7fffffff, v3
	v_trig_preop_f64 v[20:21], |v[2:3]|, 2
	s_mov_b32 s3, 0x3ff921fb
	v_cndmask_b32_e32 v7, v11, v7, vcc
	v_cndmask_b32_e32 v6, v2, v6, vcc
	v_mov_b32_e32 v11, 0x40100000
	v_mul_f64 v[16:17], v[4:5], v[6:7]
	v_mul_f64 v[18:19], v[14:15], v[6:7]
	;; [unrolled: 1-line block ×3, first 2 shown]
	v_fma_f64 v[4:5], v[4:5], v[6:7], -v[16:17]
	v_fma_f64 v[14:15], v[14:15], v[6:7], -v[18:19]
	;; [unrolled: 1-line block ×3, first 2 shown]
	v_add_f64 v[22:23], v[18:19], v[4:5]
	v_add_f64 v[24:25], v[22:23], -v[18:19]
	v_add_f64 v[20:21], v[16:17], v[22:23]
	v_add_f64 v[4:5], v[4:5], -v[24:25]
	v_add_f64 v[24:25], v[22:23], -v[24:25]
	;; [unrolled: 1-line block ×3, first 2 shown]
	v_ldexp_f64 v[20:21], v[20:21], -2
	v_add_f64 v[18:19], v[18:19], -v[24:25]
	v_add_f64 v[24:25], v[26:27], v[14:15]
	v_add_f64 v[16:17], v[22:23], -v[16:17]
	v_fract_f64_e32 v[22:23], v[20:21]
	v_cmp_neq_f64_e64 vcc, |v[20:21]|, s[16:17]
	s_mov_b32 s16, 0x33145c07
	s_mov_b32 s17, 0x3c91a626
	v_add_f64 v[4:5], v[4:5], v[18:19]
	v_add_f64 v[18:19], v[24:25], -v[26:27]
	v_ldexp_f64 v[20:21], v[22:23], 2
	v_add_f64 v[14:15], v[14:15], -v[18:19]
	v_add_f64 v[18:19], v[24:25], -v[18:19]
	;; [unrolled: 1-line block ×3, first 2 shown]
	v_add_f64 v[26:27], v[24:25], v[4:5]
	v_add_f64 v[14:15], v[14:15], v[18:19]
	v_add_f64 v[22:23], v[16:17], v[26:27]
	v_cndmask_b32_e32 v19, 0, v21, vcc
	v_cndmask_b32_e32 v18, 0, v20, vcc
	v_add_f64 v[20:21], v[22:23], v[18:19]
	v_add_f64 v[16:17], v[22:23], -v[16:17]
	v_cmp_gt_f64_e32 vcc, 0, v[20:21]
	v_add_f64 v[20:21], v[26:27], -v[24:25]
	v_add_f64 v[16:17], v[26:27], -v[16:17]
	;; [unrolled: 1-line block ×5, first 2 shown]
	v_mov_b32_e32 v24, 0
	v_cndmask_b32_e32 v25, 0, v11, vcc
	v_add_f64 v[18:19], v[18:19], v[24:25]
	v_add_f64 v[4:5], v[4:5], v[20:21]
	;; [unrolled: 1-line block ×4, first 2 shown]
	v_cvt_i32_f64_e32 v11, v[28:29]
	v_cvt_f64_i32_e32 v[20:21], v11
	v_add_f64 v[4:5], v[6:7], v[4:5]
	v_add_f64 v[18:19], v[18:19], -v[20:21]
	v_add_f64 v[4:5], v[16:17], v[4:5]
	v_mov_b32_e32 v16, 0x3ff00000
	v_add_f64 v[14:15], v[22:23], v[18:19]
	v_add_f64 v[6:7], v[14:15], -v[18:19]
	v_cmp_le_f64_e32 vcc, 0.5, v[14:15]
	v_add_f64 v[6:7], v[22:23], -v[6:7]
	v_cndmask_b32_e32 v25, 0, v16, vcc
	v_addc_co_u32_e32 v11, vcc, 0, v11, vcc
	v_add_f64 v[4:5], v[4:5], v[6:7]
	v_add_f64 v[6:7], v[14:15], -v[24:25]
	v_add_f64 v[14:15], v[6:7], v[4:5]
	v_mul_f64 v[16:17], v[14:15], s[2:3]
	v_add_f64 v[6:7], v[14:15], -v[6:7]
	v_fma_f64 v[18:19], v[14:15], s[2:3], -v[16:17]
	v_add_f64 v[4:5], v[4:5], -v[6:7]
	v_fma_f64 v[6:7], v[14:15], s[16:17], v[18:19]
	v_fma_f64 v[6:7], v[4:5], s[2:3], v[6:7]
	v_add_f64 v[4:5], v[16:17], v[6:7]
	v_add_f64 v[14:15], v[4:5], -v[16:17]
	v_add_f64 v[6:7], v[6:7], -v[14:15]
.LBB36_97:
	s_andn2_saveexec_b64 s[2:3], s[14:15]
	s_cbranch_execz .LBB36_99
; %bb.98:
	s_mov_b32 s14, 0x6dc9c883
	s_mov_b32 s15, 0x3fe45f30
	v_mul_f64 v[4:5], |v[2:3]|, s[14:15]
	s_mov_b32 s14, 0x54442d18
	s_mov_b32 s15, 0xbff921fb
	;; [unrolled: 1-line block ×4, first 2 shown]
	v_rndne_f64_e32 v[14:15], v[4:5]
	v_fma_f64 v[4:5], v[14:15], s[14:15], |v[2:3]|
	v_mul_f64 v[6:7], v[14:15], s[16:17]
	s_mov_b32 s14, 0x252049c0
	s_mov_b32 s15, 0xb97b839a
	v_cvt_i32_f64_e32 v11, v[14:15]
	v_fma_f64 v[20:21], v[14:15], s[16:17], v[4:5]
	v_add_f64 v[16:17], v[4:5], v[6:7]
	s_mov_b32 s17, 0x3c91a626
	v_add_f64 v[18:19], v[4:5], -v[16:17]
	v_add_f64 v[16:17], v[16:17], -v[20:21]
	v_add_f64 v[4:5], v[18:19], v[6:7]
	v_fma_f64 v[6:7], v[14:15], s[16:17], v[6:7]
	v_add_f64 v[4:5], v[16:17], v[4:5]
	v_add_f64 v[4:5], v[4:5], -v[6:7]
	v_fma_f64 v[6:7], v[14:15], s[14:15], v[4:5]
	v_add_f64 v[4:5], v[20:21], v[6:7]
	v_add_f64 v[16:17], v[4:5], -v[20:21]
	v_add_f64 v[6:7], v[6:7], -v[16:17]
.LBB36_99:
	s_or_b64 exec, exec, s[2:3]
	v_mul_f64 v[14:15], v[4:5], v[4:5]
	v_add_f64 v[16:17], v[6:7], v[6:7]
	s_mov_b32 s2, 0xc751c08c
	s_mov_b32 s3, 0x3ef5e089
	v_and_b32_e32 v11, 1, v11
	v_cmp_eq_u32_e32 vcc, 0, v11
	s_mov_b32 s16, 0x54442d18
	s_mov_b32 s17, 0xc00921fb
	v_fma_f64 v[18:19], v[4:5], v[4:5], -v[14:15]
	s_mov_b64 s[14:15], exec
	v_sub_f32_e32 v8, 1.0, v8
	v_fma_f64 v[16:17], v[4:5], v[16:17], v[18:19]
	v_add_f64 v[14:15], v[14:15], v[16:17]
	v_mov_b32_e32 v16, 0xa9a29f71
	v_mov_b32_e32 v17, 0xbf078809
	v_fma_f64 v[16:17], v[14:15], s[2:3], v[16:17]
	s_mov_b32 s2, 0x90a8aae0
	s_mov_b32 s3, 0x3f17746f
	v_fma_f64 v[16:17], v[14:15], v[16:17], s[2:3]
	s_mov_b32 s2, 0xa6fbf144
	s_mov_b32 s3, 0xbefbb44d
	;; [unrolled: 3-line block ×12, first 2 shown]
	v_fma_f64 v[16:17], v[14:15], v[16:17], s[2:3]
	s_movk_i32 s2, 0x1f8
	v_cmp_class_f64_e64 s[2:3], v[2:3], s2
	v_mul_f64 v[14:15], v[14:15], v[16:17]
	v_mul_f64 v[16:17], v[4:5], v[14:15]
	v_add_f64 v[18:19], v[4:5], v[16:17]
	v_fma_f64 v[14:15], v[4:5], v[14:15], -v[16:17]
	v_add_f64 v[4:5], v[18:19], -v[4:5]
	v_add_f64 v[6:7], v[6:7], v[14:15]
	v_add_f64 v[4:5], v[16:17], -v[4:5]
	v_add_f64 v[4:5], v[6:7], v[4:5]
	v_add_f64 v[6:7], v[18:19], v[4:5]
	v_rcp_f64_e32 v[14:15], v[6:7]
	v_fma_f64 v[16:17], -v[6:7], v[14:15], 1.0
	v_fma_f64 v[14:15], v[16:17], v[14:15], v[14:15]
	v_fma_f64 v[16:17], -v[6:7], v[14:15], 1.0
	v_fma_f64 v[14:15], v[16:17], v[14:15], v[14:15]
	v_add_f64 v[16:17], v[6:7], -v[18:19]
	v_mul_f64 v[18:19], v[6:7], v[14:15]
	v_add_f64 v[4:5], v[4:5], -v[16:17]
	v_fma_f64 v[16:17], v[14:15], v[6:7], -v[18:19]
	v_fma_f64 v[4:5], v[14:15], v[4:5], v[16:17]
	v_add_f64 v[16:17], v[18:19], v[4:5]
	v_add_f64 v[20:21], -v[16:17], 1.0
	v_add_f64 v[18:19], v[16:17], -v[18:19]
	v_add_f64 v[22:23], -v[20:21], 1.0
	v_add_f64 v[4:5], v[18:19], -v[4:5]
	v_add_f64 v[16:17], v[22:23], -v[16:17]
	v_add_f64 v[4:5], v[4:5], v[16:17]
	v_add_f64 v[4:5], v[20:21], v[4:5]
	v_mul_f64 v[4:5], v[14:15], v[4:5]
	v_add_f64 v[4:5], v[14:15], v[4:5]
	v_and_b32_e32 v14, 0x80000000, v3
	v_mov_b32_e32 v3, 0x7ff80000
	v_xor_b32_e32 v2, 0x80000000, v5
	v_cndmask_b32_e32 v4, v4, v6, vcc
	v_cndmask_b32_e32 v5, v2, v7, vcc
	v_cndmask_b32_e64 v2, 0, v4, s[2:3]
	v_xor_b32_e32 v4, v5, v14
	v_cndmask_b32_e64 v3, v3, v4, s[2:3]
	v_div_scale_f64 v[4:5], s[2:3], v[2:3], v[2:3], s[16:17]
	v_div_scale_f64 v[16:17], vcc, s[16:17], v[2:3], s[16:17]
	v_rcp_f64_e32 v[6:7], v[4:5]
	v_fma_f64 v[14:15], -v[4:5], v[6:7], 1.0
	v_fma_f64 v[6:7], v[6:7], v[14:15], v[6:7]
	v_fma_f64 v[14:15], -v[4:5], v[6:7], 1.0
	v_fma_f64 v[6:7], v[6:7], v[14:15], v[6:7]
	v_mul_f64 v[14:15], v[16:17], v[6:7]
	v_fma_f64 v[4:5], -v[4:5], v[14:15], v[16:17]
	v_div_fmas_f64 v[4:5], v[4:5], v[6:7], v[14:15]
	v_div_fixup_f64 v[2:3], v[4:5], v[2:3], s[16:17]
	v_cvt_f32_f64_e32 v2, v[2:3]
.LBB36_100:
	s_or_b64 exec, exec, s[12:13]
	s_orn2_b64 s[12:13], s[14:15], exec
.LBB36_101:
	s_or_b64 exec, exec, s[10:11]
	v_mov_b32_e32 v3, 0x7fc0
	s_and_saveexec_b64 s[2:3], s[12:13]
	s_cbranch_execz .LBB36_113
; %bb.102:
	s_mov_b32 s14, 0x41200000
	v_cmp_gt_f32_e32 vcc, s14, v8
	s_and_saveexec_b64 s[10:11], vcc
	s_cbranch_execz .LBB36_106
; %bb.103:
	s_mov_b64 s[12:13], 0
.LBB36_104:                             ; =>This Inner Loop Header: Depth=1
	v_div_scale_f32 v3, s[16:17], v8, v8, 1.0
	v_div_scale_f32 v4, vcc, 1.0, v8, 1.0
	v_rcp_f32_e32 v5, v3
	v_fma_f32 v6, -v3, v5, 1.0
	v_fmac_f32_e32 v5, v6, v5
	v_mul_f32_e32 v6, v4, v5
	v_fma_f32 v7, -v3, v6, v4
	v_fmac_f32_e32 v6, v7, v5
	v_fma_f32 v3, -v3, v6, v4
	v_div_fmas_f32 v3, v3, v5, v6
	v_div_fixup_f32 v3, v3, v8, 1.0
	v_add_f32_e32 v8, 1.0, v8
	v_cmp_ngt_f32_e32 vcc, s14, v8
	s_or_b64 s[12:13], vcc, s[12:13]
	v_sub_f32_e32 v2, v2, v3
	s_andn2_b64 exec, exec, s[12:13]
	s_cbranch_execnz .LBB36_104
; %bb.105:
	s_or_b64 exec, exec, s[12:13]
.LBB36_106:
	s_or_b64 exec, exec, s[10:11]
	s_mov_b32 s10, 0x41200000
	v_cmp_neq_f32_e32 vcc, s10, v8
                                        ; implicit-def: $vgpr3
	s_and_saveexec_b64 s[10:11], vcc
	s_xor_b64 s[10:11], exec, s[10:11]
	s_cbranch_execz .LBB36_110
; %bb.107:
	v_cvt_f64_f32_e32 v[3:4], v8
	s_mov_b32 s12, 0x85d8a000
	s_mov_b32 s13, 0x43763457
	v_cmp_gt_f64_e32 vcc, s[12:13], v[3:4]
	v_mov_b32_e32 v3, 0
	s_and_saveexec_b64 s[12:13], vcc
	s_cbranch_execz .LBB36_109
; %bb.108:
	v_mul_f32_e32 v3, v8, v8
	v_div_scale_f32 v4, s[14:15], v3, v3, 1.0
	v_div_scale_f32 v5, vcc, 1.0, v3, 1.0
	v_mov_b32_e32 v14, 0x3b820821
	v_rcp_f32_e32 v6, v4
	v_fma_f32 v7, -v4, v6, 1.0
	v_fmac_f32_e32 v6, v7, v6
	v_mul_f32_e32 v7, v5, v6
	v_fma_f32 v11, -v4, v7, v5
	v_fmac_f32_e32 v7, v11, v6
	v_fma_f32 v4, -v4, v7, v5
	v_div_fmas_f32 v4, v4, v6, v7
	v_mov_b32_e32 v5, 0x3daaaaab
	v_mov_b32_e32 v6, 0xbcaccacd
	;; [unrolled: 1-line block ×4, first 2 shown]
	v_div_fixup_f32 v3, v4, v3, 1.0
	v_fma_f32 v4, 0, v3, v5
	v_fmac_f32_e32 v6, v3, v4
	v_fmac_f32_e32 v7, v3, v6
	;; [unrolled: 1-line block ×4, first 2 shown]
	v_mov_b32_e32 v4, 0xbc088889
	v_fmac_f32_e32 v4, v3, v14
	v_fmac_f32_e32 v5, v3, v4
	v_mul_f32_e32 v3, v3, v5
.LBB36_109:
	s_or_b64 exec, exec, s[12:13]
	v_div_scale_f32 v4, s[12:13], v8, v8, -0.5
	v_div_scale_f32 v5, vcc, -0.5, v8, -0.5
	s_mov_b32 s12, 0x800000
	s_mov_b32 s13, 0x3f317217
	;; [unrolled: 1-line block ×3, first 2 shown]
	v_rcp_f32_e32 v6, v4
	v_fma_f32 v7, -v4, v6, 1.0
	v_fmac_f32_e32 v6, v7, v6
	v_mul_f32_e32 v7, v5, v6
	v_fma_f32 v11, -v4, v7, v5
	v_fmac_f32_e32 v7, v11, v6
	v_fma_f32 v4, -v4, v7, v5
	v_div_fmas_f32 v4, v4, v6, v7
	v_cmp_gt_f32_e32 vcc, s12, v8
	v_cndmask_b32_e64 v6, 0, 32, vcc
	v_ldexp_f32 v6, v8, v6
	v_log_f32_e32 v6, v6
	v_mov_b32_e32 v5, 0x41b17218
	v_cndmask_b32_e32 v5, 0, v5, vcc
	s_movk_i32 s12, 0x7fff
	v_mul_f32_e32 v11, 0x3f317217, v6
	v_fma_f32 v11, v6, s13, -v11
	v_fmac_f32_e32 v11, 0x3377d1cf, v6
	v_fmac_f32_e32 v11, 0x3f317217, v6
	v_cmp_lt_f32_e64 vcc, |v6|, s14
	v_cndmask_b32_e32 v6, v6, v11, vcc
	v_sub_f32_e32 v5, v6, v5
	v_mov_b32_e32 v7, 0x7fc0
	v_div_fixup_f32 v4, v4, v8, -0.5
	v_add_f32_e32 v4, v5, v4
	v_sub_f32_e32 v3, v4, v3
	v_add_f32_e32 v2, v2, v3
	v_bfe_u32 v3, v2, 16, 1
	v_cmp_o_f32_e32 vcc, v2, v2
	v_add3_u32 v2, v2, v3, s12
	v_cndmask_b32_sdwa v3, v7, v2, vcc dst_sel:DWORD dst_unused:UNUSED_PAD src0_sel:DWORD src1_sel:WORD_1
                                        ; implicit-def: $vgpr2
.LBB36_110:
	s_andn2_saveexec_b64 s[10:11], s[10:11]
; %bb.111:
	v_add_f32_e32 v2, 0x40101cb7, v2
	v_bfe_u32 v3, v2, 16, 1
	s_movk_i32 s12, 0x7fff
	v_add3_u32 v3, v2, v3, s12
	v_cmp_o_f32_e32 vcc, v2, v2
	v_mov_b32_e32 v2, 0x7fc0
	v_cndmask_b32_sdwa v3, v2, v3, vcc dst_sel:DWORD dst_unused:UNUSED_PAD src0_sel:DWORD src1_sel:WORD_1
; %bb.112:
	s_or_b64 exec, exec, s[10:11]
.LBB36_113:
	s_or_b64 exec, exec, s[2:3]
                                        ; implicit-def: $vgpr8
.LBB36_114:
	s_andn2_saveexec_b64 s[2:3], s[6:7]
; %bb.115:
	v_xor_b32_e32 v2, 0x80000000, v8
	v_and_b32_e32 v2, 0x80000000, v2
	v_or_b32_e32 v2, 0x7f800000, v2
	v_lshrrev_b32_e32 v3, 16, v2
; %bb.116:
	s_or_b64 exec, exec, s[2:3]
	s_or_b64 exec, exec, s[4:5]
	s_and_saveexec_b64 s[2:3], s[0:1]
	s_xor_b64 s[0:1], exec, s[2:3]
	s_cbranch_execz .LBB36_88
.LBB36_117:
	v_mov_b32_e32 v2, 0
	v_lshlrev_b64 v[0:1], 1, v[1:2]
	v_mov_b32_e32 v2, s9
	v_add_co_u32_e32 v0, vcc, s8, v0
	v_addc_co_u32_e32 v1, vcc, v2, v1, vcc
	global_store_short v[0:1], v9, off
	v_mov_b32_e32 v0, v10
	s_or_b64 exec, exec, s[0:1]
	v_cmp_gt_i32_e32 vcc, s19, v0
	s_and_saveexec_b64 s[0:1], vcc
	s_cbranch_execz .LBB36_89
.LBB36_118:
	v_add_u32_e32 v2, 0x100, v0
	v_add_u32_e32 v0, s18, v0
	v_mov_b32_e32 v1, 0
	v_lshlrev_b64 v[0:1], 1, v[0:1]
	v_mov_b32_e32 v4, s9
	v_add_co_u32_e32 v0, vcc, s8, v0
	v_addc_co_u32_e32 v1, vcc, v4, v1, vcc
	global_store_short v[0:1], v12, off
	v_mov_b32_e32 v0, v2
	s_or_b64 exec, exec, s[0:1]
	v_cmp_gt_i32_e32 vcc, s19, v0
	s_and_saveexec_b64 s[0:1], vcc
	s_cbranch_execz .LBB36_90
.LBB36_119:
	v_add_u32_e32 v2, 0x100, v0
	v_add_u32_e32 v0, s18, v0
	v_mov_b32_e32 v1, 0
	v_lshlrev_b64 v[0:1], 1, v[0:1]
	v_mov_b32_e32 v4, s9
	v_add_co_u32_e32 v0, vcc, s8, v0
	v_addc_co_u32_e32 v1, vcc, v4, v1, vcc
	global_store_short v[0:1], v13, off
	v_mov_b32_e32 v0, v2
	s_or_b64 exec, exec, s[0:1]
	v_cmp_gt_i32_e32 vcc, s19, v0
	s_and_saveexec_b64 s[0:1], vcc
	s_cbranch_execz .LBB36_91
.LBB36_120:
	v_add_u32_e32 v0, s18, v0
	v_mov_b32_e32 v1, 0
	v_lshlrev_b64 v[0:1], 1, v[0:1]
	v_mov_b32_e32 v2, s9
	v_add_co_u32_e32 v0, vcc, s8, v0
	v_addc_co_u32_e32 v1, vcc, v2, v1, vcc
	global_store_short v[0:1], v3, off
	s_endpgm
	.section	.rodata,"a",@progbits
	.p2align	6, 0x0
	.amdhsa_kernel _ZN2at6native27unrolled_elementwise_kernelIZZZNS0_19digamma_kernel_cudaERNS_18TensorIteratorBaseEENKUlvE_clEvENKUlvE2_clEvEUlN3c108BFloat16EE_St5arrayIPcLm2EELi4E23TrivialOffsetCalculatorILi1EjESD_NS0_6memory15LoadWithoutCastENSE_16StoreWithoutCastEEEviT_T0_T2_T3_T4_T5_
		.amdhsa_group_segment_fixed_size 0
		.amdhsa_private_segment_fixed_size 0
		.amdhsa_kernarg_size 28
		.amdhsa_user_sgpr_count 6
		.amdhsa_user_sgpr_private_segment_buffer 1
		.amdhsa_user_sgpr_dispatch_ptr 0
		.amdhsa_user_sgpr_queue_ptr 0
		.amdhsa_user_sgpr_kernarg_segment_ptr 1
		.amdhsa_user_sgpr_dispatch_id 0
		.amdhsa_user_sgpr_flat_scratch_init 0
		.amdhsa_user_sgpr_private_segment_size 0
		.amdhsa_uses_dynamic_stack 0
		.amdhsa_system_sgpr_private_segment_wavefront_offset 0
		.amdhsa_system_sgpr_workgroup_id_x 1
		.amdhsa_system_sgpr_workgroup_id_y 0
		.amdhsa_system_sgpr_workgroup_id_z 0
		.amdhsa_system_sgpr_workgroup_info 0
		.amdhsa_system_vgpr_workitem_id 0
		.amdhsa_next_free_vgpr 30
		.amdhsa_next_free_sgpr 22
		.amdhsa_reserve_vcc 1
		.amdhsa_reserve_flat_scratch 0
		.amdhsa_float_round_mode_32 0
		.amdhsa_float_round_mode_16_64 0
		.amdhsa_float_denorm_mode_32 3
		.amdhsa_float_denorm_mode_16_64 3
		.amdhsa_dx10_clamp 1
		.amdhsa_ieee_mode 1
		.amdhsa_fp16_overflow 0
		.amdhsa_exception_fp_ieee_invalid_op 0
		.amdhsa_exception_fp_denorm_src 0
		.amdhsa_exception_fp_ieee_div_zero 0
		.amdhsa_exception_fp_ieee_overflow 0
		.amdhsa_exception_fp_ieee_underflow 0
		.amdhsa_exception_fp_ieee_inexact 0
		.amdhsa_exception_int_div_zero 0
	.end_amdhsa_kernel
	.section	.text._ZN2at6native27unrolled_elementwise_kernelIZZZNS0_19digamma_kernel_cudaERNS_18TensorIteratorBaseEENKUlvE_clEvENKUlvE2_clEvEUlN3c108BFloat16EE_St5arrayIPcLm2EELi4E23TrivialOffsetCalculatorILi1EjESD_NS0_6memory15LoadWithoutCastENSE_16StoreWithoutCastEEEviT_T0_T2_T3_T4_T5_,"axG",@progbits,_ZN2at6native27unrolled_elementwise_kernelIZZZNS0_19digamma_kernel_cudaERNS_18TensorIteratorBaseEENKUlvE_clEvENKUlvE2_clEvEUlN3c108BFloat16EE_St5arrayIPcLm2EELi4E23TrivialOffsetCalculatorILi1EjESD_NS0_6memory15LoadWithoutCastENSE_16StoreWithoutCastEEEviT_T0_T2_T3_T4_T5_,comdat
.Lfunc_end36:
	.size	_ZN2at6native27unrolled_elementwise_kernelIZZZNS0_19digamma_kernel_cudaERNS_18TensorIteratorBaseEENKUlvE_clEvENKUlvE2_clEvEUlN3c108BFloat16EE_St5arrayIPcLm2EELi4E23TrivialOffsetCalculatorILi1EjESD_NS0_6memory15LoadWithoutCastENSE_16StoreWithoutCastEEEviT_T0_T2_T3_T4_T5_, .Lfunc_end36-_ZN2at6native27unrolled_elementwise_kernelIZZZNS0_19digamma_kernel_cudaERNS_18TensorIteratorBaseEENKUlvE_clEvENKUlvE2_clEvEUlN3c108BFloat16EE_St5arrayIPcLm2EELi4E23TrivialOffsetCalculatorILi1EjESD_NS0_6memory15LoadWithoutCastENSE_16StoreWithoutCastEEEviT_T0_T2_T3_T4_T5_
                                        ; -- End function
	.set _ZN2at6native27unrolled_elementwise_kernelIZZZNS0_19digamma_kernel_cudaERNS_18TensorIteratorBaseEENKUlvE_clEvENKUlvE2_clEvEUlN3c108BFloat16EE_St5arrayIPcLm2EELi4E23TrivialOffsetCalculatorILi1EjESD_NS0_6memory15LoadWithoutCastENSE_16StoreWithoutCastEEEviT_T0_T2_T3_T4_T5_.num_vgpr, 30
	.set _ZN2at6native27unrolled_elementwise_kernelIZZZNS0_19digamma_kernel_cudaERNS_18TensorIteratorBaseEENKUlvE_clEvENKUlvE2_clEvEUlN3c108BFloat16EE_St5arrayIPcLm2EELi4E23TrivialOffsetCalculatorILi1EjESD_NS0_6memory15LoadWithoutCastENSE_16StoreWithoutCastEEEviT_T0_T2_T3_T4_T5_.num_agpr, 0
	.set _ZN2at6native27unrolled_elementwise_kernelIZZZNS0_19digamma_kernel_cudaERNS_18TensorIteratorBaseEENKUlvE_clEvENKUlvE2_clEvEUlN3c108BFloat16EE_St5arrayIPcLm2EELi4E23TrivialOffsetCalculatorILi1EjESD_NS0_6memory15LoadWithoutCastENSE_16StoreWithoutCastEEEviT_T0_T2_T3_T4_T5_.numbered_sgpr, 22
	.set _ZN2at6native27unrolled_elementwise_kernelIZZZNS0_19digamma_kernel_cudaERNS_18TensorIteratorBaseEENKUlvE_clEvENKUlvE2_clEvEUlN3c108BFloat16EE_St5arrayIPcLm2EELi4E23TrivialOffsetCalculatorILi1EjESD_NS0_6memory15LoadWithoutCastENSE_16StoreWithoutCastEEEviT_T0_T2_T3_T4_T5_.num_named_barrier, 0
	.set _ZN2at6native27unrolled_elementwise_kernelIZZZNS0_19digamma_kernel_cudaERNS_18TensorIteratorBaseEENKUlvE_clEvENKUlvE2_clEvEUlN3c108BFloat16EE_St5arrayIPcLm2EELi4E23TrivialOffsetCalculatorILi1EjESD_NS0_6memory15LoadWithoutCastENSE_16StoreWithoutCastEEEviT_T0_T2_T3_T4_T5_.private_seg_size, 0
	.set _ZN2at6native27unrolled_elementwise_kernelIZZZNS0_19digamma_kernel_cudaERNS_18TensorIteratorBaseEENKUlvE_clEvENKUlvE2_clEvEUlN3c108BFloat16EE_St5arrayIPcLm2EELi4E23TrivialOffsetCalculatorILi1EjESD_NS0_6memory15LoadWithoutCastENSE_16StoreWithoutCastEEEviT_T0_T2_T3_T4_T5_.uses_vcc, 1
	.set _ZN2at6native27unrolled_elementwise_kernelIZZZNS0_19digamma_kernel_cudaERNS_18TensorIteratorBaseEENKUlvE_clEvENKUlvE2_clEvEUlN3c108BFloat16EE_St5arrayIPcLm2EELi4E23TrivialOffsetCalculatorILi1EjESD_NS0_6memory15LoadWithoutCastENSE_16StoreWithoutCastEEEviT_T0_T2_T3_T4_T5_.uses_flat_scratch, 0
	.set _ZN2at6native27unrolled_elementwise_kernelIZZZNS0_19digamma_kernel_cudaERNS_18TensorIteratorBaseEENKUlvE_clEvENKUlvE2_clEvEUlN3c108BFloat16EE_St5arrayIPcLm2EELi4E23TrivialOffsetCalculatorILi1EjESD_NS0_6memory15LoadWithoutCastENSE_16StoreWithoutCastEEEviT_T0_T2_T3_T4_T5_.has_dyn_sized_stack, 0
	.set _ZN2at6native27unrolled_elementwise_kernelIZZZNS0_19digamma_kernel_cudaERNS_18TensorIteratorBaseEENKUlvE_clEvENKUlvE2_clEvEUlN3c108BFloat16EE_St5arrayIPcLm2EELi4E23TrivialOffsetCalculatorILi1EjESD_NS0_6memory15LoadWithoutCastENSE_16StoreWithoutCastEEEviT_T0_T2_T3_T4_T5_.has_recursion, 0
	.set _ZN2at6native27unrolled_elementwise_kernelIZZZNS0_19digamma_kernel_cudaERNS_18TensorIteratorBaseEENKUlvE_clEvENKUlvE2_clEvEUlN3c108BFloat16EE_St5arrayIPcLm2EELi4E23TrivialOffsetCalculatorILi1EjESD_NS0_6memory15LoadWithoutCastENSE_16StoreWithoutCastEEEviT_T0_T2_T3_T4_T5_.has_indirect_call, 0
	.section	.AMDGPU.csdata,"",@progbits
; Kernel info:
; codeLenInByte = 10576
; TotalNumSgprs: 26
; NumVgprs: 30
; ScratchSize: 0
; MemoryBound: 0
; FloatMode: 240
; IeeeMode: 1
; LDSByteSize: 0 bytes/workgroup (compile time only)
; SGPRBlocks: 3
; VGPRBlocks: 7
; NumSGPRsForWavesPerEU: 26
; NumVGPRsForWavesPerEU: 30
; Occupancy: 8
; WaveLimiterHint : 0
; COMPUTE_PGM_RSRC2:SCRATCH_EN: 0
; COMPUTE_PGM_RSRC2:USER_SGPR: 6
; COMPUTE_PGM_RSRC2:TRAP_HANDLER: 0
; COMPUTE_PGM_RSRC2:TGID_X_EN: 1
; COMPUTE_PGM_RSRC2:TGID_Y_EN: 0
; COMPUTE_PGM_RSRC2:TGID_Z_EN: 0
; COMPUTE_PGM_RSRC2:TIDIG_COMP_CNT: 0
	.section	.text._ZN2at6native32elementwise_kernel_manual_unrollILi128ELi8EZNS0_22gpu_kernel_impl_nocastIZZZNS0_19digamma_kernel_cudaERNS_18TensorIteratorBaseEENKUlvE_clEvENKUlvE2_clEvEUlN3c108BFloat16EE_EEvS4_RKT_EUlibE_EEviT1_,"axG",@progbits,_ZN2at6native32elementwise_kernel_manual_unrollILi128ELi8EZNS0_22gpu_kernel_impl_nocastIZZZNS0_19digamma_kernel_cudaERNS_18TensorIteratorBaseEENKUlvE_clEvENKUlvE2_clEvEUlN3c108BFloat16EE_EEvS4_RKT_EUlibE_EEviT1_,comdat
	.globl	_ZN2at6native32elementwise_kernel_manual_unrollILi128ELi8EZNS0_22gpu_kernel_impl_nocastIZZZNS0_19digamma_kernel_cudaERNS_18TensorIteratorBaseEENKUlvE_clEvENKUlvE2_clEvEUlN3c108BFloat16EE_EEvS4_RKT_EUlibE_EEviT1_ ; -- Begin function _ZN2at6native32elementwise_kernel_manual_unrollILi128ELi8EZNS0_22gpu_kernel_impl_nocastIZZZNS0_19digamma_kernel_cudaERNS_18TensorIteratorBaseEENKUlvE_clEvENKUlvE2_clEvEUlN3c108BFloat16EE_EEvS4_RKT_EUlibE_EEviT1_
	.p2align	8
	.type	_ZN2at6native32elementwise_kernel_manual_unrollILi128ELi8EZNS0_22gpu_kernel_impl_nocastIZZZNS0_19digamma_kernel_cudaERNS_18TensorIteratorBaseEENKUlvE_clEvENKUlvE2_clEvEUlN3c108BFloat16EE_EEvS4_RKT_EUlibE_EEviT1_,@function
_ZN2at6native32elementwise_kernel_manual_unrollILi128ELi8EZNS0_22gpu_kernel_impl_nocastIZZZNS0_19digamma_kernel_cudaERNS_18TensorIteratorBaseEENKUlvE_clEvENKUlvE2_clEvEUlN3c108BFloat16EE_EEvS4_RKT_EUlibE_EEviT1_: ; @_ZN2at6native32elementwise_kernel_manual_unrollILi128ELi8EZNS0_22gpu_kernel_impl_nocastIZZZNS0_19digamma_kernel_cudaERNS_18TensorIteratorBaseEENKUlvE_clEvENKUlvE2_clEvEUlN3c108BFloat16EE_EEvS4_RKT_EUlibE_EEviT1_
; %bb.0:
	s_load_dword s55, s[4:5], 0x0
	s_load_dword s33, s[4:5], 0x8
	s_add_u32 s34, s4, 8
	s_addc_u32 s35, s5, 0
	v_lshl_or_b32 v7, s6, 10, v0
	v_or_b32_e32 v25, 0x380, v7
	s_waitcnt lgkmcnt(0)
	s_add_i32 s54, s33, -1
	s_cmp_gt_u32 s54, 1
	v_cmp_le_i32_e32 vcc, s55, v25
	s_cselect_b64 s[36:37], -1, 0
	s_and_saveexec_b64 s[0:1], vcc
	s_xor_b64 s[38:39], exec, s[0:1]
	s_cbranch_execz .LBB37_7
; %bb.1:
	s_load_dwordx4 s[24:27], s[34:35], 0x4
	s_load_dwordx2 s[40:41], s[34:35], 0x14
	s_load_dwordx4 s[20:23], s[34:35], 0xc4
	s_load_dwordx4 s[16:19], s[34:35], 0x148
	s_cmp_lg_u32 s33, 0
	s_cselect_b64 s[46:47], -1, 0
	s_add_u32 s44, s34, 0xc4
	s_addc_u32 s45, s35, 0
	s_min_u32 s56, s54, 15
	s_cmp_gt_u32 s33, 1
	s_cselect_b64 s[42:43], -1, 0
	v_cmp_gt_i32_e32 vcc, s55, v7
	s_and_saveexec_b64 s[48:49], vcc
	s_cbranch_execz .LBB37_14
; %bb.2:
	s_andn2_b64 vcc, exec, s[36:37]
	s_cbranch_vccnz .LBB37_21
; %bb.3:
	s_andn2_b64 vcc, exec, s[46:47]
	s_cbranch_vccnz .LBB37_321
; %bb.4:
	s_add_i32 s58, s56, 1
	s_cmp_eq_u32 s54, 2
	s_cbranch_scc1 .LBB37_323
; %bb.5:
	s_and_b32 s57, s58, 28
	v_mov_b32_e32 v2, 0
	s_mov_b32 s59, 0
	s_mov_b64 s[50:51], s[34:35]
	s_mov_b64 s[52:53], s[44:45]
	v_mov_b32_e32 v0, 0
	v_mov_b32_e32 v1, v7
.LBB37_6:                               ; =>This Inner Loop Header: Depth=1
	s_load_dwordx8 s[8:15], s[50:51], 0x4
	s_load_dwordx4 s[28:31], s[50:51], 0x24
	s_load_dwordx8 s[0:7], s[52:53], 0x0
	s_add_u32 s50, s50, 48
	s_addc_u32 s51, s51, 0
	s_waitcnt lgkmcnt(0)
	v_mul_hi_u32 v3, s9, v1
	s_add_i32 s59, s59, 4
	s_add_u32 s52, s52, 32
	s_addc_u32 s53, s53, 0
	v_add_u32_e32 v3, v1, v3
	v_lshrrev_b32_e32 v3, s10, v3
	v_mul_lo_u32 v4, v3, s8
	v_mul_hi_u32 v5, s12, v3
	s_cmp_lg_u32 s57, s59
	v_sub_u32_e32 v1, v1, v4
	v_add_u32_e32 v4, v3, v5
	v_mul_lo_u32 v5, v1, s0
	v_mul_lo_u32 v6, v1, s1
	v_lshrrev_b32_e32 v1, s13, v4
	v_mul_lo_u32 v4, v1, s11
	v_mul_hi_u32 v8, s15, v1
	v_sub_u32_e32 v3, v3, v4
	v_add_u32_e32 v4, v1, v8
	v_lshrrev_b32_e32 v4, s28, v4
	v_mul_hi_u32 v9, s30, v4
	v_mul_lo_u32 v10, v4, s14
	v_mul_lo_u32 v8, v3, s2
	v_mul_lo_u32 v3, v3, s3
	v_sub_u32_e32 v10, v1, v10
	v_add_u32_e32 v1, v4, v9
	v_lshrrev_b32_e32 v1, s31, v1
	v_mul_lo_u32 v9, v1, s29
	v_mul_lo_u32 v11, v10, s4
	;; [unrolled: 1-line block ×3, first 2 shown]
	v_add3_u32 v0, v5, v0, v8
	v_sub_u32_e32 v4, v4, v9
	v_mul_lo_u32 v9, v4, s6
	v_mul_lo_u32 v4, v4, s7
	v_add3_u32 v2, v6, v2, v3
	v_add3_u32 v0, v11, v0, v9
	;; [unrolled: 1-line block ×3, first 2 shown]
	s_cbranch_scc1 .LBB37_6
	s_branch .LBB37_324
.LBB37_7:
	s_andn2_saveexec_b64 s[0:1], s[38:39]
	s_cbranch_execz .LBB37_557
.LBB37_8:
	v_cndmask_b32_e64 v0, 0, 1, s[36:37]
	v_cmp_ne_u32_e64 s[0:1], 1, v0
	s_andn2_b64 vcc, exec, s[36:37]
	s_cbranch_vccnz .LBB37_20
; %bb.9:
	s_cmp_lg_u32 s33, 0
	s_waitcnt lgkmcnt(0)
	s_mov_b32 s26, 0
	s_cbranch_scc0 .LBB37_23
; %bb.10:
	s_min_u32 s27, s54, 15
	s_add_i32 s27, s27, 1
	s_cmp_eq_u32 s54, 2
	s_cbranch_scc1 .LBB37_24
; %bb.11:
	s_and_b32 s26, s27, 28
	s_add_u32 s2, s34, 0xc4
	s_addc_u32 s3, s35, 0
	v_mov_b32_e32 v23, 0
	s_mov_b32 s28, 0
	s_mov_b64 s[24:25], s[34:35]
	v_mov_b32_e32 v0, 0
	v_mov_b32_e32 v1, v7
.LBB37_12:                              ; =>This Inner Loop Header: Depth=1
	s_load_dwordx8 s[12:19], s[24:25], 0x4
	s_load_dwordx4 s[20:23], s[24:25], 0x24
	s_load_dwordx8 s[4:11], s[2:3], 0x0
	s_add_u32 s24, s24, 48
	s_addc_u32 s25, s25, 0
	s_waitcnt lgkmcnt(0)
	v_mul_hi_u32 v2, s13, v1
	s_add_i32 s28, s28, 4
	s_add_u32 s2, s2, 32
	s_addc_u32 s3, s3, 0
	v_add_u32_e32 v2, v1, v2
	v_lshrrev_b32_e32 v2, s14, v2
	v_mul_lo_u32 v3, v2, s12
	v_mul_hi_u32 v4, s16, v2
	s_cmp_lg_u32 s26, s28
	v_sub_u32_e32 v1, v1, v3
	v_add_u32_e32 v3, v2, v4
	v_mul_lo_u32 v4, v1, s4
	v_mul_lo_u32 v5, v1, s5
	v_lshrrev_b32_e32 v1, s17, v3
	v_mul_lo_u32 v3, v1, s15
	v_mul_hi_u32 v6, s19, v1
	v_sub_u32_e32 v2, v2, v3
	v_add_u32_e32 v3, v1, v6
	v_lshrrev_b32_e32 v3, s20, v3
	v_mul_hi_u32 v8, s22, v3
	v_mul_lo_u32 v9, v3, s18
	v_mul_lo_u32 v6, v2, s6
	v_mul_lo_u32 v2, v2, s7
	v_sub_u32_e32 v9, v1, v9
	v_add_u32_e32 v1, v3, v8
	v_lshrrev_b32_e32 v1, s23, v1
	v_mul_lo_u32 v8, v1, s21
	v_mul_lo_u32 v10, v9, s8
	;; [unrolled: 1-line block ×3, first 2 shown]
	v_add3_u32 v0, v4, v0, v6
	v_sub_u32_e32 v3, v3, v8
	v_mul_lo_u32 v8, v3, s10
	v_mul_lo_u32 v3, v3, s11
	v_add3_u32 v2, v5, v23, v2
	v_add3_u32 v0, v10, v0, v8
	;; [unrolled: 1-line block ×3, first 2 shown]
	s_cbranch_scc1 .LBB37_12
; %bb.13:
	s_and_b32 s6, s27, 3
	s_cmp_eq_u32 s6, 0
	s_cbranch_scc0 .LBB37_25
	s_branch .LBB37_27
.LBB37_14:
	s_or_b64 exec, exec, s[48:49]
	v_cmp_gt_i32_e32 vcc, s55, v7
	s_and_saveexec_b64 s[48:49], vcc
	s_cbranch_execz .LBB37_355
.LBB37_15:
	s_andn2_b64 vcc, exec, s[36:37]
	s_cbranch_vccnz .LBB37_22
; %bb.16:
	s_andn2_b64 vcc, exec, s[46:47]
	s_cbranch_vccnz .LBB37_322
; %bb.17:
	s_add_i32 s58, s56, 1
	s_cmp_eq_u32 s54, 2
	s_cbranch_scc1 .LBB37_363
; %bb.18:
	s_and_b32 s57, s58, 28
	v_mov_b32_e32 v2, 0
	s_mov_b32 s59, 0
	s_mov_b64 s[50:51], s[34:35]
	s_mov_b64 s[52:53], s[44:45]
	v_mov_b32_e32 v0, 0
	v_mov_b32_e32 v1, v7
.LBB37_19:                              ; =>This Inner Loop Header: Depth=1
	s_load_dwordx8 s[8:15], s[50:51], 0x4
	s_load_dwordx4 s[28:31], s[50:51], 0x24
	s_load_dwordx8 s[0:7], s[52:53], 0x0
	s_add_u32 s50, s50, 48
	s_addc_u32 s51, s51, 0
	s_waitcnt lgkmcnt(0)
	v_mul_hi_u32 v3, s9, v1
	s_add_i32 s59, s59, 4
	s_add_u32 s52, s52, 32
	s_addc_u32 s53, s53, 0
	v_add_u32_e32 v3, v1, v3
	v_lshrrev_b32_e32 v3, s10, v3
	v_mul_lo_u32 v4, v3, s8
	v_mul_hi_u32 v5, s12, v3
	s_cmp_eq_u32 s57, s59
	v_sub_u32_e32 v1, v1, v4
	v_add_u32_e32 v4, v3, v5
	v_mul_lo_u32 v5, v1, s0
	v_mul_lo_u32 v6, v1, s1
	v_lshrrev_b32_e32 v1, s13, v4
	v_mul_lo_u32 v4, v1, s11
	v_mul_hi_u32 v8, s15, v1
	v_sub_u32_e32 v3, v3, v4
	v_add_u32_e32 v4, v1, v8
	v_lshrrev_b32_e32 v4, s28, v4
	v_mul_hi_u32 v9, s30, v4
	v_mul_lo_u32 v10, v4, s14
	v_mul_lo_u32 v8, v3, s2
	;; [unrolled: 1-line block ×3, first 2 shown]
	v_sub_u32_e32 v10, v1, v10
	v_add_u32_e32 v1, v4, v9
	v_lshrrev_b32_e32 v1, s31, v1
	v_mul_lo_u32 v9, v1, s29
	v_mul_lo_u32 v11, v10, s4
	;; [unrolled: 1-line block ×3, first 2 shown]
	v_add3_u32 v0, v5, v0, v8
	v_sub_u32_e32 v4, v4, v9
	v_mul_lo_u32 v9, v4, s6
	v_mul_lo_u32 v4, v4, s7
	v_add3_u32 v2, v6, v2, v3
	v_add3_u32 v0, v11, v0, v9
	;; [unrolled: 1-line block ×3, first 2 shown]
	s_cbranch_scc0 .LBB37_19
	s_branch .LBB37_364
.LBB37_20:
                                        ; implicit-def: $vgpr0
                                        ; implicit-def: $vgpr23
	s_branch .LBB37_28
.LBB37_21:
                                        ; implicit-def: $vgpr0
                                        ; implicit-def: $vgpr2
	s_branch .LBB37_328
.LBB37_22:
                                        ; implicit-def: $vgpr0
                                        ; implicit-def: $vgpr2
	s_branch .LBB37_368
.LBB37_23:
	v_mov_b32_e32 v0, 0
	v_mov_b32_e32 v23, 0
	s_branch .LBB37_27
.LBB37_24:
	v_mov_b32_e32 v0, 0
	v_mov_b32_e32 v23, 0
	;; [unrolled: 1-line block ×3, first 2 shown]
	s_and_b32 s6, s27, 3
	s_cmp_eq_u32 s6, 0
	s_cbranch_scc1 .LBB37_27
.LBB37_25:
	s_lshl_b32 s2, s26, 3
	s_add_u32 s2, s34, s2
	s_addc_u32 s3, s35, 0
	s_add_u32 s2, s2, 0xc4
	s_addc_u32 s3, s3, 0
	s_mul_i32 s4, s26, 12
	s_add_u32 s4, s34, s4
	s_addc_u32 s5, s35, 0
.LBB37_26:                              ; =>This Inner Loop Header: Depth=1
	s_load_dwordx2 s[8:9], s[4:5], 0x4
	s_load_dword s7, s[4:5], 0xc
	s_load_dwordx2 s[10:11], s[2:3], 0x0
	s_add_u32 s4, s4, 12
	s_addc_u32 s5, s5, 0
	s_waitcnt lgkmcnt(0)
	v_mul_hi_u32 v2, s9, v1
	s_add_u32 s2, s2, 8
	s_addc_u32 s3, s3, 0
	s_add_i32 s6, s6, -1
	v_add_u32_e32 v2, v1, v2
	v_lshrrev_b32_e32 v2, s7, v2
	v_mul_lo_u32 v3, v2, s8
	s_cmp_lg_u32 s6, 0
	v_sub_u32_e32 v3, v1, v3
	v_mad_u64_u32 v[0:1], s[8:9], v3, s10, v[0:1]
	v_mad_u64_u32 v[23:24], s[8:9], v3, s11, v[23:24]
	v_mov_b32_e32 v1, v2
	s_cbranch_scc1 .LBB37_26
.LBB37_27:
	s_cbranch_execnz .LBB37_30
.LBB37_28:
	s_load_dwordx4 s[4:7], s[34:35], 0x4
	s_load_dwordx2 s[2:3], s[34:35], 0xc4
	s_cmp_lt_u32 s33, 2
	s_waitcnt lgkmcnt(0)
	v_mul_hi_u32 v0, s5, v7
	v_add_u32_e32 v0, v7, v0
	v_lshrrev_b32_e32 v1, s6, v0
	v_mul_lo_u32 v0, v1, s4
	v_sub_u32_e32 v2, v7, v0
	v_mul_lo_u32 v0, v2, s2
	v_mul_lo_u32 v23, v2, s3
	s_cbranch_scc1 .LBB37_30
; %bb.29:
	s_load_dwordx4 s[4:7], s[34:35], 0x10
	s_load_dwordx2 s[2:3], s[34:35], 0xcc
	s_waitcnt lgkmcnt(0)
	v_mul_hi_u32 v2, s5, v1
	v_add_u32_e32 v2, v1, v2
	v_lshrrev_b32_e32 v2, s6, v2
	v_mul_lo_u32 v2, v2, s4
	v_sub_u32_e32 v2, v1, v2
	v_mad_u64_u32 v[0:1], s[4:5], v2, s2, v[0:1]
	v_mad_u64_u32 v[23:24], s[2:3], v2, s3, v[23:24]
.LBB37_30:
	s_and_b64 vcc, exec, s[0:1]
	v_add_u32_e32 v3, 0x80, v7
	s_cbranch_vccnz .LBB37_36
; %bb.31:
	s_cmp_lg_u32 s33, 0
	s_waitcnt lgkmcnt(0)
	s_mov_b32 s26, 0
	s_cbranch_scc0 .LBB37_37
; %bb.32:
	s_min_u32 s27, s54, 15
	s_add_i32 s27, s27, 1
	s_cmp_eq_u32 s54, 2
	s_cbranch_scc1 .LBB37_38
; %bb.33:
	s_and_b32 s26, s27, 28
	s_add_u32 s2, s34, 0xc4
	s_addc_u32 s3, s35, 0
	v_mov_b32_e32 v21, 0
	s_mov_b32 s28, 0
	s_mov_b64 s[24:25], s[34:35]
	v_mov_b32_e32 v1, 0
	v_mov_b32_e32 v2, v3
.LBB37_34:                              ; =>This Inner Loop Header: Depth=1
	s_load_dwordx8 s[12:19], s[24:25], 0x4
	s_load_dwordx4 s[20:23], s[24:25], 0x24
	s_load_dwordx8 s[4:11], s[2:3], 0x0
	s_add_u32 s24, s24, 48
	s_addc_u32 s25, s25, 0
	s_waitcnt lgkmcnt(0)
	v_mul_hi_u32 v4, s13, v2
	s_add_i32 s28, s28, 4
	s_add_u32 s2, s2, 32
	s_addc_u32 s3, s3, 0
	v_add_u32_e32 v4, v2, v4
	v_lshrrev_b32_e32 v4, s14, v4
	v_mul_lo_u32 v5, v4, s12
	v_mul_hi_u32 v6, s16, v4
	s_cmp_lg_u32 s26, s28
	v_sub_u32_e32 v2, v2, v5
	v_add_u32_e32 v5, v4, v6
	v_mul_lo_u32 v6, v2, s4
	v_mul_lo_u32 v8, v2, s5
	v_lshrrev_b32_e32 v2, s17, v5
	v_mul_lo_u32 v5, v2, s15
	v_mul_hi_u32 v9, s19, v2
	v_sub_u32_e32 v4, v4, v5
	v_add_u32_e32 v5, v2, v9
	v_lshrrev_b32_e32 v5, s20, v5
	v_mul_hi_u32 v10, s22, v5
	v_mul_lo_u32 v11, v5, s18
	v_mul_lo_u32 v9, v4, s6
	;; [unrolled: 1-line block ×3, first 2 shown]
	v_sub_u32_e32 v11, v2, v11
	v_add_u32_e32 v2, v5, v10
	v_lshrrev_b32_e32 v2, s23, v2
	v_mul_lo_u32 v10, v2, s21
	v_mul_lo_u32 v12, v11, s8
	v_mul_lo_u32 v11, v11, s9
	v_add3_u32 v1, v6, v1, v9
	v_sub_u32_e32 v5, v5, v10
	v_mul_lo_u32 v10, v5, s10
	v_mul_lo_u32 v5, v5, s11
	v_add3_u32 v4, v8, v21, v4
	v_add3_u32 v1, v12, v1, v10
	;; [unrolled: 1-line block ×3, first 2 shown]
	s_cbranch_scc1 .LBB37_34
; %bb.35:
	s_and_b32 s6, s27, 3
	s_cmp_eq_u32 s6, 0
	s_cbranch_scc0 .LBB37_39
	s_branch .LBB37_41
.LBB37_36:
                                        ; implicit-def: $vgpr1
                                        ; implicit-def: $vgpr21
	s_branch .LBB37_42
.LBB37_37:
	v_mov_b32_e32 v1, 0
	v_mov_b32_e32 v21, 0
	s_branch .LBB37_41
.LBB37_38:
	v_mov_b32_e32 v1, 0
	v_mov_b32_e32 v21, 0
	;; [unrolled: 1-line block ×3, first 2 shown]
	s_and_b32 s6, s27, 3
	s_cmp_eq_u32 s6, 0
	s_cbranch_scc1 .LBB37_41
.LBB37_39:
	s_lshl_b32 s2, s26, 3
	s_add_u32 s2, s34, s2
	s_addc_u32 s3, s35, 0
	s_add_u32 s2, s2, 0xc4
	s_addc_u32 s3, s3, 0
	s_mul_i32 s4, s26, 12
	s_add_u32 s4, s34, s4
	s_addc_u32 s5, s35, 0
.LBB37_40:                              ; =>This Inner Loop Header: Depth=1
	s_load_dwordx2 s[8:9], s[4:5], 0x4
	s_load_dword s7, s[4:5], 0xc
	s_load_dwordx2 s[10:11], s[2:3], 0x0
	s_add_u32 s4, s4, 12
	s_addc_u32 s5, s5, 0
	s_waitcnt lgkmcnt(0)
	v_mul_hi_u32 v4, s9, v2
	s_add_u32 s2, s2, 8
	s_addc_u32 s3, s3, 0
	s_add_i32 s6, s6, -1
	v_add_u32_e32 v4, v2, v4
	v_lshrrev_b32_e32 v4, s7, v4
	v_mul_lo_u32 v5, v4, s8
	s_cmp_lg_u32 s6, 0
	v_sub_u32_e32 v5, v2, v5
	v_mad_u64_u32 v[1:2], s[8:9], v5, s10, v[1:2]
	v_mad_u64_u32 v[21:22], s[8:9], v5, s11, v[21:22]
	v_mov_b32_e32 v2, v4
	s_cbranch_scc1 .LBB37_40
.LBB37_41:
	s_cbranch_execnz .LBB37_44
.LBB37_42:
	s_load_dwordx4 s[4:7], s[34:35], 0x4
	s_load_dwordx2 s[2:3], s[34:35], 0xc4
	s_cmp_lt_u32 s33, 2
	s_waitcnt lgkmcnt(0)
	v_mul_hi_u32 v1, s5, v3
	v_add_u32_e32 v1, v3, v1
	v_lshrrev_b32_e32 v2, s6, v1
	v_mul_lo_u32 v1, v2, s4
	v_sub_u32_e32 v3, v3, v1
	v_mul_lo_u32 v1, v3, s2
	v_mul_lo_u32 v21, v3, s3
	s_cbranch_scc1 .LBB37_44
; %bb.43:
	s_load_dwordx4 s[4:7], s[34:35], 0x10
	s_load_dwordx2 s[2:3], s[34:35], 0xcc
	s_waitcnt lgkmcnt(0)
	v_mul_hi_u32 v3, s5, v2
	v_add_u32_e32 v3, v2, v3
	v_lshrrev_b32_e32 v3, s6, v3
	v_mul_lo_u32 v3, v3, s4
	v_sub_u32_e32 v3, v2, v3
	v_mad_u64_u32 v[1:2], s[4:5], v3, s2, v[1:2]
	v_mad_u64_u32 v[21:22], s[2:3], v3, s3, v[21:22]
.LBB37_44:
	s_and_b64 vcc, exec, s[0:1]
	v_add_u32_e32 v4, 0x100, v7
	s_cbranch_vccnz .LBB37_50
; %bb.45:
	s_cmp_lg_u32 s33, 0
	s_waitcnt lgkmcnt(0)
	s_mov_b32 s26, 0
	s_cbranch_scc0 .LBB37_51
; %bb.46:
	s_min_u32 s27, s54, 15
	s_add_i32 s27, s27, 1
	s_cmp_eq_u32 s54, 2
	s_cbranch_scc1 .LBB37_52
; %bb.47:
	s_and_b32 s26, s27, 28
	s_add_u32 s2, s34, 0xc4
	s_addc_u32 s3, s35, 0
	v_mov_b32_e32 v19, 0
	s_mov_b32 s28, 0
	s_mov_b64 s[24:25], s[34:35]
	v_mov_b32_e32 v2, 0
	v_mov_b32_e32 v3, v4
.LBB37_48:                              ; =>This Inner Loop Header: Depth=1
	s_load_dwordx8 s[12:19], s[24:25], 0x4
	s_load_dwordx4 s[20:23], s[24:25], 0x24
	s_load_dwordx8 s[4:11], s[2:3], 0x0
	s_add_u32 s24, s24, 48
	s_addc_u32 s25, s25, 0
	s_waitcnt lgkmcnt(0)
	v_mul_hi_u32 v5, s13, v3
	s_add_i32 s28, s28, 4
	s_add_u32 s2, s2, 32
	s_addc_u32 s3, s3, 0
	v_add_u32_e32 v5, v3, v5
	v_lshrrev_b32_e32 v5, s14, v5
	v_mul_lo_u32 v6, v5, s12
	v_mul_hi_u32 v8, s16, v5
	s_cmp_lg_u32 s26, s28
	v_sub_u32_e32 v3, v3, v6
	v_add_u32_e32 v6, v5, v8
	v_mul_lo_u32 v8, v3, s4
	v_mul_lo_u32 v9, v3, s5
	v_lshrrev_b32_e32 v3, s17, v6
	v_mul_lo_u32 v6, v3, s15
	v_mul_hi_u32 v10, s19, v3
	v_sub_u32_e32 v5, v5, v6
	v_add_u32_e32 v6, v3, v10
	v_lshrrev_b32_e32 v6, s20, v6
	v_mul_hi_u32 v11, s22, v6
	v_mul_lo_u32 v12, v6, s18
	v_mul_lo_u32 v10, v5, s6
	;; [unrolled: 1-line block ×3, first 2 shown]
	v_sub_u32_e32 v12, v3, v12
	v_add_u32_e32 v3, v6, v11
	v_lshrrev_b32_e32 v3, s23, v3
	v_mul_lo_u32 v11, v3, s21
	v_mul_lo_u32 v13, v12, s8
	;; [unrolled: 1-line block ×3, first 2 shown]
	v_add3_u32 v2, v8, v2, v10
	v_sub_u32_e32 v6, v6, v11
	v_mul_lo_u32 v11, v6, s10
	v_mul_lo_u32 v6, v6, s11
	v_add3_u32 v5, v9, v19, v5
	v_add3_u32 v2, v13, v2, v11
	;; [unrolled: 1-line block ×3, first 2 shown]
	s_cbranch_scc1 .LBB37_48
; %bb.49:
	s_and_b32 s6, s27, 3
	s_cmp_eq_u32 s6, 0
	s_cbranch_scc0 .LBB37_53
	s_branch .LBB37_55
.LBB37_50:
                                        ; implicit-def: $vgpr2
                                        ; implicit-def: $vgpr19
	s_branch .LBB37_56
.LBB37_51:
	v_mov_b32_e32 v2, 0
	v_mov_b32_e32 v19, 0
	s_branch .LBB37_55
.LBB37_52:
	v_mov_b32_e32 v2, 0
	v_mov_b32_e32 v19, 0
	;; [unrolled: 1-line block ×3, first 2 shown]
	s_and_b32 s6, s27, 3
	s_cmp_eq_u32 s6, 0
	s_cbranch_scc1 .LBB37_55
.LBB37_53:
	s_lshl_b32 s2, s26, 3
	s_add_u32 s2, s34, s2
	s_addc_u32 s3, s35, 0
	s_add_u32 s2, s2, 0xc4
	s_addc_u32 s3, s3, 0
	s_mul_i32 s4, s26, 12
	s_add_u32 s4, s34, s4
	s_addc_u32 s5, s35, 0
.LBB37_54:                              ; =>This Inner Loop Header: Depth=1
	s_load_dwordx2 s[8:9], s[4:5], 0x4
	s_load_dword s7, s[4:5], 0xc
	s_load_dwordx2 s[10:11], s[2:3], 0x0
	s_add_u32 s4, s4, 12
	s_addc_u32 s5, s5, 0
	s_waitcnt lgkmcnt(0)
	v_mul_hi_u32 v5, s9, v3
	s_add_u32 s2, s2, 8
	s_addc_u32 s3, s3, 0
	s_add_i32 s6, s6, -1
	v_add_u32_e32 v5, v3, v5
	v_lshrrev_b32_e32 v5, s7, v5
	v_mul_lo_u32 v6, v5, s8
	s_cmp_lg_u32 s6, 0
	v_sub_u32_e32 v6, v3, v6
	v_mad_u64_u32 v[2:3], s[8:9], v6, s10, v[2:3]
	v_mad_u64_u32 v[19:20], s[8:9], v6, s11, v[19:20]
	v_mov_b32_e32 v3, v5
	s_cbranch_scc1 .LBB37_54
.LBB37_55:
	s_cbranch_execnz .LBB37_58
.LBB37_56:
	s_load_dwordx4 s[4:7], s[34:35], 0x4
	s_load_dwordx2 s[2:3], s[34:35], 0xc4
	s_cmp_lt_u32 s33, 2
	s_waitcnt lgkmcnt(0)
	v_mul_hi_u32 v2, s5, v4
	v_add_u32_e32 v2, v4, v2
	v_lshrrev_b32_e32 v3, s6, v2
	v_mul_lo_u32 v2, v3, s4
	v_sub_u32_e32 v4, v4, v2
	v_mul_lo_u32 v2, v4, s2
	v_mul_lo_u32 v19, v4, s3
	s_cbranch_scc1 .LBB37_58
; %bb.57:
	s_load_dwordx4 s[4:7], s[34:35], 0x10
	s_load_dwordx2 s[2:3], s[34:35], 0xcc
	s_waitcnt lgkmcnt(0)
	v_mul_hi_u32 v4, s5, v3
	v_add_u32_e32 v4, v3, v4
	v_lshrrev_b32_e32 v4, s6, v4
	v_mul_lo_u32 v4, v4, s4
	v_sub_u32_e32 v4, v3, v4
	v_mad_u64_u32 v[2:3], s[4:5], v4, s2, v[2:3]
	v_mad_u64_u32 v[19:20], s[2:3], v4, s3, v[19:20]
.LBB37_58:
	s_and_b64 vcc, exec, s[0:1]
	v_add_u32_e32 v5, 0x180, v7
	s_cbranch_vccnz .LBB37_64
; %bb.59:
	s_cmp_lg_u32 s33, 0
	s_waitcnt lgkmcnt(0)
	s_mov_b32 s26, 0
	s_cbranch_scc0 .LBB37_65
; %bb.60:
	s_min_u32 s27, s54, 15
	s_add_i32 s27, s27, 1
	s_cmp_eq_u32 s54, 2
	s_cbranch_scc1 .LBB37_66
; %bb.61:
	s_and_b32 s26, s27, 28
	s_add_u32 s2, s34, 0xc4
	s_addc_u32 s3, s35, 0
	v_mov_b32_e32 v17, 0
	s_mov_b32 s28, 0
	s_mov_b64 s[24:25], s[34:35]
	v_mov_b32_e32 v3, 0
	v_mov_b32_e32 v4, v5
.LBB37_62:                              ; =>This Inner Loop Header: Depth=1
	s_load_dwordx8 s[12:19], s[24:25], 0x4
	s_load_dwordx4 s[20:23], s[24:25], 0x24
	s_load_dwordx8 s[4:11], s[2:3], 0x0
	s_add_u32 s24, s24, 48
	s_addc_u32 s25, s25, 0
	s_waitcnt lgkmcnt(0)
	v_mul_hi_u32 v6, s13, v4
	s_add_i32 s28, s28, 4
	s_add_u32 s2, s2, 32
	s_addc_u32 s3, s3, 0
	v_add_u32_e32 v6, v4, v6
	v_lshrrev_b32_e32 v6, s14, v6
	v_mul_lo_u32 v8, v6, s12
	v_mul_hi_u32 v9, s16, v6
	s_cmp_lg_u32 s26, s28
	v_sub_u32_e32 v4, v4, v8
	v_add_u32_e32 v8, v6, v9
	v_mul_lo_u32 v9, v4, s4
	v_mul_lo_u32 v10, v4, s5
	v_lshrrev_b32_e32 v4, s17, v8
	v_mul_lo_u32 v8, v4, s15
	v_mul_hi_u32 v11, s19, v4
	v_sub_u32_e32 v6, v6, v8
	v_add_u32_e32 v8, v4, v11
	v_lshrrev_b32_e32 v8, s20, v8
	v_mul_hi_u32 v12, s22, v8
	v_mul_lo_u32 v13, v8, s18
	v_mul_lo_u32 v11, v6, s6
	;; [unrolled: 1-line block ×3, first 2 shown]
	v_sub_u32_e32 v13, v4, v13
	v_add_u32_e32 v4, v8, v12
	v_lshrrev_b32_e32 v4, s23, v4
	v_mul_lo_u32 v12, v4, s21
	v_mul_lo_u32 v14, v13, s8
	;; [unrolled: 1-line block ×3, first 2 shown]
	v_add3_u32 v3, v9, v3, v11
	v_sub_u32_e32 v8, v8, v12
	v_mul_lo_u32 v12, v8, s10
	v_mul_lo_u32 v8, v8, s11
	v_add3_u32 v6, v10, v17, v6
	v_add3_u32 v3, v14, v3, v12
	;; [unrolled: 1-line block ×3, first 2 shown]
	s_cbranch_scc1 .LBB37_62
; %bb.63:
	s_and_b32 s6, s27, 3
	s_cmp_eq_u32 s6, 0
	s_cbranch_scc0 .LBB37_67
	s_branch .LBB37_69
.LBB37_64:
                                        ; implicit-def: $vgpr3
                                        ; implicit-def: $vgpr17
	s_branch .LBB37_70
.LBB37_65:
	v_mov_b32_e32 v3, 0
	v_mov_b32_e32 v17, 0
	s_branch .LBB37_69
.LBB37_66:
	v_mov_b32_e32 v3, 0
	v_mov_b32_e32 v17, 0
	;; [unrolled: 1-line block ×3, first 2 shown]
	s_and_b32 s6, s27, 3
	s_cmp_eq_u32 s6, 0
	s_cbranch_scc1 .LBB37_69
.LBB37_67:
	s_lshl_b32 s2, s26, 3
	s_add_u32 s2, s34, s2
	s_addc_u32 s3, s35, 0
	s_add_u32 s2, s2, 0xc4
	s_addc_u32 s3, s3, 0
	s_mul_i32 s4, s26, 12
	s_add_u32 s4, s34, s4
	s_addc_u32 s5, s35, 0
.LBB37_68:                              ; =>This Inner Loop Header: Depth=1
	s_load_dwordx2 s[8:9], s[4:5], 0x4
	s_load_dword s7, s[4:5], 0xc
	s_load_dwordx2 s[10:11], s[2:3], 0x0
	s_add_u32 s4, s4, 12
	s_addc_u32 s5, s5, 0
	s_waitcnt lgkmcnt(0)
	v_mul_hi_u32 v6, s9, v4
	s_add_u32 s2, s2, 8
	s_addc_u32 s3, s3, 0
	s_add_i32 s6, s6, -1
	v_add_u32_e32 v6, v4, v6
	v_lshrrev_b32_e32 v6, s7, v6
	v_mul_lo_u32 v8, v6, s8
	s_cmp_lg_u32 s6, 0
	v_sub_u32_e32 v8, v4, v8
	v_mad_u64_u32 v[3:4], s[8:9], v8, s10, v[3:4]
	v_mad_u64_u32 v[17:18], s[8:9], v8, s11, v[17:18]
	v_mov_b32_e32 v4, v6
	s_cbranch_scc1 .LBB37_68
.LBB37_69:
	s_cbranch_execnz .LBB37_72
.LBB37_70:
	s_load_dwordx4 s[4:7], s[34:35], 0x4
	s_load_dwordx2 s[2:3], s[34:35], 0xc4
	s_cmp_lt_u32 s33, 2
	s_waitcnt lgkmcnt(0)
	v_mul_hi_u32 v3, s5, v5
	v_add_u32_e32 v3, v5, v3
	v_lshrrev_b32_e32 v4, s6, v3
	v_mul_lo_u32 v3, v4, s4
	v_sub_u32_e32 v5, v5, v3
	v_mul_lo_u32 v3, v5, s2
	v_mul_lo_u32 v17, v5, s3
	s_cbranch_scc1 .LBB37_72
; %bb.71:
	s_load_dwordx4 s[4:7], s[34:35], 0x10
	s_load_dwordx2 s[2:3], s[34:35], 0xcc
	s_waitcnt lgkmcnt(0)
	v_mul_hi_u32 v5, s5, v4
	v_add_u32_e32 v5, v4, v5
	v_lshrrev_b32_e32 v5, s6, v5
	v_mul_lo_u32 v5, v5, s4
	v_sub_u32_e32 v5, v4, v5
	v_mad_u64_u32 v[3:4], s[4:5], v5, s2, v[3:4]
	v_mad_u64_u32 v[17:18], s[2:3], v5, s3, v[17:18]
.LBB37_72:
	s_and_b64 vcc, exec, s[0:1]
	v_add_u32_e32 v6, 0x200, v7
	s_cbranch_vccnz .LBB37_78
; %bb.73:
	s_cmp_lg_u32 s33, 0
	s_waitcnt lgkmcnt(0)
	s_mov_b32 s26, 0
	s_cbranch_scc0 .LBB37_79
; %bb.74:
	s_min_u32 s27, s54, 15
	s_add_i32 s27, s27, 1
	s_cmp_eq_u32 s54, 2
	s_cbranch_scc1 .LBB37_80
; %bb.75:
	s_and_b32 s26, s27, 28
	s_add_u32 s2, s34, 0xc4
	s_addc_u32 s3, s35, 0
	v_mov_b32_e32 v15, 0
	s_mov_b32 s28, 0
	s_mov_b64 s[24:25], s[34:35]
	v_mov_b32_e32 v4, 0
	v_mov_b32_e32 v5, v6
.LBB37_76:                              ; =>This Inner Loop Header: Depth=1
	s_load_dwordx8 s[12:19], s[24:25], 0x4
	s_load_dwordx4 s[20:23], s[24:25], 0x24
	s_load_dwordx8 s[4:11], s[2:3], 0x0
	s_add_u32 s24, s24, 48
	s_addc_u32 s25, s25, 0
	s_waitcnt lgkmcnt(0)
	v_mul_hi_u32 v8, s13, v5
	s_add_i32 s28, s28, 4
	s_add_u32 s2, s2, 32
	s_addc_u32 s3, s3, 0
	v_add_u32_e32 v8, v5, v8
	v_lshrrev_b32_e32 v8, s14, v8
	v_mul_lo_u32 v9, v8, s12
	v_mul_hi_u32 v10, s16, v8
	s_cmp_lg_u32 s26, s28
	v_sub_u32_e32 v5, v5, v9
	v_add_u32_e32 v9, v8, v10
	v_mul_lo_u32 v10, v5, s4
	v_mul_lo_u32 v11, v5, s5
	v_lshrrev_b32_e32 v5, s17, v9
	v_mul_lo_u32 v9, v5, s15
	v_mul_hi_u32 v12, s19, v5
	v_sub_u32_e32 v8, v8, v9
	v_add_u32_e32 v9, v5, v12
	v_lshrrev_b32_e32 v9, s20, v9
	v_mul_hi_u32 v13, s22, v9
	v_mul_lo_u32 v14, v9, s18
	v_mul_lo_u32 v12, v8, s6
	;; [unrolled: 1-line block ×3, first 2 shown]
	v_sub_u32_e32 v14, v5, v14
	v_add_u32_e32 v5, v9, v13
	v_lshrrev_b32_e32 v5, s23, v5
	v_mul_lo_u32 v13, v5, s21
	v_mul_lo_u32 v16, v14, s8
	;; [unrolled: 1-line block ×3, first 2 shown]
	v_add3_u32 v4, v10, v4, v12
	v_sub_u32_e32 v9, v9, v13
	v_mul_lo_u32 v13, v9, s10
	v_mul_lo_u32 v9, v9, s11
	v_add3_u32 v8, v11, v15, v8
	v_add3_u32 v4, v16, v4, v13
	;; [unrolled: 1-line block ×3, first 2 shown]
	s_cbranch_scc1 .LBB37_76
; %bb.77:
	s_and_b32 s6, s27, 3
	s_cmp_eq_u32 s6, 0
	s_cbranch_scc0 .LBB37_81
	s_branch .LBB37_83
.LBB37_78:
                                        ; implicit-def: $vgpr4
                                        ; implicit-def: $vgpr15
	s_branch .LBB37_84
.LBB37_79:
	v_mov_b32_e32 v4, 0
	v_mov_b32_e32 v15, 0
	s_branch .LBB37_83
.LBB37_80:
	v_mov_b32_e32 v4, 0
	v_mov_b32_e32 v15, 0
	;; [unrolled: 1-line block ×3, first 2 shown]
	s_and_b32 s6, s27, 3
	s_cmp_eq_u32 s6, 0
	s_cbranch_scc1 .LBB37_83
.LBB37_81:
	s_lshl_b32 s2, s26, 3
	s_add_u32 s2, s34, s2
	s_addc_u32 s3, s35, 0
	s_add_u32 s2, s2, 0xc4
	s_addc_u32 s3, s3, 0
	s_mul_i32 s4, s26, 12
	s_add_u32 s4, s34, s4
	s_addc_u32 s5, s35, 0
.LBB37_82:                              ; =>This Inner Loop Header: Depth=1
	s_load_dwordx2 s[8:9], s[4:5], 0x4
	s_load_dword s7, s[4:5], 0xc
	s_load_dwordx2 s[10:11], s[2:3], 0x0
	s_add_u32 s4, s4, 12
	s_addc_u32 s5, s5, 0
	s_waitcnt lgkmcnt(0)
	v_mul_hi_u32 v8, s9, v5
	s_add_u32 s2, s2, 8
	s_addc_u32 s3, s3, 0
	s_add_i32 s6, s6, -1
	v_add_u32_e32 v8, v5, v8
	v_lshrrev_b32_e32 v8, s7, v8
	v_mul_lo_u32 v9, v8, s8
	s_cmp_lg_u32 s6, 0
	v_sub_u32_e32 v9, v5, v9
	v_mad_u64_u32 v[4:5], s[8:9], v9, s10, v[4:5]
	v_mad_u64_u32 v[15:16], s[8:9], v9, s11, v[15:16]
	v_mov_b32_e32 v5, v8
	s_cbranch_scc1 .LBB37_82
.LBB37_83:
	s_cbranch_execnz .LBB37_86
.LBB37_84:
	s_load_dwordx4 s[4:7], s[34:35], 0x4
	s_load_dwordx2 s[2:3], s[34:35], 0xc4
	s_cmp_lt_u32 s33, 2
	s_waitcnt lgkmcnt(0)
	v_mul_hi_u32 v4, s5, v6
	v_add_u32_e32 v4, v6, v4
	v_lshrrev_b32_e32 v5, s6, v4
	v_mul_lo_u32 v4, v5, s4
	v_sub_u32_e32 v6, v6, v4
	v_mul_lo_u32 v4, v6, s2
	v_mul_lo_u32 v15, v6, s3
	s_cbranch_scc1 .LBB37_86
; %bb.85:
	s_load_dwordx4 s[4:7], s[34:35], 0x10
	s_load_dwordx2 s[2:3], s[34:35], 0xcc
	s_waitcnt lgkmcnt(0)
	v_mul_hi_u32 v6, s5, v5
	v_add_u32_e32 v6, v5, v6
	v_lshrrev_b32_e32 v6, s6, v6
	v_mul_lo_u32 v6, v6, s4
	v_sub_u32_e32 v6, v5, v6
	v_mad_u64_u32 v[4:5], s[4:5], v6, s2, v[4:5]
	v_mad_u64_u32 v[15:16], s[2:3], v6, s3, v[15:16]
.LBB37_86:
	s_and_b64 vcc, exec, s[0:1]
	v_add_u32_e32 v8, 0x280, v7
	s_cbranch_vccnz .LBB37_92
; %bb.87:
	s_cmp_lg_u32 s33, 0
	s_waitcnt lgkmcnt(0)
	s_mov_b32 s26, 0
	s_cbranch_scc0 .LBB37_93
; %bb.88:
	s_min_u32 s27, s54, 15
	s_add_i32 s27, s27, 1
	s_cmp_eq_u32 s54, 2
	s_cbranch_scc1 .LBB37_94
; %bb.89:
	s_and_b32 s26, s27, 28
	s_add_u32 s2, s34, 0xc4
	s_addc_u32 s3, s35, 0
	v_mov_b32_e32 v13, 0
	s_mov_b32 s28, 0
	s_mov_b64 s[24:25], s[34:35]
	v_mov_b32_e32 v5, 0
	v_mov_b32_e32 v6, v8
.LBB37_90:                              ; =>This Inner Loop Header: Depth=1
	s_load_dwordx8 s[12:19], s[24:25], 0x4
	s_load_dwordx4 s[20:23], s[24:25], 0x24
	s_load_dwordx8 s[4:11], s[2:3], 0x0
	s_add_u32 s24, s24, 48
	s_addc_u32 s25, s25, 0
	s_waitcnt lgkmcnt(0)
	v_mul_hi_u32 v9, s13, v6
	s_add_i32 s28, s28, 4
	s_add_u32 s2, s2, 32
	s_addc_u32 s3, s3, 0
	v_add_u32_e32 v9, v6, v9
	v_lshrrev_b32_e32 v9, s14, v9
	v_mul_lo_u32 v10, v9, s12
	v_mul_hi_u32 v11, s16, v9
	s_cmp_lg_u32 s26, s28
	v_sub_u32_e32 v6, v6, v10
	v_add_u32_e32 v10, v9, v11
	v_mul_lo_u32 v11, v6, s4
	v_mul_lo_u32 v12, v6, s5
	v_lshrrev_b32_e32 v6, s17, v10
	v_mul_lo_u32 v10, v6, s15
	v_mul_hi_u32 v14, s19, v6
	v_sub_u32_e32 v9, v9, v10
	v_add_u32_e32 v10, v6, v14
	v_lshrrev_b32_e32 v10, s20, v10
	v_mul_hi_u32 v16, s22, v10
	v_mul_lo_u32 v18, v10, s18
	v_mul_lo_u32 v14, v9, s6
	;; [unrolled: 1-line block ×3, first 2 shown]
	v_sub_u32_e32 v18, v6, v18
	v_add_u32_e32 v6, v10, v16
	v_lshrrev_b32_e32 v6, s23, v6
	v_mul_lo_u32 v16, v6, s21
	v_mul_lo_u32 v20, v18, s8
	;; [unrolled: 1-line block ×3, first 2 shown]
	v_add3_u32 v5, v11, v5, v14
	v_sub_u32_e32 v10, v10, v16
	v_mul_lo_u32 v16, v10, s10
	v_mul_lo_u32 v10, v10, s11
	v_add3_u32 v9, v12, v13, v9
	v_add3_u32 v5, v20, v5, v16
	;; [unrolled: 1-line block ×3, first 2 shown]
	s_cbranch_scc1 .LBB37_90
; %bb.91:
	s_and_b32 s6, s27, 3
	s_cmp_eq_u32 s6, 0
	s_cbranch_scc0 .LBB37_95
	s_branch .LBB37_97
.LBB37_92:
                                        ; implicit-def: $vgpr5
                                        ; implicit-def: $vgpr13
	s_branch .LBB37_98
.LBB37_93:
	v_mov_b32_e32 v5, 0
	v_mov_b32_e32 v13, 0
	s_branch .LBB37_97
.LBB37_94:
	v_mov_b32_e32 v5, 0
	v_mov_b32_e32 v13, 0
	;; [unrolled: 1-line block ×3, first 2 shown]
	s_and_b32 s6, s27, 3
	s_cmp_eq_u32 s6, 0
	s_cbranch_scc1 .LBB37_97
.LBB37_95:
	s_lshl_b32 s2, s26, 3
	s_add_u32 s2, s34, s2
	s_addc_u32 s3, s35, 0
	s_add_u32 s2, s2, 0xc4
	s_addc_u32 s3, s3, 0
	s_mul_i32 s4, s26, 12
	s_add_u32 s4, s34, s4
	s_addc_u32 s5, s35, 0
.LBB37_96:                              ; =>This Inner Loop Header: Depth=1
	s_load_dwordx2 s[8:9], s[4:5], 0x4
	s_load_dword s7, s[4:5], 0xc
	s_load_dwordx2 s[10:11], s[2:3], 0x0
	s_add_u32 s4, s4, 12
	s_addc_u32 s5, s5, 0
	s_waitcnt lgkmcnt(0)
	v_mul_hi_u32 v9, s9, v6
	s_add_u32 s2, s2, 8
	s_addc_u32 s3, s3, 0
	s_add_i32 s6, s6, -1
	v_add_u32_e32 v9, v6, v9
	v_lshrrev_b32_e32 v9, s7, v9
	v_mul_lo_u32 v10, v9, s8
	s_cmp_lg_u32 s6, 0
	v_sub_u32_e32 v10, v6, v10
	v_mad_u64_u32 v[5:6], s[8:9], v10, s10, v[5:6]
	v_mad_u64_u32 v[13:14], s[8:9], v10, s11, v[13:14]
	v_mov_b32_e32 v6, v9
	s_cbranch_scc1 .LBB37_96
.LBB37_97:
	s_cbranch_execnz .LBB37_100
.LBB37_98:
	s_load_dwordx4 s[4:7], s[34:35], 0x4
	s_load_dwordx2 s[2:3], s[34:35], 0xc4
	s_cmp_lt_u32 s33, 2
	s_waitcnt lgkmcnt(0)
	v_mul_hi_u32 v5, s5, v8
	v_add_u32_e32 v5, v8, v5
	v_lshrrev_b32_e32 v6, s6, v5
	v_mul_lo_u32 v5, v6, s4
	v_sub_u32_e32 v8, v8, v5
	v_mul_lo_u32 v5, v8, s2
	v_mul_lo_u32 v13, v8, s3
	s_cbranch_scc1 .LBB37_100
; %bb.99:
	s_load_dwordx4 s[4:7], s[34:35], 0x10
	s_load_dwordx2 s[2:3], s[34:35], 0xcc
	s_waitcnt lgkmcnt(0)
	v_mul_hi_u32 v8, s5, v6
	v_add_u32_e32 v8, v6, v8
	v_lshrrev_b32_e32 v8, s6, v8
	v_mul_lo_u32 v8, v8, s4
	v_sub_u32_e32 v8, v6, v8
	v_mad_u64_u32 v[5:6], s[4:5], v8, s2, v[5:6]
	v_mad_u64_u32 v[13:14], s[2:3], v8, s3, v[13:14]
.LBB37_100:
	s_and_b64 vcc, exec, s[0:1]
	v_add_u32_e32 v8, 0x300, v7
	s_cbranch_vccnz .LBB37_106
; %bb.101:
	s_cmp_lg_u32 s33, 0
	s_waitcnt lgkmcnt(0)
	s_mov_b32 s26, 0
	s_cbranch_scc0 .LBB37_107
; %bb.102:
	s_min_u32 s27, s54, 15
	s_add_i32 s27, s27, 1
	s_cmp_eq_u32 s54, 2
	s_cbranch_scc1 .LBB37_108
; %bb.103:
	s_and_b32 s26, s27, 28
	s_add_u32 s2, s34, 0xc4
	s_addc_u32 s3, s35, 0
	v_mov_b32_e32 v11, 0
	s_mov_b32 s28, 0
	s_mov_b64 s[24:25], s[34:35]
	v_mov_b32_e32 v6, 0
	v_mov_b32_e32 v7, v8
.LBB37_104:                             ; =>This Inner Loop Header: Depth=1
	s_load_dwordx8 s[12:19], s[24:25], 0x4
	s_load_dwordx4 s[20:23], s[24:25], 0x24
	s_load_dwordx8 s[4:11], s[2:3], 0x0
	s_add_u32 s24, s24, 48
	s_addc_u32 s25, s25, 0
	s_waitcnt lgkmcnt(0)
	v_mul_hi_u32 v9, s13, v7
	s_add_i32 s28, s28, 4
	s_add_u32 s2, s2, 32
	s_addc_u32 s3, s3, 0
	v_add_u32_e32 v9, v7, v9
	v_lshrrev_b32_e32 v9, s14, v9
	v_mul_lo_u32 v10, v9, s12
	v_mul_hi_u32 v12, s16, v9
	s_cmp_lg_u32 s26, s28
	v_sub_u32_e32 v7, v7, v10
	v_add_u32_e32 v10, v9, v12
	v_mul_lo_u32 v12, v7, s4
	v_mul_lo_u32 v14, v7, s5
	v_lshrrev_b32_e32 v7, s17, v10
	v_mul_lo_u32 v10, v7, s15
	v_mul_hi_u32 v16, s19, v7
	v_sub_u32_e32 v9, v9, v10
	v_add_u32_e32 v10, v7, v16
	v_lshrrev_b32_e32 v10, s20, v10
	v_mul_hi_u32 v18, s22, v10
	v_mul_lo_u32 v20, v10, s18
	v_mul_lo_u32 v16, v9, s6
	;; [unrolled: 1-line block ×3, first 2 shown]
	v_sub_u32_e32 v20, v7, v20
	v_add_u32_e32 v7, v10, v18
	v_lshrrev_b32_e32 v7, s23, v7
	v_mul_lo_u32 v18, v7, s21
	v_mul_lo_u32 v22, v20, s8
	;; [unrolled: 1-line block ×3, first 2 shown]
	v_add3_u32 v6, v12, v6, v16
	v_sub_u32_e32 v10, v10, v18
	v_mul_lo_u32 v18, v10, s10
	v_mul_lo_u32 v10, v10, s11
	v_add3_u32 v9, v14, v11, v9
	v_add3_u32 v6, v22, v6, v18
	v_add3_u32 v11, v20, v9, v10
	s_cbranch_scc1 .LBB37_104
; %bb.105:
	s_and_b32 s6, s27, 3
	s_cmp_eq_u32 s6, 0
	s_cbranch_scc0 .LBB37_109
	s_branch .LBB37_111
.LBB37_106:
                                        ; implicit-def: $vgpr6
                                        ; implicit-def: $vgpr11
	s_branch .LBB37_112
.LBB37_107:
	v_mov_b32_e32 v6, 0
	v_mov_b32_e32 v11, 0
	s_branch .LBB37_111
.LBB37_108:
	v_mov_b32_e32 v6, 0
	v_mov_b32_e32 v11, 0
	;; [unrolled: 1-line block ×3, first 2 shown]
	s_and_b32 s6, s27, 3
	s_cmp_eq_u32 s6, 0
	s_cbranch_scc1 .LBB37_111
.LBB37_109:
	s_lshl_b32 s2, s26, 3
	s_add_u32 s2, s34, s2
	s_addc_u32 s3, s35, 0
	s_add_u32 s2, s2, 0xc4
	s_addc_u32 s3, s3, 0
	s_mul_i32 s4, s26, 12
	s_add_u32 s4, s34, s4
	s_addc_u32 s5, s35, 0
.LBB37_110:                             ; =>This Inner Loop Header: Depth=1
	s_load_dwordx2 s[8:9], s[4:5], 0x4
	s_load_dword s7, s[4:5], 0xc
	s_load_dwordx2 s[10:11], s[2:3], 0x0
	s_add_u32 s4, s4, 12
	s_addc_u32 s5, s5, 0
	s_waitcnt lgkmcnt(0)
	v_mul_hi_u32 v9, s9, v7
	s_add_u32 s2, s2, 8
	s_addc_u32 s3, s3, 0
	s_add_i32 s6, s6, -1
	v_add_u32_e32 v9, v7, v9
	v_lshrrev_b32_e32 v9, s7, v9
	v_mul_lo_u32 v10, v9, s8
	s_cmp_lg_u32 s6, 0
	v_sub_u32_e32 v10, v7, v10
	v_mad_u64_u32 v[6:7], s[8:9], v10, s10, v[6:7]
	v_mad_u64_u32 v[11:12], s[8:9], v10, s11, v[11:12]
	v_mov_b32_e32 v7, v9
	s_cbranch_scc1 .LBB37_110
.LBB37_111:
	s_cbranch_execnz .LBB37_114
.LBB37_112:
	s_load_dwordx4 s[4:7], s[34:35], 0x4
	s_load_dwordx2 s[2:3], s[34:35], 0xc4
	s_cmp_lt_u32 s33, 2
	s_waitcnt lgkmcnt(0)
	v_mul_hi_u32 v6, s5, v8
	v_add_u32_e32 v6, v8, v6
	v_lshrrev_b32_e32 v7, s6, v6
	v_mul_lo_u32 v6, v7, s4
	v_sub_u32_e32 v8, v8, v6
	v_mul_lo_u32 v6, v8, s2
	v_mul_lo_u32 v11, v8, s3
	s_cbranch_scc1 .LBB37_114
; %bb.113:
	s_load_dwordx4 s[4:7], s[34:35], 0x10
	s_load_dwordx2 s[2:3], s[34:35], 0xcc
	s_waitcnt lgkmcnt(0)
	v_mul_hi_u32 v8, s5, v7
	v_add_u32_e32 v8, v7, v8
	v_lshrrev_b32_e32 v8, s6, v8
	v_mul_lo_u32 v8, v8, s4
	v_sub_u32_e32 v8, v7, v8
	v_mad_u64_u32 v[6:7], s[4:5], v8, s2, v[6:7]
	v_mad_u64_u32 v[11:12], s[2:3], v8, s3, v[11:12]
.LBB37_114:
	s_and_b64 vcc, exec, s[0:1]
	s_cbranch_vccnz .LBB37_120
; %bb.115:
	s_cmp_lg_u32 s33, 0
	s_waitcnt lgkmcnt(0)
	s_mov_b32 s24, 0
	s_cbranch_scc0 .LBB37_121
; %bb.116:
	s_min_u32 s25, s54, 15
	s_add_i32 s25, s25, 1
	s_cmp_eq_u32 s54, 2
	s_cbranch_scc1 .LBB37_122
; %bb.117:
	s_and_b32 s24, s25, 28
	s_add_u32 s20, s34, 0xc4
	s_addc_u32 s21, s35, 0
	v_mov_b32_e32 v9, 0
	s_mov_b32 s26, 0
	s_mov_b64 s[22:23], s[34:35]
	v_mov_b32_e32 v7, 0
	v_mov_b32_e32 v8, v25
.LBB37_118:                             ; =>This Inner Loop Header: Depth=1
	s_load_dwordx8 s[8:15], s[22:23], 0x4
	s_load_dwordx4 s[16:19], s[22:23], 0x24
	s_load_dwordx8 s[0:7], s[20:21], 0x0
	s_add_u32 s22, s22, 48
	s_addc_u32 s23, s23, 0
	s_waitcnt lgkmcnt(0)
	v_mul_hi_u32 v10, s9, v8
	s_add_i32 s26, s26, 4
	s_add_u32 s20, s20, 32
	s_addc_u32 s21, s21, 0
	v_add_u32_e32 v10, v8, v10
	v_lshrrev_b32_e32 v10, s10, v10
	v_mul_lo_u32 v12, v10, s8
	v_mul_hi_u32 v14, s12, v10
	s_cmp_lg_u32 s24, s26
	v_sub_u32_e32 v8, v8, v12
	v_add_u32_e32 v12, v10, v14
	v_mul_lo_u32 v14, v8, s0
	v_mul_lo_u32 v16, v8, s1
	v_lshrrev_b32_e32 v8, s13, v12
	v_mul_lo_u32 v12, v8, s11
	v_mul_hi_u32 v18, s15, v8
	v_sub_u32_e32 v10, v10, v12
	v_add_u32_e32 v12, v8, v18
	v_lshrrev_b32_e32 v12, s16, v12
	v_mul_hi_u32 v20, s18, v12
	v_mul_lo_u32 v22, v12, s14
	v_mul_lo_u32 v18, v10, s2
	;; [unrolled: 1-line block ×3, first 2 shown]
	v_sub_u32_e32 v22, v8, v22
	v_add_u32_e32 v8, v12, v20
	v_lshrrev_b32_e32 v8, s19, v8
	v_mul_lo_u32 v20, v8, s17
	v_mul_lo_u32 v24, v22, s4
	;; [unrolled: 1-line block ×3, first 2 shown]
	v_add3_u32 v7, v14, v7, v18
	v_sub_u32_e32 v12, v12, v20
	v_mul_lo_u32 v20, v12, s6
	v_mul_lo_u32 v12, v12, s7
	v_add3_u32 v9, v16, v9, v10
	v_add3_u32 v7, v24, v7, v20
	;; [unrolled: 1-line block ×3, first 2 shown]
	s_cbranch_scc1 .LBB37_118
; %bb.119:
	s_and_b32 s4, s25, 3
	s_cmp_eq_u32 s4, 0
	s_cbranch_scc0 .LBB37_123
	s_branch .LBB37_125
.LBB37_120:
                                        ; implicit-def: $vgpr7
                                        ; implicit-def: $vgpr9
	s_branch .LBB37_126
.LBB37_121:
	v_mov_b32_e32 v7, 0
	v_mov_b32_e32 v9, 0
	s_branch .LBB37_125
.LBB37_122:
	v_mov_b32_e32 v7, 0
	v_mov_b32_e32 v9, 0
	;; [unrolled: 1-line block ×3, first 2 shown]
	s_and_b32 s4, s25, 3
	s_cmp_eq_u32 s4, 0
	s_cbranch_scc1 .LBB37_125
.LBB37_123:
	s_lshl_b32 s0, s24, 3
	s_add_u32 s0, s34, s0
	s_addc_u32 s1, s35, 0
	s_add_u32 s0, s0, 0xc4
	s_addc_u32 s1, s1, 0
	s_mul_i32 s2, s24, 12
	s_add_u32 s2, s34, s2
	s_addc_u32 s3, s35, 0
.LBB37_124:                             ; =>This Inner Loop Header: Depth=1
	s_load_dwordx2 s[6:7], s[2:3], 0x4
	s_load_dword s5, s[2:3], 0xc
	s_load_dwordx2 s[8:9], s[0:1], 0x0
	s_add_u32 s2, s2, 12
	s_addc_u32 s3, s3, 0
	s_waitcnt lgkmcnt(0)
	v_mul_hi_u32 v10, s7, v8
	s_add_u32 s0, s0, 8
	s_addc_u32 s1, s1, 0
	s_add_i32 s4, s4, -1
	v_add_u32_e32 v10, v8, v10
	v_lshrrev_b32_e32 v12, s5, v10
	v_mul_lo_u32 v10, v12, s6
	s_cmp_lg_u32 s4, 0
	v_sub_u32_e32 v10, v8, v10
	v_mad_u64_u32 v[7:8], s[6:7], v10, s8, v[7:8]
	v_mad_u64_u32 v[9:10], s[6:7], v10, s9, v[9:10]
	v_mov_b32_e32 v8, v12
	s_cbranch_scc1 .LBB37_124
.LBB37_125:
	s_cbranch_execnz .LBB37_128
.LBB37_126:
	s_load_dwordx4 s[0:3], s[34:35], 0x4
	s_load_dwordx2 s[4:5], s[34:35], 0xc4
	s_cmp_lt_u32 s33, 2
	s_waitcnt lgkmcnt(0)
	v_mul_hi_u32 v7, s1, v25
	v_add_u32_e32 v7, v25, v7
	v_lshrrev_b32_e32 v8, s2, v7
	v_mul_lo_u32 v7, v8, s0
	v_sub_u32_e32 v9, v25, v7
	v_mul_lo_u32 v7, v9, s4
	v_mul_lo_u32 v9, v9, s5
	s_cbranch_scc1 .LBB37_128
; %bb.127:
	s_load_dwordx4 s[0:3], s[34:35], 0x10
	s_load_dwordx2 s[4:5], s[34:35], 0xcc
	s_waitcnt lgkmcnt(0)
	v_mul_hi_u32 v10, s1, v8
	v_add_u32_e32 v10, v8, v10
	v_lshrrev_b32_e32 v10, s2, v10
	v_mul_lo_u32 v10, v10, s0
	v_sub_u32_e32 v10, v8, v10
	v_mad_u64_u32 v[7:8], s[0:1], v10, s4, v[7:8]
	v_mad_u64_u32 v[9:10], s[0:1], v10, s5, v[9:10]
.LBB37_128:
	s_load_dwordx4 s[4:7], s[34:35], 0x148
                                        ; implicit-def: $vgpr26
	s_waitcnt lgkmcnt(0)
	global_load_ushort v8, v23, s[6:7]
	s_waitcnt vmcnt(0)
	v_lshlrev_b32_e32 v8, 16, v8
	v_cmp_neq_f32_e32 vcc, 0, v8
	s_and_saveexec_b64 s[0:1], vcc
	s_xor_b64 s[2:3], exec, s[0:1]
	s_cbranch_execz .LBB37_150
; %bb.129:
	v_mov_b32_e32 v10, 0
	v_cmp_gt_f32_e32 vcc, 0, v8
	s_mov_b64 s[10:11], -1
	s_and_saveexec_b64 s[8:9], vcc
	s_cbranch_execz .LBB37_137
; %bb.130:
	v_trunc_f32_e32 v10, v8
	v_cmp_neq_f32_e32 vcc, v10, v8
	s_mov_b64 s[12:13], 0
	v_mov_b32_e32 v10, 0
	s_and_saveexec_b64 s[10:11], vcc
	s_cbranch_execz .LBB37_136
; %bb.131:
	v_cvt_f64_f32_e32 v[22:23], v8
	s_mov_b32 s0, 0
	s_mov_b32 s13, 0xc00921fb
	;; [unrolled: 1-line block ×3, first 2 shown]
	v_trunc_f64_e32 v[24:25], v[22:23]
	s_mov_b32 s1, 0x7ff00000
	v_cmp_neq_f64_e64 vcc, |v[22:23]|, s[0:1]
	v_bfrev_b32_e32 v10, 1
	s_mov_b32 s14, 0
	s_mov_b32 s15, 0x41d00000
                                        ; implicit-def: $vgpr26_vgpr27
	v_add_f64 v[24:25], v[22:23], -v[24:25]
	v_mul_f64 v[24:25], |v[24:25]|, s[12:13]
	v_cndmask_b32_e32 v23, v10, v25, vcc
	v_cndmask_b32_e32 v22, 0, v24, vcc
	v_cmp_nlt_f64_e64 s[14:15], |v[22:23]|, s[14:15]
                                        ; implicit-def: $vgpr10
                                        ; implicit-def: $vgpr24_vgpr25
	s_and_saveexec_b64 s[16:17], s[14:15]
	s_xor_b64 s[14:15], exec, s[16:17]
	s_cbranch_execz .LBB37_133
; %bb.132:
	v_trig_preop_f64 v[24:25], |v[22:23]|, 0
	s_mov_b32 s16, 0
	s_mov_b32 s17, 0x7b000000
	s_movk_i32 s13, 0xff80
	v_ldexp_f64 v[28:29], |v[22:23]|, s13
	v_cmp_ge_f64_e64 vcc, |v[22:23]|, s[16:17]
	v_trig_preop_f64 v[26:27], |v[22:23]|, 1
	v_and_b32_e32 v10, 0x7fffffff, v23
	v_trig_preop_f64 v[36:37], |v[22:23]|, 2
	v_mov_b32_e32 v46, 0
	v_mov_b32_e32 v12, 0x3ff00000
	s_mov_b32 s13, 0x3ff921fb
	v_cndmask_b32_e32 v29, v10, v29, vcc
	v_cndmask_b32_e32 v28, v22, v28, vcc
	v_mov_b32_e32 v10, 0x40100000
	v_mul_f64 v[30:31], v[24:25], v[28:29]
	v_mul_f64 v[32:33], v[26:27], v[28:29]
	;; [unrolled: 1-line block ×3, first 2 shown]
	v_fma_f64 v[24:25], v[24:25], v[28:29], -v[30:31]
	v_fma_f64 v[26:27], v[26:27], v[28:29], -v[32:33]
	;; [unrolled: 1-line block ×3, first 2 shown]
	v_add_f64 v[34:35], v[32:33], v[24:25]
	v_add_f64 v[38:39], v[34:35], -v[32:33]
	v_add_f64 v[44:45], v[30:31], v[34:35]
	v_add_f64 v[40:41], v[34:35], -v[38:39]
	v_add_f64 v[24:25], v[24:25], -v[38:39]
	v_add_f64 v[38:39], v[42:43], v[26:27]
	v_add_f64 v[30:31], v[44:45], -v[30:31]
	v_add_f64 v[32:33], v[32:33], -v[40:41]
	v_ldexp_f64 v[40:41], v[44:45], -2
	v_add_f64 v[48:49], v[38:39], -v[42:43]
	v_add_f64 v[30:31], v[34:35], -v[30:31]
	v_add_f64 v[24:25], v[24:25], v[32:33]
	v_fract_f64_e32 v[32:33], v[40:41]
	v_cmp_neq_f64_e64 vcc, |v[40:41]|, s[0:1]
	v_add_f64 v[26:27], v[26:27], -v[48:49]
	v_add_f64 v[34:35], v[38:39], v[24:25]
	v_ldexp_f64 v[32:33], v[32:33], 2
	v_add_f64 v[40:41], v[30:31], v[34:35]
	v_cndmask_b32_e32 v33, 0, v33, vcc
	v_cndmask_b32_e32 v32, 0, v32, vcc
	v_add_f64 v[50:51], v[34:35], -v[38:39]
	v_add_f64 v[44:45], v[40:41], v[32:33]
	v_add_f64 v[30:31], v[40:41], -v[30:31]
	v_add_f64 v[52:53], v[34:35], -v[50:51]
	v_add_f64 v[24:25], v[24:25], -v[50:51]
	v_cmp_gt_f64_e32 vcc, 0, v[44:45]
	v_add_f64 v[44:45], v[38:39], -v[48:49]
	v_add_f64 v[30:31], v[34:35], -v[30:31]
	;; [unrolled: 1-line block ×3, first 2 shown]
	v_cndmask_b32_e32 v47, 0, v10, vcc
	v_add_f64 v[32:33], v[32:33], v[46:47]
	v_add_f64 v[44:45], v[42:43], -v[44:45]
	v_add_f64 v[24:25], v[24:25], v[38:39]
	v_add_f64 v[54:55], v[40:41], v[32:33]
	;; [unrolled: 1-line block ×3, first 2 shown]
	v_cvt_i32_f64_e32 v10, v[54:55]
	v_add_f64 v[24:25], v[26:27], v[24:25]
	v_cvt_f64_i32_e32 v[47:48], v10
	v_add_f64 v[32:33], v[32:33], -v[47:48]
	v_add_f64 v[24:25], v[28:29], v[24:25]
	v_add_f64 v[26:27], v[40:41], v[32:33]
	;; [unrolled: 1-line block ×3, first 2 shown]
	v_add_f64 v[28:29], v[26:27], -v[32:33]
	v_cmp_le_f64_e32 vcc, 0.5, v[26:27]
	v_add_f64 v[28:29], v[40:41], -v[28:29]
	v_cndmask_b32_e32 v47, 0, v12, vcc
	v_add_f64 v[26:27], v[26:27], -v[46:47]
	v_addc_co_u32_e64 v10, s[0:1], 0, v10, vcc
	s_mov_b32 s0, 0x33145c07
	s_mov_b32 s1, 0x3c91a626
	v_add_f64 v[24:25], v[24:25], v[28:29]
	v_add_f64 v[28:29], v[26:27], v[24:25]
	v_mul_f64 v[30:31], v[28:29], s[12:13]
	v_add_f64 v[26:27], v[28:29], -v[26:27]
	v_fma_f64 v[32:33], v[28:29], s[12:13], -v[30:31]
	v_add_f64 v[24:25], v[24:25], -v[26:27]
	v_fma_f64 v[26:27], v[28:29], s[0:1], v[32:33]
	v_fma_f64 v[26:27], v[24:25], s[12:13], v[26:27]
	v_add_f64 v[24:25], v[30:31], v[26:27]
	v_add_f64 v[28:29], v[24:25], -v[30:31]
	v_add_f64 v[26:27], v[26:27], -v[28:29]
.LBB37_133:
	s_andn2_saveexec_b64 s[0:1], s[14:15]
	s_cbranch_execz .LBB37_135
; %bb.134:
	s_mov_b32 s12, 0x6dc9c883
	s_mov_b32 s13, 0x3fe45f30
	v_mul_f64 v[24:25], |v[22:23]|, s[12:13]
	s_mov_b32 s12, 0x54442d18
	s_mov_b32 s13, 0xbff921fb
	;; [unrolled: 1-line block ×4, first 2 shown]
	v_rndne_f64_e32 v[28:29], v[24:25]
	v_fma_f64 v[24:25], v[28:29], s[12:13], |v[22:23]|
	v_mul_f64 v[26:27], v[28:29], s[14:15]
	s_mov_b32 s12, 0x252049c0
	s_mov_b32 s13, 0xb97b839a
	v_cvt_i32_f64_e32 v10, v[28:29]
	v_fma_f64 v[34:35], v[28:29], s[14:15], v[24:25]
	v_add_f64 v[30:31], v[24:25], v[26:27]
	s_mov_b32 s15, 0x3c91a626
	v_add_f64 v[32:33], v[24:25], -v[30:31]
	v_add_f64 v[30:31], v[30:31], -v[34:35]
	v_add_f64 v[24:25], v[32:33], v[26:27]
	v_fma_f64 v[26:27], v[28:29], s[14:15], v[26:27]
	v_add_f64 v[24:25], v[30:31], v[24:25]
	v_add_f64 v[24:25], v[24:25], -v[26:27]
	v_fma_f64 v[26:27], v[28:29], s[12:13], v[24:25]
	v_add_f64 v[24:25], v[34:35], v[26:27]
	v_add_f64 v[30:31], v[24:25], -v[34:35]
	v_add_f64 v[26:27], v[26:27], -v[30:31]
.LBB37_135:
	s_or_b64 exec, exec, s[0:1]
	v_mul_f64 v[28:29], v[24:25], v[24:25]
	v_add_f64 v[30:31], v[26:27], v[26:27]
	s_mov_b32 s0, 0xc751c08c
	s_mov_b32 s1, 0x3ef5e089
	v_and_b32_e32 v10, 1, v10
	v_cmp_eq_u32_e32 vcc, 0, v10
	v_and_b32_e32 v12, 0x80000000, v23
	v_mov_b32_e32 v14, 0x7ff80000
	v_fma_f64 v[32:33], v[24:25], v[24:25], -v[28:29]
	s_mov_b32 s14, 0x54442d18
	s_mov_b32 s15, 0xc00921fb
	s_mov_b64 s[12:13], exec
	v_sub_f32_e32 v8, 1.0, v8
	v_fma_f64 v[30:31], v[24:25], v[30:31], v[32:33]
	v_add_f64 v[28:29], v[28:29], v[30:31]
	v_mov_b32_e32 v30, 0xa9a29f71
	v_mov_b32_e32 v31, 0xbf078809
	v_fma_f64 v[30:31], v[28:29], s[0:1], v[30:31]
	s_mov_b32 s0, 0x90a8aae0
	s_mov_b32 s1, 0x3f17746f
	v_fma_f64 v[30:31], v[28:29], v[30:31], s[0:1]
	s_mov_b32 s0, 0xa6fbf144
	s_mov_b32 s1, 0xbefbb44d
	;; [unrolled: 3-line block ×12, first 2 shown]
	v_fma_f64 v[30:31], v[28:29], v[30:31], s[0:1]
	s_movk_i32 s0, 0x1f8
	v_cmp_class_f64_e64 s[0:1], v[22:23], s0
	v_mul_f64 v[28:29], v[28:29], v[30:31]
	v_mul_f64 v[30:31], v[24:25], v[28:29]
	v_add_f64 v[32:33], v[24:25], v[30:31]
	v_fma_f64 v[28:29], v[24:25], v[28:29], -v[30:31]
	v_add_f64 v[24:25], v[32:33], -v[24:25]
	v_add_f64 v[26:27], v[26:27], v[28:29]
	v_add_f64 v[24:25], v[30:31], -v[24:25]
	v_add_f64 v[24:25], v[26:27], v[24:25]
	v_add_f64 v[26:27], v[32:33], v[24:25]
	v_rcp_f64_e32 v[28:29], v[26:27]
	v_fma_f64 v[30:31], -v[26:27], v[28:29], 1.0
	v_fma_f64 v[28:29], v[30:31], v[28:29], v[28:29]
	v_fma_f64 v[30:31], -v[26:27], v[28:29], 1.0
	v_fma_f64 v[28:29], v[30:31], v[28:29], v[28:29]
	v_add_f64 v[30:31], v[26:27], -v[32:33]
	v_mul_f64 v[32:33], v[26:27], v[28:29]
	v_add_f64 v[24:25], v[24:25], -v[30:31]
	v_fma_f64 v[30:31], v[28:29], v[26:27], -v[32:33]
	v_fma_f64 v[24:25], v[28:29], v[24:25], v[30:31]
	v_add_f64 v[30:31], v[32:33], v[24:25]
	v_add_f64 v[34:35], -v[30:31], 1.0
	v_add_f64 v[32:33], v[30:31], -v[32:33]
	v_add_f64 v[36:37], -v[34:35], 1.0
	v_add_f64 v[24:25], v[32:33], -v[24:25]
	v_add_f64 v[30:31], v[36:37], -v[30:31]
	v_add_f64 v[24:25], v[24:25], v[30:31]
	v_add_f64 v[24:25], v[34:35], v[24:25]
	v_mul_f64 v[24:25], v[28:29], v[24:25]
	v_add_f64 v[24:25], v[28:29], v[24:25]
	v_xor_b32_e32 v16, 0x80000000, v25
	v_cndmask_b32_e32 v10, v24, v26, vcc
	v_cndmask_b32_e32 v16, v16, v27, vcc
	v_cndmask_b32_e64 v22, 0, v10, s[0:1]
	v_xor_b32_e32 v10, v16, v12
	v_cndmask_b32_e64 v23, v14, v10, s[0:1]
	v_div_scale_f64 v[24:25], s[0:1], v[22:23], v[22:23], s[14:15]
	v_div_scale_f64 v[30:31], vcc, s[14:15], v[22:23], s[14:15]
	v_rcp_f64_e32 v[26:27], v[24:25]
	v_fma_f64 v[28:29], -v[24:25], v[26:27], 1.0
	v_fma_f64 v[26:27], v[26:27], v[28:29], v[26:27]
	v_fma_f64 v[28:29], -v[24:25], v[26:27], 1.0
	v_fma_f64 v[26:27], v[26:27], v[28:29], v[26:27]
	v_mul_f64 v[28:29], v[30:31], v[26:27]
	v_fma_f64 v[24:25], -v[24:25], v[28:29], v[30:31]
	v_div_fmas_f64 v[24:25], v[24:25], v[26:27], v[28:29]
	v_div_fixup_f64 v[22:23], v[24:25], v[22:23], s[14:15]
	v_cvt_f32_f64_e32 v10, v[22:23]
.LBB37_136:
	s_or_b64 exec, exec, s[10:11]
	s_orn2_b64 s[10:11], s[12:13], exec
.LBB37_137:
	s_or_b64 exec, exec, s[8:9]
	v_mov_b32_e32 v26, 0x7fc0
	s_and_saveexec_b64 s[0:1], s[10:11]
	s_cbranch_execz .LBB37_149
; %bb.138:
	s_mov_b32 s12, 0x41200000
	v_cmp_gt_f32_e32 vcc, s12, v8
	s_and_saveexec_b64 s[8:9], vcc
	s_cbranch_execz .LBB37_142
; %bb.139:
	s_mov_b64 s[10:11], 0
.LBB37_140:                             ; =>This Inner Loop Header: Depth=1
	v_div_scale_f32 v12, s[14:15], v8, v8, 1.0
	v_div_scale_f32 v14, vcc, 1.0, v8, 1.0
	v_rcp_f32_e32 v16, v12
	v_fma_f32 v18, -v12, v16, 1.0
	v_fmac_f32_e32 v16, v18, v16
	v_mul_f32_e32 v18, v14, v16
	v_fma_f32 v20, -v12, v18, v14
	v_fmac_f32_e32 v18, v20, v16
	v_fma_f32 v12, -v12, v18, v14
	v_div_fmas_f32 v12, v12, v16, v18
	v_div_fixup_f32 v12, v12, v8, 1.0
	v_add_f32_e32 v8, 1.0, v8
	v_cmp_ngt_f32_e32 vcc, s12, v8
	s_or_b64 s[10:11], vcc, s[10:11]
	v_sub_f32_e32 v10, v10, v12
	s_andn2_b64 exec, exec, s[10:11]
	s_cbranch_execnz .LBB37_140
; %bb.141:
	s_or_b64 exec, exec, s[10:11]
.LBB37_142:
	s_or_b64 exec, exec, s[8:9]
	s_mov_b32 s8, 0x41200000
	v_cmp_neq_f32_e32 vcc, s8, v8
                                        ; implicit-def: $vgpr26
	s_and_saveexec_b64 s[8:9], vcc
	s_xor_b64 s[8:9], exec, s[8:9]
	s_cbranch_execz .LBB37_146
; %bb.143:
	v_cvt_f64_f32_e32 v[22:23], v8
	s_mov_b32 s10, 0x85d8a000
	s_mov_b32 s11, 0x43763457
	v_mov_b32_e32 v12, 0
	v_cmp_gt_f64_e32 vcc, s[10:11], v[22:23]
	s_and_saveexec_b64 s[10:11], vcc
	s_cbranch_execz .LBB37_145
; %bb.144:
	v_mul_f32_e32 v12, v8, v8
	v_div_scale_f32 v14, s[12:13], v12, v12, 1.0
	v_div_scale_f32 v16, vcc, 1.0, v12, 1.0
	v_mov_b32_e32 v23, 0x3b820821
	v_rcp_f32_e32 v18, v14
	v_fma_f32 v20, -v14, v18, 1.0
	v_fmac_f32_e32 v18, v20, v18
	v_mul_f32_e32 v20, v16, v18
	v_fma_f32 v22, -v14, v20, v16
	v_fmac_f32_e32 v20, v22, v18
	v_fma_f32 v14, -v14, v20, v16
	v_div_fmas_f32 v14, v14, v18, v20
	v_mov_b32_e32 v16, 0x3daaaaab
	v_mov_b32_e32 v18, 0xbcaccacd
	;; [unrolled: 1-line block ×4, first 2 shown]
	v_div_fixup_f32 v12, v14, v12, 1.0
	v_fma_f32 v14, 0, v12, v16
	v_fmac_f32_e32 v18, v12, v14
	v_fmac_f32_e32 v20, v12, v18
	;; [unrolled: 1-line block ×4, first 2 shown]
	v_mov_b32_e32 v14, 0xbc088889
	v_fmac_f32_e32 v14, v12, v23
	v_fmac_f32_e32 v16, v12, v14
	v_mul_f32_e32 v12, v12, v16
.LBB37_145:
	s_or_b64 exec, exec, s[10:11]
	v_div_scale_f32 v14, s[10:11], v8, v8, -0.5
	v_div_scale_f32 v16, vcc, -0.5, v8, -0.5
	s_mov_b32 s10, 0x800000
	s_mov_b32 s11, 0x3f317217
	;; [unrolled: 1-line block ×3, first 2 shown]
	v_rcp_f32_e32 v18, v14
	v_fma_f32 v20, -v14, v18, 1.0
	v_fmac_f32_e32 v18, v20, v18
	v_mul_f32_e32 v20, v16, v18
	v_fma_f32 v22, -v14, v20, v16
	v_fmac_f32_e32 v20, v22, v18
	v_fma_f32 v14, -v14, v20, v16
	v_div_fmas_f32 v14, v14, v18, v20
	v_cmp_gt_f32_e32 vcc, s10, v8
	v_cndmask_b32_e64 v18, 0, 32, vcc
	v_ldexp_f32 v18, v8, v18
	v_log_f32_e32 v18, v18
	v_mov_b32_e32 v16, 0x41b17218
	v_cndmask_b32_e32 v16, 0, v16, vcc
	s_movk_i32 s10, 0x7fff
	v_mul_f32_e32 v22, 0x3f317217, v18
	v_fma_f32 v22, v18, s11, -v22
	v_fmac_f32_e32 v22, 0x3377d1cf, v18
	v_fmac_f32_e32 v22, 0x3f317217, v18
	v_cmp_lt_f32_e64 vcc, |v18|, s12
	v_cndmask_b32_e32 v18, v18, v22, vcc
	v_sub_f32_e32 v16, v18, v16
	v_mov_b32_e32 v20, 0x7fc0
	v_div_fixup_f32 v8, v14, v8, -0.5
	v_add_f32_e32 v8, v16, v8
	v_sub_f32_e32 v8, v8, v12
	v_add_f32_e32 v8, v10, v8
	v_bfe_u32 v10, v8, 16, 1
	v_cmp_o_f32_e32 vcc, v8, v8
	v_add3_u32 v8, v8, v10, s10
	v_cndmask_b32_sdwa v26, v20, v8, vcc dst_sel:DWORD dst_unused:UNUSED_PAD src0_sel:DWORD src1_sel:WORD_1
                                        ; implicit-def: $vgpr10
.LBB37_146:
	s_andn2_saveexec_b64 s[8:9], s[8:9]
; %bb.147:
	v_add_f32_e32 v8, 0x40101cb7, v10
	v_bfe_u32 v10, v8, 16, 1
	s_movk_i32 s10, 0x7fff
	v_add3_u32 v10, v8, v10, s10
	v_cmp_o_f32_e32 vcc, v8, v8
	v_mov_b32_e32 v8, 0x7fc0
	v_cndmask_b32_sdwa v26, v8, v10, vcc dst_sel:DWORD dst_unused:UNUSED_PAD src0_sel:DWORD src1_sel:WORD_1
; %bb.148:
	s_or_b64 exec, exec, s[8:9]
.LBB37_149:
	s_or_b64 exec, exec, s[0:1]
                                        ; implicit-def: $vgpr8
.LBB37_150:
	s_andn2_saveexec_b64 s[0:1], s[2:3]
; %bb.151:
	v_xor_b32_e32 v8, 0x80000000, v8
	v_and_b32_e32 v8, 0x80000000, v8
	v_or_b32_e32 v8, 0x7f800000, v8
	v_lshrrev_b32_e32 v26, 16, v8
; %bb.152:
	s_or_b64 exec, exec, s[0:1]
	global_load_ushort v8, v21, s[6:7]
                                        ; implicit-def: $vgpr24
	s_waitcnt vmcnt(0)
	v_lshlrev_b32_e32 v8, 16, v8
	v_cmp_neq_f32_e32 vcc, 0, v8
	s_and_saveexec_b64 s[0:1], vcc
	s_xor_b64 s[2:3], exec, s[0:1]
	s_cbranch_execz .LBB37_174
; %bb.153:
	v_mov_b32_e32 v10, 0
	v_cmp_gt_f32_e32 vcc, 0, v8
	s_mov_b64 s[10:11], -1
	s_and_saveexec_b64 s[8:9], vcc
	s_cbranch_execz .LBB37_161
; %bb.154:
	v_trunc_f32_e32 v10, v8
	v_cmp_neq_f32_e32 vcc, v10, v8
	s_mov_b64 s[12:13], 0
	v_mov_b32_e32 v10, 0
	s_and_saveexec_b64 s[10:11], vcc
	s_cbranch_execz .LBB37_160
; %bb.155:
	v_cvt_f64_f32_e32 v[20:21], v8
	s_mov_b32 s14, 0
	s_mov_b32 s1, 0xc00921fb
	;; [unrolled: 1-line block ×3, first 2 shown]
	v_trunc_f64_e32 v[22:23], v[20:21]
	s_mov_b32 s15, 0x7ff00000
	v_cmp_neq_f64_e64 vcc, |v[20:21]|, s[14:15]
	v_bfrev_b32_e32 v10, 1
	s_mov_b32 s12, 0
	s_mov_b32 s13, 0x41d00000
                                        ; implicit-def: $vgpr24_vgpr25
	v_add_f64 v[22:23], v[20:21], -v[22:23]
	v_mul_f64 v[22:23], |v[22:23]|, s[0:1]
	v_cndmask_b32_e32 v21, v10, v23, vcc
	v_cndmask_b32_e32 v20, 0, v22, vcc
	v_cmp_nlt_f64_e64 s[12:13], |v[20:21]|, s[12:13]
                                        ; implicit-def: $vgpr10
                                        ; implicit-def: $vgpr22_vgpr23
	s_and_saveexec_b64 s[16:17], s[12:13]
	s_xor_b64 s[12:13], exec, s[16:17]
	s_cbranch_execz .LBB37_157
; %bb.156:
	v_trig_preop_f64 v[22:23], |v[20:21]|, 0
	s_mov_b32 s16, 0
	s_mov_b32 s17, 0x7b000000
	s_movk_i32 s1, 0xff80
	v_ldexp_f64 v[24:25], |v[20:21]|, s1
	v_cmp_ge_f64_e64 vcc, |v[20:21]|, s[16:17]
	v_trig_preop_f64 v[27:28], |v[20:21]|, 1
	v_and_b32_e32 v10, 0x7fffffff, v21
	v_trig_preop_f64 v[35:36], |v[20:21]|, 2
	v_mov_b32_e32 v45, 0
	v_mov_b32_e32 v12, 0x3ff00000
	s_mov_b32 s1, 0x3ff921fb
	v_cndmask_b32_e32 v25, v10, v25, vcc
	v_cndmask_b32_e32 v24, v20, v24, vcc
	v_mov_b32_e32 v10, 0x40100000
	v_mul_f64 v[29:30], v[22:23], v[24:25]
	v_mul_f64 v[31:32], v[27:28], v[24:25]
	;; [unrolled: 1-line block ×3, first 2 shown]
	v_fma_f64 v[22:23], v[22:23], v[24:25], -v[29:30]
	v_fma_f64 v[27:28], v[27:28], v[24:25], -v[31:32]
	;; [unrolled: 1-line block ×3, first 2 shown]
	v_add_f64 v[33:34], v[31:32], v[22:23]
	v_add_f64 v[37:38], v[33:34], -v[31:32]
	v_add_f64 v[43:44], v[29:30], v[33:34]
	v_add_f64 v[39:40], v[33:34], -v[37:38]
	v_add_f64 v[22:23], v[22:23], -v[37:38]
	v_add_f64 v[37:38], v[41:42], v[27:28]
	v_add_f64 v[29:30], v[43:44], -v[29:30]
	v_add_f64 v[31:32], v[31:32], -v[39:40]
	v_ldexp_f64 v[39:40], v[43:44], -2
	v_add_f64 v[29:30], v[33:34], -v[29:30]
	v_add_f64 v[22:23], v[22:23], v[31:32]
	v_fract_f64_e32 v[31:32], v[39:40]
	v_cmp_neq_f64_e64 vcc, |v[39:40]|, s[14:15]
	s_mov_b32 s14, 0x33145c07
	s_mov_b32 s15, 0x3c91a626
	v_add_f64 v[33:34], v[37:38], v[22:23]
	v_ldexp_f64 v[31:32], v[31:32], 2
	v_add_f64 v[39:40], v[29:30], v[33:34]
	v_cndmask_b32_e32 v32, 0, v32, vcc
	v_cndmask_b32_e32 v31, 0, v31, vcc
	v_add_f64 v[47:48], v[33:34], -v[37:38]
	v_add_f64 v[43:44], v[39:40], v[31:32]
	v_add_f64 v[29:30], v[39:40], -v[29:30]
	v_add_f64 v[51:52], v[33:34], -v[47:48]
	;; [unrolled: 1-line block ×3, first 2 shown]
	v_cmp_gt_f64_e32 vcc, 0, v[43:44]
	v_add_f64 v[43:44], v[37:38], -v[41:42]
	v_add_f64 v[29:30], v[33:34], -v[29:30]
	v_cndmask_b32_e32 v46, 0, v10, vcc
	v_add_f64 v[31:32], v[31:32], v[45:46]
	v_add_f64 v[49:50], v[37:38], -v[43:44]
	v_add_f64 v[27:28], v[27:28], -v[43:44]
	;; [unrolled: 1-line block ×3, first 2 shown]
	v_add_f64 v[53:54], v[39:40], v[31:32]
	v_add_f64 v[43:44], v[41:42], -v[49:50]
	v_add_f64 v[22:23], v[22:23], v[37:38]
	v_cvt_i32_f64_e32 v10, v[53:54]
	v_add_f64 v[27:28], v[27:28], v[43:44]
	v_cvt_f64_i32_e32 v[46:47], v10
	v_add_f64 v[31:32], v[31:32], -v[46:47]
	v_add_f64 v[22:23], v[27:28], v[22:23]
	v_add_f64 v[27:28], v[39:40], v[31:32]
	;; [unrolled: 1-line block ×3, first 2 shown]
	v_add_f64 v[24:25], v[27:28], -v[31:32]
	v_cmp_le_f64_e32 vcc, 0.5, v[27:28]
	v_add_f64 v[22:23], v[29:30], v[22:23]
	v_add_f64 v[24:25], v[39:40], -v[24:25]
	v_cndmask_b32_e32 v46, 0, v12, vcc
	v_addc_co_u32_e32 v10, vcc, 0, v10, vcc
	v_add_f64 v[22:23], v[22:23], v[24:25]
	v_add_f64 v[24:25], v[27:28], -v[45:46]
	v_add_f64 v[27:28], v[24:25], v[22:23]
	v_mul_f64 v[29:30], v[27:28], s[0:1]
	v_add_f64 v[24:25], v[27:28], -v[24:25]
	v_fma_f64 v[31:32], v[27:28], s[0:1], -v[29:30]
	v_add_f64 v[22:23], v[22:23], -v[24:25]
	v_fma_f64 v[24:25], v[27:28], s[14:15], v[31:32]
	v_fma_f64 v[24:25], v[22:23], s[0:1], v[24:25]
	v_add_f64 v[22:23], v[29:30], v[24:25]
	v_add_f64 v[27:28], v[22:23], -v[29:30]
	v_add_f64 v[24:25], v[24:25], -v[27:28]
.LBB37_157:
	s_andn2_saveexec_b64 s[0:1], s[12:13]
	s_cbranch_execz .LBB37_159
; %bb.158:
	s_mov_b32 s12, 0x6dc9c883
	s_mov_b32 s13, 0x3fe45f30
	v_mul_f64 v[22:23], |v[20:21]|, s[12:13]
	s_mov_b32 s12, 0x54442d18
	s_mov_b32 s13, 0xbff921fb
	;; [unrolled: 1-line block ×4, first 2 shown]
	v_rndne_f64_e32 v[27:28], v[22:23]
	v_fma_f64 v[22:23], v[27:28], s[12:13], |v[20:21]|
	v_mul_f64 v[24:25], v[27:28], s[14:15]
	s_mov_b32 s12, 0x252049c0
	s_mov_b32 s13, 0xb97b839a
	v_cvt_i32_f64_e32 v10, v[27:28]
	v_fma_f64 v[33:34], v[27:28], s[14:15], v[22:23]
	v_add_f64 v[29:30], v[22:23], v[24:25]
	s_mov_b32 s15, 0x3c91a626
	v_add_f64 v[31:32], v[22:23], -v[29:30]
	v_add_f64 v[29:30], v[29:30], -v[33:34]
	v_add_f64 v[22:23], v[31:32], v[24:25]
	v_fma_f64 v[24:25], v[27:28], s[14:15], v[24:25]
	v_add_f64 v[22:23], v[29:30], v[22:23]
	v_add_f64 v[22:23], v[22:23], -v[24:25]
	v_fma_f64 v[24:25], v[27:28], s[12:13], v[22:23]
	v_add_f64 v[22:23], v[33:34], v[24:25]
	v_add_f64 v[29:30], v[22:23], -v[33:34]
	v_add_f64 v[24:25], v[24:25], -v[29:30]
.LBB37_159:
	s_or_b64 exec, exec, s[0:1]
	v_mul_f64 v[27:28], v[22:23], v[22:23]
	v_add_f64 v[29:30], v[24:25], v[24:25]
	s_mov_b32 s0, 0xc751c08c
	s_mov_b32 s1, 0x3ef5e089
	v_and_b32_e32 v10, 1, v10
	v_cmp_eq_u32_e32 vcc, 0, v10
	v_and_b32_e32 v12, 0x80000000, v21
	v_mov_b32_e32 v14, 0x7ff80000
	v_fma_f64 v[31:32], v[22:23], v[22:23], -v[27:28]
	s_mov_b32 s14, 0x54442d18
	s_mov_b32 s15, 0xc00921fb
	s_mov_b64 s[12:13], exec
	v_sub_f32_e32 v8, 1.0, v8
	v_fma_f64 v[29:30], v[22:23], v[29:30], v[31:32]
	v_add_f64 v[27:28], v[27:28], v[29:30]
	v_mov_b32_e32 v29, 0xa9a29f71
	v_mov_b32_e32 v30, 0xbf078809
	v_fma_f64 v[29:30], v[27:28], s[0:1], v[29:30]
	s_mov_b32 s0, 0x90a8aae0
	s_mov_b32 s1, 0x3f17746f
	v_fma_f64 v[29:30], v[27:28], v[29:30], s[0:1]
	s_mov_b32 s0, 0xa6fbf144
	s_mov_b32 s1, 0xbefbb44d
	;; [unrolled: 3-line block ×12, first 2 shown]
	v_fma_f64 v[29:30], v[27:28], v[29:30], s[0:1]
	s_movk_i32 s0, 0x1f8
	v_cmp_class_f64_e64 s[0:1], v[20:21], s0
	v_mul_f64 v[27:28], v[27:28], v[29:30]
	v_mul_f64 v[29:30], v[22:23], v[27:28]
	v_add_f64 v[31:32], v[22:23], v[29:30]
	v_fma_f64 v[27:28], v[22:23], v[27:28], -v[29:30]
	v_add_f64 v[22:23], v[31:32], -v[22:23]
	v_add_f64 v[24:25], v[24:25], v[27:28]
	v_add_f64 v[22:23], v[29:30], -v[22:23]
	v_add_f64 v[22:23], v[24:25], v[22:23]
	v_add_f64 v[24:25], v[31:32], v[22:23]
	v_rcp_f64_e32 v[27:28], v[24:25]
	v_fma_f64 v[29:30], -v[24:25], v[27:28], 1.0
	v_fma_f64 v[27:28], v[29:30], v[27:28], v[27:28]
	v_fma_f64 v[29:30], -v[24:25], v[27:28], 1.0
	v_fma_f64 v[27:28], v[29:30], v[27:28], v[27:28]
	v_add_f64 v[29:30], v[24:25], -v[31:32]
	v_mul_f64 v[31:32], v[24:25], v[27:28]
	v_add_f64 v[22:23], v[22:23], -v[29:30]
	v_fma_f64 v[29:30], v[27:28], v[24:25], -v[31:32]
	v_fma_f64 v[22:23], v[27:28], v[22:23], v[29:30]
	v_add_f64 v[29:30], v[31:32], v[22:23]
	v_add_f64 v[33:34], -v[29:30], 1.0
	v_add_f64 v[31:32], v[29:30], -v[31:32]
	v_add_f64 v[35:36], -v[33:34], 1.0
	v_add_f64 v[22:23], v[31:32], -v[22:23]
	v_add_f64 v[29:30], v[35:36], -v[29:30]
	v_add_f64 v[22:23], v[22:23], v[29:30]
	v_add_f64 v[22:23], v[33:34], v[22:23]
	v_mul_f64 v[22:23], v[27:28], v[22:23]
	v_add_f64 v[22:23], v[27:28], v[22:23]
	v_xor_b32_e32 v16, 0x80000000, v23
	v_cndmask_b32_e32 v10, v22, v24, vcc
	v_cndmask_b32_e32 v16, v16, v25, vcc
	v_cndmask_b32_e64 v20, 0, v10, s[0:1]
	v_xor_b32_e32 v10, v16, v12
	v_cndmask_b32_e64 v21, v14, v10, s[0:1]
	v_div_scale_f64 v[22:23], s[0:1], v[20:21], v[20:21], s[14:15]
	v_div_scale_f64 v[29:30], vcc, s[14:15], v[20:21], s[14:15]
	v_rcp_f64_e32 v[24:25], v[22:23]
	v_fma_f64 v[27:28], -v[22:23], v[24:25], 1.0
	v_fma_f64 v[24:25], v[24:25], v[27:28], v[24:25]
	v_fma_f64 v[27:28], -v[22:23], v[24:25], 1.0
	v_fma_f64 v[24:25], v[24:25], v[27:28], v[24:25]
	v_mul_f64 v[27:28], v[29:30], v[24:25]
	v_fma_f64 v[22:23], -v[22:23], v[27:28], v[29:30]
	v_div_fmas_f64 v[22:23], v[22:23], v[24:25], v[27:28]
	v_div_fixup_f64 v[20:21], v[22:23], v[20:21], s[14:15]
	v_cvt_f32_f64_e32 v10, v[20:21]
.LBB37_160:
	s_or_b64 exec, exec, s[10:11]
	s_orn2_b64 s[10:11], s[12:13], exec
.LBB37_161:
	s_or_b64 exec, exec, s[8:9]
	v_mov_b32_e32 v24, 0x7fc0
	s_and_saveexec_b64 s[0:1], s[10:11]
	s_cbranch_execz .LBB37_173
; %bb.162:
	s_mov_b32 s12, 0x41200000
	v_cmp_gt_f32_e32 vcc, s12, v8
	s_and_saveexec_b64 s[8:9], vcc
	s_cbranch_execz .LBB37_166
; %bb.163:
	s_mov_b64 s[10:11], 0
.LBB37_164:                             ; =>This Inner Loop Header: Depth=1
	v_div_scale_f32 v12, s[14:15], v8, v8, 1.0
	v_div_scale_f32 v14, vcc, 1.0, v8, 1.0
	v_rcp_f32_e32 v16, v12
	v_fma_f32 v18, -v12, v16, 1.0
	v_fmac_f32_e32 v16, v18, v16
	v_mul_f32_e32 v18, v14, v16
	v_fma_f32 v20, -v12, v18, v14
	v_fmac_f32_e32 v18, v20, v16
	v_fma_f32 v12, -v12, v18, v14
	v_div_fmas_f32 v12, v12, v16, v18
	v_div_fixup_f32 v12, v12, v8, 1.0
	v_add_f32_e32 v8, 1.0, v8
	v_cmp_ngt_f32_e32 vcc, s12, v8
	s_or_b64 s[10:11], vcc, s[10:11]
	v_sub_f32_e32 v10, v10, v12
	s_andn2_b64 exec, exec, s[10:11]
	s_cbranch_execnz .LBB37_164
; %bb.165:
	s_or_b64 exec, exec, s[10:11]
.LBB37_166:
	s_or_b64 exec, exec, s[8:9]
	s_mov_b32 s8, 0x41200000
	v_cmp_neq_f32_e32 vcc, s8, v8
                                        ; implicit-def: $vgpr24
	s_and_saveexec_b64 s[8:9], vcc
	s_xor_b64 s[8:9], exec, s[8:9]
	s_cbranch_execz .LBB37_170
; %bb.167:
	v_cvt_f64_f32_e32 v[20:21], v8
	s_mov_b32 s10, 0x85d8a000
	s_mov_b32 s11, 0x43763457
	v_mov_b32_e32 v12, 0
	v_cmp_gt_f64_e32 vcc, s[10:11], v[20:21]
	s_and_saveexec_b64 s[10:11], vcc
	s_cbranch_execz .LBB37_169
; %bb.168:
	v_mul_f32_e32 v12, v8, v8
	v_div_scale_f32 v14, s[12:13], v12, v12, 1.0
	v_div_scale_f32 v16, vcc, 1.0, v12, 1.0
	v_mov_b32_e32 v22, 0x3b820821
	v_rcp_f32_e32 v18, v14
	v_fma_f32 v20, -v14, v18, 1.0
	v_fmac_f32_e32 v18, v20, v18
	v_mul_f32_e32 v20, v16, v18
	v_fma_f32 v21, -v14, v20, v16
	v_fmac_f32_e32 v20, v21, v18
	v_fma_f32 v14, -v14, v20, v16
	v_div_fmas_f32 v14, v14, v18, v20
	v_mov_b32_e32 v16, 0x3daaaaab
	v_mov_b32_e32 v18, 0xbcaccacd
	;; [unrolled: 1-line block ×4, first 2 shown]
	v_div_fixup_f32 v12, v14, v12, 1.0
	v_fma_f32 v14, 0, v12, v16
	v_fmac_f32_e32 v18, v12, v14
	v_fmac_f32_e32 v20, v12, v18
	;; [unrolled: 1-line block ×4, first 2 shown]
	v_mov_b32_e32 v14, 0xbc088889
	v_fmac_f32_e32 v14, v12, v22
	v_fmac_f32_e32 v16, v12, v14
	v_mul_f32_e32 v12, v12, v16
.LBB37_169:
	s_or_b64 exec, exec, s[10:11]
	v_div_scale_f32 v14, s[10:11], v8, v8, -0.5
	v_div_scale_f32 v16, vcc, -0.5, v8, -0.5
	s_mov_b32 s10, 0x800000
	s_mov_b32 s11, 0x3f317217
	;; [unrolled: 1-line block ×3, first 2 shown]
	v_rcp_f32_e32 v18, v14
	v_fma_f32 v20, -v14, v18, 1.0
	v_fmac_f32_e32 v18, v20, v18
	v_mul_f32_e32 v20, v16, v18
	v_fma_f32 v21, -v14, v20, v16
	v_fmac_f32_e32 v20, v21, v18
	v_fma_f32 v14, -v14, v20, v16
	v_div_fmas_f32 v14, v14, v18, v20
	v_cmp_gt_f32_e32 vcc, s10, v8
	v_cndmask_b32_e64 v18, 0, 32, vcc
	v_ldexp_f32 v18, v8, v18
	v_log_f32_e32 v18, v18
	v_mov_b32_e32 v16, 0x41b17218
	v_cndmask_b32_e32 v16, 0, v16, vcc
	s_movk_i32 s10, 0x7fff
	v_mul_f32_e32 v21, 0x3f317217, v18
	v_fma_f32 v21, v18, s11, -v21
	v_fmac_f32_e32 v21, 0x3377d1cf, v18
	v_fmac_f32_e32 v21, 0x3f317217, v18
	v_cmp_lt_f32_e64 vcc, |v18|, s12
	v_cndmask_b32_e32 v18, v18, v21, vcc
	v_sub_f32_e32 v16, v18, v16
	v_mov_b32_e32 v20, 0x7fc0
	v_div_fixup_f32 v8, v14, v8, -0.5
	v_add_f32_e32 v8, v16, v8
	v_sub_f32_e32 v8, v8, v12
	v_add_f32_e32 v8, v10, v8
	v_bfe_u32 v10, v8, 16, 1
	v_cmp_o_f32_e32 vcc, v8, v8
	v_add3_u32 v8, v8, v10, s10
	v_cndmask_b32_sdwa v24, v20, v8, vcc dst_sel:DWORD dst_unused:UNUSED_PAD src0_sel:DWORD src1_sel:WORD_1
                                        ; implicit-def: $vgpr10
.LBB37_170:
	s_andn2_saveexec_b64 s[8:9], s[8:9]
; %bb.171:
	v_add_f32_e32 v8, 0x40101cb7, v10
	v_bfe_u32 v10, v8, 16, 1
	s_movk_i32 s10, 0x7fff
	v_add3_u32 v10, v8, v10, s10
	v_cmp_o_f32_e32 vcc, v8, v8
	v_mov_b32_e32 v8, 0x7fc0
	v_cndmask_b32_sdwa v24, v8, v10, vcc dst_sel:DWORD dst_unused:UNUSED_PAD src0_sel:DWORD src1_sel:WORD_1
; %bb.172:
	s_or_b64 exec, exec, s[8:9]
.LBB37_173:
	s_or_b64 exec, exec, s[0:1]
                                        ; implicit-def: $vgpr8
.LBB37_174:
	s_andn2_saveexec_b64 s[0:1], s[2:3]
; %bb.175:
	v_xor_b32_e32 v8, 0x80000000, v8
	v_and_b32_e32 v8, 0x80000000, v8
	v_or_b32_e32 v8, 0x7f800000, v8
	v_lshrrev_b32_e32 v24, 16, v8
; %bb.176:
	s_or_b64 exec, exec, s[0:1]
	global_load_ushort v8, v19, s[6:7]
                                        ; implicit-def: $vgpr22
	s_waitcnt vmcnt(0)
	v_lshlrev_b32_e32 v8, 16, v8
	v_cmp_neq_f32_e32 vcc, 0, v8
	s_and_saveexec_b64 s[0:1], vcc
	s_xor_b64 s[2:3], exec, s[0:1]
	s_cbranch_execz .LBB37_198
; %bb.177:
	v_mov_b32_e32 v10, 0
	v_cmp_gt_f32_e32 vcc, 0, v8
	s_mov_b64 s[10:11], -1
	s_and_saveexec_b64 s[8:9], vcc
	s_cbranch_execz .LBB37_185
; %bb.178:
	v_trunc_f32_e32 v10, v8
	v_cmp_neq_f32_e32 vcc, v10, v8
	s_mov_b64 s[12:13], 0
	v_mov_b32_e32 v10, 0
	s_and_saveexec_b64 s[10:11], vcc
	s_cbranch_execz .LBB37_184
; %bb.179:
	v_cvt_f64_f32_e32 v[18:19], v8
	s_mov_b32 s0, 0
	s_mov_b32 s13, 0xc00921fb
	;; [unrolled: 1-line block ×3, first 2 shown]
	v_trunc_f64_e32 v[20:21], v[18:19]
	s_mov_b32 s1, 0x7ff00000
	v_cmp_neq_f64_e64 vcc, |v[18:19]|, s[0:1]
	v_bfrev_b32_e32 v10, 1
	s_mov_b32 s14, 0
	s_mov_b32 s15, 0x41d00000
                                        ; implicit-def: $vgpr22_vgpr23
	v_add_f64 v[20:21], v[18:19], -v[20:21]
	v_mul_f64 v[20:21], |v[20:21]|, s[12:13]
	v_cndmask_b32_e32 v19, v10, v21, vcc
	v_cndmask_b32_e32 v18, 0, v20, vcc
	v_cmp_nlt_f64_e64 s[14:15], |v[18:19]|, s[14:15]
                                        ; implicit-def: $vgpr10
                                        ; implicit-def: $vgpr20_vgpr21
	s_and_saveexec_b64 s[16:17], s[14:15]
	s_xor_b64 s[14:15], exec, s[16:17]
	s_cbranch_execz .LBB37_181
; %bb.180:
	v_trig_preop_f64 v[20:21], |v[18:19]|, 0
	s_mov_b32 s16, 0
	s_mov_b32 s17, 0x7b000000
	s_movk_i32 s13, 0xff80
	v_ldexp_f64 v[27:28], |v[18:19]|, s13
	v_cmp_ge_f64_e64 vcc, |v[18:19]|, s[16:17]
	v_trig_preop_f64 v[22:23], |v[18:19]|, 1
	v_and_b32_e32 v10, 0x7fffffff, v19
	v_trig_preop_f64 v[35:36], |v[18:19]|, 2
	v_mov_b32_e32 v45, 0
	v_mov_b32_e32 v12, 0x3ff00000
	s_mov_b32 s13, 0x3ff921fb
	v_cndmask_b32_e32 v28, v10, v28, vcc
	v_cndmask_b32_e32 v27, v18, v27, vcc
	v_mov_b32_e32 v10, 0x40100000
	v_mul_f64 v[29:30], v[20:21], v[27:28]
	v_mul_f64 v[31:32], v[22:23], v[27:28]
	;; [unrolled: 1-line block ×3, first 2 shown]
	v_fma_f64 v[20:21], v[20:21], v[27:28], -v[29:30]
	v_fma_f64 v[22:23], v[22:23], v[27:28], -v[31:32]
	;; [unrolled: 1-line block ×3, first 2 shown]
	v_add_f64 v[33:34], v[31:32], v[20:21]
	v_add_f64 v[37:38], v[33:34], -v[31:32]
	v_add_f64 v[43:44], v[29:30], v[33:34]
	v_add_f64 v[39:40], v[33:34], -v[37:38]
	v_add_f64 v[20:21], v[20:21], -v[37:38]
	v_add_f64 v[37:38], v[41:42], v[22:23]
	v_add_f64 v[29:30], v[43:44], -v[29:30]
	v_add_f64 v[31:32], v[31:32], -v[39:40]
	v_ldexp_f64 v[39:40], v[43:44], -2
	v_add_f64 v[47:48], v[37:38], -v[41:42]
	v_add_f64 v[29:30], v[33:34], -v[29:30]
	v_add_f64 v[20:21], v[20:21], v[31:32]
	v_fract_f64_e32 v[31:32], v[39:40]
	v_cmp_neq_f64_e64 vcc, |v[39:40]|, s[0:1]
	v_add_f64 v[22:23], v[22:23], -v[47:48]
	v_add_f64 v[33:34], v[37:38], v[20:21]
	v_ldexp_f64 v[31:32], v[31:32], 2
	v_add_f64 v[39:40], v[29:30], v[33:34]
	v_cndmask_b32_e32 v32, 0, v32, vcc
	v_cndmask_b32_e32 v31, 0, v31, vcc
	v_add_f64 v[49:50], v[33:34], -v[37:38]
	v_add_f64 v[43:44], v[39:40], v[31:32]
	v_add_f64 v[29:30], v[39:40], -v[29:30]
	v_add_f64 v[51:52], v[33:34], -v[49:50]
	;; [unrolled: 1-line block ×3, first 2 shown]
	v_cmp_gt_f64_e32 vcc, 0, v[43:44]
	v_add_f64 v[43:44], v[37:38], -v[47:48]
	v_add_f64 v[29:30], v[33:34], -v[29:30]
	;; [unrolled: 1-line block ×3, first 2 shown]
	v_cndmask_b32_e32 v46, 0, v10, vcc
	v_add_f64 v[31:32], v[31:32], v[45:46]
	v_add_f64 v[43:44], v[41:42], -v[43:44]
	v_add_f64 v[20:21], v[20:21], v[37:38]
	v_add_f64 v[53:54], v[39:40], v[31:32]
	;; [unrolled: 1-line block ×3, first 2 shown]
	v_cvt_i32_f64_e32 v10, v[53:54]
	v_add_f64 v[20:21], v[22:23], v[20:21]
	v_cvt_f64_i32_e32 v[46:47], v10
	v_add_f64 v[31:32], v[31:32], -v[46:47]
	v_add_f64 v[20:21], v[27:28], v[20:21]
	v_add_f64 v[22:23], v[39:40], v[31:32]
	;; [unrolled: 1-line block ×3, first 2 shown]
	v_add_f64 v[27:28], v[22:23], -v[31:32]
	v_cmp_le_f64_e32 vcc, 0.5, v[22:23]
	v_add_f64 v[27:28], v[39:40], -v[27:28]
	v_cndmask_b32_e32 v46, 0, v12, vcc
	v_add_f64 v[22:23], v[22:23], -v[45:46]
	v_addc_co_u32_e64 v10, s[0:1], 0, v10, vcc
	s_mov_b32 s0, 0x33145c07
	s_mov_b32 s1, 0x3c91a626
	v_add_f64 v[20:21], v[20:21], v[27:28]
	v_add_f64 v[27:28], v[22:23], v[20:21]
	v_mul_f64 v[29:30], v[27:28], s[12:13]
	v_add_f64 v[22:23], v[27:28], -v[22:23]
	v_fma_f64 v[31:32], v[27:28], s[12:13], -v[29:30]
	v_add_f64 v[20:21], v[20:21], -v[22:23]
	v_fma_f64 v[22:23], v[27:28], s[0:1], v[31:32]
	v_fma_f64 v[22:23], v[20:21], s[12:13], v[22:23]
	v_add_f64 v[20:21], v[29:30], v[22:23]
	v_add_f64 v[27:28], v[20:21], -v[29:30]
	v_add_f64 v[22:23], v[22:23], -v[27:28]
.LBB37_181:
	s_andn2_saveexec_b64 s[0:1], s[14:15]
	s_cbranch_execz .LBB37_183
; %bb.182:
	s_mov_b32 s12, 0x6dc9c883
	s_mov_b32 s13, 0x3fe45f30
	v_mul_f64 v[20:21], |v[18:19]|, s[12:13]
	s_mov_b32 s12, 0x54442d18
	s_mov_b32 s13, 0xbff921fb
	;; [unrolled: 1-line block ×4, first 2 shown]
	v_rndne_f64_e32 v[27:28], v[20:21]
	v_fma_f64 v[20:21], v[27:28], s[12:13], |v[18:19]|
	v_mul_f64 v[22:23], v[27:28], s[14:15]
	s_mov_b32 s12, 0x252049c0
	s_mov_b32 s13, 0xb97b839a
	v_cvt_i32_f64_e32 v10, v[27:28]
	v_fma_f64 v[33:34], v[27:28], s[14:15], v[20:21]
	v_add_f64 v[29:30], v[20:21], v[22:23]
	s_mov_b32 s15, 0x3c91a626
	v_add_f64 v[31:32], v[20:21], -v[29:30]
	v_add_f64 v[29:30], v[29:30], -v[33:34]
	v_add_f64 v[20:21], v[31:32], v[22:23]
	v_fma_f64 v[22:23], v[27:28], s[14:15], v[22:23]
	v_add_f64 v[20:21], v[29:30], v[20:21]
	v_add_f64 v[20:21], v[20:21], -v[22:23]
	v_fma_f64 v[22:23], v[27:28], s[12:13], v[20:21]
	v_add_f64 v[20:21], v[33:34], v[22:23]
	v_add_f64 v[29:30], v[20:21], -v[33:34]
	v_add_f64 v[22:23], v[22:23], -v[29:30]
.LBB37_183:
	s_or_b64 exec, exec, s[0:1]
	v_mul_f64 v[27:28], v[20:21], v[20:21]
	v_add_f64 v[29:30], v[22:23], v[22:23]
	s_mov_b32 s0, 0xc751c08c
	s_mov_b32 s1, 0x3ef5e089
	v_and_b32_e32 v10, 1, v10
	v_cmp_eq_u32_e32 vcc, 0, v10
	v_and_b32_e32 v12, 0x80000000, v19
	v_mov_b32_e32 v14, 0x7ff80000
	v_fma_f64 v[31:32], v[20:21], v[20:21], -v[27:28]
	s_mov_b32 s14, 0x54442d18
	s_mov_b32 s15, 0xc00921fb
	s_mov_b64 s[12:13], exec
	v_sub_f32_e32 v8, 1.0, v8
	v_fma_f64 v[29:30], v[20:21], v[29:30], v[31:32]
	v_add_f64 v[27:28], v[27:28], v[29:30]
	v_mov_b32_e32 v29, 0xa9a29f71
	v_mov_b32_e32 v30, 0xbf078809
	v_fma_f64 v[29:30], v[27:28], s[0:1], v[29:30]
	s_mov_b32 s0, 0x90a8aae0
	s_mov_b32 s1, 0x3f17746f
	v_fma_f64 v[29:30], v[27:28], v[29:30], s[0:1]
	s_mov_b32 s0, 0xa6fbf144
	s_mov_b32 s1, 0xbefbb44d
	;; [unrolled: 3-line block ×12, first 2 shown]
	v_fma_f64 v[29:30], v[27:28], v[29:30], s[0:1]
	s_movk_i32 s0, 0x1f8
	v_cmp_class_f64_e64 s[0:1], v[18:19], s0
	v_mul_f64 v[27:28], v[27:28], v[29:30]
	v_mul_f64 v[29:30], v[20:21], v[27:28]
	v_add_f64 v[31:32], v[20:21], v[29:30]
	v_fma_f64 v[27:28], v[20:21], v[27:28], -v[29:30]
	v_add_f64 v[20:21], v[31:32], -v[20:21]
	v_add_f64 v[22:23], v[22:23], v[27:28]
	v_add_f64 v[20:21], v[29:30], -v[20:21]
	v_add_f64 v[20:21], v[22:23], v[20:21]
	v_add_f64 v[22:23], v[31:32], v[20:21]
	v_rcp_f64_e32 v[27:28], v[22:23]
	v_fma_f64 v[29:30], -v[22:23], v[27:28], 1.0
	v_fma_f64 v[27:28], v[29:30], v[27:28], v[27:28]
	v_fma_f64 v[29:30], -v[22:23], v[27:28], 1.0
	v_fma_f64 v[27:28], v[29:30], v[27:28], v[27:28]
	v_add_f64 v[29:30], v[22:23], -v[31:32]
	v_mul_f64 v[31:32], v[22:23], v[27:28]
	v_add_f64 v[20:21], v[20:21], -v[29:30]
	v_fma_f64 v[29:30], v[27:28], v[22:23], -v[31:32]
	v_fma_f64 v[20:21], v[27:28], v[20:21], v[29:30]
	v_add_f64 v[29:30], v[31:32], v[20:21]
	v_add_f64 v[33:34], -v[29:30], 1.0
	v_add_f64 v[31:32], v[29:30], -v[31:32]
	v_add_f64 v[35:36], -v[33:34], 1.0
	v_add_f64 v[20:21], v[31:32], -v[20:21]
	v_add_f64 v[29:30], v[35:36], -v[29:30]
	v_add_f64 v[20:21], v[20:21], v[29:30]
	v_add_f64 v[20:21], v[33:34], v[20:21]
	v_mul_f64 v[20:21], v[27:28], v[20:21]
	v_add_f64 v[20:21], v[27:28], v[20:21]
	v_xor_b32_e32 v16, 0x80000000, v21
	v_cndmask_b32_e32 v10, v20, v22, vcc
	v_cndmask_b32_e32 v16, v16, v23, vcc
	v_cndmask_b32_e64 v18, 0, v10, s[0:1]
	v_xor_b32_e32 v10, v16, v12
	v_cndmask_b32_e64 v19, v14, v10, s[0:1]
	v_div_scale_f64 v[20:21], s[0:1], v[18:19], v[18:19], s[14:15]
	v_div_scale_f64 v[29:30], vcc, s[14:15], v[18:19], s[14:15]
	v_rcp_f64_e32 v[22:23], v[20:21]
	v_fma_f64 v[27:28], -v[20:21], v[22:23], 1.0
	v_fma_f64 v[22:23], v[22:23], v[27:28], v[22:23]
	v_fma_f64 v[27:28], -v[20:21], v[22:23], 1.0
	v_fma_f64 v[22:23], v[22:23], v[27:28], v[22:23]
	v_mul_f64 v[27:28], v[29:30], v[22:23]
	v_fma_f64 v[20:21], -v[20:21], v[27:28], v[29:30]
	v_div_fmas_f64 v[20:21], v[20:21], v[22:23], v[27:28]
	v_div_fixup_f64 v[18:19], v[20:21], v[18:19], s[14:15]
	v_cvt_f32_f64_e32 v10, v[18:19]
.LBB37_184:
	s_or_b64 exec, exec, s[10:11]
	s_orn2_b64 s[10:11], s[12:13], exec
.LBB37_185:
	s_or_b64 exec, exec, s[8:9]
	v_mov_b32_e32 v22, 0x7fc0
	s_and_saveexec_b64 s[0:1], s[10:11]
	s_cbranch_execz .LBB37_197
; %bb.186:
	s_mov_b32 s12, 0x41200000
	v_cmp_gt_f32_e32 vcc, s12, v8
	s_and_saveexec_b64 s[8:9], vcc
	s_cbranch_execz .LBB37_190
; %bb.187:
	s_mov_b64 s[10:11], 0
.LBB37_188:                             ; =>This Inner Loop Header: Depth=1
	v_div_scale_f32 v12, s[14:15], v8, v8, 1.0
	v_div_scale_f32 v14, vcc, 1.0, v8, 1.0
	v_rcp_f32_e32 v16, v12
	v_fma_f32 v18, -v12, v16, 1.0
	v_fmac_f32_e32 v16, v18, v16
	v_mul_f32_e32 v18, v14, v16
	v_fma_f32 v19, -v12, v18, v14
	v_fmac_f32_e32 v18, v19, v16
	v_fma_f32 v12, -v12, v18, v14
	v_div_fmas_f32 v12, v12, v16, v18
	v_div_fixup_f32 v12, v12, v8, 1.0
	v_add_f32_e32 v8, 1.0, v8
	v_cmp_ngt_f32_e32 vcc, s12, v8
	s_or_b64 s[10:11], vcc, s[10:11]
	v_sub_f32_e32 v10, v10, v12
	s_andn2_b64 exec, exec, s[10:11]
	s_cbranch_execnz .LBB37_188
; %bb.189:
	s_or_b64 exec, exec, s[10:11]
.LBB37_190:
	s_or_b64 exec, exec, s[8:9]
	s_mov_b32 s8, 0x41200000
	v_cmp_neq_f32_e32 vcc, s8, v8
                                        ; implicit-def: $vgpr22
	s_and_saveexec_b64 s[8:9], vcc
	s_xor_b64 s[8:9], exec, s[8:9]
	s_cbranch_execz .LBB37_194
; %bb.191:
	v_cvt_f64_f32_e32 v[18:19], v8
	s_mov_b32 s10, 0x85d8a000
	s_mov_b32 s11, 0x43763457
	v_mov_b32_e32 v12, 0
	v_cmp_gt_f64_e32 vcc, s[10:11], v[18:19]
	s_and_saveexec_b64 s[10:11], vcc
	s_cbranch_execz .LBB37_193
; %bb.192:
	v_mul_f32_e32 v12, v8, v8
	v_div_scale_f32 v14, s[12:13], v12, v12, 1.0
	v_div_scale_f32 v16, vcc, 1.0, v12, 1.0
	v_mov_b32_e32 v21, 0x3b820821
	v_rcp_f32_e32 v18, v14
	v_fma_f32 v19, -v14, v18, 1.0
	v_fmac_f32_e32 v18, v19, v18
	v_mul_f32_e32 v19, v16, v18
	v_fma_f32 v20, -v14, v19, v16
	v_fmac_f32_e32 v19, v20, v18
	v_fma_f32 v14, -v14, v19, v16
	v_div_fmas_f32 v14, v14, v18, v19
	v_mov_b32_e32 v16, 0x3daaaaab
	v_mov_b32_e32 v18, 0xbcaccacd
	;; [unrolled: 1-line block ×4, first 2 shown]
	v_div_fixup_f32 v12, v14, v12, 1.0
	v_fma_f32 v14, 0, v12, v16
	v_fmac_f32_e32 v18, v12, v14
	v_fmac_f32_e32 v19, v12, v18
	;; [unrolled: 1-line block ×4, first 2 shown]
	v_mov_b32_e32 v14, 0xbc088889
	v_fmac_f32_e32 v14, v12, v21
	v_fmac_f32_e32 v16, v12, v14
	v_mul_f32_e32 v12, v12, v16
.LBB37_193:
	s_or_b64 exec, exec, s[10:11]
	v_div_scale_f32 v14, s[10:11], v8, v8, -0.5
	v_div_scale_f32 v16, vcc, -0.5, v8, -0.5
	s_mov_b32 s10, 0x800000
	s_mov_b32 s11, 0x3f317217
	;; [unrolled: 1-line block ×3, first 2 shown]
	v_rcp_f32_e32 v18, v14
	v_fma_f32 v19, -v14, v18, 1.0
	v_fmac_f32_e32 v18, v19, v18
	v_mul_f32_e32 v19, v16, v18
	v_fma_f32 v20, -v14, v19, v16
	v_fmac_f32_e32 v19, v20, v18
	v_fma_f32 v14, -v14, v19, v16
	v_div_fmas_f32 v14, v14, v18, v19
	v_cmp_gt_f32_e32 vcc, s10, v8
	v_cndmask_b32_e64 v18, 0, 32, vcc
	v_ldexp_f32 v18, v8, v18
	v_log_f32_e32 v18, v18
	v_mov_b32_e32 v16, 0x41b17218
	v_cndmask_b32_e32 v16, 0, v16, vcc
	s_movk_i32 s10, 0x7fff
	v_mul_f32_e32 v20, 0x3f317217, v18
	v_fma_f32 v20, v18, s11, -v20
	v_fmac_f32_e32 v20, 0x3377d1cf, v18
	v_fmac_f32_e32 v20, 0x3f317217, v18
	v_cmp_lt_f32_e64 vcc, |v18|, s12
	v_cndmask_b32_e32 v18, v18, v20, vcc
	v_sub_f32_e32 v16, v18, v16
	v_mov_b32_e32 v19, 0x7fc0
	v_div_fixup_f32 v8, v14, v8, -0.5
	v_add_f32_e32 v8, v16, v8
	v_sub_f32_e32 v8, v8, v12
	v_add_f32_e32 v8, v10, v8
	v_bfe_u32 v10, v8, 16, 1
	v_cmp_o_f32_e32 vcc, v8, v8
	v_add3_u32 v8, v8, v10, s10
	v_cndmask_b32_sdwa v22, v19, v8, vcc dst_sel:DWORD dst_unused:UNUSED_PAD src0_sel:DWORD src1_sel:WORD_1
                                        ; implicit-def: $vgpr10
.LBB37_194:
	s_andn2_saveexec_b64 s[8:9], s[8:9]
; %bb.195:
	v_add_f32_e32 v8, 0x40101cb7, v10
	v_bfe_u32 v10, v8, 16, 1
	s_movk_i32 s10, 0x7fff
	v_add3_u32 v10, v8, v10, s10
	v_cmp_o_f32_e32 vcc, v8, v8
	v_mov_b32_e32 v8, 0x7fc0
	v_cndmask_b32_sdwa v22, v8, v10, vcc dst_sel:DWORD dst_unused:UNUSED_PAD src0_sel:DWORD src1_sel:WORD_1
; %bb.196:
	s_or_b64 exec, exec, s[8:9]
.LBB37_197:
	s_or_b64 exec, exec, s[0:1]
                                        ; implicit-def: $vgpr8
.LBB37_198:
	s_andn2_saveexec_b64 s[0:1], s[2:3]
; %bb.199:
	v_xor_b32_e32 v8, 0x80000000, v8
	v_and_b32_e32 v8, 0x80000000, v8
	v_or_b32_e32 v8, 0x7f800000, v8
	v_lshrrev_b32_e32 v22, 16, v8
; %bb.200:
	s_or_b64 exec, exec, s[0:1]
	global_load_ushort v8, v17, s[6:7]
                                        ; implicit-def: $vgpr20
	s_waitcnt vmcnt(0)
	v_lshlrev_b32_e32 v8, 16, v8
	v_cmp_neq_f32_e32 vcc, 0, v8
	s_and_saveexec_b64 s[0:1], vcc
	s_xor_b64 s[2:3], exec, s[0:1]
	s_cbranch_execz .LBB37_222
; %bb.201:
	v_mov_b32_e32 v10, 0
	v_cmp_gt_f32_e32 vcc, 0, v8
	s_mov_b64 s[10:11], -1
	s_and_saveexec_b64 s[8:9], vcc
	s_cbranch_execz .LBB37_209
; %bb.202:
	v_trunc_f32_e32 v10, v8
	v_cmp_neq_f32_e32 vcc, v10, v8
	s_mov_b64 s[12:13], 0
	v_mov_b32_e32 v10, 0
	s_and_saveexec_b64 s[10:11], vcc
	s_cbranch_execz .LBB37_208
; %bb.203:
	v_cvt_f64_f32_e32 v[16:17], v8
	s_mov_b32 s0, 0
	s_mov_b32 s13, 0xc00921fb
	;; [unrolled: 1-line block ×3, first 2 shown]
	v_trunc_f64_e32 v[18:19], v[16:17]
	s_mov_b32 s1, 0x7ff00000
	v_cmp_neq_f64_e64 vcc, |v[16:17]|, s[0:1]
	v_bfrev_b32_e32 v10, 1
	s_mov_b32 s14, 0
	s_mov_b32 s15, 0x41d00000
                                        ; implicit-def: $vgpr20_vgpr21
	v_add_f64 v[18:19], v[16:17], -v[18:19]
	v_mul_f64 v[18:19], |v[18:19]|, s[12:13]
	v_cndmask_b32_e32 v17, v10, v19, vcc
	v_cndmask_b32_e32 v16, 0, v18, vcc
	v_cmp_nlt_f64_e64 s[14:15], |v[16:17]|, s[14:15]
                                        ; implicit-def: $vgpr10
                                        ; implicit-def: $vgpr18_vgpr19
	s_and_saveexec_b64 s[16:17], s[14:15]
	s_xor_b64 s[14:15], exec, s[16:17]
	s_cbranch_execz .LBB37_205
; %bb.204:
	v_trig_preop_f64 v[18:19], |v[16:17]|, 0
	s_mov_b32 s16, 0
	s_mov_b32 s17, 0x7b000000
	s_movk_i32 s13, 0xff80
	v_ldexp_f64 v[27:28], |v[16:17]|, s13
	v_cmp_ge_f64_e64 vcc, |v[16:17]|, s[16:17]
	v_trig_preop_f64 v[20:21], |v[16:17]|, 1
	v_and_b32_e32 v10, 0x7fffffff, v17
	v_trig_preop_f64 v[35:36], |v[16:17]|, 2
	v_mov_b32_e32 v45, 0
	v_mov_b32_e32 v12, 0x3ff00000
	s_mov_b32 s13, 0x3ff921fb
	v_cndmask_b32_e32 v28, v10, v28, vcc
	v_cndmask_b32_e32 v27, v16, v27, vcc
	v_mov_b32_e32 v10, 0x40100000
	v_mul_f64 v[29:30], v[18:19], v[27:28]
	v_mul_f64 v[31:32], v[20:21], v[27:28]
	;; [unrolled: 1-line block ×3, first 2 shown]
	v_fma_f64 v[18:19], v[18:19], v[27:28], -v[29:30]
	v_fma_f64 v[20:21], v[20:21], v[27:28], -v[31:32]
	;; [unrolled: 1-line block ×3, first 2 shown]
	v_add_f64 v[33:34], v[31:32], v[18:19]
	v_add_f64 v[37:38], v[33:34], -v[31:32]
	v_add_f64 v[43:44], v[29:30], v[33:34]
	v_add_f64 v[39:40], v[33:34], -v[37:38]
	v_add_f64 v[18:19], v[18:19], -v[37:38]
	v_add_f64 v[37:38], v[41:42], v[20:21]
	v_add_f64 v[29:30], v[43:44], -v[29:30]
	v_add_f64 v[31:32], v[31:32], -v[39:40]
	v_ldexp_f64 v[39:40], v[43:44], -2
	v_add_f64 v[47:48], v[37:38], -v[41:42]
	v_add_f64 v[29:30], v[33:34], -v[29:30]
	v_add_f64 v[18:19], v[18:19], v[31:32]
	v_fract_f64_e32 v[31:32], v[39:40]
	v_cmp_neq_f64_e64 vcc, |v[39:40]|, s[0:1]
	v_add_f64 v[20:21], v[20:21], -v[47:48]
	v_add_f64 v[33:34], v[37:38], v[18:19]
	v_ldexp_f64 v[31:32], v[31:32], 2
	v_add_f64 v[39:40], v[29:30], v[33:34]
	v_cndmask_b32_e32 v32, 0, v32, vcc
	v_cndmask_b32_e32 v31, 0, v31, vcc
	v_add_f64 v[49:50], v[33:34], -v[37:38]
	v_add_f64 v[43:44], v[39:40], v[31:32]
	v_add_f64 v[29:30], v[39:40], -v[29:30]
	v_add_f64 v[51:52], v[33:34], -v[49:50]
	;; [unrolled: 1-line block ×3, first 2 shown]
	v_cmp_gt_f64_e32 vcc, 0, v[43:44]
	v_add_f64 v[43:44], v[37:38], -v[47:48]
	v_add_f64 v[29:30], v[33:34], -v[29:30]
	;; [unrolled: 1-line block ×3, first 2 shown]
	v_cndmask_b32_e32 v46, 0, v10, vcc
	v_add_f64 v[31:32], v[31:32], v[45:46]
	v_add_f64 v[43:44], v[41:42], -v[43:44]
	v_add_f64 v[18:19], v[18:19], v[37:38]
	v_add_f64 v[53:54], v[39:40], v[31:32]
	;; [unrolled: 1-line block ×3, first 2 shown]
	v_cvt_i32_f64_e32 v10, v[53:54]
	v_add_f64 v[18:19], v[20:21], v[18:19]
	v_cvt_f64_i32_e32 v[46:47], v10
	v_add_f64 v[31:32], v[31:32], -v[46:47]
	v_add_f64 v[18:19], v[27:28], v[18:19]
	v_add_f64 v[20:21], v[39:40], v[31:32]
	;; [unrolled: 1-line block ×3, first 2 shown]
	v_add_f64 v[27:28], v[20:21], -v[31:32]
	v_cmp_le_f64_e32 vcc, 0.5, v[20:21]
	v_add_f64 v[27:28], v[39:40], -v[27:28]
	v_cndmask_b32_e32 v46, 0, v12, vcc
	v_add_f64 v[20:21], v[20:21], -v[45:46]
	v_addc_co_u32_e64 v10, s[0:1], 0, v10, vcc
	s_mov_b32 s0, 0x33145c07
	s_mov_b32 s1, 0x3c91a626
	v_add_f64 v[18:19], v[18:19], v[27:28]
	v_add_f64 v[27:28], v[20:21], v[18:19]
	v_mul_f64 v[29:30], v[27:28], s[12:13]
	v_add_f64 v[20:21], v[27:28], -v[20:21]
	v_fma_f64 v[31:32], v[27:28], s[12:13], -v[29:30]
	v_add_f64 v[18:19], v[18:19], -v[20:21]
	v_fma_f64 v[20:21], v[27:28], s[0:1], v[31:32]
	v_fma_f64 v[20:21], v[18:19], s[12:13], v[20:21]
	v_add_f64 v[18:19], v[29:30], v[20:21]
	v_add_f64 v[27:28], v[18:19], -v[29:30]
	v_add_f64 v[20:21], v[20:21], -v[27:28]
.LBB37_205:
	s_andn2_saveexec_b64 s[0:1], s[14:15]
	s_cbranch_execz .LBB37_207
; %bb.206:
	s_mov_b32 s12, 0x6dc9c883
	s_mov_b32 s13, 0x3fe45f30
	v_mul_f64 v[18:19], |v[16:17]|, s[12:13]
	s_mov_b32 s12, 0x54442d18
	s_mov_b32 s13, 0xbff921fb
	s_mov_b32 s15, 0xbc91a626
	s_mov_b32 s14, 0x33145c00
	v_rndne_f64_e32 v[27:28], v[18:19]
	v_fma_f64 v[18:19], v[27:28], s[12:13], |v[16:17]|
	v_mul_f64 v[20:21], v[27:28], s[14:15]
	s_mov_b32 s12, 0x252049c0
	s_mov_b32 s13, 0xb97b839a
	v_cvt_i32_f64_e32 v10, v[27:28]
	v_fma_f64 v[33:34], v[27:28], s[14:15], v[18:19]
	v_add_f64 v[29:30], v[18:19], v[20:21]
	s_mov_b32 s15, 0x3c91a626
	v_add_f64 v[31:32], v[18:19], -v[29:30]
	v_add_f64 v[29:30], v[29:30], -v[33:34]
	v_add_f64 v[18:19], v[31:32], v[20:21]
	v_fma_f64 v[20:21], v[27:28], s[14:15], v[20:21]
	v_add_f64 v[18:19], v[29:30], v[18:19]
	v_add_f64 v[18:19], v[18:19], -v[20:21]
	v_fma_f64 v[20:21], v[27:28], s[12:13], v[18:19]
	v_add_f64 v[18:19], v[33:34], v[20:21]
	v_add_f64 v[29:30], v[18:19], -v[33:34]
	v_add_f64 v[20:21], v[20:21], -v[29:30]
.LBB37_207:
	s_or_b64 exec, exec, s[0:1]
	v_mul_f64 v[27:28], v[18:19], v[18:19]
	v_add_f64 v[29:30], v[20:21], v[20:21]
	s_mov_b32 s0, 0xc751c08c
	s_mov_b32 s1, 0x3ef5e089
	v_and_b32_e32 v10, 1, v10
	v_cmp_eq_u32_e32 vcc, 0, v10
	v_and_b32_e32 v12, 0x80000000, v17
	v_mov_b32_e32 v14, 0x7ff80000
	v_fma_f64 v[31:32], v[18:19], v[18:19], -v[27:28]
	s_mov_b32 s14, 0x54442d18
	s_mov_b32 s15, 0xc00921fb
	s_mov_b64 s[12:13], exec
	v_sub_f32_e32 v8, 1.0, v8
	v_fma_f64 v[29:30], v[18:19], v[29:30], v[31:32]
	v_add_f64 v[27:28], v[27:28], v[29:30]
	v_mov_b32_e32 v29, 0xa9a29f71
	v_mov_b32_e32 v30, 0xbf078809
	v_fma_f64 v[29:30], v[27:28], s[0:1], v[29:30]
	s_mov_b32 s0, 0x90a8aae0
	s_mov_b32 s1, 0x3f17746f
	v_fma_f64 v[29:30], v[27:28], v[29:30], s[0:1]
	s_mov_b32 s0, 0xa6fbf144
	s_mov_b32 s1, 0xbefbb44d
	;; [unrolled: 3-line block ×12, first 2 shown]
	v_fma_f64 v[29:30], v[27:28], v[29:30], s[0:1]
	s_movk_i32 s0, 0x1f8
	v_cmp_class_f64_e64 s[0:1], v[16:17], s0
	v_mul_f64 v[27:28], v[27:28], v[29:30]
	v_mul_f64 v[29:30], v[18:19], v[27:28]
	v_add_f64 v[31:32], v[18:19], v[29:30]
	v_fma_f64 v[27:28], v[18:19], v[27:28], -v[29:30]
	v_add_f64 v[18:19], v[31:32], -v[18:19]
	v_add_f64 v[20:21], v[20:21], v[27:28]
	v_add_f64 v[18:19], v[29:30], -v[18:19]
	v_add_f64 v[18:19], v[20:21], v[18:19]
	v_add_f64 v[20:21], v[31:32], v[18:19]
	v_rcp_f64_e32 v[27:28], v[20:21]
	v_fma_f64 v[29:30], -v[20:21], v[27:28], 1.0
	v_fma_f64 v[27:28], v[29:30], v[27:28], v[27:28]
	v_fma_f64 v[29:30], -v[20:21], v[27:28], 1.0
	v_fma_f64 v[27:28], v[29:30], v[27:28], v[27:28]
	v_add_f64 v[29:30], v[20:21], -v[31:32]
	v_mul_f64 v[31:32], v[20:21], v[27:28]
	v_add_f64 v[18:19], v[18:19], -v[29:30]
	v_fma_f64 v[29:30], v[27:28], v[20:21], -v[31:32]
	v_fma_f64 v[18:19], v[27:28], v[18:19], v[29:30]
	v_add_f64 v[29:30], v[31:32], v[18:19]
	v_add_f64 v[33:34], -v[29:30], 1.0
	v_add_f64 v[31:32], v[29:30], -v[31:32]
	v_add_f64 v[35:36], -v[33:34], 1.0
	v_add_f64 v[18:19], v[31:32], -v[18:19]
	v_add_f64 v[29:30], v[35:36], -v[29:30]
	v_add_f64 v[18:19], v[18:19], v[29:30]
	v_add_f64 v[18:19], v[33:34], v[18:19]
	v_mul_f64 v[18:19], v[27:28], v[18:19]
	v_add_f64 v[18:19], v[27:28], v[18:19]
	v_xor_b32_e32 v16, 0x80000000, v19
	v_cndmask_b32_e32 v10, v18, v20, vcc
	v_cndmask_b32_e32 v17, v16, v21, vcc
	v_cndmask_b32_e64 v16, 0, v10, s[0:1]
	v_xor_b32_e32 v10, v17, v12
	v_cndmask_b32_e64 v17, v14, v10, s[0:1]
	v_div_scale_f64 v[18:19], s[0:1], v[16:17], v[16:17], s[14:15]
	v_div_scale_f64 v[29:30], vcc, s[14:15], v[16:17], s[14:15]
	v_rcp_f64_e32 v[20:21], v[18:19]
	v_fma_f64 v[27:28], -v[18:19], v[20:21], 1.0
	v_fma_f64 v[20:21], v[20:21], v[27:28], v[20:21]
	v_fma_f64 v[27:28], -v[18:19], v[20:21], 1.0
	v_fma_f64 v[20:21], v[20:21], v[27:28], v[20:21]
	v_mul_f64 v[27:28], v[29:30], v[20:21]
	v_fma_f64 v[18:19], -v[18:19], v[27:28], v[29:30]
	v_div_fmas_f64 v[18:19], v[18:19], v[20:21], v[27:28]
	v_div_fixup_f64 v[16:17], v[18:19], v[16:17], s[14:15]
	v_cvt_f32_f64_e32 v10, v[16:17]
.LBB37_208:
	s_or_b64 exec, exec, s[10:11]
	s_orn2_b64 s[10:11], s[12:13], exec
.LBB37_209:
	s_or_b64 exec, exec, s[8:9]
	v_mov_b32_e32 v20, 0x7fc0
	s_and_saveexec_b64 s[0:1], s[10:11]
	s_cbranch_execz .LBB37_221
; %bb.210:
	s_mov_b32 s12, 0x41200000
	v_cmp_gt_f32_e32 vcc, s12, v8
	s_and_saveexec_b64 s[8:9], vcc
	s_cbranch_execz .LBB37_214
; %bb.211:
	s_mov_b64 s[10:11], 0
.LBB37_212:                             ; =>This Inner Loop Header: Depth=1
	v_div_scale_f32 v12, s[14:15], v8, v8, 1.0
	v_div_scale_f32 v14, vcc, 1.0, v8, 1.0
	v_rcp_f32_e32 v16, v12
	v_fma_f32 v17, -v12, v16, 1.0
	v_fmac_f32_e32 v16, v17, v16
	v_mul_f32_e32 v17, v14, v16
	v_fma_f32 v18, -v12, v17, v14
	v_fmac_f32_e32 v17, v18, v16
	v_fma_f32 v12, -v12, v17, v14
	v_div_fmas_f32 v12, v12, v16, v17
	v_div_fixup_f32 v12, v12, v8, 1.0
	v_add_f32_e32 v8, 1.0, v8
	v_cmp_ngt_f32_e32 vcc, s12, v8
	s_or_b64 s[10:11], vcc, s[10:11]
	v_sub_f32_e32 v10, v10, v12
	s_andn2_b64 exec, exec, s[10:11]
	s_cbranch_execnz .LBB37_212
; %bb.213:
	s_or_b64 exec, exec, s[10:11]
.LBB37_214:
	s_or_b64 exec, exec, s[8:9]
	s_mov_b32 s8, 0x41200000
	v_cmp_neq_f32_e32 vcc, s8, v8
                                        ; implicit-def: $vgpr20
	s_and_saveexec_b64 s[8:9], vcc
	s_xor_b64 s[8:9], exec, s[8:9]
	s_cbranch_execz .LBB37_218
; %bb.215:
	v_cvt_f64_f32_e32 v[16:17], v8
	s_mov_b32 s10, 0x85d8a000
	s_mov_b32 s11, 0x43763457
	v_mov_b32_e32 v12, 0
	v_cmp_gt_f64_e32 vcc, s[10:11], v[16:17]
	s_and_saveexec_b64 s[10:11], vcc
	s_cbranch_execz .LBB37_217
; %bb.216:
	v_mul_f32_e32 v12, v8, v8
	v_div_scale_f32 v14, s[12:13], v12, v12, 1.0
	v_div_scale_f32 v16, vcc, 1.0, v12, 1.0
	v_mov_b32_e32 v20, 0x3b820821
	v_rcp_f32_e32 v17, v14
	v_fma_f32 v18, -v14, v17, 1.0
	v_fmac_f32_e32 v17, v18, v17
	v_mul_f32_e32 v18, v16, v17
	v_fma_f32 v19, -v14, v18, v16
	v_fmac_f32_e32 v18, v19, v17
	v_fma_f32 v14, -v14, v18, v16
	v_div_fmas_f32 v14, v14, v17, v18
	v_mov_b32_e32 v16, 0x3daaaaab
	v_mov_b32_e32 v17, 0xbcaccacd
	v_mov_b32_e32 v18, 0x3bf83e10
	v_mov_b32_e32 v19, 0xbb888889
	v_div_fixup_f32 v12, v14, v12, 1.0
	v_fma_f32 v14, 0, v12, v16
	v_fmac_f32_e32 v17, v12, v14
	v_fmac_f32_e32 v18, v12, v17
	;; [unrolled: 1-line block ×4, first 2 shown]
	v_mov_b32_e32 v14, 0xbc088889
	v_fmac_f32_e32 v14, v12, v20
	v_fmac_f32_e32 v16, v12, v14
	v_mul_f32_e32 v12, v12, v16
.LBB37_217:
	s_or_b64 exec, exec, s[10:11]
	v_div_scale_f32 v14, s[10:11], v8, v8, -0.5
	v_div_scale_f32 v16, vcc, -0.5, v8, -0.5
	s_mov_b32 s10, 0x800000
	s_mov_b32 s11, 0x3f317217
	;; [unrolled: 1-line block ×3, first 2 shown]
	v_rcp_f32_e32 v17, v14
	v_fma_f32 v18, -v14, v17, 1.0
	v_fmac_f32_e32 v17, v18, v17
	v_mul_f32_e32 v18, v16, v17
	v_fma_f32 v19, -v14, v18, v16
	v_fmac_f32_e32 v18, v19, v17
	v_fma_f32 v14, -v14, v18, v16
	v_div_fmas_f32 v14, v14, v17, v18
	v_cmp_gt_f32_e32 vcc, s10, v8
	v_cndmask_b32_e64 v17, 0, 32, vcc
	v_ldexp_f32 v17, v8, v17
	v_log_f32_e32 v17, v17
	v_mov_b32_e32 v16, 0x41b17218
	v_cndmask_b32_e32 v16, 0, v16, vcc
	s_movk_i32 s10, 0x7fff
	v_mul_f32_e32 v19, 0x3f317217, v17
	v_fma_f32 v19, v17, s11, -v19
	v_fmac_f32_e32 v19, 0x3377d1cf, v17
	v_fmac_f32_e32 v19, 0x3f317217, v17
	v_cmp_lt_f32_e64 vcc, |v17|, s12
	v_cndmask_b32_e32 v17, v17, v19, vcc
	v_sub_f32_e32 v16, v17, v16
	v_mov_b32_e32 v18, 0x7fc0
	v_div_fixup_f32 v8, v14, v8, -0.5
	v_add_f32_e32 v8, v16, v8
	v_sub_f32_e32 v8, v8, v12
	v_add_f32_e32 v8, v10, v8
	v_bfe_u32 v10, v8, 16, 1
	v_cmp_o_f32_e32 vcc, v8, v8
	v_add3_u32 v8, v8, v10, s10
	v_cndmask_b32_sdwa v20, v18, v8, vcc dst_sel:DWORD dst_unused:UNUSED_PAD src0_sel:DWORD src1_sel:WORD_1
                                        ; implicit-def: $vgpr10
.LBB37_218:
	s_andn2_saveexec_b64 s[8:9], s[8:9]
; %bb.219:
	v_add_f32_e32 v8, 0x40101cb7, v10
	v_bfe_u32 v10, v8, 16, 1
	s_movk_i32 s10, 0x7fff
	v_add3_u32 v10, v8, v10, s10
	v_cmp_o_f32_e32 vcc, v8, v8
	v_mov_b32_e32 v8, 0x7fc0
	v_cndmask_b32_sdwa v20, v8, v10, vcc dst_sel:DWORD dst_unused:UNUSED_PAD src0_sel:DWORD src1_sel:WORD_1
; %bb.220:
	s_or_b64 exec, exec, s[8:9]
.LBB37_221:
	s_or_b64 exec, exec, s[0:1]
                                        ; implicit-def: $vgpr8
.LBB37_222:
	s_andn2_saveexec_b64 s[0:1], s[2:3]
; %bb.223:
	v_xor_b32_e32 v8, 0x80000000, v8
	v_and_b32_e32 v8, 0x80000000, v8
	v_or_b32_e32 v8, 0x7f800000, v8
	v_lshrrev_b32_e32 v20, 16, v8
; %bb.224:
	s_or_b64 exec, exec, s[0:1]
	global_load_ushort v8, v15, s[6:7]
                                        ; implicit-def: $vgpr18
	s_waitcnt vmcnt(0)
	v_lshlrev_b32_e32 v8, 16, v8
	v_cmp_neq_f32_e32 vcc, 0, v8
	s_and_saveexec_b64 s[0:1], vcc
	s_xor_b64 s[2:3], exec, s[0:1]
	s_cbranch_execz .LBB37_246
; %bb.225:
	v_mov_b32_e32 v10, 0
	v_cmp_gt_f32_e32 vcc, 0, v8
	s_mov_b64 s[10:11], -1
	s_and_saveexec_b64 s[8:9], vcc
	s_cbranch_execz .LBB37_233
; %bb.226:
	v_trunc_f32_e32 v10, v8
	v_cmp_neq_f32_e32 vcc, v10, v8
	s_mov_b64 s[12:13], 0
	v_mov_b32_e32 v10, 0
	s_and_saveexec_b64 s[10:11], vcc
	s_cbranch_execz .LBB37_232
; %bb.227:
	v_cvt_f64_f32_e32 v[14:15], v8
	s_mov_b32 s0, 0
	s_mov_b32 s13, 0xc00921fb
	;; [unrolled: 1-line block ×3, first 2 shown]
	v_trunc_f64_e32 v[16:17], v[14:15]
	s_mov_b32 s1, 0x7ff00000
	v_cmp_neq_f64_e64 vcc, |v[14:15]|, s[0:1]
	v_bfrev_b32_e32 v10, 1
	s_mov_b32 s14, 0
	s_mov_b32 s15, 0x41d00000
                                        ; implicit-def: $vgpr18_vgpr19
	v_add_f64 v[16:17], v[14:15], -v[16:17]
	v_mul_f64 v[16:17], |v[16:17]|, s[12:13]
	v_cndmask_b32_e32 v15, v10, v17, vcc
	v_cndmask_b32_e32 v14, 0, v16, vcc
	v_cmp_nlt_f64_e64 s[14:15], |v[14:15]|, s[14:15]
                                        ; implicit-def: $vgpr10
                                        ; implicit-def: $vgpr16_vgpr17
	s_and_saveexec_b64 s[16:17], s[14:15]
	s_xor_b64 s[14:15], exec, s[16:17]
	s_cbranch_execz .LBB37_229
; %bb.228:
	v_trig_preop_f64 v[16:17], |v[14:15]|, 0
	s_mov_b32 s16, 0
	s_mov_b32 s17, 0x7b000000
	s_movk_i32 s13, 0xff80
	v_ldexp_f64 v[27:28], |v[14:15]|, s13
	v_cmp_ge_f64_e64 vcc, |v[14:15]|, s[16:17]
	v_trig_preop_f64 v[18:19], |v[14:15]|, 1
	v_and_b32_e32 v10, 0x7fffffff, v15
	v_trig_preop_f64 v[35:36], |v[14:15]|, 2
	v_mov_b32_e32 v45, 0
	v_mov_b32_e32 v12, 0x3ff00000
	s_mov_b32 s13, 0x3ff921fb
	v_cndmask_b32_e32 v28, v10, v28, vcc
	v_cndmask_b32_e32 v27, v14, v27, vcc
	v_mov_b32_e32 v10, 0x40100000
	v_mul_f64 v[29:30], v[16:17], v[27:28]
	v_mul_f64 v[31:32], v[18:19], v[27:28]
	;; [unrolled: 1-line block ×3, first 2 shown]
	v_fma_f64 v[16:17], v[16:17], v[27:28], -v[29:30]
	v_fma_f64 v[18:19], v[18:19], v[27:28], -v[31:32]
	;; [unrolled: 1-line block ×3, first 2 shown]
	v_add_f64 v[33:34], v[31:32], v[16:17]
	v_add_f64 v[37:38], v[33:34], -v[31:32]
	v_add_f64 v[43:44], v[29:30], v[33:34]
	v_add_f64 v[39:40], v[33:34], -v[37:38]
	v_add_f64 v[16:17], v[16:17], -v[37:38]
	v_add_f64 v[37:38], v[41:42], v[18:19]
	v_add_f64 v[29:30], v[43:44], -v[29:30]
	v_add_f64 v[31:32], v[31:32], -v[39:40]
	v_ldexp_f64 v[39:40], v[43:44], -2
	v_add_f64 v[47:48], v[37:38], -v[41:42]
	v_add_f64 v[29:30], v[33:34], -v[29:30]
	v_add_f64 v[16:17], v[16:17], v[31:32]
	v_fract_f64_e32 v[31:32], v[39:40]
	v_cmp_neq_f64_e64 vcc, |v[39:40]|, s[0:1]
	v_add_f64 v[18:19], v[18:19], -v[47:48]
	v_add_f64 v[33:34], v[37:38], v[16:17]
	v_ldexp_f64 v[31:32], v[31:32], 2
	v_add_f64 v[39:40], v[29:30], v[33:34]
	v_cndmask_b32_e32 v32, 0, v32, vcc
	v_cndmask_b32_e32 v31, 0, v31, vcc
	v_add_f64 v[49:50], v[33:34], -v[37:38]
	v_add_f64 v[43:44], v[39:40], v[31:32]
	v_add_f64 v[29:30], v[39:40], -v[29:30]
	v_add_f64 v[51:52], v[33:34], -v[49:50]
	;; [unrolled: 1-line block ×3, first 2 shown]
	v_cmp_gt_f64_e32 vcc, 0, v[43:44]
	v_add_f64 v[43:44], v[37:38], -v[47:48]
	v_add_f64 v[29:30], v[33:34], -v[29:30]
	;; [unrolled: 1-line block ×3, first 2 shown]
	v_cndmask_b32_e32 v46, 0, v10, vcc
	v_add_f64 v[31:32], v[31:32], v[45:46]
	v_add_f64 v[43:44], v[41:42], -v[43:44]
	v_add_f64 v[16:17], v[16:17], v[37:38]
	v_add_f64 v[53:54], v[39:40], v[31:32]
	;; [unrolled: 1-line block ×3, first 2 shown]
	v_cvt_i32_f64_e32 v10, v[53:54]
	v_add_f64 v[16:17], v[18:19], v[16:17]
	v_cvt_f64_i32_e32 v[46:47], v10
	v_add_f64 v[31:32], v[31:32], -v[46:47]
	v_add_f64 v[16:17], v[27:28], v[16:17]
	v_add_f64 v[18:19], v[39:40], v[31:32]
	;; [unrolled: 1-line block ×3, first 2 shown]
	v_add_f64 v[27:28], v[18:19], -v[31:32]
	v_cmp_le_f64_e32 vcc, 0.5, v[18:19]
	v_add_f64 v[27:28], v[39:40], -v[27:28]
	v_cndmask_b32_e32 v46, 0, v12, vcc
	v_add_f64 v[18:19], v[18:19], -v[45:46]
	v_addc_co_u32_e64 v10, s[0:1], 0, v10, vcc
	s_mov_b32 s0, 0x33145c07
	s_mov_b32 s1, 0x3c91a626
	v_add_f64 v[16:17], v[16:17], v[27:28]
	v_add_f64 v[27:28], v[18:19], v[16:17]
	v_mul_f64 v[29:30], v[27:28], s[12:13]
	v_add_f64 v[18:19], v[27:28], -v[18:19]
	v_fma_f64 v[31:32], v[27:28], s[12:13], -v[29:30]
	v_add_f64 v[16:17], v[16:17], -v[18:19]
	v_fma_f64 v[18:19], v[27:28], s[0:1], v[31:32]
	v_fma_f64 v[18:19], v[16:17], s[12:13], v[18:19]
	v_add_f64 v[16:17], v[29:30], v[18:19]
	v_add_f64 v[27:28], v[16:17], -v[29:30]
	v_add_f64 v[18:19], v[18:19], -v[27:28]
.LBB37_229:
	s_andn2_saveexec_b64 s[0:1], s[14:15]
	s_cbranch_execz .LBB37_231
; %bb.230:
	s_mov_b32 s12, 0x6dc9c883
	s_mov_b32 s13, 0x3fe45f30
	v_mul_f64 v[16:17], |v[14:15]|, s[12:13]
	s_mov_b32 s12, 0x54442d18
	s_mov_b32 s13, 0xbff921fb
	;; [unrolled: 1-line block ×4, first 2 shown]
	v_rndne_f64_e32 v[27:28], v[16:17]
	v_fma_f64 v[16:17], v[27:28], s[12:13], |v[14:15]|
	v_mul_f64 v[18:19], v[27:28], s[14:15]
	s_mov_b32 s12, 0x252049c0
	s_mov_b32 s13, 0xb97b839a
	v_cvt_i32_f64_e32 v10, v[27:28]
	v_fma_f64 v[33:34], v[27:28], s[14:15], v[16:17]
	v_add_f64 v[29:30], v[16:17], v[18:19]
	s_mov_b32 s15, 0x3c91a626
	v_add_f64 v[31:32], v[16:17], -v[29:30]
	v_add_f64 v[29:30], v[29:30], -v[33:34]
	v_add_f64 v[16:17], v[31:32], v[18:19]
	v_fma_f64 v[18:19], v[27:28], s[14:15], v[18:19]
	v_add_f64 v[16:17], v[29:30], v[16:17]
	v_add_f64 v[16:17], v[16:17], -v[18:19]
	v_fma_f64 v[18:19], v[27:28], s[12:13], v[16:17]
	v_add_f64 v[16:17], v[33:34], v[18:19]
	v_add_f64 v[29:30], v[16:17], -v[33:34]
	v_add_f64 v[18:19], v[18:19], -v[29:30]
.LBB37_231:
	s_or_b64 exec, exec, s[0:1]
	v_mul_f64 v[27:28], v[16:17], v[16:17]
	v_add_f64 v[29:30], v[18:19], v[18:19]
	s_mov_b32 s0, 0xc751c08c
	s_mov_b32 s1, 0x3ef5e089
	v_and_b32_e32 v10, 1, v10
	v_cmp_eq_u32_e32 vcc, 0, v10
	v_and_b32_e32 v12, 0x80000000, v15
	s_mov_b32 s14, 0x54442d18
	v_fma_f64 v[31:32], v[16:17], v[16:17], -v[27:28]
	s_mov_b32 s15, 0xc00921fb
	s_mov_b64 s[12:13], exec
	v_sub_f32_e32 v8, 1.0, v8
	v_fma_f64 v[29:30], v[16:17], v[29:30], v[31:32]
	v_add_f64 v[27:28], v[27:28], v[29:30]
	v_mov_b32_e32 v29, 0xa9a29f71
	v_mov_b32_e32 v30, 0xbf078809
	v_fma_f64 v[29:30], v[27:28], s[0:1], v[29:30]
	s_mov_b32 s0, 0x90a8aae0
	s_mov_b32 s1, 0x3f17746f
	v_fma_f64 v[29:30], v[27:28], v[29:30], s[0:1]
	s_mov_b32 s0, 0xa6fbf144
	s_mov_b32 s1, 0xbefbb44d
	;; [unrolled: 3-line block ×12, first 2 shown]
	v_fma_f64 v[29:30], v[27:28], v[29:30], s[0:1]
	s_movk_i32 s0, 0x1f8
	v_cmp_class_f64_e64 s[0:1], v[14:15], s0
	v_mov_b32_e32 v15, 0x7ff80000
	v_mul_f64 v[27:28], v[27:28], v[29:30]
	v_mul_f64 v[29:30], v[16:17], v[27:28]
	v_add_f64 v[31:32], v[16:17], v[29:30]
	v_fma_f64 v[27:28], v[16:17], v[27:28], -v[29:30]
	v_add_f64 v[16:17], v[31:32], -v[16:17]
	v_add_f64 v[18:19], v[18:19], v[27:28]
	v_add_f64 v[16:17], v[29:30], -v[16:17]
	v_add_f64 v[16:17], v[18:19], v[16:17]
	v_add_f64 v[18:19], v[31:32], v[16:17]
	v_rcp_f64_e32 v[27:28], v[18:19]
	v_fma_f64 v[29:30], -v[18:19], v[27:28], 1.0
	v_fma_f64 v[27:28], v[29:30], v[27:28], v[27:28]
	v_fma_f64 v[29:30], -v[18:19], v[27:28], 1.0
	v_fma_f64 v[27:28], v[29:30], v[27:28], v[27:28]
	v_add_f64 v[29:30], v[18:19], -v[31:32]
	v_mul_f64 v[31:32], v[18:19], v[27:28]
	v_add_f64 v[16:17], v[16:17], -v[29:30]
	v_fma_f64 v[29:30], v[27:28], v[18:19], -v[31:32]
	v_fma_f64 v[16:17], v[27:28], v[16:17], v[29:30]
	v_add_f64 v[29:30], v[31:32], v[16:17]
	v_add_f64 v[33:34], -v[29:30], 1.0
	v_add_f64 v[31:32], v[29:30], -v[31:32]
	v_add_f64 v[35:36], -v[33:34], 1.0
	v_add_f64 v[16:17], v[31:32], -v[16:17]
	v_add_f64 v[29:30], v[35:36], -v[29:30]
	v_add_f64 v[16:17], v[16:17], v[29:30]
	v_add_f64 v[16:17], v[33:34], v[16:17]
	v_mul_f64 v[16:17], v[27:28], v[16:17]
	v_add_f64 v[16:17], v[27:28], v[16:17]
	v_xor_b32_e32 v14, 0x80000000, v17
	v_cndmask_b32_e32 v10, v16, v18, vcc
	v_cndmask_b32_e32 v16, v14, v19, vcc
	v_cndmask_b32_e64 v14, 0, v10, s[0:1]
	v_xor_b32_e32 v10, v16, v12
	v_cndmask_b32_e64 v15, v15, v10, s[0:1]
	v_div_scale_f64 v[16:17], s[0:1], v[14:15], v[14:15], s[14:15]
	v_div_scale_f64 v[29:30], vcc, s[14:15], v[14:15], s[14:15]
	v_rcp_f64_e32 v[18:19], v[16:17]
	v_fma_f64 v[27:28], -v[16:17], v[18:19], 1.0
	v_fma_f64 v[18:19], v[18:19], v[27:28], v[18:19]
	v_fma_f64 v[27:28], -v[16:17], v[18:19], 1.0
	v_fma_f64 v[18:19], v[18:19], v[27:28], v[18:19]
	v_mul_f64 v[27:28], v[29:30], v[18:19]
	v_fma_f64 v[16:17], -v[16:17], v[27:28], v[29:30]
	v_div_fmas_f64 v[16:17], v[16:17], v[18:19], v[27:28]
	v_div_fixup_f64 v[14:15], v[16:17], v[14:15], s[14:15]
	v_cvt_f32_f64_e32 v10, v[14:15]
.LBB37_232:
	s_or_b64 exec, exec, s[10:11]
	s_orn2_b64 s[10:11], s[12:13], exec
.LBB37_233:
	s_or_b64 exec, exec, s[8:9]
	v_mov_b32_e32 v18, 0x7fc0
	s_and_saveexec_b64 s[0:1], s[10:11]
	s_cbranch_execz .LBB37_245
; %bb.234:
	s_mov_b32 s12, 0x41200000
	v_cmp_gt_f32_e32 vcc, s12, v8
	s_and_saveexec_b64 s[8:9], vcc
	s_cbranch_execz .LBB37_238
; %bb.235:
	s_mov_b64 s[10:11], 0
.LBB37_236:                             ; =>This Inner Loop Header: Depth=1
	v_div_scale_f32 v12, s[14:15], v8, v8, 1.0
	v_div_scale_f32 v14, vcc, 1.0, v8, 1.0
	v_rcp_f32_e32 v15, v12
	v_fma_f32 v16, -v12, v15, 1.0
	v_fmac_f32_e32 v15, v16, v15
	v_mul_f32_e32 v16, v14, v15
	v_fma_f32 v17, -v12, v16, v14
	v_fmac_f32_e32 v16, v17, v15
	v_fma_f32 v12, -v12, v16, v14
	v_div_fmas_f32 v12, v12, v15, v16
	v_div_fixup_f32 v12, v12, v8, 1.0
	v_add_f32_e32 v8, 1.0, v8
	v_cmp_ngt_f32_e32 vcc, s12, v8
	s_or_b64 s[10:11], vcc, s[10:11]
	v_sub_f32_e32 v10, v10, v12
	s_andn2_b64 exec, exec, s[10:11]
	s_cbranch_execnz .LBB37_236
; %bb.237:
	s_or_b64 exec, exec, s[10:11]
.LBB37_238:
	s_or_b64 exec, exec, s[8:9]
	s_mov_b32 s8, 0x41200000
	v_cmp_neq_f32_e32 vcc, s8, v8
                                        ; implicit-def: $vgpr18
	s_and_saveexec_b64 s[8:9], vcc
	s_xor_b64 s[8:9], exec, s[8:9]
	s_cbranch_execz .LBB37_242
; %bb.239:
	v_cvt_f64_f32_e32 v[14:15], v8
	s_mov_b32 s10, 0x85d8a000
	s_mov_b32 s11, 0x43763457
	v_mov_b32_e32 v12, 0
	v_cmp_gt_f64_e32 vcc, s[10:11], v[14:15]
	s_and_saveexec_b64 s[10:11], vcc
	s_cbranch_execz .LBB37_241
; %bb.240:
	v_mul_f32_e32 v12, v8, v8
	v_div_scale_f32 v14, s[12:13], v12, v12, 1.0
	v_div_scale_f32 v15, vcc, 1.0, v12, 1.0
	v_mov_b32_e32 v19, 0x3b820821
	v_rcp_f32_e32 v16, v14
	v_fma_f32 v17, -v14, v16, 1.0
	v_fmac_f32_e32 v16, v17, v16
	v_mul_f32_e32 v17, v15, v16
	v_fma_f32 v18, -v14, v17, v15
	v_fmac_f32_e32 v17, v18, v16
	v_fma_f32 v14, -v14, v17, v15
	v_div_fmas_f32 v14, v14, v16, v17
	v_mov_b32_e32 v15, 0x3daaaaab
	v_mov_b32_e32 v16, 0xbcaccacd
	;; [unrolled: 1-line block ×4, first 2 shown]
	v_div_fixup_f32 v12, v14, v12, 1.0
	v_fma_f32 v14, 0, v12, v15
	v_fmac_f32_e32 v16, v12, v14
	v_fmac_f32_e32 v17, v12, v16
	v_fmac_f32_e32 v18, v12, v17
	v_fmac_f32_e32 v19, v12, v18
	v_mov_b32_e32 v14, 0xbc088889
	v_fmac_f32_e32 v14, v12, v19
	v_fmac_f32_e32 v15, v12, v14
	v_mul_f32_e32 v12, v12, v15
.LBB37_241:
	s_or_b64 exec, exec, s[10:11]
	v_div_scale_f32 v14, s[10:11], v8, v8, -0.5
	v_div_scale_f32 v15, vcc, -0.5, v8, -0.5
	s_mov_b32 s10, 0x800000
	s_mov_b32 s11, 0x3f317217
	;; [unrolled: 1-line block ×3, first 2 shown]
	v_rcp_f32_e32 v16, v14
	v_fma_f32 v17, -v14, v16, 1.0
	v_fmac_f32_e32 v16, v17, v16
	v_mul_f32_e32 v17, v15, v16
	v_fma_f32 v18, -v14, v17, v15
	v_fmac_f32_e32 v17, v18, v16
	v_fma_f32 v14, -v14, v17, v15
	v_div_fmas_f32 v14, v14, v16, v17
	v_cmp_gt_f32_e32 vcc, s10, v8
	v_cndmask_b32_e64 v16, 0, 32, vcc
	v_ldexp_f32 v16, v8, v16
	v_log_f32_e32 v16, v16
	v_mov_b32_e32 v15, 0x41b17218
	v_cndmask_b32_e32 v15, 0, v15, vcc
	s_movk_i32 s10, 0x7fff
	v_mul_f32_e32 v18, 0x3f317217, v16
	v_fma_f32 v18, v16, s11, -v18
	v_fmac_f32_e32 v18, 0x3377d1cf, v16
	v_fmac_f32_e32 v18, 0x3f317217, v16
	v_cmp_lt_f32_e64 vcc, |v16|, s12
	v_cndmask_b32_e32 v16, v16, v18, vcc
	v_sub_f32_e32 v15, v16, v15
	v_mov_b32_e32 v17, 0x7fc0
	v_div_fixup_f32 v8, v14, v8, -0.5
	v_add_f32_e32 v8, v15, v8
	v_sub_f32_e32 v8, v8, v12
	v_add_f32_e32 v8, v10, v8
	v_bfe_u32 v10, v8, 16, 1
	v_cmp_o_f32_e32 vcc, v8, v8
	v_add3_u32 v8, v8, v10, s10
	v_cndmask_b32_sdwa v18, v17, v8, vcc dst_sel:DWORD dst_unused:UNUSED_PAD src0_sel:DWORD src1_sel:WORD_1
                                        ; implicit-def: $vgpr10
.LBB37_242:
	s_andn2_saveexec_b64 s[8:9], s[8:9]
; %bb.243:
	v_add_f32_e32 v8, 0x40101cb7, v10
	v_bfe_u32 v10, v8, 16, 1
	s_movk_i32 s10, 0x7fff
	v_add3_u32 v10, v8, v10, s10
	v_cmp_o_f32_e32 vcc, v8, v8
	v_mov_b32_e32 v8, 0x7fc0
	v_cndmask_b32_sdwa v18, v8, v10, vcc dst_sel:DWORD dst_unused:UNUSED_PAD src0_sel:DWORD src1_sel:WORD_1
; %bb.244:
	s_or_b64 exec, exec, s[8:9]
.LBB37_245:
	s_or_b64 exec, exec, s[0:1]
                                        ; implicit-def: $vgpr8
.LBB37_246:
	s_andn2_saveexec_b64 s[0:1], s[2:3]
; %bb.247:
	v_xor_b32_e32 v8, 0x80000000, v8
	v_and_b32_e32 v8, 0x80000000, v8
	v_or_b32_e32 v8, 0x7f800000, v8
	v_lshrrev_b32_e32 v18, 16, v8
; %bb.248:
	s_or_b64 exec, exec, s[0:1]
	global_load_ushort v8, v13, s[6:7]
                                        ; implicit-def: $vgpr16
	s_waitcnt vmcnt(0)
	v_lshlrev_b32_e32 v8, 16, v8
	v_cmp_neq_f32_e32 vcc, 0, v8
	s_and_saveexec_b64 s[0:1], vcc
	s_xor_b64 s[2:3], exec, s[0:1]
	s_cbranch_execz .LBB37_270
; %bb.249:
	v_mov_b32_e32 v10, 0
	v_cmp_gt_f32_e32 vcc, 0, v8
	s_mov_b64 s[10:11], -1
	s_and_saveexec_b64 s[8:9], vcc
	s_cbranch_execz .LBB37_257
; %bb.250:
	v_trunc_f32_e32 v10, v8
	v_cmp_neq_f32_e32 vcc, v10, v8
	s_mov_b64 s[12:13], 0
	v_mov_b32_e32 v10, 0
	s_and_saveexec_b64 s[10:11], vcc
	s_cbranch_execz .LBB37_256
; %bb.251:
	v_cvt_f64_f32_e32 v[12:13], v8
	s_mov_b32 s0, 0
	s_mov_b32 s13, 0xc00921fb
	s_mov_b32 s12, 0x54442d18
	v_trunc_f64_e32 v[14:15], v[12:13]
	s_mov_b32 s1, 0x7ff00000
	v_cmp_neq_f64_e64 vcc, |v[12:13]|, s[0:1]
	v_bfrev_b32_e32 v10, 1
	s_mov_b32 s14, 0
	s_mov_b32 s15, 0x41d00000
                                        ; implicit-def: $vgpr16_vgpr17
	v_add_f64 v[14:15], v[12:13], -v[14:15]
	v_mul_f64 v[14:15], |v[14:15]|, s[12:13]
	v_cndmask_b32_e32 v13, v10, v15, vcc
	v_cndmask_b32_e32 v12, 0, v14, vcc
	v_cmp_nlt_f64_e64 s[14:15], |v[12:13]|, s[14:15]
                                        ; implicit-def: $vgpr10
                                        ; implicit-def: $vgpr14_vgpr15
	s_and_saveexec_b64 s[16:17], s[14:15]
	s_xor_b64 s[14:15], exec, s[16:17]
	s_cbranch_execz .LBB37_253
; %bb.252:
	v_trig_preop_f64 v[14:15], |v[12:13]|, 0
	s_mov_b32 s16, 0
	s_mov_b32 s17, 0x7b000000
	s_movk_i32 s13, 0xff80
	v_ldexp_f64 v[27:28], |v[12:13]|, s13
	v_cmp_ge_f64_e64 vcc, |v[12:13]|, s[16:17]
	v_trig_preop_f64 v[16:17], |v[12:13]|, 1
	v_and_b32_e32 v10, 0x7fffffff, v13
	v_trig_preop_f64 v[35:36], |v[12:13]|, 2
	v_mov_b32_e32 v45, 0
	v_mov_b32_e32 v19, 0x3ff00000
	s_mov_b32 s13, 0x3ff921fb
	v_cndmask_b32_e32 v28, v10, v28, vcc
	v_cndmask_b32_e32 v27, v12, v27, vcc
	v_mov_b32_e32 v10, 0x40100000
	v_mul_f64 v[29:30], v[14:15], v[27:28]
	v_mul_f64 v[31:32], v[16:17], v[27:28]
	;; [unrolled: 1-line block ×3, first 2 shown]
	v_fma_f64 v[14:15], v[14:15], v[27:28], -v[29:30]
	v_fma_f64 v[16:17], v[16:17], v[27:28], -v[31:32]
	v_fma_f64 v[27:28], v[35:36], v[27:28], -v[41:42]
	v_add_f64 v[33:34], v[31:32], v[14:15]
	v_add_f64 v[37:38], v[33:34], -v[31:32]
	v_add_f64 v[43:44], v[29:30], v[33:34]
	v_add_f64 v[39:40], v[33:34], -v[37:38]
	v_add_f64 v[14:15], v[14:15], -v[37:38]
	v_add_f64 v[37:38], v[41:42], v[16:17]
	v_add_f64 v[29:30], v[43:44], -v[29:30]
	v_add_f64 v[31:32], v[31:32], -v[39:40]
	v_ldexp_f64 v[39:40], v[43:44], -2
	v_add_f64 v[47:48], v[37:38], -v[41:42]
	v_add_f64 v[29:30], v[33:34], -v[29:30]
	v_add_f64 v[14:15], v[14:15], v[31:32]
	v_fract_f64_e32 v[31:32], v[39:40]
	v_cmp_neq_f64_e64 vcc, |v[39:40]|, s[0:1]
	v_add_f64 v[16:17], v[16:17], -v[47:48]
	v_add_f64 v[33:34], v[37:38], v[14:15]
	v_ldexp_f64 v[31:32], v[31:32], 2
	v_add_f64 v[39:40], v[29:30], v[33:34]
	v_cndmask_b32_e32 v32, 0, v32, vcc
	v_cndmask_b32_e32 v31, 0, v31, vcc
	v_add_f64 v[49:50], v[33:34], -v[37:38]
	v_add_f64 v[43:44], v[39:40], v[31:32]
	v_add_f64 v[29:30], v[39:40], -v[29:30]
	v_add_f64 v[51:52], v[33:34], -v[49:50]
	;; [unrolled: 1-line block ×3, first 2 shown]
	v_cmp_gt_f64_e32 vcc, 0, v[43:44]
	v_add_f64 v[43:44], v[37:38], -v[47:48]
	v_add_f64 v[29:30], v[33:34], -v[29:30]
	;; [unrolled: 1-line block ×3, first 2 shown]
	v_cndmask_b32_e32 v46, 0, v10, vcc
	v_add_f64 v[31:32], v[31:32], v[45:46]
	v_add_f64 v[43:44], v[41:42], -v[43:44]
	v_add_f64 v[14:15], v[14:15], v[37:38]
	v_add_f64 v[53:54], v[39:40], v[31:32]
	;; [unrolled: 1-line block ×3, first 2 shown]
	v_cvt_i32_f64_e32 v10, v[53:54]
	v_add_f64 v[14:15], v[16:17], v[14:15]
	v_cvt_f64_i32_e32 v[46:47], v10
	v_add_f64 v[31:32], v[31:32], -v[46:47]
	v_add_f64 v[14:15], v[27:28], v[14:15]
	v_add_f64 v[16:17], v[39:40], v[31:32]
	;; [unrolled: 1-line block ×3, first 2 shown]
	v_add_f64 v[27:28], v[16:17], -v[31:32]
	v_cmp_le_f64_e32 vcc, 0.5, v[16:17]
	v_add_f64 v[27:28], v[39:40], -v[27:28]
	v_cndmask_b32_e32 v46, 0, v19, vcc
	v_add_f64 v[16:17], v[16:17], -v[45:46]
	v_addc_co_u32_e64 v10, s[0:1], 0, v10, vcc
	s_mov_b32 s0, 0x33145c07
	s_mov_b32 s1, 0x3c91a626
	v_add_f64 v[14:15], v[14:15], v[27:28]
	v_add_f64 v[27:28], v[16:17], v[14:15]
	v_mul_f64 v[29:30], v[27:28], s[12:13]
	v_add_f64 v[16:17], v[27:28], -v[16:17]
	v_fma_f64 v[31:32], v[27:28], s[12:13], -v[29:30]
	v_add_f64 v[14:15], v[14:15], -v[16:17]
	v_fma_f64 v[16:17], v[27:28], s[0:1], v[31:32]
	v_fma_f64 v[16:17], v[14:15], s[12:13], v[16:17]
	v_add_f64 v[14:15], v[29:30], v[16:17]
	v_add_f64 v[27:28], v[14:15], -v[29:30]
	v_add_f64 v[16:17], v[16:17], -v[27:28]
.LBB37_253:
	s_andn2_saveexec_b64 s[0:1], s[14:15]
	s_cbranch_execz .LBB37_255
; %bb.254:
	s_mov_b32 s12, 0x6dc9c883
	s_mov_b32 s13, 0x3fe45f30
	v_mul_f64 v[14:15], |v[12:13]|, s[12:13]
	s_mov_b32 s12, 0x54442d18
	s_mov_b32 s13, 0xbff921fb
	;; [unrolled: 1-line block ×4, first 2 shown]
	v_rndne_f64_e32 v[27:28], v[14:15]
	v_fma_f64 v[14:15], v[27:28], s[12:13], |v[12:13]|
	v_mul_f64 v[16:17], v[27:28], s[14:15]
	s_mov_b32 s12, 0x252049c0
	s_mov_b32 s13, 0xb97b839a
	v_cvt_i32_f64_e32 v10, v[27:28]
	v_fma_f64 v[33:34], v[27:28], s[14:15], v[14:15]
	v_add_f64 v[29:30], v[14:15], v[16:17]
	s_mov_b32 s15, 0x3c91a626
	v_add_f64 v[31:32], v[14:15], -v[29:30]
	v_add_f64 v[29:30], v[29:30], -v[33:34]
	v_add_f64 v[14:15], v[31:32], v[16:17]
	v_fma_f64 v[16:17], v[27:28], s[14:15], v[16:17]
	v_add_f64 v[14:15], v[29:30], v[14:15]
	v_add_f64 v[14:15], v[14:15], -v[16:17]
	v_fma_f64 v[16:17], v[27:28], s[12:13], v[14:15]
	v_add_f64 v[14:15], v[33:34], v[16:17]
	v_add_f64 v[29:30], v[14:15], -v[33:34]
	v_add_f64 v[16:17], v[16:17], -v[29:30]
.LBB37_255:
	s_or_b64 exec, exec, s[0:1]
	v_mul_f64 v[27:28], v[14:15], v[14:15]
	v_add_f64 v[29:30], v[16:17], v[16:17]
	s_mov_b32 s0, 0xc751c08c
	s_mov_b32 s1, 0x3ef5e089
	v_and_b32_e32 v10, 1, v10
	v_cmp_eq_u32_e32 vcc, 0, v10
	v_and_b32_e32 v19, 0x80000000, v13
	s_mov_b32 s14, 0x54442d18
	v_fma_f64 v[31:32], v[14:15], v[14:15], -v[27:28]
	s_mov_b32 s15, 0xc00921fb
	s_mov_b64 s[12:13], exec
	v_sub_f32_e32 v8, 1.0, v8
	v_fma_f64 v[29:30], v[14:15], v[29:30], v[31:32]
	v_add_f64 v[27:28], v[27:28], v[29:30]
	v_mov_b32_e32 v29, 0xa9a29f71
	v_mov_b32_e32 v30, 0xbf078809
	v_fma_f64 v[29:30], v[27:28], s[0:1], v[29:30]
	s_mov_b32 s0, 0x90a8aae0
	s_mov_b32 s1, 0x3f17746f
	v_fma_f64 v[29:30], v[27:28], v[29:30], s[0:1]
	s_mov_b32 s0, 0xa6fbf144
	s_mov_b32 s1, 0xbefbb44d
	;; [unrolled: 3-line block ×12, first 2 shown]
	v_fma_f64 v[29:30], v[27:28], v[29:30], s[0:1]
	s_movk_i32 s0, 0x1f8
	v_cmp_class_f64_e64 s[0:1], v[12:13], s0
	v_mov_b32_e32 v13, 0x7ff80000
	v_mul_f64 v[27:28], v[27:28], v[29:30]
	v_mul_f64 v[29:30], v[14:15], v[27:28]
	v_add_f64 v[31:32], v[14:15], v[29:30]
	v_fma_f64 v[27:28], v[14:15], v[27:28], -v[29:30]
	v_add_f64 v[14:15], v[31:32], -v[14:15]
	v_add_f64 v[16:17], v[16:17], v[27:28]
	v_add_f64 v[14:15], v[29:30], -v[14:15]
	v_add_f64 v[14:15], v[16:17], v[14:15]
	v_add_f64 v[16:17], v[31:32], v[14:15]
	v_rcp_f64_e32 v[27:28], v[16:17]
	v_fma_f64 v[29:30], -v[16:17], v[27:28], 1.0
	v_fma_f64 v[27:28], v[29:30], v[27:28], v[27:28]
	v_fma_f64 v[29:30], -v[16:17], v[27:28], 1.0
	v_fma_f64 v[27:28], v[29:30], v[27:28], v[27:28]
	v_add_f64 v[29:30], v[16:17], -v[31:32]
	v_mul_f64 v[31:32], v[16:17], v[27:28]
	v_add_f64 v[14:15], v[14:15], -v[29:30]
	v_fma_f64 v[29:30], v[27:28], v[16:17], -v[31:32]
	v_fma_f64 v[14:15], v[27:28], v[14:15], v[29:30]
	v_add_f64 v[29:30], v[31:32], v[14:15]
	v_add_f64 v[33:34], -v[29:30], 1.0
	v_add_f64 v[31:32], v[29:30], -v[31:32]
	v_add_f64 v[35:36], -v[33:34], 1.0
	v_add_f64 v[14:15], v[31:32], -v[14:15]
	v_add_f64 v[29:30], v[35:36], -v[29:30]
	v_add_f64 v[14:15], v[14:15], v[29:30]
	v_add_f64 v[14:15], v[33:34], v[14:15]
	v_mul_f64 v[14:15], v[27:28], v[14:15]
	v_add_f64 v[14:15], v[27:28], v[14:15]
	v_xor_b32_e32 v12, 0x80000000, v15
	v_cndmask_b32_e32 v10, v14, v16, vcc
	v_cndmask_b32_e32 v14, v12, v17, vcc
	v_cndmask_b32_e64 v12, 0, v10, s[0:1]
	v_xor_b32_e32 v10, v14, v19
	v_cndmask_b32_e64 v13, v13, v10, s[0:1]
	v_div_scale_f64 v[14:15], s[0:1], v[12:13], v[12:13], s[14:15]
	v_div_scale_f64 v[29:30], vcc, s[14:15], v[12:13], s[14:15]
	v_rcp_f64_e32 v[16:17], v[14:15]
	v_fma_f64 v[27:28], -v[14:15], v[16:17], 1.0
	v_fma_f64 v[16:17], v[16:17], v[27:28], v[16:17]
	v_fma_f64 v[27:28], -v[14:15], v[16:17], 1.0
	v_fma_f64 v[16:17], v[16:17], v[27:28], v[16:17]
	v_mul_f64 v[27:28], v[29:30], v[16:17]
	v_fma_f64 v[14:15], -v[14:15], v[27:28], v[29:30]
	v_div_fmas_f64 v[14:15], v[14:15], v[16:17], v[27:28]
	v_div_fixup_f64 v[12:13], v[14:15], v[12:13], s[14:15]
	v_cvt_f32_f64_e32 v10, v[12:13]
.LBB37_256:
	s_or_b64 exec, exec, s[10:11]
	s_orn2_b64 s[10:11], s[12:13], exec
.LBB37_257:
	s_or_b64 exec, exec, s[8:9]
	v_mov_b32_e32 v16, 0x7fc0
	s_and_saveexec_b64 s[0:1], s[10:11]
	s_cbranch_execz .LBB37_269
; %bb.258:
	s_mov_b32 s12, 0x41200000
	v_cmp_gt_f32_e32 vcc, s12, v8
	s_and_saveexec_b64 s[8:9], vcc
	s_cbranch_execz .LBB37_262
; %bb.259:
	s_mov_b64 s[10:11], 0
.LBB37_260:                             ; =>This Inner Loop Header: Depth=1
	v_div_scale_f32 v12, s[14:15], v8, v8, 1.0
	v_div_scale_f32 v13, vcc, 1.0, v8, 1.0
	v_rcp_f32_e32 v14, v12
	v_fma_f32 v15, -v12, v14, 1.0
	v_fmac_f32_e32 v14, v15, v14
	v_mul_f32_e32 v15, v13, v14
	v_fma_f32 v16, -v12, v15, v13
	v_fmac_f32_e32 v15, v16, v14
	v_fma_f32 v12, -v12, v15, v13
	v_div_fmas_f32 v12, v12, v14, v15
	v_div_fixup_f32 v12, v12, v8, 1.0
	v_add_f32_e32 v8, 1.0, v8
	v_cmp_ngt_f32_e32 vcc, s12, v8
	s_or_b64 s[10:11], vcc, s[10:11]
	v_sub_f32_e32 v10, v10, v12
	s_andn2_b64 exec, exec, s[10:11]
	s_cbranch_execnz .LBB37_260
; %bb.261:
	s_or_b64 exec, exec, s[10:11]
.LBB37_262:
	s_or_b64 exec, exec, s[8:9]
	s_mov_b32 s8, 0x41200000
	v_cmp_neq_f32_e32 vcc, s8, v8
                                        ; implicit-def: $vgpr16
	s_and_saveexec_b64 s[8:9], vcc
	s_xor_b64 s[8:9], exec, s[8:9]
	s_cbranch_execz .LBB37_266
; %bb.263:
	v_cvt_f64_f32_e32 v[12:13], v8
	s_mov_b32 s10, 0x85d8a000
	s_mov_b32 s11, 0x43763457
	v_cmp_gt_f64_e32 vcc, s[10:11], v[12:13]
	v_mov_b32_e32 v12, 0
	s_and_saveexec_b64 s[10:11], vcc
	s_cbranch_execz .LBB37_265
; %bb.264:
	v_mul_f32_e32 v12, v8, v8
	v_div_scale_f32 v13, s[12:13], v12, v12, 1.0
	v_div_scale_f32 v14, vcc, 1.0, v12, 1.0
	v_mov_b32_e32 v19, 0x3b820821
	v_rcp_f32_e32 v15, v13
	v_fma_f32 v16, -v13, v15, 1.0
	v_fmac_f32_e32 v15, v16, v15
	v_mul_f32_e32 v16, v14, v15
	v_fma_f32 v17, -v13, v16, v14
	v_fmac_f32_e32 v16, v17, v15
	v_fma_f32 v13, -v13, v16, v14
	v_div_fmas_f32 v13, v13, v15, v16
	v_mov_b32_e32 v14, 0x3daaaaab
	v_mov_b32_e32 v15, 0xbcaccacd
	;; [unrolled: 1-line block ×4, first 2 shown]
	v_div_fixup_f32 v12, v13, v12, 1.0
	v_fma_f32 v13, 0, v12, v14
	v_fmac_f32_e32 v15, v12, v13
	v_fmac_f32_e32 v16, v12, v15
	;; [unrolled: 1-line block ×4, first 2 shown]
	v_mov_b32_e32 v13, 0xbc088889
	v_fmac_f32_e32 v13, v12, v19
	v_fmac_f32_e32 v14, v12, v13
	v_mul_f32_e32 v12, v12, v14
.LBB37_265:
	s_or_b64 exec, exec, s[10:11]
	v_div_scale_f32 v13, s[10:11], v8, v8, -0.5
	v_div_scale_f32 v14, vcc, -0.5, v8, -0.5
	s_mov_b32 s10, 0x800000
	s_mov_b32 s11, 0x3f317217
	;; [unrolled: 1-line block ×3, first 2 shown]
	v_rcp_f32_e32 v15, v13
	v_fma_f32 v16, -v13, v15, 1.0
	v_fmac_f32_e32 v15, v16, v15
	v_mul_f32_e32 v16, v14, v15
	v_fma_f32 v17, -v13, v16, v14
	v_fmac_f32_e32 v16, v17, v15
	v_fma_f32 v13, -v13, v16, v14
	v_div_fmas_f32 v13, v13, v15, v16
	v_cmp_gt_f32_e32 vcc, s10, v8
	v_cndmask_b32_e64 v15, 0, 32, vcc
	v_ldexp_f32 v15, v8, v15
	v_log_f32_e32 v15, v15
	v_mov_b32_e32 v14, 0x41b17218
	v_cndmask_b32_e32 v14, 0, v14, vcc
	s_movk_i32 s10, 0x7fff
	v_mul_f32_e32 v17, 0x3f317217, v15
	v_fma_f32 v17, v15, s11, -v17
	v_fmac_f32_e32 v17, 0x3377d1cf, v15
	v_fmac_f32_e32 v17, 0x3f317217, v15
	v_cmp_lt_f32_e64 vcc, |v15|, s12
	v_cndmask_b32_e32 v15, v15, v17, vcc
	v_sub_f32_e32 v14, v15, v14
	v_mov_b32_e32 v16, 0x7fc0
	v_div_fixup_f32 v8, v13, v8, -0.5
	v_add_f32_e32 v8, v14, v8
	v_sub_f32_e32 v8, v8, v12
	v_add_f32_e32 v8, v10, v8
	v_bfe_u32 v10, v8, 16, 1
	v_cmp_o_f32_e32 vcc, v8, v8
	v_add3_u32 v8, v8, v10, s10
	v_cndmask_b32_sdwa v16, v16, v8, vcc dst_sel:DWORD dst_unused:UNUSED_PAD src0_sel:DWORD src1_sel:WORD_1
                                        ; implicit-def: $vgpr10
.LBB37_266:
	s_andn2_saveexec_b64 s[8:9], s[8:9]
; %bb.267:
	v_add_f32_e32 v8, 0x40101cb7, v10
	v_bfe_u32 v10, v8, 16, 1
	s_movk_i32 s10, 0x7fff
	v_add3_u32 v10, v8, v10, s10
	v_cmp_o_f32_e32 vcc, v8, v8
	v_mov_b32_e32 v8, 0x7fc0
	v_cndmask_b32_sdwa v16, v8, v10, vcc dst_sel:DWORD dst_unused:UNUSED_PAD src0_sel:DWORD src1_sel:WORD_1
; %bb.268:
	s_or_b64 exec, exec, s[8:9]
.LBB37_269:
	s_or_b64 exec, exec, s[0:1]
                                        ; implicit-def: $vgpr8
.LBB37_270:
	s_andn2_saveexec_b64 s[0:1], s[2:3]
; %bb.271:
	v_xor_b32_e32 v8, 0x80000000, v8
	v_and_b32_e32 v8, 0x80000000, v8
	v_or_b32_e32 v8, 0x7f800000, v8
	v_lshrrev_b32_e32 v16, 16, v8
; %bb.272:
	s_or_b64 exec, exec, s[0:1]
	global_load_ushort v8, v11, s[6:7]
                                        ; implicit-def: $vgpr14
	s_waitcnt vmcnt(0)
	v_lshlrev_b32_e32 v8, 16, v8
	v_cmp_neq_f32_e32 vcc, 0, v8
	s_and_saveexec_b64 s[0:1], vcc
	s_xor_b64 s[2:3], exec, s[0:1]
	s_cbranch_execz .LBB37_294
; %bb.273:
	v_mov_b32_e32 v10, 0
	v_cmp_gt_f32_e32 vcc, 0, v8
	s_mov_b64 s[10:11], -1
	s_and_saveexec_b64 s[8:9], vcc
	s_cbranch_execz .LBB37_281
; %bb.274:
	v_trunc_f32_e32 v10, v8
	v_cmp_neq_f32_e32 vcc, v10, v8
	s_mov_b64 s[12:13], 0
	v_mov_b32_e32 v10, 0
	s_and_saveexec_b64 s[10:11], vcc
	s_cbranch_execz .LBB37_280
; %bb.275:
	v_cvt_f64_f32_e32 v[10:11], v8
	s_mov_b32 s0, 0
	s_mov_b32 s13, 0xc00921fb
	;; [unrolled: 1-line block ×3, first 2 shown]
	v_trunc_f64_e32 v[12:13], v[10:11]
	s_mov_b32 s1, 0x7ff00000
	v_cmp_neq_f64_e64 vcc, |v[10:11]|, s[0:1]
	v_bfrev_b32_e32 v14, 1
	s_mov_b32 s14, 0
	s_mov_b32 s15, 0x41d00000
                                        ; implicit-def: $vgpr17
	v_add_f64 v[12:13], v[10:11], -v[12:13]
	v_mul_f64 v[12:13], |v[12:13]|, s[12:13]
	v_cndmask_b32_e32 v11, v14, v13, vcc
	v_cndmask_b32_e32 v10, 0, v12, vcc
	v_cmp_nlt_f64_e64 s[14:15], |v[10:11]|, s[14:15]
                                        ; implicit-def: $vgpr12_vgpr13
                                        ; implicit-def: $vgpr14_vgpr15
	s_and_saveexec_b64 s[16:17], s[14:15]
	s_xor_b64 s[14:15], exec, s[16:17]
	s_cbranch_execz .LBB37_277
; %bb.276:
	v_trig_preop_f64 v[12:13], |v[10:11]|, 0
	s_mov_b32 s16, 0
	s_mov_b32 s17, 0x7b000000
	s_movk_i32 s13, 0xff80
	v_ldexp_f64 v[27:28], |v[10:11]|, s13
	v_cmp_ge_f64_e64 vcc, |v[10:11]|, s[16:17]
	v_trig_preop_f64 v[14:15], |v[10:11]|, 1
	v_and_b32_e32 v17, 0x7fffffff, v11
	v_trig_preop_f64 v[35:36], |v[10:11]|, 2
	v_mov_b32_e32 v45, 0
	v_mov_b32_e32 v19, 0x3ff00000
	s_mov_b32 s13, 0x3ff921fb
	v_cndmask_b32_e32 v28, v17, v28, vcc
	v_cndmask_b32_e32 v27, v10, v27, vcc
	v_mov_b32_e32 v17, 0x40100000
	v_mul_f64 v[29:30], v[12:13], v[27:28]
	v_mul_f64 v[31:32], v[14:15], v[27:28]
	;; [unrolled: 1-line block ×3, first 2 shown]
	v_fma_f64 v[12:13], v[12:13], v[27:28], -v[29:30]
	v_fma_f64 v[14:15], v[14:15], v[27:28], -v[31:32]
	v_fma_f64 v[27:28], v[35:36], v[27:28], -v[41:42]
	v_add_f64 v[33:34], v[31:32], v[12:13]
	v_add_f64 v[37:38], v[33:34], -v[31:32]
	v_add_f64 v[43:44], v[29:30], v[33:34]
	v_add_f64 v[39:40], v[33:34], -v[37:38]
	v_add_f64 v[12:13], v[12:13], -v[37:38]
	v_add_f64 v[37:38], v[41:42], v[14:15]
	v_add_f64 v[29:30], v[43:44], -v[29:30]
	v_add_f64 v[31:32], v[31:32], -v[39:40]
	v_ldexp_f64 v[39:40], v[43:44], -2
	v_add_f64 v[47:48], v[37:38], -v[41:42]
	v_add_f64 v[29:30], v[33:34], -v[29:30]
	v_add_f64 v[12:13], v[12:13], v[31:32]
	v_fract_f64_e32 v[31:32], v[39:40]
	v_cmp_neq_f64_e64 vcc, |v[39:40]|, s[0:1]
	v_add_f64 v[14:15], v[14:15], -v[47:48]
	v_add_f64 v[33:34], v[37:38], v[12:13]
	v_ldexp_f64 v[31:32], v[31:32], 2
	v_add_f64 v[39:40], v[29:30], v[33:34]
	v_cndmask_b32_e32 v32, 0, v32, vcc
	v_cndmask_b32_e32 v31, 0, v31, vcc
	v_add_f64 v[49:50], v[33:34], -v[37:38]
	v_add_f64 v[43:44], v[39:40], v[31:32]
	v_add_f64 v[29:30], v[39:40], -v[29:30]
	v_add_f64 v[51:52], v[33:34], -v[49:50]
	;; [unrolled: 1-line block ×3, first 2 shown]
	v_cmp_gt_f64_e32 vcc, 0, v[43:44]
	v_add_f64 v[43:44], v[37:38], -v[47:48]
	v_add_f64 v[29:30], v[33:34], -v[29:30]
	;; [unrolled: 1-line block ×3, first 2 shown]
	v_cndmask_b32_e32 v46, 0, v17, vcc
	v_add_f64 v[31:32], v[31:32], v[45:46]
	v_add_f64 v[43:44], v[41:42], -v[43:44]
	v_add_f64 v[12:13], v[12:13], v[37:38]
	v_add_f64 v[53:54], v[39:40], v[31:32]
	;; [unrolled: 1-line block ×3, first 2 shown]
	v_cvt_i32_f64_e32 v17, v[53:54]
	v_add_f64 v[12:13], v[14:15], v[12:13]
	v_cvt_f64_i32_e32 v[46:47], v17
	v_add_f64 v[31:32], v[31:32], -v[46:47]
	v_add_f64 v[12:13], v[27:28], v[12:13]
	v_add_f64 v[14:15], v[39:40], v[31:32]
	;; [unrolled: 1-line block ×3, first 2 shown]
	v_add_f64 v[27:28], v[14:15], -v[31:32]
	v_cmp_le_f64_e32 vcc, 0.5, v[14:15]
	v_add_f64 v[27:28], v[39:40], -v[27:28]
	v_cndmask_b32_e32 v46, 0, v19, vcc
	v_add_f64 v[14:15], v[14:15], -v[45:46]
	v_addc_co_u32_e64 v17, s[0:1], 0, v17, vcc
	s_mov_b32 s0, 0x33145c07
	s_mov_b32 s1, 0x3c91a626
	v_add_f64 v[12:13], v[12:13], v[27:28]
	v_add_f64 v[27:28], v[14:15], v[12:13]
	v_mul_f64 v[29:30], v[27:28], s[12:13]
	v_add_f64 v[14:15], v[27:28], -v[14:15]
	v_fma_f64 v[31:32], v[27:28], s[12:13], -v[29:30]
	v_add_f64 v[12:13], v[12:13], -v[14:15]
	v_fma_f64 v[14:15], v[27:28], s[0:1], v[31:32]
	v_fma_f64 v[14:15], v[12:13], s[12:13], v[14:15]
	v_add_f64 v[12:13], v[29:30], v[14:15]
	v_add_f64 v[27:28], v[12:13], -v[29:30]
	v_add_f64 v[14:15], v[14:15], -v[27:28]
.LBB37_277:
	s_andn2_saveexec_b64 s[0:1], s[14:15]
	s_cbranch_execz .LBB37_279
; %bb.278:
	s_mov_b32 s12, 0x6dc9c883
	s_mov_b32 s13, 0x3fe45f30
	v_mul_f64 v[12:13], |v[10:11]|, s[12:13]
	s_mov_b32 s12, 0x54442d18
	s_mov_b32 s13, 0xbff921fb
	;; [unrolled: 1-line block ×4, first 2 shown]
	v_rndne_f64_e32 v[27:28], v[12:13]
	v_fma_f64 v[12:13], v[27:28], s[12:13], |v[10:11]|
	v_mul_f64 v[14:15], v[27:28], s[14:15]
	s_mov_b32 s12, 0x252049c0
	s_mov_b32 s13, 0xb97b839a
	v_cvt_i32_f64_e32 v17, v[27:28]
	v_fma_f64 v[33:34], v[27:28], s[14:15], v[12:13]
	v_add_f64 v[29:30], v[12:13], v[14:15]
	s_mov_b32 s15, 0x3c91a626
	v_add_f64 v[31:32], v[12:13], -v[29:30]
	v_add_f64 v[29:30], v[29:30], -v[33:34]
	v_add_f64 v[12:13], v[31:32], v[14:15]
	v_fma_f64 v[14:15], v[27:28], s[14:15], v[14:15]
	v_add_f64 v[12:13], v[29:30], v[12:13]
	v_add_f64 v[12:13], v[12:13], -v[14:15]
	v_fma_f64 v[14:15], v[27:28], s[12:13], v[12:13]
	v_add_f64 v[12:13], v[33:34], v[14:15]
	v_add_f64 v[29:30], v[12:13], -v[33:34]
	v_add_f64 v[14:15], v[14:15], -v[29:30]
.LBB37_279:
	s_or_b64 exec, exec, s[0:1]
	v_mul_f64 v[27:28], v[12:13], v[12:13]
	v_add_f64 v[29:30], v[14:15], v[14:15]
	s_mov_b32 s0, 0xc751c08c
	s_mov_b32 s1, 0x3ef5e089
	v_and_b32_e32 v17, 1, v17
	v_cmp_eq_u32_e32 vcc, 0, v17
	v_and_b32_e32 v19, 0x80000000, v11
	s_mov_b32 s14, 0x54442d18
	v_fma_f64 v[31:32], v[12:13], v[12:13], -v[27:28]
	s_mov_b32 s15, 0xc00921fb
	s_mov_b64 s[12:13], exec
	v_sub_f32_e32 v8, 1.0, v8
	v_fma_f64 v[29:30], v[12:13], v[29:30], v[31:32]
	v_add_f64 v[27:28], v[27:28], v[29:30]
	v_mov_b32_e32 v29, 0xa9a29f71
	v_mov_b32_e32 v30, 0xbf078809
	v_fma_f64 v[29:30], v[27:28], s[0:1], v[29:30]
	s_mov_b32 s0, 0x90a8aae0
	s_mov_b32 s1, 0x3f17746f
	v_fma_f64 v[29:30], v[27:28], v[29:30], s[0:1]
	s_mov_b32 s0, 0xa6fbf144
	s_mov_b32 s1, 0xbefbb44d
	;; [unrolled: 3-line block ×12, first 2 shown]
	v_fma_f64 v[29:30], v[27:28], v[29:30], s[0:1]
	s_movk_i32 s0, 0x1f8
	v_cmp_class_f64_e64 s[0:1], v[10:11], s0
	v_mov_b32_e32 v11, 0x7ff80000
	v_mul_f64 v[27:28], v[27:28], v[29:30]
	v_mul_f64 v[29:30], v[12:13], v[27:28]
	v_add_f64 v[31:32], v[12:13], v[29:30]
	v_fma_f64 v[27:28], v[12:13], v[27:28], -v[29:30]
	v_add_f64 v[12:13], v[31:32], -v[12:13]
	v_add_f64 v[14:15], v[14:15], v[27:28]
	v_add_f64 v[12:13], v[29:30], -v[12:13]
	v_add_f64 v[12:13], v[14:15], v[12:13]
	v_add_f64 v[14:15], v[31:32], v[12:13]
	v_rcp_f64_e32 v[27:28], v[14:15]
	v_fma_f64 v[29:30], -v[14:15], v[27:28], 1.0
	v_fma_f64 v[27:28], v[29:30], v[27:28], v[27:28]
	v_fma_f64 v[29:30], -v[14:15], v[27:28], 1.0
	v_fma_f64 v[27:28], v[29:30], v[27:28], v[27:28]
	v_add_f64 v[29:30], v[14:15], -v[31:32]
	v_mul_f64 v[31:32], v[14:15], v[27:28]
	v_add_f64 v[12:13], v[12:13], -v[29:30]
	v_fma_f64 v[29:30], v[27:28], v[14:15], -v[31:32]
	v_fma_f64 v[12:13], v[27:28], v[12:13], v[29:30]
	v_add_f64 v[29:30], v[31:32], v[12:13]
	v_add_f64 v[33:34], -v[29:30], 1.0
	v_add_f64 v[31:32], v[29:30], -v[31:32]
	v_add_f64 v[35:36], -v[33:34], 1.0
	v_add_f64 v[12:13], v[31:32], -v[12:13]
	v_add_f64 v[29:30], v[35:36], -v[29:30]
	v_add_f64 v[12:13], v[12:13], v[29:30]
	v_add_f64 v[12:13], v[33:34], v[12:13]
	v_mul_f64 v[12:13], v[27:28], v[12:13]
	v_add_f64 v[12:13], v[27:28], v[12:13]
	v_xor_b32_e32 v10, 0x80000000, v13
	v_cndmask_b32_e32 v12, v12, v14, vcc
	v_cndmask_b32_e32 v13, v10, v15, vcc
	v_cndmask_b32_e64 v10, 0, v12, s[0:1]
	v_xor_b32_e32 v12, v13, v19
	v_cndmask_b32_e64 v11, v11, v12, s[0:1]
	v_div_scale_f64 v[12:13], s[0:1], v[10:11], v[10:11], s[14:15]
	v_div_scale_f64 v[29:30], vcc, s[14:15], v[10:11], s[14:15]
	v_rcp_f64_e32 v[14:15], v[12:13]
	v_fma_f64 v[27:28], -v[12:13], v[14:15], 1.0
	v_fma_f64 v[14:15], v[14:15], v[27:28], v[14:15]
	v_fma_f64 v[27:28], -v[12:13], v[14:15], 1.0
	v_fma_f64 v[14:15], v[14:15], v[27:28], v[14:15]
	v_mul_f64 v[27:28], v[29:30], v[14:15]
	v_fma_f64 v[12:13], -v[12:13], v[27:28], v[29:30]
	v_div_fmas_f64 v[12:13], v[12:13], v[14:15], v[27:28]
	v_div_fixup_f64 v[10:11], v[12:13], v[10:11], s[14:15]
	v_cvt_f32_f64_e32 v10, v[10:11]
.LBB37_280:
	s_or_b64 exec, exec, s[10:11]
	s_orn2_b64 s[10:11], s[12:13], exec
.LBB37_281:
	s_or_b64 exec, exec, s[8:9]
	v_mov_b32_e32 v14, 0x7fc0
	s_and_saveexec_b64 s[0:1], s[10:11]
	s_cbranch_execz .LBB37_293
; %bb.282:
	s_mov_b32 s12, 0x41200000
	v_cmp_gt_f32_e32 vcc, s12, v8
	s_and_saveexec_b64 s[8:9], vcc
	s_cbranch_execz .LBB37_286
; %bb.283:
	s_mov_b64 s[10:11], 0
.LBB37_284:                             ; =>This Inner Loop Header: Depth=1
	v_div_scale_f32 v11, s[14:15], v8, v8, 1.0
	v_div_scale_f32 v12, vcc, 1.0, v8, 1.0
	v_rcp_f32_e32 v13, v11
	v_fma_f32 v14, -v11, v13, 1.0
	v_fmac_f32_e32 v13, v14, v13
	v_mul_f32_e32 v14, v12, v13
	v_fma_f32 v15, -v11, v14, v12
	v_fmac_f32_e32 v14, v15, v13
	v_fma_f32 v11, -v11, v14, v12
	v_div_fmas_f32 v11, v11, v13, v14
	v_div_fixup_f32 v11, v11, v8, 1.0
	v_add_f32_e32 v8, 1.0, v8
	v_cmp_ngt_f32_e32 vcc, s12, v8
	s_or_b64 s[10:11], vcc, s[10:11]
	v_sub_f32_e32 v10, v10, v11
	s_andn2_b64 exec, exec, s[10:11]
	s_cbranch_execnz .LBB37_284
; %bb.285:
	s_or_b64 exec, exec, s[10:11]
.LBB37_286:
	s_or_b64 exec, exec, s[8:9]
	s_mov_b32 s8, 0x41200000
	v_cmp_neq_f32_e32 vcc, s8, v8
                                        ; implicit-def: $vgpr14
	s_and_saveexec_b64 s[8:9], vcc
	s_xor_b64 s[8:9], exec, s[8:9]
	s_cbranch_execz .LBB37_290
; %bb.287:
	v_cvt_f64_f32_e32 v[11:12], v8
	s_mov_b32 s10, 0x85d8a000
	s_mov_b32 s11, 0x43763457
	v_cmp_gt_f64_e32 vcc, s[10:11], v[11:12]
	v_mov_b32_e32 v11, 0
	s_and_saveexec_b64 s[10:11], vcc
	s_cbranch_execz .LBB37_289
; %bb.288:
	v_mul_f32_e32 v11, v8, v8
	v_div_scale_f32 v12, s[12:13], v11, v11, 1.0
	v_div_scale_f32 v13, vcc, 1.0, v11, 1.0
	v_mov_b32_e32 v19, 0x3b820821
	v_rcp_f32_e32 v14, v12
	v_fma_f32 v15, -v12, v14, 1.0
	v_fmac_f32_e32 v14, v15, v14
	v_mul_f32_e32 v15, v13, v14
	v_fma_f32 v17, -v12, v15, v13
	v_fmac_f32_e32 v15, v17, v14
	v_fma_f32 v12, -v12, v15, v13
	v_div_fmas_f32 v12, v12, v14, v15
	v_mov_b32_e32 v13, 0x3daaaaab
	v_mov_b32_e32 v14, 0xbcaccacd
	;; [unrolled: 1-line block ×4, first 2 shown]
	v_div_fixup_f32 v11, v12, v11, 1.0
	v_fma_f32 v12, 0, v11, v13
	v_fmac_f32_e32 v14, v11, v12
	v_fmac_f32_e32 v15, v11, v14
	;; [unrolled: 1-line block ×4, first 2 shown]
	v_mov_b32_e32 v12, 0xbc088889
	v_fmac_f32_e32 v12, v11, v19
	v_fmac_f32_e32 v13, v11, v12
	v_mul_f32_e32 v11, v11, v13
.LBB37_289:
	s_or_b64 exec, exec, s[10:11]
	v_div_scale_f32 v12, s[10:11], v8, v8, -0.5
	v_div_scale_f32 v13, vcc, -0.5, v8, -0.5
	s_mov_b32 s10, 0x800000
	s_mov_b32 s11, 0x3f317217
	;; [unrolled: 1-line block ×3, first 2 shown]
	v_rcp_f32_e32 v14, v12
	v_fma_f32 v15, -v12, v14, 1.0
	v_fmac_f32_e32 v14, v15, v14
	v_mul_f32_e32 v15, v13, v14
	v_fma_f32 v17, -v12, v15, v13
	v_fmac_f32_e32 v15, v17, v14
	v_fma_f32 v12, -v12, v15, v13
	v_div_fmas_f32 v12, v12, v14, v15
	v_cmp_gt_f32_e32 vcc, s10, v8
	v_cndmask_b32_e64 v14, 0, 32, vcc
	v_ldexp_f32 v14, v8, v14
	v_log_f32_e32 v14, v14
	v_mov_b32_e32 v13, 0x41b17218
	v_cndmask_b32_e32 v13, 0, v13, vcc
	s_movk_i32 s10, 0x7fff
	v_mul_f32_e32 v17, 0x3f317217, v14
	v_fma_f32 v17, v14, s11, -v17
	v_fmac_f32_e32 v17, 0x3377d1cf, v14
	v_fmac_f32_e32 v17, 0x3f317217, v14
	v_cmp_lt_f32_e64 vcc, |v14|, s12
	v_cndmask_b32_e32 v14, v14, v17, vcc
	v_sub_f32_e32 v13, v14, v13
	v_mov_b32_e32 v15, 0x7fc0
	v_div_fixup_f32 v8, v12, v8, -0.5
	v_add_f32_e32 v8, v13, v8
	v_sub_f32_e32 v8, v8, v11
	v_add_f32_e32 v8, v10, v8
	v_bfe_u32 v10, v8, 16, 1
	v_cmp_o_f32_e32 vcc, v8, v8
	v_add3_u32 v8, v8, v10, s10
	v_cndmask_b32_sdwa v14, v15, v8, vcc dst_sel:DWORD dst_unused:UNUSED_PAD src0_sel:DWORD src1_sel:WORD_1
                                        ; implicit-def: $vgpr10
.LBB37_290:
	s_andn2_saveexec_b64 s[8:9], s[8:9]
; %bb.291:
	v_add_f32_e32 v8, 0x40101cb7, v10
	v_bfe_u32 v10, v8, 16, 1
	s_movk_i32 s10, 0x7fff
	v_add3_u32 v10, v8, v10, s10
	v_cmp_o_f32_e32 vcc, v8, v8
	v_mov_b32_e32 v8, 0x7fc0
	v_cndmask_b32_sdwa v14, v8, v10, vcc dst_sel:DWORD dst_unused:UNUSED_PAD src0_sel:DWORD src1_sel:WORD_1
; %bb.292:
	s_or_b64 exec, exec, s[8:9]
.LBB37_293:
	s_or_b64 exec, exec, s[0:1]
                                        ; implicit-def: $vgpr8
.LBB37_294:
	s_andn2_saveexec_b64 s[0:1], s[2:3]
; %bb.295:
	v_xor_b32_e32 v8, 0x80000000, v8
	v_and_b32_e32 v8, 0x80000000, v8
	v_or_b32_e32 v8, 0x7f800000, v8
	v_lshrrev_b32_e32 v14, 16, v8
; %bb.296:
	s_or_b64 exec, exec, s[0:1]
	global_load_ushort v8, v9, s[6:7]
                                        ; implicit-def: $vgpr9
	s_waitcnt vmcnt(0)
	v_lshlrev_b32_e32 v15, 16, v8
	v_cmp_neq_f32_e32 vcc, 0, v15
	s_and_saveexec_b64 s[0:1], vcc
	s_xor_b64 s[2:3], exec, s[0:1]
	s_cbranch_execz .LBB37_318
; %bb.297:
	v_mov_b32_e32 v8, 0
	v_cmp_gt_f32_e32 vcc, 0, v15
	s_mov_b64 s[8:9], -1
	s_and_saveexec_b64 s[6:7], vcc
	s_cbranch_execz .LBB37_305
; %bb.298:
	v_trunc_f32_e32 v8, v15
	v_cmp_neq_f32_e32 vcc, v8, v15
	s_mov_b64 s[10:11], 0
	v_mov_b32_e32 v8, 0
	s_and_saveexec_b64 s[8:9], vcc
	s_cbranch_execz .LBB37_304
; %bb.299:
	v_cvt_f64_f32_e32 v[8:9], v15
	s_mov_b32 s0, 0
	s_mov_b32 s11, 0xc00921fb
	;; [unrolled: 1-line block ×3, first 2 shown]
	v_trunc_f64_e32 v[10:11], v[8:9]
	s_mov_b32 s1, 0x7ff00000
	v_cmp_neq_f64_e64 vcc, |v[8:9]|, s[0:1]
	v_bfrev_b32_e32 v12, 1
	s_mov_b32 s12, 0
	s_mov_b32 s13, 0x41d00000
                                        ; implicit-def: $vgpr17
	v_add_f64 v[10:11], v[8:9], -v[10:11]
	v_mul_f64 v[10:11], |v[10:11]|, s[10:11]
	v_cndmask_b32_e32 v9, v12, v11, vcc
	v_cndmask_b32_e32 v8, 0, v10, vcc
	v_cmp_nlt_f64_e64 s[12:13], |v[8:9]|, s[12:13]
                                        ; implicit-def: $vgpr10_vgpr11
                                        ; implicit-def: $vgpr12_vgpr13
	s_and_saveexec_b64 s[14:15], s[12:13]
	s_xor_b64 s[12:13], exec, s[14:15]
	s_cbranch_execz .LBB37_301
; %bb.300:
	v_trig_preop_f64 v[10:11], |v[8:9]|, 0
	s_mov_b32 s14, 0
	s_mov_b32 s15, 0x7b000000
	s_movk_i32 s11, 0xff80
	v_ldexp_f64 v[27:28], |v[8:9]|, s11
	v_cmp_ge_f64_e64 vcc, |v[8:9]|, s[14:15]
	v_trig_preop_f64 v[12:13], |v[8:9]|, 1
	v_and_b32_e32 v17, 0x7fffffff, v9
	v_trig_preop_f64 v[35:36], |v[8:9]|, 2
	v_mov_b32_e32 v45, 0
	v_mov_b32_e32 v19, 0x3ff00000
	s_mov_b32 s11, 0x3ff921fb
	v_cndmask_b32_e32 v28, v17, v28, vcc
	v_cndmask_b32_e32 v27, v8, v27, vcc
	v_mov_b32_e32 v17, 0x40100000
	v_mul_f64 v[29:30], v[10:11], v[27:28]
	v_mul_f64 v[31:32], v[12:13], v[27:28]
	;; [unrolled: 1-line block ×3, first 2 shown]
	v_fma_f64 v[10:11], v[10:11], v[27:28], -v[29:30]
	v_fma_f64 v[12:13], v[12:13], v[27:28], -v[31:32]
	;; [unrolled: 1-line block ×3, first 2 shown]
	v_add_f64 v[33:34], v[31:32], v[10:11]
	v_add_f64 v[37:38], v[33:34], -v[31:32]
	v_add_f64 v[43:44], v[29:30], v[33:34]
	v_add_f64 v[39:40], v[33:34], -v[37:38]
	v_add_f64 v[10:11], v[10:11], -v[37:38]
	v_add_f64 v[37:38], v[41:42], v[12:13]
	v_add_f64 v[29:30], v[43:44], -v[29:30]
	v_add_f64 v[31:32], v[31:32], -v[39:40]
	v_ldexp_f64 v[39:40], v[43:44], -2
	v_add_f64 v[47:48], v[37:38], -v[41:42]
	v_add_f64 v[29:30], v[33:34], -v[29:30]
	v_add_f64 v[10:11], v[10:11], v[31:32]
	v_fract_f64_e32 v[31:32], v[39:40]
	v_cmp_neq_f64_e64 vcc, |v[39:40]|, s[0:1]
	v_add_f64 v[12:13], v[12:13], -v[47:48]
	v_add_f64 v[33:34], v[37:38], v[10:11]
	v_ldexp_f64 v[31:32], v[31:32], 2
	v_add_f64 v[39:40], v[29:30], v[33:34]
	v_cndmask_b32_e32 v32, 0, v32, vcc
	v_cndmask_b32_e32 v31, 0, v31, vcc
	v_add_f64 v[49:50], v[33:34], -v[37:38]
	v_add_f64 v[43:44], v[39:40], v[31:32]
	v_add_f64 v[29:30], v[39:40], -v[29:30]
	v_add_f64 v[51:52], v[33:34], -v[49:50]
	;; [unrolled: 1-line block ×3, first 2 shown]
	v_cmp_gt_f64_e32 vcc, 0, v[43:44]
	v_add_f64 v[43:44], v[37:38], -v[47:48]
	v_add_f64 v[29:30], v[33:34], -v[29:30]
	;; [unrolled: 1-line block ×3, first 2 shown]
	v_cndmask_b32_e32 v46, 0, v17, vcc
	v_add_f64 v[31:32], v[31:32], v[45:46]
	v_add_f64 v[43:44], v[41:42], -v[43:44]
	v_add_f64 v[10:11], v[10:11], v[37:38]
	v_add_f64 v[53:54], v[39:40], v[31:32]
	v_add_f64 v[12:13], v[12:13], v[43:44]
	v_cvt_i32_f64_e32 v17, v[53:54]
	v_add_f64 v[10:11], v[12:13], v[10:11]
	v_cvt_f64_i32_e32 v[46:47], v17
	v_add_f64 v[31:32], v[31:32], -v[46:47]
	v_add_f64 v[10:11], v[27:28], v[10:11]
	v_add_f64 v[12:13], v[39:40], v[31:32]
	;; [unrolled: 1-line block ×3, first 2 shown]
	v_add_f64 v[27:28], v[12:13], -v[31:32]
	v_cmp_le_f64_e32 vcc, 0.5, v[12:13]
	v_add_f64 v[27:28], v[39:40], -v[27:28]
	v_cndmask_b32_e32 v46, 0, v19, vcc
	v_add_f64 v[12:13], v[12:13], -v[45:46]
	v_addc_co_u32_e64 v17, s[0:1], 0, v17, vcc
	s_mov_b32 s0, 0x33145c07
	s_mov_b32 s1, 0x3c91a626
	v_add_f64 v[10:11], v[10:11], v[27:28]
	v_add_f64 v[27:28], v[12:13], v[10:11]
	v_mul_f64 v[29:30], v[27:28], s[10:11]
	v_add_f64 v[12:13], v[27:28], -v[12:13]
	v_fma_f64 v[31:32], v[27:28], s[10:11], -v[29:30]
	v_add_f64 v[10:11], v[10:11], -v[12:13]
	v_fma_f64 v[12:13], v[27:28], s[0:1], v[31:32]
	v_fma_f64 v[12:13], v[10:11], s[10:11], v[12:13]
	v_add_f64 v[10:11], v[29:30], v[12:13]
	v_add_f64 v[27:28], v[10:11], -v[29:30]
	v_add_f64 v[12:13], v[12:13], -v[27:28]
.LBB37_301:
	s_andn2_saveexec_b64 s[0:1], s[12:13]
	s_cbranch_execz .LBB37_303
; %bb.302:
	s_mov_b32 s10, 0x6dc9c883
	s_mov_b32 s11, 0x3fe45f30
	v_mul_f64 v[10:11], |v[8:9]|, s[10:11]
	s_mov_b32 s10, 0x54442d18
	s_mov_b32 s11, 0xbff921fb
	;; [unrolled: 1-line block ×4, first 2 shown]
	v_rndne_f64_e32 v[27:28], v[10:11]
	v_fma_f64 v[10:11], v[27:28], s[10:11], |v[8:9]|
	v_mul_f64 v[12:13], v[27:28], s[12:13]
	s_mov_b32 s10, 0x252049c0
	s_mov_b32 s11, 0xb97b839a
	v_cvt_i32_f64_e32 v17, v[27:28]
	v_fma_f64 v[33:34], v[27:28], s[12:13], v[10:11]
	v_add_f64 v[29:30], v[10:11], v[12:13]
	s_mov_b32 s13, 0x3c91a626
	v_add_f64 v[31:32], v[10:11], -v[29:30]
	v_add_f64 v[29:30], v[29:30], -v[33:34]
	v_add_f64 v[10:11], v[31:32], v[12:13]
	v_fma_f64 v[12:13], v[27:28], s[12:13], v[12:13]
	v_add_f64 v[10:11], v[29:30], v[10:11]
	v_add_f64 v[10:11], v[10:11], -v[12:13]
	v_fma_f64 v[12:13], v[27:28], s[10:11], v[10:11]
	v_add_f64 v[10:11], v[33:34], v[12:13]
	v_add_f64 v[29:30], v[10:11], -v[33:34]
	v_add_f64 v[12:13], v[12:13], -v[29:30]
.LBB37_303:
	s_or_b64 exec, exec, s[0:1]
	v_mul_f64 v[27:28], v[10:11], v[10:11]
	v_add_f64 v[29:30], v[12:13], v[12:13]
	s_mov_b32 s0, 0xc751c08c
	s_mov_b32 s1, 0x3ef5e089
	v_and_b32_e32 v17, 1, v17
	v_cmp_eq_u32_e32 vcc, 0, v17
	v_and_b32_e32 v19, 0x80000000, v9
	s_mov_b32 s12, 0x54442d18
	v_fma_f64 v[31:32], v[10:11], v[10:11], -v[27:28]
	s_mov_b32 s13, 0xc00921fb
	s_mov_b64 s[10:11], exec
	v_sub_f32_e32 v15, 1.0, v15
	v_fma_f64 v[29:30], v[10:11], v[29:30], v[31:32]
	v_add_f64 v[27:28], v[27:28], v[29:30]
	v_mov_b32_e32 v29, 0xa9a29f71
	v_mov_b32_e32 v30, 0xbf078809
	v_fma_f64 v[29:30], v[27:28], s[0:1], v[29:30]
	s_mov_b32 s0, 0x90a8aae0
	s_mov_b32 s1, 0x3f17746f
	v_fma_f64 v[29:30], v[27:28], v[29:30], s[0:1]
	s_mov_b32 s0, 0xa6fbf144
	s_mov_b32 s1, 0xbefbb44d
	;; [unrolled: 3-line block ×12, first 2 shown]
	v_fma_f64 v[29:30], v[27:28], v[29:30], s[0:1]
	s_movk_i32 s0, 0x1f8
	v_cmp_class_f64_e64 s[0:1], v[8:9], s0
	v_mov_b32_e32 v9, 0x7ff80000
	v_mul_f64 v[27:28], v[27:28], v[29:30]
	v_mul_f64 v[29:30], v[10:11], v[27:28]
	v_add_f64 v[31:32], v[10:11], v[29:30]
	v_fma_f64 v[27:28], v[10:11], v[27:28], -v[29:30]
	v_add_f64 v[10:11], v[31:32], -v[10:11]
	v_add_f64 v[12:13], v[12:13], v[27:28]
	v_add_f64 v[10:11], v[29:30], -v[10:11]
	v_add_f64 v[10:11], v[12:13], v[10:11]
	v_add_f64 v[12:13], v[31:32], v[10:11]
	v_rcp_f64_e32 v[27:28], v[12:13]
	v_fma_f64 v[29:30], -v[12:13], v[27:28], 1.0
	v_fma_f64 v[27:28], v[29:30], v[27:28], v[27:28]
	v_fma_f64 v[29:30], -v[12:13], v[27:28], 1.0
	v_fma_f64 v[27:28], v[29:30], v[27:28], v[27:28]
	v_add_f64 v[29:30], v[12:13], -v[31:32]
	v_mul_f64 v[31:32], v[12:13], v[27:28]
	v_add_f64 v[10:11], v[10:11], -v[29:30]
	v_fma_f64 v[29:30], v[27:28], v[12:13], -v[31:32]
	v_fma_f64 v[10:11], v[27:28], v[10:11], v[29:30]
	v_add_f64 v[29:30], v[31:32], v[10:11]
	v_add_f64 v[33:34], -v[29:30], 1.0
	v_add_f64 v[31:32], v[29:30], -v[31:32]
	v_add_f64 v[35:36], -v[33:34], 1.0
	v_add_f64 v[10:11], v[31:32], -v[10:11]
	v_add_f64 v[29:30], v[35:36], -v[29:30]
	v_add_f64 v[10:11], v[10:11], v[29:30]
	v_add_f64 v[10:11], v[33:34], v[10:11]
	v_mul_f64 v[10:11], v[27:28], v[10:11]
	v_add_f64 v[10:11], v[27:28], v[10:11]
	v_xor_b32_e32 v8, 0x80000000, v11
	v_cndmask_b32_e32 v10, v10, v12, vcc
	v_cndmask_b32_e32 v11, v8, v13, vcc
	v_cndmask_b32_e64 v8, 0, v10, s[0:1]
	v_xor_b32_e32 v10, v11, v19
	v_cndmask_b32_e64 v9, v9, v10, s[0:1]
	v_div_scale_f64 v[10:11], s[0:1], v[8:9], v[8:9], s[12:13]
	v_div_scale_f64 v[29:30], vcc, s[12:13], v[8:9], s[12:13]
	v_rcp_f64_e32 v[12:13], v[10:11]
	v_fma_f64 v[27:28], -v[10:11], v[12:13], 1.0
	v_fma_f64 v[12:13], v[12:13], v[27:28], v[12:13]
	v_fma_f64 v[27:28], -v[10:11], v[12:13], 1.0
	v_fma_f64 v[12:13], v[12:13], v[27:28], v[12:13]
	v_mul_f64 v[27:28], v[29:30], v[12:13]
	v_fma_f64 v[10:11], -v[10:11], v[27:28], v[29:30]
	v_div_fmas_f64 v[10:11], v[10:11], v[12:13], v[27:28]
	v_div_fixup_f64 v[8:9], v[10:11], v[8:9], s[12:13]
	v_cvt_f32_f64_e32 v8, v[8:9]
.LBB37_304:
	s_or_b64 exec, exec, s[8:9]
	s_orn2_b64 s[8:9], s[10:11], exec
.LBB37_305:
	s_or_b64 exec, exec, s[6:7]
	v_mov_b32_e32 v9, 0x7fc0
	s_and_saveexec_b64 s[0:1], s[8:9]
	s_cbranch_execz .LBB37_317
; %bb.306:
	s_mov_b32 s10, 0x41200000
	v_cmp_gt_f32_e32 vcc, s10, v15
	s_and_saveexec_b64 s[6:7], vcc
	s_cbranch_execz .LBB37_310
; %bb.307:
	s_mov_b64 s[8:9], 0
.LBB37_308:                             ; =>This Inner Loop Header: Depth=1
	v_div_scale_f32 v9, s[12:13], v15, v15, 1.0
	v_div_scale_f32 v10, vcc, 1.0, v15, 1.0
	v_rcp_f32_e32 v11, v9
	v_fma_f32 v12, -v9, v11, 1.0
	v_fmac_f32_e32 v11, v12, v11
	v_mul_f32_e32 v12, v10, v11
	v_fma_f32 v13, -v9, v12, v10
	v_fmac_f32_e32 v12, v13, v11
	v_fma_f32 v9, -v9, v12, v10
	v_div_fmas_f32 v9, v9, v11, v12
	v_div_fixup_f32 v9, v9, v15, 1.0
	v_add_f32_e32 v15, 1.0, v15
	v_cmp_ngt_f32_e32 vcc, s10, v15
	s_or_b64 s[8:9], vcc, s[8:9]
	v_sub_f32_e32 v8, v8, v9
	s_andn2_b64 exec, exec, s[8:9]
	s_cbranch_execnz .LBB37_308
; %bb.309:
	s_or_b64 exec, exec, s[8:9]
.LBB37_310:
	s_or_b64 exec, exec, s[6:7]
	s_mov_b32 s6, 0x41200000
	v_cmp_neq_f32_e32 vcc, s6, v15
                                        ; implicit-def: $vgpr9
	s_and_saveexec_b64 s[6:7], vcc
	s_xor_b64 s[6:7], exec, s[6:7]
	s_cbranch_execz .LBB37_314
; %bb.311:
	v_cvt_f64_f32_e32 v[9:10], v15
	s_mov_b32 s8, 0x85d8a000
	s_mov_b32 s9, 0x43763457
	v_cmp_gt_f64_e32 vcc, s[8:9], v[9:10]
	v_mov_b32_e32 v9, 0
	s_and_saveexec_b64 s[8:9], vcc
	s_cbranch_execz .LBB37_313
; %bb.312:
	v_mul_f32_e32 v9, v15, v15
	v_div_scale_f32 v10, s[10:11], v9, v9, 1.0
	v_div_scale_f32 v11, vcc, 1.0, v9, 1.0
	v_mov_b32_e32 v19, 0x3b820821
	v_rcp_f32_e32 v12, v10
	v_fma_f32 v13, -v10, v12, 1.0
	v_fmac_f32_e32 v12, v13, v12
	v_mul_f32_e32 v13, v11, v12
	v_fma_f32 v17, -v10, v13, v11
	v_fmac_f32_e32 v13, v17, v12
	v_fma_f32 v10, -v10, v13, v11
	v_div_fmas_f32 v10, v10, v12, v13
	v_mov_b32_e32 v11, 0x3daaaaab
	v_mov_b32_e32 v12, 0xbcaccacd
	;; [unrolled: 1-line block ×4, first 2 shown]
	v_div_fixup_f32 v9, v10, v9, 1.0
	v_fma_f32 v10, 0, v9, v11
	v_fmac_f32_e32 v12, v9, v10
	v_fmac_f32_e32 v13, v9, v12
	;; [unrolled: 1-line block ×4, first 2 shown]
	v_mov_b32_e32 v10, 0xbc088889
	v_fmac_f32_e32 v10, v9, v19
	v_fmac_f32_e32 v11, v9, v10
	v_mul_f32_e32 v9, v9, v11
.LBB37_313:
	s_or_b64 exec, exec, s[8:9]
	v_div_scale_f32 v10, s[8:9], v15, v15, -0.5
	v_div_scale_f32 v11, vcc, -0.5, v15, -0.5
	s_mov_b32 s8, 0x800000
	s_mov_b32 s9, 0x3f317217
	;; [unrolled: 1-line block ×3, first 2 shown]
	v_rcp_f32_e32 v12, v10
	v_fma_f32 v13, -v10, v12, 1.0
	v_fmac_f32_e32 v12, v13, v12
	v_mul_f32_e32 v13, v11, v12
	v_fma_f32 v17, -v10, v13, v11
	v_fmac_f32_e32 v13, v17, v12
	v_fma_f32 v10, -v10, v13, v11
	v_div_fmas_f32 v10, v10, v12, v13
	v_cmp_gt_f32_e32 vcc, s8, v15
	v_cndmask_b32_e64 v12, 0, 32, vcc
	v_ldexp_f32 v12, v15, v12
	v_log_f32_e32 v12, v12
	v_mov_b32_e32 v11, 0x41b17218
	v_cndmask_b32_e32 v11, 0, v11, vcc
	s_movk_i32 s8, 0x7fff
	v_mul_f32_e32 v17, 0x3f317217, v12
	v_fma_f32 v17, v12, s9, -v17
	v_fmac_f32_e32 v17, 0x3377d1cf, v12
	v_fmac_f32_e32 v17, 0x3f317217, v12
	v_cmp_lt_f32_e64 vcc, |v12|, s10
	v_cndmask_b32_e32 v12, v12, v17, vcc
	v_sub_f32_e32 v11, v12, v11
	v_mov_b32_e32 v13, 0x7fc0
	v_div_fixup_f32 v10, v10, v15, -0.5
	v_add_f32_e32 v10, v11, v10
	v_sub_f32_e32 v9, v10, v9
	v_add_f32_e32 v8, v8, v9
	v_bfe_u32 v9, v8, 16, 1
	v_cmp_o_f32_e32 vcc, v8, v8
	v_add3_u32 v8, v8, v9, s8
	v_cndmask_b32_sdwa v9, v13, v8, vcc dst_sel:DWORD dst_unused:UNUSED_PAD src0_sel:DWORD src1_sel:WORD_1
                                        ; implicit-def: $vgpr8
.LBB37_314:
	s_andn2_saveexec_b64 s[6:7], s[6:7]
; %bb.315:
	v_add_f32_e32 v8, 0x40101cb7, v8
	v_bfe_u32 v9, v8, 16, 1
	s_movk_i32 s8, 0x7fff
	v_add3_u32 v9, v8, v9, s8
	v_cmp_o_f32_e32 vcc, v8, v8
	v_mov_b32_e32 v8, 0x7fc0
	v_cndmask_b32_sdwa v9, v8, v9, vcc dst_sel:DWORD dst_unused:UNUSED_PAD src0_sel:DWORD src1_sel:WORD_1
; %bb.316:
	s_or_b64 exec, exec, s[6:7]
.LBB37_317:
	s_or_b64 exec, exec, s[0:1]
                                        ; implicit-def: $vgpr15
.LBB37_318:
	s_andn2_saveexec_b64 s[0:1], s[2:3]
; %bb.319:
	v_xor_b32_e32 v8, 0x80000000, v15
	v_and_b32_e32 v8, 0x80000000, v8
	v_or_b32_e32 v8, 0x7f800000, v8
	v_lshrrev_b32_e32 v9, 16, v8
; %bb.320:
	s_or_b64 exec, exec, s[0:1]
	global_store_short v0, v26, s[4:5]
	global_store_short v1, v24, s[4:5]
	;; [unrolled: 1-line block ×8, first 2 shown]
	s_endpgm
.LBB37_321:
	v_mov_b32_e32 v0, 0
	v_mov_b32_e32 v2, 0
	s_branch .LBB37_327
.LBB37_322:
	v_mov_b32_e32 v0, 0
	v_mov_b32_e32 v2, 0
	s_branch .LBB37_367
.LBB37_323:
	s_mov_b32 s57, 0
	v_mov_b32_e32 v0, 0
	v_mov_b32_e32 v2, 0
	;; [unrolled: 1-line block ×3, first 2 shown]
.LBB37_324:
	s_and_b32 s4, s58, 3
	s_cmp_eq_u32 s4, 0
	s_cbranch_scc1 .LBB37_327
; %bb.325:
	s_lshl_b32 s0, s57, 3
	s_add_u32 s0, s34, s0
	s_addc_u32 s1, s35, 0
	s_add_u32 s0, s0, 0xc4
	s_addc_u32 s1, s1, 0
	s_mul_i32 s2, s57, 12
	s_add_u32 s2, s34, s2
	s_addc_u32 s3, s35, 0
.LBB37_326:                             ; =>This Inner Loop Header: Depth=1
	s_load_dwordx2 s[6:7], s[2:3], 0x4
	s_load_dword s5, s[2:3], 0xc
	s_load_dwordx2 s[8:9], s[0:1], 0x0
	s_add_u32 s2, s2, 12
	s_addc_u32 s3, s3, 0
	s_waitcnt lgkmcnt(0)
	v_mul_hi_u32 v3, s7, v1
	s_add_u32 s0, s0, 8
	s_addc_u32 s1, s1, 0
	s_add_i32 s4, s4, -1
	v_add_u32_e32 v3, v1, v3
	v_lshrrev_b32_e32 v4, s5, v3
	v_mul_lo_u32 v3, v4, s6
	s_cmp_lg_u32 s4, 0
	v_sub_u32_e32 v3, v1, v3
	v_mad_u64_u32 v[0:1], s[6:7], v3, s8, v[0:1]
	v_mad_u64_u32 v[2:3], s[6:7], v3, s9, v[2:3]
	v_mov_b32_e32 v1, v4
	s_cbranch_scc1 .LBB37_326
.LBB37_327:
	s_cbranch_execnz .LBB37_330
.LBB37_328:
	s_waitcnt lgkmcnt(0)
	v_mul_hi_u32 v0, s25, v7
	s_andn2_b64 vcc, exec, s[42:43]
	v_add_u32_e32 v0, v7, v0
	v_lshrrev_b32_e32 v1, s26, v0
	v_mul_lo_u32 v0, v1, s24
	v_sub_u32_e32 v2, v7, v0
	v_mul_lo_u32 v0, v2, s20
	v_mul_lo_u32 v2, v2, s21
	s_cbranch_vccnz .LBB37_330
; %bb.329:
	v_mul_hi_u32 v3, s40, v1
	v_add_u32_e32 v3, v1, v3
	v_lshrrev_b32_e32 v3, s41, v3
	v_mul_lo_u32 v3, v3, s27
	v_sub_u32_e32 v3, v1, v3
	v_mad_u64_u32 v[0:1], s[0:1], v3, s22, v[0:1]
	v_mad_u64_u32 v[2:3], s[0:1], v3, s23, v[2:3]
.LBB37_330:
	s_waitcnt lgkmcnt(0)
	global_load_ushort v1, v2, s[18:19]
                                        ; implicit-def: $vgpr2
	s_waitcnt vmcnt(0)
	v_lshlrev_b32_e32 v8, 16, v1
	v_cmp_neq_f32_e32 vcc, 0, v8
	s_and_saveexec_b64 s[0:1], vcc
	s_xor_b64 s[2:3], exec, s[0:1]
	s_cbranch_execz .LBB37_352
; %bb.331:
	v_mov_b32_e32 v1, 0
	v_cmp_gt_f32_e32 vcc, 0, v8
	s_mov_b64 s[6:7], -1
	s_and_saveexec_b64 s[4:5], vcc
	s_cbranch_execz .LBB37_339
; %bb.332:
	v_trunc_f32_e32 v1, v8
	v_cmp_neq_f32_e32 vcc, v1, v8
	s_mov_b64 s[8:9], 0
	v_mov_b32_e32 v1, 0
	s_and_saveexec_b64 s[6:7], vcc
	s_cbranch_execz .LBB37_338
; %bb.333:
	v_cvt_f64_f32_e32 v[1:2], v8
	s_mov_b32 s0, 0
	s_mov_b32 s9, 0xc00921fb
	s_mov_b32 s8, 0x54442d18
	v_trunc_f64_e32 v[3:4], v[1:2]
	s_mov_b32 s1, 0x7ff00000
	v_cmp_neq_f64_e64 vcc, |v[1:2]|, s[0:1]
	v_bfrev_b32_e32 v5, 1
	s_mov_b32 s10, 0
	s_mov_b32 s11, 0x41d00000
                                        ; implicit-def: $vgpr9
	v_add_f64 v[3:4], v[1:2], -v[3:4]
	v_mul_f64 v[3:4], |v[3:4]|, s[8:9]
	v_cndmask_b32_e32 v2, v5, v4, vcc
	v_cndmask_b32_e32 v1, 0, v3, vcc
	v_cmp_nlt_f64_e64 s[10:11], |v[1:2]|, s[10:11]
                                        ; implicit-def: $vgpr3_vgpr4
                                        ; implicit-def: $vgpr5_vgpr6
	s_and_saveexec_b64 s[12:13], s[10:11]
	s_xor_b64 s[10:11], exec, s[12:13]
	s_cbranch_execz .LBB37_335
; %bb.334:
	v_trig_preop_f64 v[3:4], |v[1:2]|, 0
	s_mov_b32 s12, 0
	s_mov_b32 s13, 0x7b000000
	s_movk_i32 s9, 0xff80
	v_ldexp_f64 v[9:10], |v[1:2]|, s9
	v_cmp_ge_f64_e64 vcc, |v[1:2]|, s[12:13]
	v_trig_preop_f64 v[5:6], |v[1:2]|, 1
	v_and_b32_e32 v11, 0x7fffffff, v2
	v_trig_preop_f64 v[17:18], |v[1:2]|, 2
	v_mov_b32_e32 v28, 0x40100000
	v_mov_b32_e32 v27, 0
	s_mov_b32 s9, 0x3ff921fb
	v_cndmask_b32_e32 v10, v11, v10, vcc
	v_cndmask_b32_e32 v9, v1, v9, vcc
	v_mul_f64 v[11:12], v[3:4], v[9:10]
	v_mul_f64 v[13:14], v[5:6], v[9:10]
	;; [unrolled: 1-line block ×3, first 2 shown]
	v_fma_f64 v[3:4], v[3:4], v[9:10], -v[11:12]
	v_fma_f64 v[5:6], v[5:6], v[9:10], -v[13:14]
	;; [unrolled: 1-line block ×3, first 2 shown]
	v_add_f64 v[15:16], v[13:14], v[3:4]
	v_add_f64 v[19:20], v[15:16], -v[13:14]
	v_add_f64 v[25:26], v[11:12], v[15:16]
	v_add_f64 v[21:22], v[15:16], -v[19:20]
	v_add_f64 v[3:4], v[3:4], -v[19:20]
	v_add_f64 v[19:20], v[23:24], v[5:6]
	v_add_f64 v[11:12], v[25:26], -v[11:12]
	v_add_f64 v[13:14], v[13:14], -v[21:22]
	v_ldexp_f64 v[21:22], v[25:26], -2
	v_add_f64 v[29:30], v[19:20], -v[23:24]
	v_add_f64 v[11:12], v[15:16], -v[11:12]
	v_add_f64 v[3:4], v[3:4], v[13:14]
	v_fract_f64_e32 v[13:14], v[21:22]
	v_cmp_neq_f64_e64 vcc, |v[21:22]|, s[0:1]
	v_add_f64 v[5:6], v[5:6], -v[29:30]
	v_add_f64 v[15:16], v[19:20], v[3:4]
	v_ldexp_f64 v[13:14], v[13:14], 2
	v_add_f64 v[21:22], v[11:12], v[15:16]
	v_cndmask_b32_e32 v14, 0, v14, vcc
	v_cndmask_b32_e32 v13, 0, v13, vcc
	v_add_f64 v[31:32], v[15:16], -v[19:20]
	v_add_f64 v[25:26], v[21:22], v[13:14]
	v_add_f64 v[11:12], v[21:22], -v[11:12]
	v_add_f64 v[33:34], v[15:16], -v[31:32]
	;; [unrolled: 1-line block ×3, first 2 shown]
	v_cmp_gt_f64_e32 vcc, 0, v[25:26]
	v_add_f64 v[25:26], v[19:20], -v[29:30]
	v_add_f64 v[11:12], v[15:16], -v[11:12]
	;; [unrolled: 1-line block ×3, first 2 shown]
	v_cndmask_b32_e32 v28, 0, v28, vcc
	v_add_f64 v[13:14], v[13:14], v[27:28]
	v_add_f64 v[25:26], v[23:24], -v[25:26]
	v_add_f64 v[3:4], v[3:4], v[19:20]
	v_add_f64 v[35:36], v[21:22], v[13:14]
	;; [unrolled: 1-line block ×3, first 2 shown]
	v_cvt_i32_f64_e32 v30, v[35:36]
	v_add_f64 v[3:4], v[5:6], v[3:4]
	v_cvt_f64_i32_e32 v[28:29], v30
	v_add_f64 v[13:14], v[13:14], -v[28:29]
	v_add_f64 v[3:4], v[9:10], v[3:4]
	v_add_f64 v[5:6], v[21:22], v[13:14]
	;; [unrolled: 1-line block ×3, first 2 shown]
	v_mov_b32_e32 v12, 0x3ff00000
	v_add_f64 v[9:10], v[5:6], -v[13:14]
	v_cmp_le_f64_e32 vcc, 0.5, v[5:6]
	v_add_f64 v[10:11], v[21:22], -v[9:10]
	v_cndmask_b32_e32 v28, 0, v12, vcc
	v_add_f64 v[5:6], v[5:6], -v[27:28]
	v_addc_co_u32_e64 v9, s[0:1], 0, v30, vcc
	s_mov_b32 s0, 0x33145c07
	s_mov_b32 s1, 0x3c91a626
	v_add_f64 v[3:4], v[3:4], v[10:11]
	v_add_f64 v[10:11], v[5:6], v[3:4]
	v_mul_f64 v[12:13], v[10:11], s[8:9]
	v_add_f64 v[5:6], v[10:11], -v[5:6]
	v_fma_f64 v[14:15], v[10:11], s[8:9], -v[12:13]
	v_add_f64 v[3:4], v[3:4], -v[5:6]
	v_fma_f64 v[5:6], v[10:11], s[0:1], v[14:15]
	v_fma_f64 v[5:6], v[3:4], s[8:9], v[5:6]
	v_add_f64 v[3:4], v[12:13], v[5:6]
	v_add_f64 v[10:11], v[3:4], -v[12:13]
	v_add_f64 v[5:6], v[5:6], -v[10:11]
.LBB37_335:
	s_andn2_saveexec_b64 s[0:1], s[10:11]
	s_cbranch_execz .LBB37_337
; %bb.336:
	s_mov_b32 s8, 0x6dc9c883
	s_mov_b32 s9, 0x3fe45f30
	v_mul_f64 v[3:4], |v[1:2]|, s[8:9]
	s_mov_b32 s8, 0x54442d18
	s_mov_b32 s9, 0xbff921fb
	;; [unrolled: 1-line block ×4, first 2 shown]
	v_rndne_f64_e32 v[9:10], v[3:4]
	v_fma_f64 v[3:4], v[9:10], s[8:9], |v[1:2]|
	v_mul_f64 v[5:6], v[9:10], s[10:11]
	s_mov_b32 s8, 0x252049c0
	s_mov_b32 s9, 0xb97b839a
	v_fma_f64 v[15:16], v[9:10], s[10:11], v[3:4]
	v_add_f64 v[11:12], v[3:4], v[5:6]
	s_mov_b32 s11, 0x3c91a626
	v_add_f64 v[13:14], v[3:4], -v[11:12]
	v_add_f64 v[11:12], v[11:12], -v[15:16]
	v_add_f64 v[3:4], v[13:14], v[5:6]
	v_fma_f64 v[5:6], v[9:10], s[10:11], v[5:6]
	v_add_f64 v[3:4], v[11:12], v[3:4]
	v_add_f64 v[3:4], v[3:4], -v[5:6]
	v_fma_f64 v[5:6], v[9:10], s[8:9], v[3:4]
	v_cvt_i32_f64_e32 v9, v[9:10]
	v_add_f64 v[3:4], v[15:16], v[5:6]
	v_add_f64 v[11:12], v[3:4], -v[15:16]
	v_add_f64 v[5:6], v[5:6], -v[11:12]
.LBB37_337:
	s_or_b64 exec, exec, s[0:1]
	v_mul_f64 v[10:11], v[3:4], v[3:4]
	v_add_f64 v[12:13], v[5:6], v[5:6]
	s_mov_b32 s0, 0xc751c08c
	s_mov_b32 s1, 0x3ef5e089
	v_and_b32_e32 v9, 1, v9
	v_cmp_eq_u32_e32 vcc, 0, v9
	s_mov_b32 s10, 0x54442d18
	s_mov_b32 s11, 0xc00921fb
	v_fma_f64 v[14:15], v[3:4], v[3:4], -v[10:11]
	s_mov_b64 s[8:9], exec
	v_sub_f32_e32 v8, 1.0, v8
	v_fma_f64 v[12:13], v[3:4], v[12:13], v[14:15]
	v_add_f64 v[10:11], v[10:11], v[12:13]
	v_mov_b32_e32 v12, 0xa9a29f71
	v_mov_b32_e32 v13, 0xbf078809
	v_fma_f64 v[12:13], v[10:11], s[0:1], v[12:13]
	s_mov_b32 s0, 0x90a8aae0
	s_mov_b32 s1, 0x3f17746f
	v_fma_f64 v[12:13], v[10:11], v[12:13], s[0:1]
	s_mov_b32 s0, 0xa6fbf144
	s_mov_b32 s1, 0xbefbb44d
	v_fma_f64 v[12:13], v[10:11], v[12:13], s[0:1]
	s_mov_b32 s0, 0xa7943acf
	s_mov_b32 s1, 0x3f21e634
	v_fma_f64 v[12:13], v[10:11], v[12:13], s[0:1]
	s_mov_b32 s0, 0xdeb68feb
	s_mov_b32 s1, 0x3f2d250f
	v_fma_f64 v[12:13], v[10:11], v[12:13], s[0:1]
	s_mov_b32 s0, 0xb58c4d95
	s_mov_b32 s1, 0x3f437fd9
	v_fma_f64 v[12:13], v[10:11], v[12:13], s[0:1]
	s_mov_b32 s0, 0x15120e2c
	s_mov_b32 s1, 0x3f57d5af
	v_fma_f64 v[12:13], v[10:11], v[12:13], s[0:1]
	s_mov_b32 s0, 0xe09491df
	s_mov_b32 s1, 0x3f6d6d93
	v_fma_f64 v[12:13], v[10:11], v[12:13], s[0:1]
	s_mov_b32 s0, 0x2033784d
	s_mov_b32 s1, 0x3f8226e1
	v_fma_f64 v[12:13], v[10:11], v[12:13], s[0:1]
	s_mov_b32 s0, 0x9ac36ae2
	s_mov_b32 s1, 0x3f9664f4
	v_fma_f64 v[12:13], v[10:11], v[12:13], s[0:1]
	s_mov_b32 s0, 0x1b451c21
	s_mov_b32 s1, 0x3faba1ba
	v_fma_f64 v[12:13], v[10:11], v[12:13], s[0:1]
	s_mov_b32 s0, 0x111185b7
	s_mov_b32 s1, 0x3fc11111
	v_fma_f64 v[12:13], v[10:11], v[12:13], s[0:1]
	s_mov_b32 s0, 0x555554ee
	s_mov_b32 s1, 0x3fd55555
	v_fma_f64 v[12:13], v[10:11], v[12:13], s[0:1]
	s_movk_i32 s0, 0x1f8
	v_cmp_class_f64_e64 s[0:1], v[1:2], s0
	v_mul_f64 v[10:11], v[10:11], v[12:13]
	v_mul_f64 v[12:13], v[3:4], v[10:11]
	v_add_f64 v[14:15], v[3:4], v[12:13]
	v_fma_f64 v[10:11], v[3:4], v[10:11], -v[12:13]
	v_add_f64 v[3:4], v[14:15], -v[3:4]
	v_add_f64 v[5:6], v[5:6], v[10:11]
	v_add_f64 v[3:4], v[12:13], -v[3:4]
	v_add_f64 v[3:4], v[5:6], v[3:4]
	v_add_f64 v[5:6], v[14:15], v[3:4]
	v_rcp_f64_e32 v[10:11], v[5:6]
	v_fma_f64 v[12:13], -v[5:6], v[10:11], 1.0
	v_fma_f64 v[10:11], v[12:13], v[10:11], v[10:11]
	v_fma_f64 v[12:13], -v[5:6], v[10:11], 1.0
	v_fma_f64 v[10:11], v[12:13], v[10:11], v[10:11]
	v_add_f64 v[12:13], v[5:6], -v[14:15]
	v_mul_f64 v[14:15], v[5:6], v[10:11]
	v_add_f64 v[3:4], v[3:4], -v[12:13]
	v_fma_f64 v[12:13], v[10:11], v[5:6], -v[14:15]
	v_fma_f64 v[3:4], v[10:11], v[3:4], v[12:13]
	v_add_f64 v[12:13], v[14:15], v[3:4]
	v_add_f64 v[16:17], -v[12:13], 1.0
	v_add_f64 v[14:15], v[12:13], -v[14:15]
	v_add_f64 v[18:19], -v[16:17], 1.0
	v_add_f64 v[3:4], v[14:15], -v[3:4]
	v_add_f64 v[12:13], v[18:19], -v[12:13]
	v_add_f64 v[3:4], v[3:4], v[12:13]
	v_add_f64 v[3:4], v[16:17], v[3:4]
	v_mul_f64 v[3:4], v[10:11], v[3:4]
	v_add_f64 v[3:4], v[10:11], v[3:4]
	v_and_b32_e32 v10, 0x80000000, v2
	v_mov_b32_e32 v2, 0x7ff80000
	v_xor_b32_e32 v1, 0x80000000, v4
	v_cndmask_b32_e32 v3, v3, v5, vcc
	v_cndmask_b32_e32 v4, v1, v6, vcc
	v_cndmask_b32_e64 v1, 0, v3, s[0:1]
	v_xor_b32_e32 v3, v4, v10
	v_cndmask_b32_e64 v2, v2, v3, s[0:1]
	v_div_scale_f64 v[3:4], s[0:1], v[1:2], v[1:2], s[10:11]
	v_div_scale_f64 v[11:12], vcc, s[10:11], v[1:2], s[10:11]
	v_rcp_f64_e32 v[5:6], v[3:4]
	v_fma_f64 v[9:10], -v[3:4], v[5:6], 1.0
	v_fma_f64 v[5:6], v[5:6], v[9:10], v[5:6]
	v_fma_f64 v[9:10], -v[3:4], v[5:6], 1.0
	v_fma_f64 v[5:6], v[5:6], v[9:10], v[5:6]
	v_mul_f64 v[9:10], v[11:12], v[5:6]
	v_fma_f64 v[3:4], -v[3:4], v[9:10], v[11:12]
	v_div_fmas_f64 v[3:4], v[3:4], v[5:6], v[9:10]
	v_div_fixup_f64 v[1:2], v[3:4], v[1:2], s[10:11]
	v_cvt_f32_f64_e32 v1, v[1:2]
.LBB37_338:
	s_or_b64 exec, exec, s[6:7]
	s_orn2_b64 s[6:7], s[8:9], exec
.LBB37_339:
	s_or_b64 exec, exec, s[4:5]
	v_mov_b32_e32 v2, 0x7fc0
	s_and_saveexec_b64 s[0:1], s[6:7]
	s_cbranch_execz .LBB37_351
; %bb.340:
	s_mov_b32 s8, 0x41200000
	v_cmp_gt_f32_e32 vcc, s8, v8
	s_and_saveexec_b64 s[4:5], vcc
	s_cbranch_execz .LBB37_344
; %bb.341:
	s_mov_b64 s[6:7], 0
.LBB37_342:                             ; =>This Inner Loop Header: Depth=1
	v_div_scale_f32 v2, s[10:11], v8, v8, 1.0
	v_div_scale_f32 v3, vcc, 1.0, v8, 1.0
	v_rcp_f32_e32 v4, v2
	v_fma_f32 v5, -v2, v4, 1.0
	v_fmac_f32_e32 v4, v5, v4
	v_mul_f32_e32 v5, v3, v4
	v_fma_f32 v6, -v2, v5, v3
	v_fmac_f32_e32 v5, v6, v4
	v_fma_f32 v2, -v2, v5, v3
	v_div_fmas_f32 v2, v2, v4, v5
	v_div_fixup_f32 v2, v2, v8, 1.0
	v_add_f32_e32 v8, 1.0, v8
	v_cmp_ngt_f32_e32 vcc, s8, v8
	s_or_b64 s[6:7], vcc, s[6:7]
	v_sub_f32_e32 v1, v1, v2
	s_andn2_b64 exec, exec, s[6:7]
	s_cbranch_execnz .LBB37_342
; %bb.343:
	s_or_b64 exec, exec, s[6:7]
.LBB37_344:
	s_or_b64 exec, exec, s[4:5]
	s_mov_b32 s4, 0x41200000
	v_cmp_neq_f32_e32 vcc, s4, v8
                                        ; implicit-def: $vgpr2
	s_and_saveexec_b64 s[4:5], vcc
	s_xor_b64 s[4:5], exec, s[4:5]
	s_cbranch_execz .LBB37_348
; %bb.345:
	v_cvt_f64_f32_e32 v[2:3], v8
	s_mov_b32 s6, 0x85d8a000
	s_mov_b32 s7, 0x43763457
	v_cmp_gt_f64_e32 vcc, s[6:7], v[2:3]
	v_mov_b32_e32 v2, 0
	s_and_saveexec_b64 s[6:7], vcc
	s_cbranch_execz .LBB37_347
; %bb.346:
	v_mul_f32_e32 v2, v8, v8
	v_div_scale_f32 v3, s[8:9], v2, v2, 1.0
	v_div_scale_f32 v4, vcc, 1.0, v2, 1.0
	v_mov_b32_e32 v10, 0x3b820821
	v_rcp_f32_e32 v5, v3
	v_fma_f32 v6, -v3, v5, 1.0
	v_fmac_f32_e32 v5, v6, v5
	v_mul_f32_e32 v6, v4, v5
	v_fma_f32 v9, -v3, v6, v4
	v_fmac_f32_e32 v6, v9, v5
	v_fma_f32 v3, -v3, v6, v4
	v_div_fmas_f32 v3, v3, v5, v6
	v_mov_b32_e32 v4, 0x3daaaaab
	v_mov_b32_e32 v5, 0xbcaccacd
	;; [unrolled: 1-line block ×4, first 2 shown]
	v_div_fixup_f32 v2, v3, v2, 1.0
	v_fma_f32 v3, 0, v2, v4
	v_fmac_f32_e32 v5, v2, v3
	v_fmac_f32_e32 v6, v2, v5
	;; [unrolled: 1-line block ×4, first 2 shown]
	v_mov_b32_e32 v3, 0xbc088889
	v_fmac_f32_e32 v3, v2, v10
	v_fmac_f32_e32 v4, v2, v3
	v_mul_f32_e32 v2, v2, v4
.LBB37_347:
	s_or_b64 exec, exec, s[6:7]
	v_div_scale_f32 v3, s[6:7], v8, v8, -0.5
	v_div_scale_f32 v4, vcc, -0.5, v8, -0.5
	s_mov_b32 s6, 0x800000
	s_mov_b32 s7, 0x3f317217
	s_mov_b32 s8, 0x7f800000
	v_rcp_f32_e32 v5, v3
	v_fma_f32 v6, -v3, v5, 1.0
	v_fmac_f32_e32 v5, v6, v5
	v_mul_f32_e32 v6, v4, v5
	v_fma_f32 v9, -v3, v6, v4
	v_fmac_f32_e32 v6, v9, v5
	v_fma_f32 v3, -v3, v6, v4
	v_div_fmas_f32 v3, v3, v5, v6
	v_cmp_gt_f32_e32 vcc, s6, v8
	v_cndmask_b32_e64 v5, 0, 32, vcc
	v_ldexp_f32 v5, v8, v5
	v_log_f32_e32 v5, v5
	v_mov_b32_e32 v4, 0x41b17218
	v_cndmask_b32_e32 v4, 0, v4, vcc
	s_movk_i32 s6, 0x7fff
	v_mul_f32_e32 v9, 0x3f317217, v5
	v_fma_f32 v9, v5, s7, -v9
	v_fmac_f32_e32 v9, 0x3377d1cf, v5
	v_fmac_f32_e32 v9, 0x3f317217, v5
	v_cmp_lt_f32_e64 vcc, |v5|, s8
	v_cndmask_b32_e32 v5, v5, v9, vcc
	v_sub_f32_e32 v4, v5, v4
	v_mov_b32_e32 v6, 0x7fc0
	v_div_fixup_f32 v3, v3, v8, -0.5
	v_add_f32_e32 v3, v4, v3
	v_sub_f32_e32 v2, v3, v2
	v_add_f32_e32 v1, v1, v2
	v_bfe_u32 v2, v1, 16, 1
	v_cmp_o_f32_e32 vcc, v1, v1
	v_add3_u32 v1, v1, v2, s6
	v_cndmask_b32_sdwa v2, v6, v1, vcc dst_sel:DWORD dst_unused:UNUSED_PAD src0_sel:DWORD src1_sel:WORD_1
                                        ; implicit-def: $vgpr1
.LBB37_348:
	s_andn2_saveexec_b64 s[4:5], s[4:5]
; %bb.349:
	v_add_f32_e32 v1, 0x40101cb7, v1
	v_bfe_u32 v2, v1, 16, 1
	s_movk_i32 s6, 0x7fff
	v_add3_u32 v2, v1, v2, s6
	v_cmp_o_f32_e32 vcc, v1, v1
	v_mov_b32_e32 v1, 0x7fc0
	v_cndmask_b32_sdwa v2, v1, v2, vcc dst_sel:DWORD dst_unused:UNUSED_PAD src0_sel:DWORD src1_sel:WORD_1
; %bb.350:
	s_or_b64 exec, exec, s[4:5]
.LBB37_351:
	s_or_b64 exec, exec, s[0:1]
                                        ; implicit-def: $vgpr8
.LBB37_352:
	s_andn2_saveexec_b64 s[0:1], s[2:3]
; %bb.353:
	v_xor_b32_e32 v1, 0x80000000, v8
	v_and_b32_e32 v1, 0x80000000, v1
	v_or_b32_e32 v1, 0x7f800000, v1
	v_lshrrev_b32_e32 v2, 16, v1
; %bb.354:
	s_or_b64 exec, exec, s[0:1]
	v_add_u32_e32 v7, 0x80, v7
	global_store_short v0, v2, s[16:17]
	s_or_b64 exec, exec, s[48:49]
	v_cmp_gt_i32_e32 vcc, s55, v7
	s_and_saveexec_b64 s[48:49], vcc
	s_cbranch_execnz .LBB37_15
.LBB37_355:
	s_or_b64 exec, exec, s[48:49]
	v_cmp_gt_i32_e32 vcc, s55, v7
	s_and_saveexec_b64 s[48:49], vcc
	s_cbranch_execz .LBB37_395
.LBB37_356:
	s_andn2_b64 vcc, exec, s[36:37]
	s_cbranch_vccnz .LBB37_361
; %bb.357:
	s_andn2_b64 vcc, exec, s[46:47]
	s_cbranch_vccnz .LBB37_362
; %bb.358:
	s_add_i32 s58, s56, 1
	s_cmp_eq_u32 s54, 2
	s_cbranch_scc1 .LBB37_403
; %bb.359:
	s_and_b32 s57, s58, 28
	v_mov_b32_e32 v2, 0
	s_mov_b32 s59, 0
	s_mov_b64 s[50:51], s[34:35]
	s_mov_b64 s[52:53], s[44:45]
	v_mov_b32_e32 v0, 0
	v_mov_b32_e32 v1, v7
.LBB37_360:                             ; =>This Inner Loop Header: Depth=1
	s_load_dwordx8 s[8:15], s[50:51], 0x4
	s_load_dwordx4 s[28:31], s[50:51], 0x24
	s_load_dwordx8 s[0:7], s[52:53], 0x0
	s_add_u32 s50, s50, 48
	s_addc_u32 s51, s51, 0
	s_waitcnt lgkmcnt(0)
	v_mul_hi_u32 v3, s9, v1
	s_add_i32 s59, s59, 4
	s_add_u32 s52, s52, 32
	s_addc_u32 s53, s53, 0
	v_add_u32_e32 v3, v1, v3
	v_lshrrev_b32_e32 v3, s10, v3
	v_mul_lo_u32 v4, v3, s8
	v_mul_hi_u32 v5, s12, v3
	s_cmp_eq_u32 s57, s59
	v_sub_u32_e32 v1, v1, v4
	v_add_u32_e32 v4, v3, v5
	v_mul_lo_u32 v5, v1, s0
	v_mul_lo_u32 v6, v1, s1
	v_lshrrev_b32_e32 v1, s13, v4
	v_mul_lo_u32 v4, v1, s11
	v_mul_hi_u32 v8, s15, v1
	v_sub_u32_e32 v3, v3, v4
	v_add_u32_e32 v4, v1, v8
	v_lshrrev_b32_e32 v4, s28, v4
	v_mul_hi_u32 v9, s30, v4
	v_mul_lo_u32 v10, v4, s14
	v_mul_lo_u32 v8, v3, s2
	v_mul_lo_u32 v3, v3, s3
	v_sub_u32_e32 v10, v1, v10
	v_add_u32_e32 v1, v4, v9
	v_lshrrev_b32_e32 v1, s31, v1
	v_mul_lo_u32 v9, v1, s29
	v_mul_lo_u32 v11, v10, s4
	v_mul_lo_u32 v10, v10, s5
	v_add3_u32 v0, v5, v0, v8
	v_sub_u32_e32 v4, v4, v9
	v_mul_lo_u32 v9, v4, s6
	v_mul_lo_u32 v4, v4, s7
	v_add3_u32 v2, v6, v2, v3
	v_add3_u32 v0, v11, v0, v9
	;; [unrolled: 1-line block ×3, first 2 shown]
	s_cbranch_scc0 .LBB37_360
	s_branch .LBB37_404
.LBB37_361:
                                        ; implicit-def: $vgpr0
                                        ; implicit-def: $vgpr2
	s_branch .LBB37_408
.LBB37_362:
	v_mov_b32_e32 v0, 0
	v_mov_b32_e32 v2, 0
	s_branch .LBB37_407
.LBB37_363:
	s_mov_b32 s57, 0
	v_mov_b32_e32 v0, 0
	v_mov_b32_e32 v2, 0
	;; [unrolled: 1-line block ×3, first 2 shown]
.LBB37_364:
	s_and_b32 s4, s58, 3
	s_cmp_eq_u32 s4, 0
	s_cbranch_scc1 .LBB37_367
; %bb.365:
	s_lshl_b32 s0, s57, 3
	s_add_u32 s0, s34, s0
	s_addc_u32 s1, s35, 0
	s_add_u32 s0, s0, 0xc4
	s_addc_u32 s1, s1, 0
	s_mul_i32 s2, s57, 12
	s_add_u32 s2, s34, s2
	s_addc_u32 s3, s35, 0
.LBB37_366:                             ; =>This Inner Loop Header: Depth=1
	s_load_dwordx2 s[6:7], s[2:3], 0x4
	s_load_dword s5, s[2:3], 0xc
	s_load_dwordx2 s[8:9], s[0:1], 0x0
	s_add_u32 s2, s2, 12
	s_addc_u32 s3, s3, 0
	s_waitcnt lgkmcnt(0)
	v_mul_hi_u32 v3, s7, v1
	s_add_u32 s0, s0, 8
	s_addc_u32 s1, s1, 0
	s_add_i32 s4, s4, -1
	v_add_u32_e32 v3, v1, v3
	v_lshrrev_b32_e32 v4, s5, v3
	v_mul_lo_u32 v3, v4, s6
	s_cmp_lg_u32 s4, 0
	v_sub_u32_e32 v3, v1, v3
	v_mad_u64_u32 v[0:1], s[6:7], v3, s8, v[0:1]
	v_mad_u64_u32 v[2:3], s[6:7], v3, s9, v[2:3]
	v_mov_b32_e32 v1, v4
	s_cbranch_scc1 .LBB37_366
.LBB37_367:
	s_cbranch_execnz .LBB37_370
.LBB37_368:
	s_waitcnt lgkmcnt(0)
	v_mul_hi_u32 v0, s25, v7
	s_andn2_b64 vcc, exec, s[42:43]
	v_add_u32_e32 v0, v7, v0
	v_lshrrev_b32_e32 v1, s26, v0
	v_mul_lo_u32 v0, v1, s24
	v_sub_u32_e32 v2, v7, v0
	v_mul_lo_u32 v0, v2, s20
	v_mul_lo_u32 v2, v2, s21
	s_cbranch_vccnz .LBB37_370
; %bb.369:
	v_mul_hi_u32 v3, s40, v1
	v_add_u32_e32 v3, v1, v3
	v_lshrrev_b32_e32 v3, s41, v3
	v_mul_lo_u32 v3, v3, s27
	v_sub_u32_e32 v3, v1, v3
	v_mad_u64_u32 v[0:1], s[0:1], v3, s22, v[0:1]
	v_mad_u64_u32 v[2:3], s[0:1], v3, s23, v[2:3]
.LBB37_370:
	s_waitcnt lgkmcnt(0)
	global_load_ushort v1, v2, s[18:19]
                                        ; implicit-def: $vgpr2
	s_waitcnt vmcnt(0)
	v_lshlrev_b32_e32 v8, 16, v1
	v_cmp_neq_f32_e32 vcc, 0, v8
	s_and_saveexec_b64 s[0:1], vcc
	s_xor_b64 s[2:3], exec, s[0:1]
	s_cbranch_execz .LBB37_392
; %bb.371:
	v_mov_b32_e32 v1, 0
	v_cmp_gt_f32_e32 vcc, 0, v8
	s_mov_b64 s[6:7], -1
	s_and_saveexec_b64 s[4:5], vcc
	s_cbranch_execz .LBB37_379
; %bb.372:
	v_trunc_f32_e32 v1, v8
	v_cmp_neq_f32_e32 vcc, v1, v8
	s_mov_b64 s[8:9], 0
	v_mov_b32_e32 v1, 0
	s_and_saveexec_b64 s[6:7], vcc
	s_cbranch_execz .LBB37_378
; %bb.373:
	v_cvt_f64_f32_e32 v[1:2], v8
	s_mov_b32 s0, 0
	s_mov_b32 s9, 0xc00921fb
	;; [unrolled: 1-line block ×3, first 2 shown]
	v_trunc_f64_e32 v[3:4], v[1:2]
	s_mov_b32 s1, 0x7ff00000
	v_cmp_neq_f64_e64 vcc, |v[1:2]|, s[0:1]
	v_bfrev_b32_e32 v5, 1
	s_mov_b32 s10, 0
	s_mov_b32 s11, 0x41d00000
                                        ; implicit-def: $vgpr9
	v_add_f64 v[3:4], v[1:2], -v[3:4]
	v_mul_f64 v[3:4], |v[3:4]|, s[8:9]
	v_cndmask_b32_e32 v2, v5, v4, vcc
	v_cndmask_b32_e32 v1, 0, v3, vcc
	v_cmp_nlt_f64_e64 s[10:11], |v[1:2]|, s[10:11]
                                        ; implicit-def: $vgpr3_vgpr4
                                        ; implicit-def: $vgpr5_vgpr6
	s_and_saveexec_b64 s[12:13], s[10:11]
	s_xor_b64 s[10:11], exec, s[12:13]
	s_cbranch_execz .LBB37_375
; %bb.374:
	v_trig_preop_f64 v[3:4], |v[1:2]|, 0
	s_mov_b32 s12, 0
	s_mov_b32 s13, 0x7b000000
	s_movk_i32 s9, 0xff80
	v_ldexp_f64 v[9:10], |v[1:2]|, s9
	v_cmp_ge_f64_e64 vcc, |v[1:2]|, s[12:13]
	v_trig_preop_f64 v[5:6], |v[1:2]|, 1
	v_and_b32_e32 v11, 0x7fffffff, v2
	v_trig_preop_f64 v[17:18], |v[1:2]|, 2
	v_mov_b32_e32 v28, 0x40100000
	v_mov_b32_e32 v27, 0
	s_mov_b32 s9, 0x3ff921fb
	v_cndmask_b32_e32 v10, v11, v10, vcc
	v_cndmask_b32_e32 v9, v1, v9, vcc
	v_mul_f64 v[11:12], v[3:4], v[9:10]
	v_mul_f64 v[13:14], v[5:6], v[9:10]
	;; [unrolled: 1-line block ×3, first 2 shown]
	v_fma_f64 v[3:4], v[3:4], v[9:10], -v[11:12]
	v_fma_f64 v[5:6], v[5:6], v[9:10], -v[13:14]
	;; [unrolled: 1-line block ×3, first 2 shown]
	v_add_f64 v[15:16], v[13:14], v[3:4]
	v_add_f64 v[19:20], v[15:16], -v[13:14]
	v_add_f64 v[25:26], v[11:12], v[15:16]
	v_add_f64 v[21:22], v[15:16], -v[19:20]
	v_add_f64 v[3:4], v[3:4], -v[19:20]
	v_add_f64 v[19:20], v[23:24], v[5:6]
	v_add_f64 v[11:12], v[25:26], -v[11:12]
	v_add_f64 v[13:14], v[13:14], -v[21:22]
	v_ldexp_f64 v[21:22], v[25:26], -2
	v_add_f64 v[29:30], v[19:20], -v[23:24]
	v_add_f64 v[11:12], v[15:16], -v[11:12]
	v_add_f64 v[3:4], v[3:4], v[13:14]
	v_fract_f64_e32 v[13:14], v[21:22]
	v_cmp_neq_f64_e64 vcc, |v[21:22]|, s[0:1]
	v_add_f64 v[5:6], v[5:6], -v[29:30]
	v_add_f64 v[15:16], v[19:20], v[3:4]
	v_ldexp_f64 v[13:14], v[13:14], 2
	v_add_f64 v[21:22], v[11:12], v[15:16]
	v_cndmask_b32_e32 v14, 0, v14, vcc
	v_cndmask_b32_e32 v13, 0, v13, vcc
	v_add_f64 v[31:32], v[15:16], -v[19:20]
	v_add_f64 v[25:26], v[21:22], v[13:14]
	v_add_f64 v[11:12], v[21:22], -v[11:12]
	v_add_f64 v[33:34], v[15:16], -v[31:32]
	;; [unrolled: 1-line block ×3, first 2 shown]
	v_cmp_gt_f64_e32 vcc, 0, v[25:26]
	v_add_f64 v[25:26], v[19:20], -v[29:30]
	v_add_f64 v[11:12], v[15:16], -v[11:12]
	;; [unrolled: 1-line block ×3, first 2 shown]
	v_cndmask_b32_e32 v28, 0, v28, vcc
	v_add_f64 v[13:14], v[13:14], v[27:28]
	v_add_f64 v[25:26], v[23:24], -v[25:26]
	v_add_f64 v[3:4], v[3:4], v[19:20]
	v_add_f64 v[35:36], v[21:22], v[13:14]
	;; [unrolled: 1-line block ×3, first 2 shown]
	v_cvt_i32_f64_e32 v30, v[35:36]
	v_add_f64 v[3:4], v[5:6], v[3:4]
	v_cvt_f64_i32_e32 v[28:29], v30
	v_add_f64 v[13:14], v[13:14], -v[28:29]
	v_add_f64 v[3:4], v[9:10], v[3:4]
	v_add_f64 v[5:6], v[21:22], v[13:14]
	v_add_f64 v[3:4], v[11:12], v[3:4]
	v_mov_b32_e32 v12, 0x3ff00000
	v_add_f64 v[9:10], v[5:6], -v[13:14]
	v_cmp_le_f64_e32 vcc, 0.5, v[5:6]
	v_add_f64 v[10:11], v[21:22], -v[9:10]
	v_cndmask_b32_e32 v28, 0, v12, vcc
	v_add_f64 v[5:6], v[5:6], -v[27:28]
	v_addc_co_u32_e64 v9, s[0:1], 0, v30, vcc
	s_mov_b32 s0, 0x33145c07
	s_mov_b32 s1, 0x3c91a626
	v_add_f64 v[3:4], v[3:4], v[10:11]
	v_add_f64 v[10:11], v[5:6], v[3:4]
	v_mul_f64 v[12:13], v[10:11], s[8:9]
	v_add_f64 v[5:6], v[10:11], -v[5:6]
	v_fma_f64 v[14:15], v[10:11], s[8:9], -v[12:13]
	v_add_f64 v[3:4], v[3:4], -v[5:6]
	v_fma_f64 v[5:6], v[10:11], s[0:1], v[14:15]
	v_fma_f64 v[5:6], v[3:4], s[8:9], v[5:6]
	v_add_f64 v[3:4], v[12:13], v[5:6]
	v_add_f64 v[10:11], v[3:4], -v[12:13]
	v_add_f64 v[5:6], v[5:6], -v[10:11]
.LBB37_375:
	s_andn2_saveexec_b64 s[0:1], s[10:11]
	s_cbranch_execz .LBB37_377
; %bb.376:
	s_mov_b32 s8, 0x6dc9c883
	s_mov_b32 s9, 0x3fe45f30
	v_mul_f64 v[3:4], |v[1:2]|, s[8:9]
	s_mov_b32 s8, 0x54442d18
	s_mov_b32 s9, 0xbff921fb
	s_mov_b32 s11, 0xbc91a626
	s_mov_b32 s10, 0x33145c00
	v_rndne_f64_e32 v[9:10], v[3:4]
	v_fma_f64 v[3:4], v[9:10], s[8:9], |v[1:2]|
	v_mul_f64 v[5:6], v[9:10], s[10:11]
	s_mov_b32 s8, 0x252049c0
	s_mov_b32 s9, 0xb97b839a
	v_fma_f64 v[15:16], v[9:10], s[10:11], v[3:4]
	v_add_f64 v[11:12], v[3:4], v[5:6]
	s_mov_b32 s11, 0x3c91a626
	v_add_f64 v[13:14], v[3:4], -v[11:12]
	v_add_f64 v[11:12], v[11:12], -v[15:16]
	v_add_f64 v[3:4], v[13:14], v[5:6]
	v_fma_f64 v[5:6], v[9:10], s[10:11], v[5:6]
	v_add_f64 v[3:4], v[11:12], v[3:4]
	v_add_f64 v[3:4], v[3:4], -v[5:6]
	v_fma_f64 v[5:6], v[9:10], s[8:9], v[3:4]
	v_cvt_i32_f64_e32 v9, v[9:10]
	v_add_f64 v[3:4], v[15:16], v[5:6]
	v_add_f64 v[11:12], v[3:4], -v[15:16]
	v_add_f64 v[5:6], v[5:6], -v[11:12]
.LBB37_377:
	s_or_b64 exec, exec, s[0:1]
	v_mul_f64 v[10:11], v[3:4], v[3:4]
	v_add_f64 v[12:13], v[5:6], v[5:6]
	s_mov_b32 s0, 0xc751c08c
	s_mov_b32 s1, 0x3ef5e089
	v_and_b32_e32 v9, 1, v9
	v_cmp_eq_u32_e32 vcc, 0, v9
	s_mov_b32 s10, 0x54442d18
	s_mov_b32 s11, 0xc00921fb
	v_fma_f64 v[14:15], v[3:4], v[3:4], -v[10:11]
	s_mov_b64 s[8:9], exec
	v_sub_f32_e32 v8, 1.0, v8
	v_fma_f64 v[12:13], v[3:4], v[12:13], v[14:15]
	v_add_f64 v[10:11], v[10:11], v[12:13]
	v_mov_b32_e32 v12, 0xa9a29f71
	v_mov_b32_e32 v13, 0xbf078809
	v_fma_f64 v[12:13], v[10:11], s[0:1], v[12:13]
	s_mov_b32 s0, 0x90a8aae0
	s_mov_b32 s1, 0x3f17746f
	v_fma_f64 v[12:13], v[10:11], v[12:13], s[0:1]
	s_mov_b32 s0, 0xa6fbf144
	s_mov_b32 s1, 0xbefbb44d
	;; [unrolled: 3-line block ×12, first 2 shown]
	v_fma_f64 v[12:13], v[10:11], v[12:13], s[0:1]
	s_movk_i32 s0, 0x1f8
	v_cmp_class_f64_e64 s[0:1], v[1:2], s0
	v_mul_f64 v[10:11], v[10:11], v[12:13]
	v_mul_f64 v[12:13], v[3:4], v[10:11]
	v_add_f64 v[14:15], v[3:4], v[12:13]
	v_fma_f64 v[10:11], v[3:4], v[10:11], -v[12:13]
	v_add_f64 v[3:4], v[14:15], -v[3:4]
	v_add_f64 v[5:6], v[5:6], v[10:11]
	v_add_f64 v[3:4], v[12:13], -v[3:4]
	v_add_f64 v[3:4], v[5:6], v[3:4]
	v_add_f64 v[5:6], v[14:15], v[3:4]
	v_rcp_f64_e32 v[10:11], v[5:6]
	v_fma_f64 v[12:13], -v[5:6], v[10:11], 1.0
	v_fma_f64 v[10:11], v[12:13], v[10:11], v[10:11]
	v_fma_f64 v[12:13], -v[5:6], v[10:11], 1.0
	v_fma_f64 v[10:11], v[12:13], v[10:11], v[10:11]
	v_add_f64 v[12:13], v[5:6], -v[14:15]
	v_mul_f64 v[14:15], v[5:6], v[10:11]
	v_add_f64 v[3:4], v[3:4], -v[12:13]
	v_fma_f64 v[12:13], v[10:11], v[5:6], -v[14:15]
	v_fma_f64 v[3:4], v[10:11], v[3:4], v[12:13]
	v_add_f64 v[12:13], v[14:15], v[3:4]
	v_add_f64 v[16:17], -v[12:13], 1.0
	v_add_f64 v[14:15], v[12:13], -v[14:15]
	v_add_f64 v[18:19], -v[16:17], 1.0
	v_add_f64 v[3:4], v[14:15], -v[3:4]
	v_add_f64 v[12:13], v[18:19], -v[12:13]
	v_add_f64 v[3:4], v[3:4], v[12:13]
	v_add_f64 v[3:4], v[16:17], v[3:4]
	v_mul_f64 v[3:4], v[10:11], v[3:4]
	v_add_f64 v[3:4], v[10:11], v[3:4]
	v_and_b32_e32 v10, 0x80000000, v2
	v_mov_b32_e32 v2, 0x7ff80000
	v_xor_b32_e32 v1, 0x80000000, v4
	v_cndmask_b32_e32 v3, v3, v5, vcc
	v_cndmask_b32_e32 v4, v1, v6, vcc
	v_cndmask_b32_e64 v1, 0, v3, s[0:1]
	v_xor_b32_e32 v3, v4, v10
	v_cndmask_b32_e64 v2, v2, v3, s[0:1]
	v_div_scale_f64 v[3:4], s[0:1], v[1:2], v[1:2], s[10:11]
	v_div_scale_f64 v[11:12], vcc, s[10:11], v[1:2], s[10:11]
	v_rcp_f64_e32 v[5:6], v[3:4]
	v_fma_f64 v[9:10], -v[3:4], v[5:6], 1.0
	v_fma_f64 v[5:6], v[5:6], v[9:10], v[5:6]
	v_fma_f64 v[9:10], -v[3:4], v[5:6], 1.0
	v_fma_f64 v[5:6], v[5:6], v[9:10], v[5:6]
	v_mul_f64 v[9:10], v[11:12], v[5:6]
	v_fma_f64 v[3:4], -v[3:4], v[9:10], v[11:12]
	v_div_fmas_f64 v[3:4], v[3:4], v[5:6], v[9:10]
	v_div_fixup_f64 v[1:2], v[3:4], v[1:2], s[10:11]
	v_cvt_f32_f64_e32 v1, v[1:2]
.LBB37_378:
	s_or_b64 exec, exec, s[6:7]
	s_orn2_b64 s[6:7], s[8:9], exec
.LBB37_379:
	s_or_b64 exec, exec, s[4:5]
	v_mov_b32_e32 v2, 0x7fc0
	s_and_saveexec_b64 s[0:1], s[6:7]
	s_cbranch_execz .LBB37_391
; %bb.380:
	s_mov_b32 s8, 0x41200000
	v_cmp_gt_f32_e32 vcc, s8, v8
	s_and_saveexec_b64 s[4:5], vcc
	s_cbranch_execz .LBB37_384
; %bb.381:
	s_mov_b64 s[6:7], 0
.LBB37_382:                             ; =>This Inner Loop Header: Depth=1
	v_div_scale_f32 v2, s[10:11], v8, v8, 1.0
	v_div_scale_f32 v3, vcc, 1.0, v8, 1.0
	v_rcp_f32_e32 v4, v2
	v_fma_f32 v5, -v2, v4, 1.0
	v_fmac_f32_e32 v4, v5, v4
	v_mul_f32_e32 v5, v3, v4
	v_fma_f32 v6, -v2, v5, v3
	v_fmac_f32_e32 v5, v6, v4
	v_fma_f32 v2, -v2, v5, v3
	v_div_fmas_f32 v2, v2, v4, v5
	v_div_fixup_f32 v2, v2, v8, 1.0
	v_add_f32_e32 v8, 1.0, v8
	v_cmp_ngt_f32_e32 vcc, s8, v8
	s_or_b64 s[6:7], vcc, s[6:7]
	v_sub_f32_e32 v1, v1, v2
	s_andn2_b64 exec, exec, s[6:7]
	s_cbranch_execnz .LBB37_382
; %bb.383:
	s_or_b64 exec, exec, s[6:7]
.LBB37_384:
	s_or_b64 exec, exec, s[4:5]
	s_mov_b32 s4, 0x41200000
	v_cmp_neq_f32_e32 vcc, s4, v8
                                        ; implicit-def: $vgpr2
	s_and_saveexec_b64 s[4:5], vcc
	s_xor_b64 s[4:5], exec, s[4:5]
	s_cbranch_execz .LBB37_388
; %bb.385:
	v_cvt_f64_f32_e32 v[2:3], v8
	s_mov_b32 s6, 0x85d8a000
	s_mov_b32 s7, 0x43763457
	v_cmp_gt_f64_e32 vcc, s[6:7], v[2:3]
	v_mov_b32_e32 v2, 0
	s_and_saveexec_b64 s[6:7], vcc
	s_cbranch_execz .LBB37_387
; %bb.386:
	v_mul_f32_e32 v2, v8, v8
	v_div_scale_f32 v3, s[8:9], v2, v2, 1.0
	v_div_scale_f32 v4, vcc, 1.0, v2, 1.0
	v_mov_b32_e32 v10, 0x3b820821
	v_rcp_f32_e32 v5, v3
	v_fma_f32 v6, -v3, v5, 1.0
	v_fmac_f32_e32 v5, v6, v5
	v_mul_f32_e32 v6, v4, v5
	v_fma_f32 v9, -v3, v6, v4
	v_fmac_f32_e32 v6, v9, v5
	v_fma_f32 v3, -v3, v6, v4
	v_div_fmas_f32 v3, v3, v5, v6
	v_mov_b32_e32 v4, 0x3daaaaab
	v_mov_b32_e32 v5, 0xbcaccacd
	;; [unrolled: 1-line block ×4, first 2 shown]
	v_div_fixup_f32 v2, v3, v2, 1.0
	v_fma_f32 v3, 0, v2, v4
	v_fmac_f32_e32 v5, v2, v3
	v_fmac_f32_e32 v6, v2, v5
	v_fmac_f32_e32 v9, v2, v6
	v_fmac_f32_e32 v10, v2, v9
	v_mov_b32_e32 v3, 0xbc088889
	v_fmac_f32_e32 v3, v2, v10
	v_fmac_f32_e32 v4, v2, v3
	v_mul_f32_e32 v2, v2, v4
.LBB37_387:
	s_or_b64 exec, exec, s[6:7]
	v_div_scale_f32 v3, s[6:7], v8, v8, -0.5
	v_div_scale_f32 v4, vcc, -0.5, v8, -0.5
	s_mov_b32 s6, 0x800000
	s_mov_b32 s7, 0x3f317217
	;; [unrolled: 1-line block ×3, first 2 shown]
	v_rcp_f32_e32 v5, v3
	v_fma_f32 v6, -v3, v5, 1.0
	v_fmac_f32_e32 v5, v6, v5
	v_mul_f32_e32 v6, v4, v5
	v_fma_f32 v9, -v3, v6, v4
	v_fmac_f32_e32 v6, v9, v5
	v_fma_f32 v3, -v3, v6, v4
	v_div_fmas_f32 v3, v3, v5, v6
	v_cmp_gt_f32_e32 vcc, s6, v8
	v_cndmask_b32_e64 v5, 0, 32, vcc
	v_ldexp_f32 v5, v8, v5
	v_log_f32_e32 v5, v5
	v_mov_b32_e32 v4, 0x41b17218
	v_cndmask_b32_e32 v4, 0, v4, vcc
	s_movk_i32 s6, 0x7fff
	v_mul_f32_e32 v9, 0x3f317217, v5
	v_fma_f32 v9, v5, s7, -v9
	v_fmac_f32_e32 v9, 0x3377d1cf, v5
	v_fmac_f32_e32 v9, 0x3f317217, v5
	v_cmp_lt_f32_e64 vcc, |v5|, s8
	v_cndmask_b32_e32 v5, v5, v9, vcc
	v_sub_f32_e32 v4, v5, v4
	v_mov_b32_e32 v6, 0x7fc0
	v_div_fixup_f32 v3, v3, v8, -0.5
	v_add_f32_e32 v3, v4, v3
	v_sub_f32_e32 v2, v3, v2
	v_add_f32_e32 v1, v1, v2
	v_bfe_u32 v2, v1, 16, 1
	v_cmp_o_f32_e32 vcc, v1, v1
	v_add3_u32 v1, v1, v2, s6
	v_cndmask_b32_sdwa v2, v6, v1, vcc dst_sel:DWORD dst_unused:UNUSED_PAD src0_sel:DWORD src1_sel:WORD_1
                                        ; implicit-def: $vgpr1
.LBB37_388:
	s_andn2_saveexec_b64 s[4:5], s[4:5]
; %bb.389:
	v_add_f32_e32 v1, 0x40101cb7, v1
	v_bfe_u32 v2, v1, 16, 1
	s_movk_i32 s6, 0x7fff
	v_add3_u32 v2, v1, v2, s6
	v_cmp_o_f32_e32 vcc, v1, v1
	v_mov_b32_e32 v1, 0x7fc0
	v_cndmask_b32_sdwa v2, v1, v2, vcc dst_sel:DWORD dst_unused:UNUSED_PAD src0_sel:DWORD src1_sel:WORD_1
; %bb.390:
	s_or_b64 exec, exec, s[4:5]
.LBB37_391:
	s_or_b64 exec, exec, s[0:1]
                                        ; implicit-def: $vgpr8
.LBB37_392:
	s_andn2_saveexec_b64 s[0:1], s[2:3]
; %bb.393:
	v_xor_b32_e32 v1, 0x80000000, v8
	v_and_b32_e32 v1, 0x80000000, v1
	v_or_b32_e32 v1, 0x7f800000, v1
	v_lshrrev_b32_e32 v2, 16, v1
; %bb.394:
	s_or_b64 exec, exec, s[0:1]
	v_add_u32_e32 v7, 0x80, v7
	global_store_short v0, v2, s[16:17]
	s_or_b64 exec, exec, s[48:49]
	v_cmp_gt_i32_e32 vcc, s55, v7
	s_and_saveexec_b64 s[48:49], vcc
	s_cbranch_execnz .LBB37_356
.LBB37_395:
	s_or_b64 exec, exec, s[48:49]
	v_cmp_gt_i32_e32 vcc, s55, v7
	s_and_saveexec_b64 s[48:49], vcc
	s_cbranch_execz .LBB37_435
.LBB37_396:
	s_andn2_b64 vcc, exec, s[36:37]
	s_cbranch_vccnz .LBB37_401
; %bb.397:
	s_andn2_b64 vcc, exec, s[46:47]
	s_cbranch_vccnz .LBB37_402
; %bb.398:
	s_add_i32 s58, s56, 1
	s_cmp_eq_u32 s54, 2
	s_cbranch_scc1 .LBB37_443
; %bb.399:
	s_and_b32 s57, s58, 28
	v_mov_b32_e32 v2, 0
	s_mov_b32 s59, 0
	s_mov_b64 s[50:51], s[34:35]
	s_mov_b64 s[52:53], s[44:45]
	v_mov_b32_e32 v0, 0
	v_mov_b32_e32 v1, v7
.LBB37_400:                             ; =>This Inner Loop Header: Depth=1
	s_load_dwordx8 s[8:15], s[50:51], 0x4
	s_load_dwordx4 s[28:31], s[50:51], 0x24
	s_load_dwordx8 s[0:7], s[52:53], 0x0
	s_add_u32 s50, s50, 48
	s_addc_u32 s51, s51, 0
	s_waitcnt lgkmcnt(0)
	v_mul_hi_u32 v3, s9, v1
	s_add_i32 s59, s59, 4
	s_add_u32 s52, s52, 32
	s_addc_u32 s53, s53, 0
	v_add_u32_e32 v3, v1, v3
	v_lshrrev_b32_e32 v3, s10, v3
	v_mul_lo_u32 v4, v3, s8
	v_mul_hi_u32 v5, s12, v3
	s_cmp_eq_u32 s57, s59
	v_sub_u32_e32 v1, v1, v4
	v_add_u32_e32 v4, v3, v5
	v_mul_lo_u32 v5, v1, s0
	v_mul_lo_u32 v6, v1, s1
	v_lshrrev_b32_e32 v1, s13, v4
	v_mul_lo_u32 v4, v1, s11
	v_mul_hi_u32 v8, s15, v1
	v_sub_u32_e32 v3, v3, v4
	v_add_u32_e32 v4, v1, v8
	v_lshrrev_b32_e32 v4, s28, v4
	v_mul_hi_u32 v9, s30, v4
	v_mul_lo_u32 v10, v4, s14
	v_mul_lo_u32 v8, v3, s2
	;; [unrolled: 1-line block ×3, first 2 shown]
	v_sub_u32_e32 v10, v1, v10
	v_add_u32_e32 v1, v4, v9
	v_lshrrev_b32_e32 v1, s31, v1
	v_mul_lo_u32 v9, v1, s29
	v_mul_lo_u32 v11, v10, s4
	;; [unrolled: 1-line block ×3, first 2 shown]
	v_add3_u32 v0, v5, v0, v8
	v_sub_u32_e32 v4, v4, v9
	v_mul_lo_u32 v9, v4, s6
	v_mul_lo_u32 v4, v4, s7
	v_add3_u32 v2, v6, v2, v3
	v_add3_u32 v0, v11, v0, v9
	;; [unrolled: 1-line block ×3, first 2 shown]
	s_cbranch_scc0 .LBB37_400
	s_branch .LBB37_444
.LBB37_401:
                                        ; implicit-def: $vgpr0
                                        ; implicit-def: $vgpr2
	s_branch .LBB37_448
.LBB37_402:
	v_mov_b32_e32 v0, 0
	v_mov_b32_e32 v2, 0
	s_branch .LBB37_447
.LBB37_403:
	s_mov_b32 s57, 0
	v_mov_b32_e32 v0, 0
	v_mov_b32_e32 v2, 0
	;; [unrolled: 1-line block ×3, first 2 shown]
.LBB37_404:
	s_and_b32 s4, s58, 3
	s_cmp_eq_u32 s4, 0
	s_cbranch_scc1 .LBB37_407
; %bb.405:
	s_lshl_b32 s0, s57, 3
	s_add_u32 s0, s34, s0
	s_addc_u32 s1, s35, 0
	s_add_u32 s0, s0, 0xc4
	s_addc_u32 s1, s1, 0
	s_mul_i32 s2, s57, 12
	s_add_u32 s2, s34, s2
	s_addc_u32 s3, s35, 0
.LBB37_406:                             ; =>This Inner Loop Header: Depth=1
	s_load_dwordx2 s[6:7], s[2:3], 0x4
	s_load_dword s5, s[2:3], 0xc
	s_load_dwordx2 s[8:9], s[0:1], 0x0
	s_add_u32 s2, s2, 12
	s_addc_u32 s3, s3, 0
	s_waitcnt lgkmcnt(0)
	v_mul_hi_u32 v3, s7, v1
	s_add_u32 s0, s0, 8
	s_addc_u32 s1, s1, 0
	s_add_i32 s4, s4, -1
	v_add_u32_e32 v3, v1, v3
	v_lshrrev_b32_e32 v4, s5, v3
	v_mul_lo_u32 v3, v4, s6
	s_cmp_lg_u32 s4, 0
	v_sub_u32_e32 v3, v1, v3
	v_mad_u64_u32 v[0:1], s[6:7], v3, s8, v[0:1]
	v_mad_u64_u32 v[2:3], s[6:7], v3, s9, v[2:3]
	v_mov_b32_e32 v1, v4
	s_cbranch_scc1 .LBB37_406
.LBB37_407:
	s_cbranch_execnz .LBB37_410
.LBB37_408:
	s_waitcnt lgkmcnt(0)
	v_mul_hi_u32 v0, s25, v7
	s_andn2_b64 vcc, exec, s[42:43]
	v_add_u32_e32 v0, v7, v0
	v_lshrrev_b32_e32 v1, s26, v0
	v_mul_lo_u32 v0, v1, s24
	v_sub_u32_e32 v2, v7, v0
	v_mul_lo_u32 v0, v2, s20
	v_mul_lo_u32 v2, v2, s21
	s_cbranch_vccnz .LBB37_410
; %bb.409:
	v_mul_hi_u32 v3, s40, v1
	v_add_u32_e32 v3, v1, v3
	v_lshrrev_b32_e32 v3, s41, v3
	v_mul_lo_u32 v3, v3, s27
	v_sub_u32_e32 v3, v1, v3
	v_mad_u64_u32 v[0:1], s[0:1], v3, s22, v[0:1]
	v_mad_u64_u32 v[2:3], s[0:1], v3, s23, v[2:3]
.LBB37_410:
	s_waitcnt lgkmcnt(0)
	global_load_ushort v1, v2, s[18:19]
                                        ; implicit-def: $vgpr2
	s_waitcnt vmcnt(0)
	v_lshlrev_b32_e32 v8, 16, v1
	v_cmp_neq_f32_e32 vcc, 0, v8
	s_and_saveexec_b64 s[0:1], vcc
	s_xor_b64 s[2:3], exec, s[0:1]
	s_cbranch_execz .LBB37_432
; %bb.411:
	v_mov_b32_e32 v1, 0
	v_cmp_gt_f32_e32 vcc, 0, v8
	s_mov_b64 s[6:7], -1
	s_and_saveexec_b64 s[4:5], vcc
	s_cbranch_execz .LBB37_419
; %bb.412:
	v_trunc_f32_e32 v1, v8
	v_cmp_neq_f32_e32 vcc, v1, v8
	s_mov_b64 s[8:9], 0
	v_mov_b32_e32 v1, 0
	s_and_saveexec_b64 s[6:7], vcc
	s_cbranch_execz .LBB37_418
; %bb.413:
	v_cvt_f64_f32_e32 v[1:2], v8
	s_mov_b32 s0, 0
	s_mov_b32 s9, 0xc00921fb
	;; [unrolled: 1-line block ×3, first 2 shown]
	v_trunc_f64_e32 v[3:4], v[1:2]
	s_mov_b32 s1, 0x7ff00000
	v_cmp_neq_f64_e64 vcc, |v[1:2]|, s[0:1]
	v_bfrev_b32_e32 v5, 1
	s_mov_b32 s10, 0
	s_mov_b32 s11, 0x41d00000
                                        ; implicit-def: $vgpr9
	v_add_f64 v[3:4], v[1:2], -v[3:4]
	v_mul_f64 v[3:4], |v[3:4]|, s[8:9]
	v_cndmask_b32_e32 v2, v5, v4, vcc
	v_cndmask_b32_e32 v1, 0, v3, vcc
	v_cmp_nlt_f64_e64 s[10:11], |v[1:2]|, s[10:11]
                                        ; implicit-def: $vgpr3_vgpr4
                                        ; implicit-def: $vgpr5_vgpr6
	s_and_saveexec_b64 s[12:13], s[10:11]
	s_xor_b64 s[10:11], exec, s[12:13]
	s_cbranch_execz .LBB37_415
; %bb.414:
	v_trig_preop_f64 v[3:4], |v[1:2]|, 0
	s_mov_b32 s12, 0
	s_mov_b32 s13, 0x7b000000
	s_movk_i32 s9, 0xff80
	v_ldexp_f64 v[9:10], |v[1:2]|, s9
	v_cmp_ge_f64_e64 vcc, |v[1:2]|, s[12:13]
	v_trig_preop_f64 v[5:6], |v[1:2]|, 1
	v_and_b32_e32 v11, 0x7fffffff, v2
	v_trig_preop_f64 v[17:18], |v[1:2]|, 2
	v_mov_b32_e32 v28, 0x40100000
	v_mov_b32_e32 v27, 0
	s_mov_b32 s9, 0x3ff921fb
	v_cndmask_b32_e32 v10, v11, v10, vcc
	v_cndmask_b32_e32 v9, v1, v9, vcc
	v_mul_f64 v[11:12], v[3:4], v[9:10]
	v_mul_f64 v[13:14], v[5:6], v[9:10]
	;; [unrolled: 1-line block ×3, first 2 shown]
	v_fma_f64 v[3:4], v[3:4], v[9:10], -v[11:12]
	v_fma_f64 v[5:6], v[5:6], v[9:10], -v[13:14]
	;; [unrolled: 1-line block ×3, first 2 shown]
	v_add_f64 v[15:16], v[13:14], v[3:4]
	v_add_f64 v[19:20], v[15:16], -v[13:14]
	v_add_f64 v[25:26], v[11:12], v[15:16]
	v_add_f64 v[21:22], v[15:16], -v[19:20]
	v_add_f64 v[3:4], v[3:4], -v[19:20]
	v_add_f64 v[19:20], v[23:24], v[5:6]
	v_add_f64 v[11:12], v[25:26], -v[11:12]
	v_add_f64 v[13:14], v[13:14], -v[21:22]
	v_ldexp_f64 v[21:22], v[25:26], -2
	v_add_f64 v[29:30], v[19:20], -v[23:24]
	v_add_f64 v[11:12], v[15:16], -v[11:12]
	v_add_f64 v[3:4], v[3:4], v[13:14]
	v_fract_f64_e32 v[13:14], v[21:22]
	v_cmp_neq_f64_e64 vcc, |v[21:22]|, s[0:1]
	v_add_f64 v[5:6], v[5:6], -v[29:30]
	v_add_f64 v[15:16], v[19:20], v[3:4]
	v_ldexp_f64 v[13:14], v[13:14], 2
	v_add_f64 v[21:22], v[11:12], v[15:16]
	v_cndmask_b32_e32 v14, 0, v14, vcc
	v_cndmask_b32_e32 v13, 0, v13, vcc
	v_add_f64 v[31:32], v[15:16], -v[19:20]
	v_add_f64 v[25:26], v[21:22], v[13:14]
	v_add_f64 v[11:12], v[21:22], -v[11:12]
	v_add_f64 v[33:34], v[15:16], -v[31:32]
	;; [unrolled: 1-line block ×3, first 2 shown]
	v_cmp_gt_f64_e32 vcc, 0, v[25:26]
	v_add_f64 v[25:26], v[19:20], -v[29:30]
	v_add_f64 v[11:12], v[15:16], -v[11:12]
	;; [unrolled: 1-line block ×3, first 2 shown]
	v_cndmask_b32_e32 v28, 0, v28, vcc
	v_add_f64 v[13:14], v[13:14], v[27:28]
	v_add_f64 v[25:26], v[23:24], -v[25:26]
	v_add_f64 v[3:4], v[3:4], v[19:20]
	v_add_f64 v[35:36], v[21:22], v[13:14]
	;; [unrolled: 1-line block ×3, first 2 shown]
	v_cvt_i32_f64_e32 v30, v[35:36]
	v_add_f64 v[3:4], v[5:6], v[3:4]
	v_cvt_f64_i32_e32 v[28:29], v30
	v_add_f64 v[13:14], v[13:14], -v[28:29]
	v_add_f64 v[3:4], v[9:10], v[3:4]
	v_add_f64 v[5:6], v[21:22], v[13:14]
	;; [unrolled: 1-line block ×3, first 2 shown]
	v_mov_b32_e32 v12, 0x3ff00000
	v_add_f64 v[9:10], v[5:6], -v[13:14]
	v_cmp_le_f64_e32 vcc, 0.5, v[5:6]
	v_add_f64 v[10:11], v[21:22], -v[9:10]
	v_cndmask_b32_e32 v28, 0, v12, vcc
	v_add_f64 v[5:6], v[5:6], -v[27:28]
	v_addc_co_u32_e64 v9, s[0:1], 0, v30, vcc
	s_mov_b32 s0, 0x33145c07
	s_mov_b32 s1, 0x3c91a626
	v_add_f64 v[3:4], v[3:4], v[10:11]
	v_add_f64 v[10:11], v[5:6], v[3:4]
	v_mul_f64 v[12:13], v[10:11], s[8:9]
	v_add_f64 v[5:6], v[10:11], -v[5:6]
	v_fma_f64 v[14:15], v[10:11], s[8:9], -v[12:13]
	v_add_f64 v[3:4], v[3:4], -v[5:6]
	v_fma_f64 v[5:6], v[10:11], s[0:1], v[14:15]
	v_fma_f64 v[5:6], v[3:4], s[8:9], v[5:6]
	v_add_f64 v[3:4], v[12:13], v[5:6]
	v_add_f64 v[10:11], v[3:4], -v[12:13]
	v_add_f64 v[5:6], v[5:6], -v[10:11]
.LBB37_415:
	s_andn2_saveexec_b64 s[0:1], s[10:11]
	s_cbranch_execz .LBB37_417
; %bb.416:
	s_mov_b32 s8, 0x6dc9c883
	s_mov_b32 s9, 0x3fe45f30
	v_mul_f64 v[3:4], |v[1:2]|, s[8:9]
	s_mov_b32 s8, 0x54442d18
	s_mov_b32 s9, 0xbff921fb
	;; [unrolled: 1-line block ×4, first 2 shown]
	v_rndne_f64_e32 v[9:10], v[3:4]
	v_fma_f64 v[3:4], v[9:10], s[8:9], |v[1:2]|
	v_mul_f64 v[5:6], v[9:10], s[10:11]
	s_mov_b32 s8, 0x252049c0
	s_mov_b32 s9, 0xb97b839a
	v_fma_f64 v[15:16], v[9:10], s[10:11], v[3:4]
	v_add_f64 v[11:12], v[3:4], v[5:6]
	s_mov_b32 s11, 0x3c91a626
	v_add_f64 v[13:14], v[3:4], -v[11:12]
	v_add_f64 v[11:12], v[11:12], -v[15:16]
	v_add_f64 v[3:4], v[13:14], v[5:6]
	v_fma_f64 v[5:6], v[9:10], s[10:11], v[5:6]
	v_add_f64 v[3:4], v[11:12], v[3:4]
	v_add_f64 v[3:4], v[3:4], -v[5:6]
	v_fma_f64 v[5:6], v[9:10], s[8:9], v[3:4]
	v_cvt_i32_f64_e32 v9, v[9:10]
	v_add_f64 v[3:4], v[15:16], v[5:6]
	v_add_f64 v[11:12], v[3:4], -v[15:16]
	v_add_f64 v[5:6], v[5:6], -v[11:12]
.LBB37_417:
	s_or_b64 exec, exec, s[0:1]
	v_mul_f64 v[10:11], v[3:4], v[3:4]
	v_add_f64 v[12:13], v[5:6], v[5:6]
	s_mov_b32 s0, 0xc751c08c
	s_mov_b32 s1, 0x3ef5e089
	v_and_b32_e32 v9, 1, v9
	v_cmp_eq_u32_e32 vcc, 0, v9
	s_mov_b32 s10, 0x54442d18
	s_mov_b32 s11, 0xc00921fb
	v_fma_f64 v[14:15], v[3:4], v[3:4], -v[10:11]
	s_mov_b64 s[8:9], exec
	v_sub_f32_e32 v8, 1.0, v8
	v_fma_f64 v[12:13], v[3:4], v[12:13], v[14:15]
	v_add_f64 v[10:11], v[10:11], v[12:13]
	v_mov_b32_e32 v12, 0xa9a29f71
	v_mov_b32_e32 v13, 0xbf078809
	v_fma_f64 v[12:13], v[10:11], s[0:1], v[12:13]
	s_mov_b32 s0, 0x90a8aae0
	s_mov_b32 s1, 0x3f17746f
	v_fma_f64 v[12:13], v[10:11], v[12:13], s[0:1]
	s_mov_b32 s0, 0xa6fbf144
	s_mov_b32 s1, 0xbefbb44d
	;; [unrolled: 3-line block ×12, first 2 shown]
	v_fma_f64 v[12:13], v[10:11], v[12:13], s[0:1]
	s_movk_i32 s0, 0x1f8
	v_cmp_class_f64_e64 s[0:1], v[1:2], s0
	v_mul_f64 v[10:11], v[10:11], v[12:13]
	v_mul_f64 v[12:13], v[3:4], v[10:11]
	v_add_f64 v[14:15], v[3:4], v[12:13]
	v_fma_f64 v[10:11], v[3:4], v[10:11], -v[12:13]
	v_add_f64 v[3:4], v[14:15], -v[3:4]
	v_add_f64 v[5:6], v[5:6], v[10:11]
	v_add_f64 v[3:4], v[12:13], -v[3:4]
	v_add_f64 v[3:4], v[5:6], v[3:4]
	v_add_f64 v[5:6], v[14:15], v[3:4]
	v_rcp_f64_e32 v[10:11], v[5:6]
	v_fma_f64 v[12:13], -v[5:6], v[10:11], 1.0
	v_fma_f64 v[10:11], v[12:13], v[10:11], v[10:11]
	v_fma_f64 v[12:13], -v[5:6], v[10:11], 1.0
	v_fma_f64 v[10:11], v[12:13], v[10:11], v[10:11]
	v_add_f64 v[12:13], v[5:6], -v[14:15]
	v_mul_f64 v[14:15], v[5:6], v[10:11]
	v_add_f64 v[3:4], v[3:4], -v[12:13]
	v_fma_f64 v[12:13], v[10:11], v[5:6], -v[14:15]
	v_fma_f64 v[3:4], v[10:11], v[3:4], v[12:13]
	v_add_f64 v[12:13], v[14:15], v[3:4]
	v_add_f64 v[16:17], -v[12:13], 1.0
	v_add_f64 v[14:15], v[12:13], -v[14:15]
	v_add_f64 v[18:19], -v[16:17], 1.0
	v_add_f64 v[3:4], v[14:15], -v[3:4]
	v_add_f64 v[12:13], v[18:19], -v[12:13]
	v_add_f64 v[3:4], v[3:4], v[12:13]
	v_add_f64 v[3:4], v[16:17], v[3:4]
	v_mul_f64 v[3:4], v[10:11], v[3:4]
	v_add_f64 v[3:4], v[10:11], v[3:4]
	v_and_b32_e32 v10, 0x80000000, v2
	v_mov_b32_e32 v2, 0x7ff80000
	v_xor_b32_e32 v1, 0x80000000, v4
	v_cndmask_b32_e32 v3, v3, v5, vcc
	v_cndmask_b32_e32 v4, v1, v6, vcc
	v_cndmask_b32_e64 v1, 0, v3, s[0:1]
	v_xor_b32_e32 v3, v4, v10
	v_cndmask_b32_e64 v2, v2, v3, s[0:1]
	v_div_scale_f64 v[3:4], s[0:1], v[1:2], v[1:2], s[10:11]
	v_div_scale_f64 v[11:12], vcc, s[10:11], v[1:2], s[10:11]
	v_rcp_f64_e32 v[5:6], v[3:4]
	v_fma_f64 v[9:10], -v[3:4], v[5:6], 1.0
	v_fma_f64 v[5:6], v[5:6], v[9:10], v[5:6]
	v_fma_f64 v[9:10], -v[3:4], v[5:6], 1.0
	v_fma_f64 v[5:6], v[5:6], v[9:10], v[5:6]
	v_mul_f64 v[9:10], v[11:12], v[5:6]
	v_fma_f64 v[3:4], -v[3:4], v[9:10], v[11:12]
	v_div_fmas_f64 v[3:4], v[3:4], v[5:6], v[9:10]
	v_div_fixup_f64 v[1:2], v[3:4], v[1:2], s[10:11]
	v_cvt_f32_f64_e32 v1, v[1:2]
.LBB37_418:
	s_or_b64 exec, exec, s[6:7]
	s_orn2_b64 s[6:7], s[8:9], exec
.LBB37_419:
	s_or_b64 exec, exec, s[4:5]
	v_mov_b32_e32 v2, 0x7fc0
	s_and_saveexec_b64 s[0:1], s[6:7]
	s_cbranch_execz .LBB37_431
; %bb.420:
	s_mov_b32 s8, 0x41200000
	v_cmp_gt_f32_e32 vcc, s8, v8
	s_and_saveexec_b64 s[4:5], vcc
	s_cbranch_execz .LBB37_424
; %bb.421:
	s_mov_b64 s[6:7], 0
.LBB37_422:                             ; =>This Inner Loop Header: Depth=1
	v_div_scale_f32 v2, s[10:11], v8, v8, 1.0
	v_div_scale_f32 v3, vcc, 1.0, v8, 1.0
	v_rcp_f32_e32 v4, v2
	v_fma_f32 v5, -v2, v4, 1.0
	v_fmac_f32_e32 v4, v5, v4
	v_mul_f32_e32 v5, v3, v4
	v_fma_f32 v6, -v2, v5, v3
	v_fmac_f32_e32 v5, v6, v4
	v_fma_f32 v2, -v2, v5, v3
	v_div_fmas_f32 v2, v2, v4, v5
	v_div_fixup_f32 v2, v2, v8, 1.0
	v_add_f32_e32 v8, 1.0, v8
	v_cmp_ngt_f32_e32 vcc, s8, v8
	s_or_b64 s[6:7], vcc, s[6:7]
	v_sub_f32_e32 v1, v1, v2
	s_andn2_b64 exec, exec, s[6:7]
	s_cbranch_execnz .LBB37_422
; %bb.423:
	s_or_b64 exec, exec, s[6:7]
.LBB37_424:
	s_or_b64 exec, exec, s[4:5]
	s_mov_b32 s4, 0x41200000
	v_cmp_neq_f32_e32 vcc, s4, v8
                                        ; implicit-def: $vgpr2
	s_and_saveexec_b64 s[4:5], vcc
	s_xor_b64 s[4:5], exec, s[4:5]
	s_cbranch_execz .LBB37_428
; %bb.425:
	v_cvt_f64_f32_e32 v[2:3], v8
	s_mov_b32 s6, 0x85d8a000
	s_mov_b32 s7, 0x43763457
	v_cmp_gt_f64_e32 vcc, s[6:7], v[2:3]
	v_mov_b32_e32 v2, 0
	s_and_saveexec_b64 s[6:7], vcc
	s_cbranch_execz .LBB37_427
; %bb.426:
	v_mul_f32_e32 v2, v8, v8
	v_div_scale_f32 v3, s[8:9], v2, v2, 1.0
	v_div_scale_f32 v4, vcc, 1.0, v2, 1.0
	v_mov_b32_e32 v10, 0x3b820821
	v_rcp_f32_e32 v5, v3
	v_fma_f32 v6, -v3, v5, 1.0
	v_fmac_f32_e32 v5, v6, v5
	v_mul_f32_e32 v6, v4, v5
	v_fma_f32 v9, -v3, v6, v4
	v_fmac_f32_e32 v6, v9, v5
	v_fma_f32 v3, -v3, v6, v4
	v_div_fmas_f32 v3, v3, v5, v6
	v_mov_b32_e32 v4, 0x3daaaaab
	v_mov_b32_e32 v5, 0xbcaccacd
	v_mov_b32_e32 v6, 0x3bf83e10
	v_mov_b32_e32 v9, 0xbb888889
	v_div_fixup_f32 v2, v3, v2, 1.0
	v_fma_f32 v3, 0, v2, v4
	v_fmac_f32_e32 v5, v2, v3
	v_fmac_f32_e32 v6, v2, v5
	;; [unrolled: 1-line block ×4, first 2 shown]
	v_mov_b32_e32 v3, 0xbc088889
	v_fmac_f32_e32 v3, v2, v10
	v_fmac_f32_e32 v4, v2, v3
	v_mul_f32_e32 v2, v2, v4
.LBB37_427:
	s_or_b64 exec, exec, s[6:7]
	v_div_scale_f32 v3, s[6:7], v8, v8, -0.5
	v_div_scale_f32 v4, vcc, -0.5, v8, -0.5
	s_mov_b32 s6, 0x800000
	s_mov_b32 s7, 0x3f317217
	;; [unrolled: 1-line block ×3, first 2 shown]
	v_rcp_f32_e32 v5, v3
	v_fma_f32 v6, -v3, v5, 1.0
	v_fmac_f32_e32 v5, v6, v5
	v_mul_f32_e32 v6, v4, v5
	v_fma_f32 v9, -v3, v6, v4
	v_fmac_f32_e32 v6, v9, v5
	v_fma_f32 v3, -v3, v6, v4
	v_div_fmas_f32 v3, v3, v5, v6
	v_cmp_gt_f32_e32 vcc, s6, v8
	v_cndmask_b32_e64 v5, 0, 32, vcc
	v_ldexp_f32 v5, v8, v5
	v_log_f32_e32 v5, v5
	v_mov_b32_e32 v4, 0x41b17218
	v_cndmask_b32_e32 v4, 0, v4, vcc
	s_movk_i32 s6, 0x7fff
	v_mul_f32_e32 v9, 0x3f317217, v5
	v_fma_f32 v9, v5, s7, -v9
	v_fmac_f32_e32 v9, 0x3377d1cf, v5
	v_fmac_f32_e32 v9, 0x3f317217, v5
	v_cmp_lt_f32_e64 vcc, |v5|, s8
	v_cndmask_b32_e32 v5, v5, v9, vcc
	v_sub_f32_e32 v4, v5, v4
	v_mov_b32_e32 v6, 0x7fc0
	v_div_fixup_f32 v3, v3, v8, -0.5
	v_add_f32_e32 v3, v4, v3
	v_sub_f32_e32 v2, v3, v2
	v_add_f32_e32 v1, v1, v2
	v_bfe_u32 v2, v1, 16, 1
	v_cmp_o_f32_e32 vcc, v1, v1
	v_add3_u32 v1, v1, v2, s6
	v_cndmask_b32_sdwa v2, v6, v1, vcc dst_sel:DWORD dst_unused:UNUSED_PAD src0_sel:DWORD src1_sel:WORD_1
                                        ; implicit-def: $vgpr1
.LBB37_428:
	s_andn2_saveexec_b64 s[4:5], s[4:5]
; %bb.429:
	v_add_f32_e32 v1, 0x40101cb7, v1
	v_bfe_u32 v2, v1, 16, 1
	s_movk_i32 s6, 0x7fff
	v_add3_u32 v2, v1, v2, s6
	v_cmp_o_f32_e32 vcc, v1, v1
	v_mov_b32_e32 v1, 0x7fc0
	v_cndmask_b32_sdwa v2, v1, v2, vcc dst_sel:DWORD dst_unused:UNUSED_PAD src0_sel:DWORD src1_sel:WORD_1
; %bb.430:
	s_or_b64 exec, exec, s[4:5]
.LBB37_431:
	s_or_b64 exec, exec, s[0:1]
                                        ; implicit-def: $vgpr8
.LBB37_432:
	s_andn2_saveexec_b64 s[0:1], s[2:3]
; %bb.433:
	v_xor_b32_e32 v1, 0x80000000, v8
	v_and_b32_e32 v1, 0x80000000, v1
	v_or_b32_e32 v1, 0x7f800000, v1
	v_lshrrev_b32_e32 v2, 16, v1
; %bb.434:
	s_or_b64 exec, exec, s[0:1]
	v_add_u32_e32 v7, 0x80, v7
	global_store_short v0, v2, s[16:17]
	s_or_b64 exec, exec, s[48:49]
	v_cmp_gt_i32_e32 vcc, s55, v7
	s_and_saveexec_b64 s[48:49], vcc
	s_cbranch_execnz .LBB37_396
.LBB37_435:
	s_or_b64 exec, exec, s[48:49]
	v_cmp_gt_i32_e32 vcc, s55, v7
	s_and_saveexec_b64 s[48:49], vcc
	s_cbranch_execz .LBB37_475
.LBB37_436:
	s_andn2_b64 vcc, exec, s[36:37]
	s_cbranch_vccnz .LBB37_441
; %bb.437:
	s_andn2_b64 vcc, exec, s[46:47]
	s_cbranch_vccnz .LBB37_442
; %bb.438:
	s_add_i32 s58, s56, 1
	s_cmp_eq_u32 s54, 2
	s_cbranch_scc1 .LBB37_483
; %bb.439:
	s_and_b32 s57, s58, 28
	v_mov_b32_e32 v2, 0
	s_mov_b32 s59, 0
	s_mov_b64 s[50:51], s[34:35]
	s_mov_b64 s[52:53], s[44:45]
	v_mov_b32_e32 v0, 0
	v_mov_b32_e32 v1, v7
.LBB37_440:                             ; =>This Inner Loop Header: Depth=1
	s_load_dwordx8 s[8:15], s[50:51], 0x4
	s_load_dwordx4 s[28:31], s[50:51], 0x24
	s_load_dwordx8 s[0:7], s[52:53], 0x0
	s_add_u32 s50, s50, 48
	s_addc_u32 s51, s51, 0
	s_waitcnt lgkmcnt(0)
	v_mul_hi_u32 v3, s9, v1
	s_add_i32 s59, s59, 4
	s_add_u32 s52, s52, 32
	s_addc_u32 s53, s53, 0
	v_add_u32_e32 v3, v1, v3
	v_lshrrev_b32_e32 v3, s10, v3
	v_mul_lo_u32 v4, v3, s8
	v_mul_hi_u32 v5, s12, v3
	s_cmp_eq_u32 s57, s59
	v_sub_u32_e32 v1, v1, v4
	v_add_u32_e32 v4, v3, v5
	v_mul_lo_u32 v5, v1, s0
	v_mul_lo_u32 v6, v1, s1
	v_lshrrev_b32_e32 v1, s13, v4
	v_mul_lo_u32 v4, v1, s11
	v_mul_hi_u32 v8, s15, v1
	v_sub_u32_e32 v3, v3, v4
	v_add_u32_e32 v4, v1, v8
	v_lshrrev_b32_e32 v4, s28, v4
	v_mul_hi_u32 v9, s30, v4
	v_mul_lo_u32 v10, v4, s14
	v_mul_lo_u32 v8, v3, s2
	;; [unrolled: 1-line block ×3, first 2 shown]
	v_sub_u32_e32 v10, v1, v10
	v_add_u32_e32 v1, v4, v9
	v_lshrrev_b32_e32 v1, s31, v1
	v_mul_lo_u32 v9, v1, s29
	v_mul_lo_u32 v11, v10, s4
	;; [unrolled: 1-line block ×3, first 2 shown]
	v_add3_u32 v0, v5, v0, v8
	v_sub_u32_e32 v4, v4, v9
	v_mul_lo_u32 v9, v4, s6
	v_mul_lo_u32 v4, v4, s7
	v_add3_u32 v2, v6, v2, v3
	v_add3_u32 v0, v11, v0, v9
	;; [unrolled: 1-line block ×3, first 2 shown]
	s_cbranch_scc0 .LBB37_440
	s_branch .LBB37_484
.LBB37_441:
                                        ; implicit-def: $vgpr0
                                        ; implicit-def: $vgpr2
	s_branch .LBB37_488
.LBB37_442:
	v_mov_b32_e32 v0, 0
	v_mov_b32_e32 v2, 0
	s_branch .LBB37_487
.LBB37_443:
	s_mov_b32 s57, 0
	v_mov_b32_e32 v0, 0
	v_mov_b32_e32 v2, 0
	;; [unrolled: 1-line block ×3, first 2 shown]
.LBB37_444:
	s_and_b32 s4, s58, 3
	s_cmp_eq_u32 s4, 0
	s_cbranch_scc1 .LBB37_447
; %bb.445:
	s_lshl_b32 s0, s57, 3
	s_add_u32 s0, s34, s0
	s_addc_u32 s1, s35, 0
	s_add_u32 s0, s0, 0xc4
	s_addc_u32 s1, s1, 0
	s_mul_i32 s2, s57, 12
	s_add_u32 s2, s34, s2
	s_addc_u32 s3, s35, 0
.LBB37_446:                             ; =>This Inner Loop Header: Depth=1
	s_load_dwordx2 s[6:7], s[2:3], 0x4
	s_load_dword s5, s[2:3], 0xc
	s_load_dwordx2 s[8:9], s[0:1], 0x0
	s_add_u32 s2, s2, 12
	s_addc_u32 s3, s3, 0
	s_waitcnt lgkmcnt(0)
	v_mul_hi_u32 v3, s7, v1
	s_add_u32 s0, s0, 8
	s_addc_u32 s1, s1, 0
	s_add_i32 s4, s4, -1
	v_add_u32_e32 v3, v1, v3
	v_lshrrev_b32_e32 v4, s5, v3
	v_mul_lo_u32 v3, v4, s6
	s_cmp_lg_u32 s4, 0
	v_sub_u32_e32 v3, v1, v3
	v_mad_u64_u32 v[0:1], s[6:7], v3, s8, v[0:1]
	v_mad_u64_u32 v[2:3], s[6:7], v3, s9, v[2:3]
	v_mov_b32_e32 v1, v4
	s_cbranch_scc1 .LBB37_446
.LBB37_447:
	s_cbranch_execnz .LBB37_450
.LBB37_448:
	s_waitcnt lgkmcnt(0)
	v_mul_hi_u32 v0, s25, v7
	s_andn2_b64 vcc, exec, s[42:43]
	v_add_u32_e32 v0, v7, v0
	v_lshrrev_b32_e32 v1, s26, v0
	v_mul_lo_u32 v0, v1, s24
	v_sub_u32_e32 v2, v7, v0
	v_mul_lo_u32 v0, v2, s20
	v_mul_lo_u32 v2, v2, s21
	s_cbranch_vccnz .LBB37_450
; %bb.449:
	v_mul_hi_u32 v3, s40, v1
	v_add_u32_e32 v3, v1, v3
	v_lshrrev_b32_e32 v3, s41, v3
	v_mul_lo_u32 v3, v3, s27
	v_sub_u32_e32 v3, v1, v3
	v_mad_u64_u32 v[0:1], s[0:1], v3, s22, v[0:1]
	v_mad_u64_u32 v[2:3], s[0:1], v3, s23, v[2:3]
.LBB37_450:
	s_waitcnt lgkmcnt(0)
	global_load_ushort v1, v2, s[18:19]
                                        ; implicit-def: $vgpr2
	s_waitcnt vmcnt(0)
	v_lshlrev_b32_e32 v8, 16, v1
	v_cmp_neq_f32_e32 vcc, 0, v8
	s_and_saveexec_b64 s[0:1], vcc
	s_xor_b64 s[2:3], exec, s[0:1]
	s_cbranch_execz .LBB37_472
; %bb.451:
	v_mov_b32_e32 v1, 0
	v_cmp_gt_f32_e32 vcc, 0, v8
	s_mov_b64 s[6:7], -1
	s_and_saveexec_b64 s[4:5], vcc
	s_cbranch_execz .LBB37_459
; %bb.452:
	v_trunc_f32_e32 v1, v8
	v_cmp_neq_f32_e32 vcc, v1, v8
	s_mov_b64 s[8:9], 0
	v_mov_b32_e32 v1, 0
	s_and_saveexec_b64 s[6:7], vcc
	s_cbranch_execz .LBB37_458
; %bb.453:
	v_cvt_f64_f32_e32 v[1:2], v8
	s_mov_b32 s0, 0
	s_mov_b32 s9, 0xc00921fb
	;; [unrolled: 1-line block ×3, first 2 shown]
	v_trunc_f64_e32 v[3:4], v[1:2]
	s_mov_b32 s1, 0x7ff00000
	v_cmp_neq_f64_e64 vcc, |v[1:2]|, s[0:1]
	v_bfrev_b32_e32 v5, 1
	s_mov_b32 s10, 0
	s_mov_b32 s11, 0x41d00000
                                        ; implicit-def: $vgpr9
	v_add_f64 v[3:4], v[1:2], -v[3:4]
	v_mul_f64 v[3:4], |v[3:4]|, s[8:9]
	v_cndmask_b32_e32 v2, v5, v4, vcc
	v_cndmask_b32_e32 v1, 0, v3, vcc
	v_cmp_nlt_f64_e64 s[10:11], |v[1:2]|, s[10:11]
                                        ; implicit-def: $vgpr3_vgpr4
                                        ; implicit-def: $vgpr5_vgpr6
	s_and_saveexec_b64 s[12:13], s[10:11]
	s_xor_b64 s[10:11], exec, s[12:13]
	s_cbranch_execz .LBB37_455
; %bb.454:
	v_trig_preop_f64 v[3:4], |v[1:2]|, 0
	s_mov_b32 s12, 0
	s_mov_b32 s13, 0x7b000000
	s_movk_i32 s9, 0xff80
	v_ldexp_f64 v[9:10], |v[1:2]|, s9
	v_cmp_ge_f64_e64 vcc, |v[1:2]|, s[12:13]
	v_trig_preop_f64 v[5:6], |v[1:2]|, 1
	v_and_b32_e32 v11, 0x7fffffff, v2
	v_trig_preop_f64 v[17:18], |v[1:2]|, 2
	v_mov_b32_e32 v28, 0x40100000
	v_mov_b32_e32 v27, 0
	s_mov_b32 s9, 0x3ff921fb
	v_cndmask_b32_e32 v10, v11, v10, vcc
	v_cndmask_b32_e32 v9, v1, v9, vcc
	v_mul_f64 v[11:12], v[3:4], v[9:10]
	v_mul_f64 v[13:14], v[5:6], v[9:10]
	;; [unrolled: 1-line block ×3, first 2 shown]
	v_fma_f64 v[3:4], v[3:4], v[9:10], -v[11:12]
	v_fma_f64 v[5:6], v[5:6], v[9:10], -v[13:14]
	;; [unrolled: 1-line block ×3, first 2 shown]
	v_add_f64 v[15:16], v[13:14], v[3:4]
	v_add_f64 v[19:20], v[15:16], -v[13:14]
	v_add_f64 v[25:26], v[11:12], v[15:16]
	v_add_f64 v[21:22], v[15:16], -v[19:20]
	v_add_f64 v[3:4], v[3:4], -v[19:20]
	v_add_f64 v[19:20], v[23:24], v[5:6]
	v_add_f64 v[11:12], v[25:26], -v[11:12]
	v_add_f64 v[13:14], v[13:14], -v[21:22]
	v_ldexp_f64 v[21:22], v[25:26], -2
	v_add_f64 v[29:30], v[19:20], -v[23:24]
	v_add_f64 v[11:12], v[15:16], -v[11:12]
	v_add_f64 v[3:4], v[3:4], v[13:14]
	v_fract_f64_e32 v[13:14], v[21:22]
	v_cmp_neq_f64_e64 vcc, |v[21:22]|, s[0:1]
	v_add_f64 v[5:6], v[5:6], -v[29:30]
	v_add_f64 v[15:16], v[19:20], v[3:4]
	v_ldexp_f64 v[13:14], v[13:14], 2
	v_add_f64 v[21:22], v[11:12], v[15:16]
	v_cndmask_b32_e32 v14, 0, v14, vcc
	v_cndmask_b32_e32 v13, 0, v13, vcc
	v_add_f64 v[31:32], v[15:16], -v[19:20]
	v_add_f64 v[25:26], v[21:22], v[13:14]
	v_add_f64 v[11:12], v[21:22], -v[11:12]
	v_add_f64 v[33:34], v[15:16], -v[31:32]
	;; [unrolled: 1-line block ×3, first 2 shown]
	v_cmp_gt_f64_e32 vcc, 0, v[25:26]
	v_add_f64 v[25:26], v[19:20], -v[29:30]
	v_add_f64 v[11:12], v[15:16], -v[11:12]
	;; [unrolled: 1-line block ×3, first 2 shown]
	v_cndmask_b32_e32 v28, 0, v28, vcc
	v_add_f64 v[13:14], v[13:14], v[27:28]
	v_add_f64 v[25:26], v[23:24], -v[25:26]
	v_add_f64 v[3:4], v[3:4], v[19:20]
	v_add_f64 v[35:36], v[21:22], v[13:14]
	;; [unrolled: 1-line block ×3, first 2 shown]
	v_cvt_i32_f64_e32 v30, v[35:36]
	v_add_f64 v[3:4], v[5:6], v[3:4]
	v_cvt_f64_i32_e32 v[28:29], v30
	v_add_f64 v[13:14], v[13:14], -v[28:29]
	v_add_f64 v[3:4], v[9:10], v[3:4]
	v_add_f64 v[5:6], v[21:22], v[13:14]
	;; [unrolled: 1-line block ×3, first 2 shown]
	v_mov_b32_e32 v12, 0x3ff00000
	v_add_f64 v[9:10], v[5:6], -v[13:14]
	v_cmp_le_f64_e32 vcc, 0.5, v[5:6]
	v_add_f64 v[10:11], v[21:22], -v[9:10]
	v_cndmask_b32_e32 v28, 0, v12, vcc
	v_add_f64 v[5:6], v[5:6], -v[27:28]
	v_addc_co_u32_e64 v9, s[0:1], 0, v30, vcc
	s_mov_b32 s0, 0x33145c07
	s_mov_b32 s1, 0x3c91a626
	v_add_f64 v[3:4], v[3:4], v[10:11]
	v_add_f64 v[10:11], v[5:6], v[3:4]
	v_mul_f64 v[12:13], v[10:11], s[8:9]
	v_add_f64 v[5:6], v[10:11], -v[5:6]
	v_fma_f64 v[14:15], v[10:11], s[8:9], -v[12:13]
	v_add_f64 v[3:4], v[3:4], -v[5:6]
	v_fma_f64 v[5:6], v[10:11], s[0:1], v[14:15]
	v_fma_f64 v[5:6], v[3:4], s[8:9], v[5:6]
	v_add_f64 v[3:4], v[12:13], v[5:6]
	v_add_f64 v[10:11], v[3:4], -v[12:13]
	v_add_f64 v[5:6], v[5:6], -v[10:11]
.LBB37_455:
	s_andn2_saveexec_b64 s[0:1], s[10:11]
	s_cbranch_execz .LBB37_457
; %bb.456:
	s_mov_b32 s8, 0x6dc9c883
	s_mov_b32 s9, 0x3fe45f30
	v_mul_f64 v[3:4], |v[1:2]|, s[8:9]
	s_mov_b32 s8, 0x54442d18
	s_mov_b32 s9, 0xbff921fb
	;; [unrolled: 1-line block ×4, first 2 shown]
	v_rndne_f64_e32 v[9:10], v[3:4]
	v_fma_f64 v[3:4], v[9:10], s[8:9], |v[1:2]|
	v_mul_f64 v[5:6], v[9:10], s[10:11]
	s_mov_b32 s8, 0x252049c0
	s_mov_b32 s9, 0xb97b839a
	v_fma_f64 v[15:16], v[9:10], s[10:11], v[3:4]
	v_add_f64 v[11:12], v[3:4], v[5:6]
	s_mov_b32 s11, 0x3c91a626
	v_add_f64 v[13:14], v[3:4], -v[11:12]
	v_add_f64 v[11:12], v[11:12], -v[15:16]
	v_add_f64 v[3:4], v[13:14], v[5:6]
	v_fma_f64 v[5:6], v[9:10], s[10:11], v[5:6]
	v_add_f64 v[3:4], v[11:12], v[3:4]
	v_add_f64 v[3:4], v[3:4], -v[5:6]
	v_fma_f64 v[5:6], v[9:10], s[8:9], v[3:4]
	v_cvt_i32_f64_e32 v9, v[9:10]
	v_add_f64 v[3:4], v[15:16], v[5:6]
	v_add_f64 v[11:12], v[3:4], -v[15:16]
	v_add_f64 v[5:6], v[5:6], -v[11:12]
.LBB37_457:
	s_or_b64 exec, exec, s[0:1]
	v_mul_f64 v[10:11], v[3:4], v[3:4]
	v_add_f64 v[12:13], v[5:6], v[5:6]
	s_mov_b32 s0, 0xc751c08c
	s_mov_b32 s1, 0x3ef5e089
	v_and_b32_e32 v9, 1, v9
	v_cmp_eq_u32_e32 vcc, 0, v9
	s_mov_b32 s10, 0x54442d18
	s_mov_b32 s11, 0xc00921fb
	v_fma_f64 v[14:15], v[3:4], v[3:4], -v[10:11]
	s_mov_b64 s[8:9], exec
	v_sub_f32_e32 v8, 1.0, v8
	v_fma_f64 v[12:13], v[3:4], v[12:13], v[14:15]
	v_add_f64 v[10:11], v[10:11], v[12:13]
	v_mov_b32_e32 v12, 0xa9a29f71
	v_mov_b32_e32 v13, 0xbf078809
	v_fma_f64 v[12:13], v[10:11], s[0:1], v[12:13]
	s_mov_b32 s0, 0x90a8aae0
	s_mov_b32 s1, 0x3f17746f
	v_fma_f64 v[12:13], v[10:11], v[12:13], s[0:1]
	s_mov_b32 s0, 0xa6fbf144
	s_mov_b32 s1, 0xbefbb44d
	;; [unrolled: 3-line block ×12, first 2 shown]
	v_fma_f64 v[12:13], v[10:11], v[12:13], s[0:1]
	s_movk_i32 s0, 0x1f8
	v_cmp_class_f64_e64 s[0:1], v[1:2], s0
	v_mul_f64 v[10:11], v[10:11], v[12:13]
	v_mul_f64 v[12:13], v[3:4], v[10:11]
	v_add_f64 v[14:15], v[3:4], v[12:13]
	v_fma_f64 v[10:11], v[3:4], v[10:11], -v[12:13]
	v_add_f64 v[3:4], v[14:15], -v[3:4]
	v_add_f64 v[5:6], v[5:6], v[10:11]
	v_add_f64 v[3:4], v[12:13], -v[3:4]
	v_add_f64 v[3:4], v[5:6], v[3:4]
	v_add_f64 v[5:6], v[14:15], v[3:4]
	v_rcp_f64_e32 v[10:11], v[5:6]
	v_fma_f64 v[12:13], -v[5:6], v[10:11], 1.0
	v_fma_f64 v[10:11], v[12:13], v[10:11], v[10:11]
	v_fma_f64 v[12:13], -v[5:6], v[10:11], 1.0
	v_fma_f64 v[10:11], v[12:13], v[10:11], v[10:11]
	v_add_f64 v[12:13], v[5:6], -v[14:15]
	v_mul_f64 v[14:15], v[5:6], v[10:11]
	v_add_f64 v[3:4], v[3:4], -v[12:13]
	v_fma_f64 v[12:13], v[10:11], v[5:6], -v[14:15]
	v_fma_f64 v[3:4], v[10:11], v[3:4], v[12:13]
	v_add_f64 v[12:13], v[14:15], v[3:4]
	v_add_f64 v[16:17], -v[12:13], 1.0
	v_add_f64 v[14:15], v[12:13], -v[14:15]
	v_add_f64 v[18:19], -v[16:17], 1.0
	v_add_f64 v[3:4], v[14:15], -v[3:4]
	v_add_f64 v[12:13], v[18:19], -v[12:13]
	v_add_f64 v[3:4], v[3:4], v[12:13]
	v_add_f64 v[3:4], v[16:17], v[3:4]
	v_mul_f64 v[3:4], v[10:11], v[3:4]
	v_add_f64 v[3:4], v[10:11], v[3:4]
	v_and_b32_e32 v10, 0x80000000, v2
	v_mov_b32_e32 v2, 0x7ff80000
	v_xor_b32_e32 v1, 0x80000000, v4
	v_cndmask_b32_e32 v3, v3, v5, vcc
	v_cndmask_b32_e32 v4, v1, v6, vcc
	v_cndmask_b32_e64 v1, 0, v3, s[0:1]
	v_xor_b32_e32 v3, v4, v10
	v_cndmask_b32_e64 v2, v2, v3, s[0:1]
	v_div_scale_f64 v[3:4], s[0:1], v[1:2], v[1:2], s[10:11]
	v_div_scale_f64 v[11:12], vcc, s[10:11], v[1:2], s[10:11]
	v_rcp_f64_e32 v[5:6], v[3:4]
	v_fma_f64 v[9:10], -v[3:4], v[5:6], 1.0
	v_fma_f64 v[5:6], v[5:6], v[9:10], v[5:6]
	v_fma_f64 v[9:10], -v[3:4], v[5:6], 1.0
	v_fma_f64 v[5:6], v[5:6], v[9:10], v[5:6]
	v_mul_f64 v[9:10], v[11:12], v[5:6]
	v_fma_f64 v[3:4], -v[3:4], v[9:10], v[11:12]
	v_div_fmas_f64 v[3:4], v[3:4], v[5:6], v[9:10]
	v_div_fixup_f64 v[1:2], v[3:4], v[1:2], s[10:11]
	v_cvt_f32_f64_e32 v1, v[1:2]
.LBB37_458:
	s_or_b64 exec, exec, s[6:7]
	s_orn2_b64 s[6:7], s[8:9], exec
.LBB37_459:
	s_or_b64 exec, exec, s[4:5]
	v_mov_b32_e32 v2, 0x7fc0
	s_and_saveexec_b64 s[0:1], s[6:7]
	s_cbranch_execz .LBB37_471
; %bb.460:
	s_mov_b32 s8, 0x41200000
	v_cmp_gt_f32_e32 vcc, s8, v8
	s_and_saveexec_b64 s[4:5], vcc
	s_cbranch_execz .LBB37_464
; %bb.461:
	s_mov_b64 s[6:7], 0
.LBB37_462:                             ; =>This Inner Loop Header: Depth=1
	v_div_scale_f32 v2, s[10:11], v8, v8, 1.0
	v_div_scale_f32 v3, vcc, 1.0, v8, 1.0
	v_rcp_f32_e32 v4, v2
	v_fma_f32 v5, -v2, v4, 1.0
	v_fmac_f32_e32 v4, v5, v4
	v_mul_f32_e32 v5, v3, v4
	v_fma_f32 v6, -v2, v5, v3
	v_fmac_f32_e32 v5, v6, v4
	v_fma_f32 v2, -v2, v5, v3
	v_div_fmas_f32 v2, v2, v4, v5
	v_div_fixup_f32 v2, v2, v8, 1.0
	v_add_f32_e32 v8, 1.0, v8
	v_cmp_ngt_f32_e32 vcc, s8, v8
	s_or_b64 s[6:7], vcc, s[6:7]
	v_sub_f32_e32 v1, v1, v2
	s_andn2_b64 exec, exec, s[6:7]
	s_cbranch_execnz .LBB37_462
; %bb.463:
	s_or_b64 exec, exec, s[6:7]
.LBB37_464:
	s_or_b64 exec, exec, s[4:5]
	s_mov_b32 s4, 0x41200000
	v_cmp_neq_f32_e32 vcc, s4, v8
                                        ; implicit-def: $vgpr2
	s_and_saveexec_b64 s[4:5], vcc
	s_xor_b64 s[4:5], exec, s[4:5]
	s_cbranch_execz .LBB37_468
; %bb.465:
	v_cvt_f64_f32_e32 v[2:3], v8
	s_mov_b32 s6, 0x85d8a000
	s_mov_b32 s7, 0x43763457
	v_cmp_gt_f64_e32 vcc, s[6:7], v[2:3]
	v_mov_b32_e32 v2, 0
	s_and_saveexec_b64 s[6:7], vcc
	s_cbranch_execz .LBB37_467
; %bb.466:
	v_mul_f32_e32 v2, v8, v8
	v_div_scale_f32 v3, s[8:9], v2, v2, 1.0
	v_div_scale_f32 v4, vcc, 1.0, v2, 1.0
	v_mov_b32_e32 v10, 0x3b820821
	v_rcp_f32_e32 v5, v3
	v_fma_f32 v6, -v3, v5, 1.0
	v_fmac_f32_e32 v5, v6, v5
	v_mul_f32_e32 v6, v4, v5
	v_fma_f32 v9, -v3, v6, v4
	v_fmac_f32_e32 v6, v9, v5
	v_fma_f32 v3, -v3, v6, v4
	v_div_fmas_f32 v3, v3, v5, v6
	v_mov_b32_e32 v4, 0x3daaaaab
	v_mov_b32_e32 v5, 0xbcaccacd
	;; [unrolled: 1-line block ×4, first 2 shown]
	v_div_fixup_f32 v2, v3, v2, 1.0
	v_fma_f32 v3, 0, v2, v4
	v_fmac_f32_e32 v5, v2, v3
	v_fmac_f32_e32 v6, v2, v5
	;; [unrolled: 1-line block ×4, first 2 shown]
	v_mov_b32_e32 v3, 0xbc088889
	v_fmac_f32_e32 v3, v2, v10
	v_fmac_f32_e32 v4, v2, v3
	v_mul_f32_e32 v2, v2, v4
.LBB37_467:
	s_or_b64 exec, exec, s[6:7]
	v_div_scale_f32 v3, s[6:7], v8, v8, -0.5
	v_div_scale_f32 v4, vcc, -0.5, v8, -0.5
	s_mov_b32 s6, 0x800000
	s_mov_b32 s7, 0x3f317217
	;; [unrolled: 1-line block ×3, first 2 shown]
	v_rcp_f32_e32 v5, v3
	v_fma_f32 v6, -v3, v5, 1.0
	v_fmac_f32_e32 v5, v6, v5
	v_mul_f32_e32 v6, v4, v5
	v_fma_f32 v9, -v3, v6, v4
	v_fmac_f32_e32 v6, v9, v5
	v_fma_f32 v3, -v3, v6, v4
	v_div_fmas_f32 v3, v3, v5, v6
	v_cmp_gt_f32_e32 vcc, s6, v8
	v_cndmask_b32_e64 v5, 0, 32, vcc
	v_ldexp_f32 v5, v8, v5
	v_log_f32_e32 v5, v5
	v_mov_b32_e32 v4, 0x41b17218
	v_cndmask_b32_e32 v4, 0, v4, vcc
	s_movk_i32 s6, 0x7fff
	v_mul_f32_e32 v9, 0x3f317217, v5
	v_fma_f32 v9, v5, s7, -v9
	v_fmac_f32_e32 v9, 0x3377d1cf, v5
	v_fmac_f32_e32 v9, 0x3f317217, v5
	v_cmp_lt_f32_e64 vcc, |v5|, s8
	v_cndmask_b32_e32 v5, v5, v9, vcc
	v_sub_f32_e32 v4, v5, v4
	v_mov_b32_e32 v6, 0x7fc0
	v_div_fixup_f32 v3, v3, v8, -0.5
	v_add_f32_e32 v3, v4, v3
	v_sub_f32_e32 v2, v3, v2
	v_add_f32_e32 v1, v1, v2
	v_bfe_u32 v2, v1, 16, 1
	v_cmp_o_f32_e32 vcc, v1, v1
	v_add3_u32 v1, v1, v2, s6
	v_cndmask_b32_sdwa v2, v6, v1, vcc dst_sel:DWORD dst_unused:UNUSED_PAD src0_sel:DWORD src1_sel:WORD_1
                                        ; implicit-def: $vgpr1
.LBB37_468:
	s_andn2_saveexec_b64 s[4:5], s[4:5]
; %bb.469:
	v_add_f32_e32 v1, 0x40101cb7, v1
	v_bfe_u32 v2, v1, 16, 1
	s_movk_i32 s6, 0x7fff
	v_add3_u32 v2, v1, v2, s6
	v_cmp_o_f32_e32 vcc, v1, v1
	v_mov_b32_e32 v1, 0x7fc0
	v_cndmask_b32_sdwa v2, v1, v2, vcc dst_sel:DWORD dst_unused:UNUSED_PAD src0_sel:DWORD src1_sel:WORD_1
; %bb.470:
	s_or_b64 exec, exec, s[4:5]
.LBB37_471:
	s_or_b64 exec, exec, s[0:1]
                                        ; implicit-def: $vgpr8
.LBB37_472:
	s_andn2_saveexec_b64 s[0:1], s[2:3]
; %bb.473:
	v_xor_b32_e32 v1, 0x80000000, v8
	v_and_b32_e32 v1, 0x80000000, v1
	v_or_b32_e32 v1, 0x7f800000, v1
	v_lshrrev_b32_e32 v2, 16, v1
; %bb.474:
	s_or_b64 exec, exec, s[0:1]
	v_add_u32_e32 v7, 0x80, v7
	global_store_short v0, v2, s[16:17]
	s_or_b64 exec, exec, s[48:49]
	v_cmp_gt_i32_e32 vcc, s55, v7
	s_and_saveexec_b64 s[48:49], vcc
	s_cbranch_execnz .LBB37_436
.LBB37_475:
	s_or_b64 exec, exec, s[48:49]
	v_cmp_gt_i32_e32 vcc, s55, v7
	s_and_saveexec_b64 s[48:49], vcc
	s_cbranch_execz .LBB37_515
.LBB37_476:
	s_andn2_b64 vcc, exec, s[36:37]
	s_cbranch_vccnz .LBB37_481
; %bb.477:
	s_andn2_b64 vcc, exec, s[46:47]
	s_cbranch_vccnz .LBB37_482
; %bb.478:
	s_add_i32 s58, s56, 1
	s_cmp_eq_u32 s54, 2
	s_cbranch_scc1 .LBB37_523
; %bb.479:
	s_and_b32 s57, s58, 28
	v_mov_b32_e32 v2, 0
	s_mov_b32 s59, 0
	s_mov_b64 s[50:51], s[34:35]
	s_mov_b64 s[52:53], s[44:45]
	v_mov_b32_e32 v0, 0
	v_mov_b32_e32 v1, v7
.LBB37_480:                             ; =>This Inner Loop Header: Depth=1
	s_load_dwordx8 s[8:15], s[50:51], 0x4
	s_load_dwordx4 s[28:31], s[50:51], 0x24
	s_load_dwordx8 s[0:7], s[52:53], 0x0
	s_add_u32 s50, s50, 48
	s_addc_u32 s51, s51, 0
	s_waitcnt lgkmcnt(0)
	v_mul_hi_u32 v3, s9, v1
	s_add_i32 s59, s59, 4
	s_add_u32 s52, s52, 32
	s_addc_u32 s53, s53, 0
	v_add_u32_e32 v3, v1, v3
	v_lshrrev_b32_e32 v3, s10, v3
	v_mul_lo_u32 v4, v3, s8
	v_mul_hi_u32 v5, s12, v3
	s_cmp_eq_u32 s57, s59
	v_sub_u32_e32 v1, v1, v4
	v_add_u32_e32 v4, v3, v5
	v_mul_lo_u32 v5, v1, s0
	v_mul_lo_u32 v6, v1, s1
	v_lshrrev_b32_e32 v1, s13, v4
	v_mul_lo_u32 v4, v1, s11
	v_mul_hi_u32 v8, s15, v1
	v_sub_u32_e32 v3, v3, v4
	v_add_u32_e32 v4, v1, v8
	v_lshrrev_b32_e32 v4, s28, v4
	v_mul_hi_u32 v9, s30, v4
	v_mul_lo_u32 v10, v4, s14
	v_mul_lo_u32 v8, v3, s2
	;; [unrolled: 1-line block ×3, first 2 shown]
	v_sub_u32_e32 v10, v1, v10
	v_add_u32_e32 v1, v4, v9
	v_lshrrev_b32_e32 v1, s31, v1
	v_mul_lo_u32 v9, v1, s29
	v_mul_lo_u32 v11, v10, s4
	;; [unrolled: 1-line block ×3, first 2 shown]
	v_add3_u32 v0, v5, v0, v8
	v_sub_u32_e32 v4, v4, v9
	v_mul_lo_u32 v9, v4, s6
	v_mul_lo_u32 v4, v4, s7
	v_add3_u32 v2, v6, v2, v3
	v_add3_u32 v0, v11, v0, v9
	;; [unrolled: 1-line block ×3, first 2 shown]
	s_cbranch_scc0 .LBB37_480
	s_branch .LBB37_524
.LBB37_481:
                                        ; implicit-def: $vgpr0
                                        ; implicit-def: $vgpr2
	s_branch .LBB37_528
.LBB37_482:
	v_mov_b32_e32 v0, 0
	v_mov_b32_e32 v2, 0
	s_branch .LBB37_527
.LBB37_483:
	s_mov_b32 s57, 0
	v_mov_b32_e32 v0, 0
	v_mov_b32_e32 v2, 0
	;; [unrolled: 1-line block ×3, first 2 shown]
.LBB37_484:
	s_and_b32 s4, s58, 3
	s_cmp_eq_u32 s4, 0
	s_cbranch_scc1 .LBB37_487
; %bb.485:
	s_lshl_b32 s0, s57, 3
	s_add_u32 s0, s34, s0
	s_addc_u32 s1, s35, 0
	s_add_u32 s0, s0, 0xc4
	s_addc_u32 s1, s1, 0
	s_mul_i32 s2, s57, 12
	s_add_u32 s2, s34, s2
	s_addc_u32 s3, s35, 0
.LBB37_486:                             ; =>This Inner Loop Header: Depth=1
	s_load_dwordx2 s[6:7], s[2:3], 0x4
	s_load_dword s5, s[2:3], 0xc
	s_load_dwordx2 s[8:9], s[0:1], 0x0
	s_add_u32 s2, s2, 12
	s_addc_u32 s3, s3, 0
	s_waitcnt lgkmcnt(0)
	v_mul_hi_u32 v3, s7, v1
	s_add_u32 s0, s0, 8
	s_addc_u32 s1, s1, 0
	s_add_i32 s4, s4, -1
	v_add_u32_e32 v3, v1, v3
	v_lshrrev_b32_e32 v4, s5, v3
	v_mul_lo_u32 v3, v4, s6
	s_cmp_lg_u32 s4, 0
	v_sub_u32_e32 v3, v1, v3
	v_mad_u64_u32 v[0:1], s[6:7], v3, s8, v[0:1]
	v_mad_u64_u32 v[2:3], s[6:7], v3, s9, v[2:3]
	v_mov_b32_e32 v1, v4
	s_cbranch_scc1 .LBB37_486
.LBB37_487:
	s_cbranch_execnz .LBB37_490
.LBB37_488:
	s_waitcnt lgkmcnt(0)
	v_mul_hi_u32 v0, s25, v7
	s_andn2_b64 vcc, exec, s[42:43]
	v_add_u32_e32 v0, v7, v0
	v_lshrrev_b32_e32 v1, s26, v0
	v_mul_lo_u32 v0, v1, s24
	v_sub_u32_e32 v2, v7, v0
	v_mul_lo_u32 v0, v2, s20
	v_mul_lo_u32 v2, v2, s21
	s_cbranch_vccnz .LBB37_490
; %bb.489:
	v_mul_hi_u32 v3, s40, v1
	v_add_u32_e32 v3, v1, v3
	v_lshrrev_b32_e32 v3, s41, v3
	v_mul_lo_u32 v3, v3, s27
	v_sub_u32_e32 v3, v1, v3
	v_mad_u64_u32 v[0:1], s[0:1], v3, s22, v[0:1]
	v_mad_u64_u32 v[2:3], s[0:1], v3, s23, v[2:3]
.LBB37_490:
	s_waitcnt lgkmcnt(0)
	global_load_ushort v1, v2, s[18:19]
                                        ; implicit-def: $vgpr2
	s_waitcnt vmcnt(0)
	v_lshlrev_b32_e32 v8, 16, v1
	v_cmp_neq_f32_e32 vcc, 0, v8
	s_and_saveexec_b64 s[0:1], vcc
	s_xor_b64 s[2:3], exec, s[0:1]
	s_cbranch_execz .LBB37_512
; %bb.491:
	v_mov_b32_e32 v1, 0
	v_cmp_gt_f32_e32 vcc, 0, v8
	s_mov_b64 s[6:7], -1
	s_and_saveexec_b64 s[4:5], vcc
	s_cbranch_execz .LBB37_499
; %bb.492:
	v_trunc_f32_e32 v1, v8
	v_cmp_neq_f32_e32 vcc, v1, v8
	s_mov_b64 s[8:9], 0
	v_mov_b32_e32 v1, 0
	s_and_saveexec_b64 s[6:7], vcc
	s_cbranch_execz .LBB37_498
; %bb.493:
	v_cvt_f64_f32_e32 v[1:2], v8
	s_mov_b32 s0, 0
	s_mov_b32 s9, 0xc00921fb
	;; [unrolled: 1-line block ×3, first 2 shown]
	v_trunc_f64_e32 v[3:4], v[1:2]
	s_mov_b32 s1, 0x7ff00000
	v_cmp_neq_f64_e64 vcc, |v[1:2]|, s[0:1]
	v_bfrev_b32_e32 v5, 1
	s_mov_b32 s10, 0
	s_mov_b32 s11, 0x41d00000
                                        ; implicit-def: $vgpr9
	v_add_f64 v[3:4], v[1:2], -v[3:4]
	v_mul_f64 v[3:4], |v[3:4]|, s[8:9]
	v_cndmask_b32_e32 v2, v5, v4, vcc
	v_cndmask_b32_e32 v1, 0, v3, vcc
	v_cmp_nlt_f64_e64 s[10:11], |v[1:2]|, s[10:11]
                                        ; implicit-def: $vgpr3_vgpr4
                                        ; implicit-def: $vgpr5_vgpr6
	s_and_saveexec_b64 s[12:13], s[10:11]
	s_xor_b64 s[10:11], exec, s[12:13]
	s_cbranch_execz .LBB37_495
; %bb.494:
	v_trig_preop_f64 v[3:4], |v[1:2]|, 0
	s_mov_b32 s12, 0
	s_mov_b32 s13, 0x7b000000
	s_movk_i32 s9, 0xff80
	v_ldexp_f64 v[9:10], |v[1:2]|, s9
	v_cmp_ge_f64_e64 vcc, |v[1:2]|, s[12:13]
	v_trig_preop_f64 v[5:6], |v[1:2]|, 1
	v_and_b32_e32 v11, 0x7fffffff, v2
	v_trig_preop_f64 v[17:18], |v[1:2]|, 2
	v_mov_b32_e32 v28, 0x40100000
	v_mov_b32_e32 v27, 0
	s_mov_b32 s9, 0x3ff921fb
	v_cndmask_b32_e32 v10, v11, v10, vcc
	v_cndmask_b32_e32 v9, v1, v9, vcc
	v_mul_f64 v[11:12], v[3:4], v[9:10]
	v_mul_f64 v[13:14], v[5:6], v[9:10]
	;; [unrolled: 1-line block ×3, first 2 shown]
	v_fma_f64 v[3:4], v[3:4], v[9:10], -v[11:12]
	v_fma_f64 v[5:6], v[5:6], v[9:10], -v[13:14]
	;; [unrolled: 1-line block ×3, first 2 shown]
	v_add_f64 v[15:16], v[13:14], v[3:4]
	v_add_f64 v[19:20], v[15:16], -v[13:14]
	v_add_f64 v[25:26], v[11:12], v[15:16]
	v_add_f64 v[21:22], v[15:16], -v[19:20]
	v_add_f64 v[3:4], v[3:4], -v[19:20]
	v_add_f64 v[19:20], v[23:24], v[5:6]
	v_add_f64 v[11:12], v[25:26], -v[11:12]
	v_add_f64 v[13:14], v[13:14], -v[21:22]
	v_ldexp_f64 v[21:22], v[25:26], -2
	v_add_f64 v[29:30], v[19:20], -v[23:24]
	v_add_f64 v[11:12], v[15:16], -v[11:12]
	v_add_f64 v[3:4], v[3:4], v[13:14]
	v_fract_f64_e32 v[13:14], v[21:22]
	v_cmp_neq_f64_e64 vcc, |v[21:22]|, s[0:1]
	v_add_f64 v[5:6], v[5:6], -v[29:30]
	v_add_f64 v[15:16], v[19:20], v[3:4]
	v_ldexp_f64 v[13:14], v[13:14], 2
	v_add_f64 v[21:22], v[11:12], v[15:16]
	v_cndmask_b32_e32 v14, 0, v14, vcc
	v_cndmask_b32_e32 v13, 0, v13, vcc
	v_add_f64 v[31:32], v[15:16], -v[19:20]
	v_add_f64 v[25:26], v[21:22], v[13:14]
	v_add_f64 v[11:12], v[21:22], -v[11:12]
	v_add_f64 v[33:34], v[15:16], -v[31:32]
	;; [unrolled: 1-line block ×3, first 2 shown]
	v_cmp_gt_f64_e32 vcc, 0, v[25:26]
	v_add_f64 v[25:26], v[19:20], -v[29:30]
	v_add_f64 v[11:12], v[15:16], -v[11:12]
	;; [unrolled: 1-line block ×3, first 2 shown]
	v_cndmask_b32_e32 v28, 0, v28, vcc
	v_add_f64 v[13:14], v[13:14], v[27:28]
	v_add_f64 v[25:26], v[23:24], -v[25:26]
	v_add_f64 v[3:4], v[3:4], v[19:20]
	v_add_f64 v[35:36], v[21:22], v[13:14]
	v_add_f64 v[5:6], v[5:6], v[25:26]
	v_cvt_i32_f64_e32 v30, v[35:36]
	v_add_f64 v[3:4], v[5:6], v[3:4]
	v_cvt_f64_i32_e32 v[28:29], v30
	v_add_f64 v[13:14], v[13:14], -v[28:29]
	v_add_f64 v[3:4], v[9:10], v[3:4]
	v_add_f64 v[5:6], v[21:22], v[13:14]
	;; [unrolled: 1-line block ×3, first 2 shown]
	v_mov_b32_e32 v12, 0x3ff00000
	v_add_f64 v[9:10], v[5:6], -v[13:14]
	v_cmp_le_f64_e32 vcc, 0.5, v[5:6]
	v_add_f64 v[10:11], v[21:22], -v[9:10]
	v_cndmask_b32_e32 v28, 0, v12, vcc
	v_add_f64 v[5:6], v[5:6], -v[27:28]
	v_addc_co_u32_e64 v9, s[0:1], 0, v30, vcc
	s_mov_b32 s0, 0x33145c07
	s_mov_b32 s1, 0x3c91a626
	v_add_f64 v[3:4], v[3:4], v[10:11]
	v_add_f64 v[10:11], v[5:6], v[3:4]
	v_mul_f64 v[12:13], v[10:11], s[8:9]
	v_add_f64 v[5:6], v[10:11], -v[5:6]
	v_fma_f64 v[14:15], v[10:11], s[8:9], -v[12:13]
	v_add_f64 v[3:4], v[3:4], -v[5:6]
	v_fma_f64 v[5:6], v[10:11], s[0:1], v[14:15]
	v_fma_f64 v[5:6], v[3:4], s[8:9], v[5:6]
	v_add_f64 v[3:4], v[12:13], v[5:6]
	v_add_f64 v[10:11], v[3:4], -v[12:13]
	v_add_f64 v[5:6], v[5:6], -v[10:11]
.LBB37_495:
	s_andn2_saveexec_b64 s[0:1], s[10:11]
	s_cbranch_execz .LBB37_497
; %bb.496:
	s_mov_b32 s8, 0x6dc9c883
	s_mov_b32 s9, 0x3fe45f30
	v_mul_f64 v[3:4], |v[1:2]|, s[8:9]
	s_mov_b32 s8, 0x54442d18
	s_mov_b32 s9, 0xbff921fb
	;; [unrolled: 1-line block ×4, first 2 shown]
	v_rndne_f64_e32 v[9:10], v[3:4]
	v_fma_f64 v[3:4], v[9:10], s[8:9], |v[1:2]|
	v_mul_f64 v[5:6], v[9:10], s[10:11]
	s_mov_b32 s8, 0x252049c0
	s_mov_b32 s9, 0xb97b839a
	v_fma_f64 v[15:16], v[9:10], s[10:11], v[3:4]
	v_add_f64 v[11:12], v[3:4], v[5:6]
	s_mov_b32 s11, 0x3c91a626
	v_add_f64 v[13:14], v[3:4], -v[11:12]
	v_add_f64 v[11:12], v[11:12], -v[15:16]
	v_add_f64 v[3:4], v[13:14], v[5:6]
	v_fma_f64 v[5:6], v[9:10], s[10:11], v[5:6]
	v_add_f64 v[3:4], v[11:12], v[3:4]
	v_add_f64 v[3:4], v[3:4], -v[5:6]
	v_fma_f64 v[5:6], v[9:10], s[8:9], v[3:4]
	v_cvt_i32_f64_e32 v9, v[9:10]
	v_add_f64 v[3:4], v[15:16], v[5:6]
	v_add_f64 v[11:12], v[3:4], -v[15:16]
	v_add_f64 v[5:6], v[5:6], -v[11:12]
.LBB37_497:
	s_or_b64 exec, exec, s[0:1]
	v_mul_f64 v[10:11], v[3:4], v[3:4]
	v_add_f64 v[12:13], v[5:6], v[5:6]
	s_mov_b32 s0, 0xc751c08c
	s_mov_b32 s1, 0x3ef5e089
	v_and_b32_e32 v9, 1, v9
	v_cmp_eq_u32_e32 vcc, 0, v9
	s_mov_b32 s10, 0x54442d18
	s_mov_b32 s11, 0xc00921fb
	v_fma_f64 v[14:15], v[3:4], v[3:4], -v[10:11]
	s_mov_b64 s[8:9], exec
	v_sub_f32_e32 v8, 1.0, v8
	v_fma_f64 v[12:13], v[3:4], v[12:13], v[14:15]
	v_add_f64 v[10:11], v[10:11], v[12:13]
	v_mov_b32_e32 v12, 0xa9a29f71
	v_mov_b32_e32 v13, 0xbf078809
	v_fma_f64 v[12:13], v[10:11], s[0:1], v[12:13]
	s_mov_b32 s0, 0x90a8aae0
	s_mov_b32 s1, 0x3f17746f
	v_fma_f64 v[12:13], v[10:11], v[12:13], s[0:1]
	s_mov_b32 s0, 0xa6fbf144
	s_mov_b32 s1, 0xbefbb44d
	;; [unrolled: 3-line block ×12, first 2 shown]
	v_fma_f64 v[12:13], v[10:11], v[12:13], s[0:1]
	s_movk_i32 s0, 0x1f8
	v_cmp_class_f64_e64 s[0:1], v[1:2], s0
	v_mul_f64 v[10:11], v[10:11], v[12:13]
	v_mul_f64 v[12:13], v[3:4], v[10:11]
	v_add_f64 v[14:15], v[3:4], v[12:13]
	v_fma_f64 v[10:11], v[3:4], v[10:11], -v[12:13]
	v_add_f64 v[3:4], v[14:15], -v[3:4]
	v_add_f64 v[5:6], v[5:6], v[10:11]
	v_add_f64 v[3:4], v[12:13], -v[3:4]
	v_add_f64 v[3:4], v[5:6], v[3:4]
	v_add_f64 v[5:6], v[14:15], v[3:4]
	v_rcp_f64_e32 v[10:11], v[5:6]
	v_fma_f64 v[12:13], -v[5:6], v[10:11], 1.0
	v_fma_f64 v[10:11], v[12:13], v[10:11], v[10:11]
	v_fma_f64 v[12:13], -v[5:6], v[10:11], 1.0
	v_fma_f64 v[10:11], v[12:13], v[10:11], v[10:11]
	v_add_f64 v[12:13], v[5:6], -v[14:15]
	v_mul_f64 v[14:15], v[5:6], v[10:11]
	v_add_f64 v[3:4], v[3:4], -v[12:13]
	v_fma_f64 v[12:13], v[10:11], v[5:6], -v[14:15]
	v_fma_f64 v[3:4], v[10:11], v[3:4], v[12:13]
	v_add_f64 v[12:13], v[14:15], v[3:4]
	v_add_f64 v[16:17], -v[12:13], 1.0
	v_add_f64 v[14:15], v[12:13], -v[14:15]
	v_add_f64 v[18:19], -v[16:17], 1.0
	v_add_f64 v[3:4], v[14:15], -v[3:4]
	v_add_f64 v[12:13], v[18:19], -v[12:13]
	v_add_f64 v[3:4], v[3:4], v[12:13]
	v_add_f64 v[3:4], v[16:17], v[3:4]
	v_mul_f64 v[3:4], v[10:11], v[3:4]
	v_add_f64 v[3:4], v[10:11], v[3:4]
	v_and_b32_e32 v10, 0x80000000, v2
	v_mov_b32_e32 v2, 0x7ff80000
	v_xor_b32_e32 v1, 0x80000000, v4
	v_cndmask_b32_e32 v3, v3, v5, vcc
	v_cndmask_b32_e32 v4, v1, v6, vcc
	v_cndmask_b32_e64 v1, 0, v3, s[0:1]
	v_xor_b32_e32 v3, v4, v10
	v_cndmask_b32_e64 v2, v2, v3, s[0:1]
	v_div_scale_f64 v[3:4], s[0:1], v[1:2], v[1:2], s[10:11]
	v_div_scale_f64 v[11:12], vcc, s[10:11], v[1:2], s[10:11]
	v_rcp_f64_e32 v[5:6], v[3:4]
	v_fma_f64 v[9:10], -v[3:4], v[5:6], 1.0
	v_fma_f64 v[5:6], v[5:6], v[9:10], v[5:6]
	v_fma_f64 v[9:10], -v[3:4], v[5:6], 1.0
	v_fma_f64 v[5:6], v[5:6], v[9:10], v[5:6]
	v_mul_f64 v[9:10], v[11:12], v[5:6]
	v_fma_f64 v[3:4], -v[3:4], v[9:10], v[11:12]
	v_div_fmas_f64 v[3:4], v[3:4], v[5:6], v[9:10]
	v_div_fixup_f64 v[1:2], v[3:4], v[1:2], s[10:11]
	v_cvt_f32_f64_e32 v1, v[1:2]
.LBB37_498:
	s_or_b64 exec, exec, s[6:7]
	s_orn2_b64 s[6:7], s[8:9], exec
.LBB37_499:
	s_or_b64 exec, exec, s[4:5]
	v_mov_b32_e32 v2, 0x7fc0
	s_and_saveexec_b64 s[0:1], s[6:7]
	s_cbranch_execz .LBB37_511
; %bb.500:
	s_mov_b32 s8, 0x41200000
	v_cmp_gt_f32_e32 vcc, s8, v8
	s_and_saveexec_b64 s[4:5], vcc
	s_cbranch_execz .LBB37_504
; %bb.501:
	s_mov_b64 s[6:7], 0
.LBB37_502:                             ; =>This Inner Loop Header: Depth=1
	v_div_scale_f32 v2, s[10:11], v8, v8, 1.0
	v_div_scale_f32 v3, vcc, 1.0, v8, 1.0
	v_rcp_f32_e32 v4, v2
	v_fma_f32 v5, -v2, v4, 1.0
	v_fmac_f32_e32 v4, v5, v4
	v_mul_f32_e32 v5, v3, v4
	v_fma_f32 v6, -v2, v5, v3
	v_fmac_f32_e32 v5, v6, v4
	v_fma_f32 v2, -v2, v5, v3
	v_div_fmas_f32 v2, v2, v4, v5
	v_div_fixup_f32 v2, v2, v8, 1.0
	v_add_f32_e32 v8, 1.0, v8
	v_cmp_ngt_f32_e32 vcc, s8, v8
	s_or_b64 s[6:7], vcc, s[6:7]
	v_sub_f32_e32 v1, v1, v2
	s_andn2_b64 exec, exec, s[6:7]
	s_cbranch_execnz .LBB37_502
; %bb.503:
	s_or_b64 exec, exec, s[6:7]
.LBB37_504:
	s_or_b64 exec, exec, s[4:5]
	s_mov_b32 s4, 0x41200000
	v_cmp_neq_f32_e32 vcc, s4, v8
                                        ; implicit-def: $vgpr2
	s_and_saveexec_b64 s[4:5], vcc
	s_xor_b64 s[4:5], exec, s[4:5]
	s_cbranch_execz .LBB37_508
; %bb.505:
	v_cvt_f64_f32_e32 v[2:3], v8
	s_mov_b32 s6, 0x85d8a000
	s_mov_b32 s7, 0x43763457
	v_cmp_gt_f64_e32 vcc, s[6:7], v[2:3]
	v_mov_b32_e32 v2, 0
	s_and_saveexec_b64 s[6:7], vcc
	s_cbranch_execz .LBB37_507
; %bb.506:
	v_mul_f32_e32 v2, v8, v8
	v_div_scale_f32 v3, s[8:9], v2, v2, 1.0
	v_div_scale_f32 v4, vcc, 1.0, v2, 1.0
	v_mov_b32_e32 v10, 0x3b820821
	v_rcp_f32_e32 v5, v3
	v_fma_f32 v6, -v3, v5, 1.0
	v_fmac_f32_e32 v5, v6, v5
	v_mul_f32_e32 v6, v4, v5
	v_fma_f32 v9, -v3, v6, v4
	v_fmac_f32_e32 v6, v9, v5
	v_fma_f32 v3, -v3, v6, v4
	v_div_fmas_f32 v3, v3, v5, v6
	v_mov_b32_e32 v4, 0x3daaaaab
	v_mov_b32_e32 v5, 0xbcaccacd
	;; [unrolled: 1-line block ×4, first 2 shown]
	v_div_fixup_f32 v2, v3, v2, 1.0
	v_fma_f32 v3, 0, v2, v4
	v_fmac_f32_e32 v5, v2, v3
	v_fmac_f32_e32 v6, v2, v5
	;; [unrolled: 1-line block ×4, first 2 shown]
	v_mov_b32_e32 v3, 0xbc088889
	v_fmac_f32_e32 v3, v2, v10
	v_fmac_f32_e32 v4, v2, v3
	v_mul_f32_e32 v2, v2, v4
.LBB37_507:
	s_or_b64 exec, exec, s[6:7]
	v_div_scale_f32 v3, s[6:7], v8, v8, -0.5
	v_div_scale_f32 v4, vcc, -0.5, v8, -0.5
	s_mov_b32 s6, 0x800000
	s_mov_b32 s7, 0x3f317217
	;; [unrolled: 1-line block ×3, first 2 shown]
	v_rcp_f32_e32 v5, v3
	v_fma_f32 v6, -v3, v5, 1.0
	v_fmac_f32_e32 v5, v6, v5
	v_mul_f32_e32 v6, v4, v5
	v_fma_f32 v9, -v3, v6, v4
	v_fmac_f32_e32 v6, v9, v5
	v_fma_f32 v3, -v3, v6, v4
	v_div_fmas_f32 v3, v3, v5, v6
	v_cmp_gt_f32_e32 vcc, s6, v8
	v_cndmask_b32_e64 v5, 0, 32, vcc
	v_ldexp_f32 v5, v8, v5
	v_log_f32_e32 v5, v5
	v_mov_b32_e32 v4, 0x41b17218
	v_cndmask_b32_e32 v4, 0, v4, vcc
	s_movk_i32 s6, 0x7fff
	v_mul_f32_e32 v9, 0x3f317217, v5
	v_fma_f32 v9, v5, s7, -v9
	v_fmac_f32_e32 v9, 0x3377d1cf, v5
	v_fmac_f32_e32 v9, 0x3f317217, v5
	v_cmp_lt_f32_e64 vcc, |v5|, s8
	v_cndmask_b32_e32 v5, v5, v9, vcc
	v_sub_f32_e32 v4, v5, v4
	v_mov_b32_e32 v6, 0x7fc0
	v_div_fixup_f32 v3, v3, v8, -0.5
	v_add_f32_e32 v3, v4, v3
	v_sub_f32_e32 v2, v3, v2
	v_add_f32_e32 v1, v1, v2
	v_bfe_u32 v2, v1, 16, 1
	v_cmp_o_f32_e32 vcc, v1, v1
	v_add3_u32 v1, v1, v2, s6
	v_cndmask_b32_sdwa v2, v6, v1, vcc dst_sel:DWORD dst_unused:UNUSED_PAD src0_sel:DWORD src1_sel:WORD_1
                                        ; implicit-def: $vgpr1
.LBB37_508:
	s_andn2_saveexec_b64 s[4:5], s[4:5]
; %bb.509:
	v_add_f32_e32 v1, 0x40101cb7, v1
	v_bfe_u32 v2, v1, 16, 1
	s_movk_i32 s6, 0x7fff
	v_add3_u32 v2, v1, v2, s6
	v_cmp_o_f32_e32 vcc, v1, v1
	v_mov_b32_e32 v1, 0x7fc0
	v_cndmask_b32_sdwa v2, v1, v2, vcc dst_sel:DWORD dst_unused:UNUSED_PAD src0_sel:DWORD src1_sel:WORD_1
; %bb.510:
	s_or_b64 exec, exec, s[4:5]
.LBB37_511:
	s_or_b64 exec, exec, s[0:1]
                                        ; implicit-def: $vgpr8
.LBB37_512:
	s_andn2_saveexec_b64 s[0:1], s[2:3]
; %bb.513:
	v_xor_b32_e32 v1, 0x80000000, v8
	v_and_b32_e32 v1, 0x80000000, v1
	v_or_b32_e32 v1, 0x7f800000, v1
	v_lshrrev_b32_e32 v2, 16, v1
; %bb.514:
	s_or_b64 exec, exec, s[0:1]
	v_add_u32_e32 v7, 0x80, v7
	global_store_short v0, v2, s[16:17]
	s_or_b64 exec, exec, s[48:49]
	v_cmp_gt_i32_e32 vcc, s55, v7
	s_and_saveexec_b64 s[48:49], vcc
	s_cbranch_execnz .LBB37_476
.LBB37_515:
	s_or_b64 exec, exec, s[48:49]
	v_cmp_gt_i32_e32 vcc, s55, v7
	s_and_saveexec_b64 s[48:49], vcc
	s_cbranch_execz .LBB37_555
.LBB37_516:
	s_andn2_b64 vcc, exec, s[36:37]
	s_cbranch_vccnz .LBB37_521
; %bb.517:
	s_andn2_b64 vcc, exec, s[46:47]
	s_cbranch_vccnz .LBB37_522
; %bb.518:
	s_add_i32 s58, s56, 1
	s_cmp_eq_u32 s54, 2
	s_cbranch_scc1 .LBB37_558
; %bb.519:
	s_and_b32 s57, s58, 28
	v_mov_b32_e32 v2, 0
	s_mov_b32 s59, 0
	s_mov_b64 s[50:51], s[34:35]
	s_mov_b64 s[52:53], s[44:45]
	v_mov_b32_e32 v0, 0
	v_mov_b32_e32 v1, v7
.LBB37_520:                             ; =>This Inner Loop Header: Depth=1
	s_load_dwordx8 s[8:15], s[50:51], 0x4
	s_load_dwordx4 s[28:31], s[50:51], 0x24
	s_load_dwordx8 s[0:7], s[52:53], 0x0
	s_add_u32 s50, s50, 48
	s_addc_u32 s51, s51, 0
	s_waitcnt lgkmcnt(0)
	v_mul_hi_u32 v3, s9, v1
	s_add_i32 s59, s59, 4
	s_add_u32 s52, s52, 32
	s_addc_u32 s53, s53, 0
	v_add_u32_e32 v3, v1, v3
	v_lshrrev_b32_e32 v3, s10, v3
	v_mul_lo_u32 v4, v3, s8
	v_mul_hi_u32 v5, s12, v3
	s_cmp_eq_u32 s57, s59
	v_sub_u32_e32 v1, v1, v4
	v_add_u32_e32 v4, v3, v5
	v_mul_lo_u32 v5, v1, s0
	v_mul_lo_u32 v6, v1, s1
	v_lshrrev_b32_e32 v1, s13, v4
	v_mul_lo_u32 v4, v1, s11
	v_mul_hi_u32 v8, s15, v1
	v_sub_u32_e32 v3, v3, v4
	v_add_u32_e32 v4, v1, v8
	v_lshrrev_b32_e32 v4, s28, v4
	v_mul_hi_u32 v9, s30, v4
	v_mul_lo_u32 v10, v4, s14
	v_mul_lo_u32 v8, v3, s2
	;; [unrolled: 1-line block ×3, first 2 shown]
	v_sub_u32_e32 v10, v1, v10
	v_add_u32_e32 v1, v4, v9
	v_lshrrev_b32_e32 v1, s31, v1
	v_mul_lo_u32 v9, v1, s29
	v_mul_lo_u32 v11, v10, s4
	;; [unrolled: 1-line block ×3, first 2 shown]
	v_add3_u32 v0, v5, v0, v8
	v_sub_u32_e32 v4, v4, v9
	v_mul_lo_u32 v9, v4, s6
	v_mul_lo_u32 v4, v4, s7
	v_add3_u32 v2, v6, v2, v3
	v_add3_u32 v0, v11, v0, v9
	;; [unrolled: 1-line block ×3, first 2 shown]
	s_cbranch_scc0 .LBB37_520
	s_branch .LBB37_559
.LBB37_521:
                                        ; implicit-def: $vgpr0
                                        ; implicit-def: $vgpr2
	s_branch .LBB37_563
.LBB37_522:
	v_mov_b32_e32 v0, 0
	v_mov_b32_e32 v2, 0
	s_branch .LBB37_562
.LBB37_523:
	s_mov_b32 s57, 0
	v_mov_b32_e32 v0, 0
	v_mov_b32_e32 v2, 0
	v_mov_b32_e32 v1, v7
.LBB37_524:
	s_and_b32 s4, s58, 3
	s_cmp_eq_u32 s4, 0
	s_cbranch_scc1 .LBB37_527
; %bb.525:
	s_lshl_b32 s0, s57, 3
	s_add_u32 s0, s34, s0
	s_addc_u32 s1, s35, 0
	s_add_u32 s0, s0, 0xc4
	s_addc_u32 s1, s1, 0
	s_mul_i32 s2, s57, 12
	s_add_u32 s2, s34, s2
	s_addc_u32 s3, s35, 0
.LBB37_526:                             ; =>This Inner Loop Header: Depth=1
	s_load_dwordx2 s[6:7], s[2:3], 0x4
	s_load_dword s5, s[2:3], 0xc
	s_load_dwordx2 s[8:9], s[0:1], 0x0
	s_add_u32 s2, s2, 12
	s_addc_u32 s3, s3, 0
	s_waitcnt lgkmcnt(0)
	v_mul_hi_u32 v3, s7, v1
	s_add_u32 s0, s0, 8
	s_addc_u32 s1, s1, 0
	s_add_i32 s4, s4, -1
	v_add_u32_e32 v3, v1, v3
	v_lshrrev_b32_e32 v4, s5, v3
	v_mul_lo_u32 v3, v4, s6
	s_cmp_lg_u32 s4, 0
	v_sub_u32_e32 v3, v1, v3
	v_mad_u64_u32 v[0:1], s[6:7], v3, s8, v[0:1]
	v_mad_u64_u32 v[2:3], s[6:7], v3, s9, v[2:3]
	v_mov_b32_e32 v1, v4
	s_cbranch_scc1 .LBB37_526
.LBB37_527:
	s_cbranch_execnz .LBB37_530
.LBB37_528:
	s_waitcnt lgkmcnt(0)
	v_mul_hi_u32 v0, s25, v7
	s_andn2_b64 vcc, exec, s[42:43]
	v_add_u32_e32 v0, v7, v0
	v_lshrrev_b32_e32 v1, s26, v0
	v_mul_lo_u32 v0, v1, s24
	v_sub_u32_e32 v2, v7, v0
	v_mul_lo_u32 v0, v2, s20
	v_mul_lo_u32 v2, v2, s21
	s_cbranch_vccnz .LBB37_530
; %bb.529:
	v_mul_hi_u32 v3, s40, v1
	v_add_u32_e32 v3, v1, v3
	v_lshrrev_b32_e32 v3, s41, v3
	v_mul_lo_u32 v3, v3, s27
	v_sub_u32_e32 v3, v1, v3
	v_mad_u64_u32 v[0:1], s[0:1], v3, s22, v[0:1]
	v_mad_u64_u32 v[2:3], s[0:1], v3, s23, v[2:3]
.LBB37_530:
	s_waitcnt lgkmcnt(0)
	global_load_ushort v1, v2, s[18:19]
                                        ; implicit-def: $vgpr2
	s_waitcnt vmcnt(0)
	v_lshlrev_b32_e32 v8, 16, v1
	v_cmp_neq_f32_e32 vcc, 0, v8
	s_and_saveexec_b64 s[0:1], vcc
	s_xor_b64 s[2:3], exec, s[0:1]
	s_cbranch_execz .LBB37_552
; %bb.531:
	v_mov_b32_e32 v1, 0
	v_cmp_gt_f32_e32 vcc, 0, v8
	s_mov_b64 s[6:7], -1
	s_and_saveexec_b64 s[4:5], vcc
	s_cbranch_execz .LBB37_539
; %bb.532:
	v_trunc_f32_e32 v1, v8
	v_cmp_neq_f32_e32 vcc, v1, v8
	s_mov_b64 s[8:9], 0
	v_mov_b32_e32 v1, 0
	s_and_saveexec_b64 s[6:7], vcc
	s_cbranch_execz .LBB37_538
; %bb.533:
	v_cvt_f64_f32_e32 v[1:2], v8
	s_mov_b32 s0, 0
	s_mov_b32 s9, 0xc00921fb
	;; [unrolled: 1-line block ×3, first 2 shown]
	v_trunc_f64_e32 v[3:4], v[1:2]
	s_mov_b32 s1, 0x7ff00000
	v_cmp_neq_f64_e64 vcc, |v[1:2]|, s[0:1]
	v_bfrev_b32_e32 v5, 1
	s_mov_b32 s10, 0
	s_mov_b32 s11, 0x41d00000
                                        ; implicit-def: $vgpr9
	v_add_f64 v[3:4], v[1:2], -v[3:4]
	v_mul_f64 v[3:4], |v[3:4]|, s[8:9]
	v_cndmask_b32_e32 v2, v5, v4, vcc
	v_cndmask_b32_e32 v1, 0, v3, vcc
	v_cmp_nlt_f64_e64 s[10:11], |v[1:2]|, s[10:11]
                                        ; implicit-def: $vgpr3_vgpr4
                                        ; implicit-def: $vgpr5_vgpr6
	s_and_saveexec_b64 s[12:13], s[10:11]
	s_xor_b64 s[10:11], exec, s[12:13]
	s_cbranch_execz .LBB37_535
; %bb.534:
	v_trig_preop_f64 v[3:4], |v[1:2]|, 0
	s_mov_b32 s12, 0
	s_mov_b32 s13, 0x7b000000
	s_movk_i32 s9, 0xff80
	v_ldexp_f64 v[9:10], |v[1:2]|, s9
	v_cmp_ge_f64_e64 vcc, |v[1:2]|, s[12:13]
	v_trig_preop_f64 v[5:6], |v[1:2]|, 1
	v_and_b32_e32 v11, 0x7fffffff, v2
	v_trig_preop_f64 v[17:18], |v[1:2]|, 2
	v_mov_b32_e32 v28, 0x40100000
	v_mov_b32_e32 v27, 0
	s_mov_b32 s9, 0x3ff921fb
	v_cndmask_b32_e32 v10, v11, v10, vcc
	v_cndmask_b32_e32 v9, v1, v9, vcc
	v_mul_f64 v[11:12], v[3:4], v[9:10]
	v_mul_f64 v[13:14], v[5:6], v[9:10]
	;; [unrolled: 1-line block ×3, first 2 shown]
	v_fma_f64 v[3:4], v[3:4], v[9:10], -v[11:12]
	v_fma_f64 v[5:6], v[5:6], v[9:10], -v[13:14]
	;; [unrolled: 1-line block ×3, first 2 shown]
	v_add_f64 v[15:16], v[13:14], v[3:4]
	v_add_f64 v[19:20], v[15:16], -v[13:14]
	v_add_f64 v[25:26], v[11:12], v[15:16]
	v_add_f64 v[21:22], v[15:16], -v[19:20]
	v_add_f64 v[3:4], v[3:4], -v[19:20]
	v_add_f64 v[19:20], v[23:24], v[5:6]
	v_add_f64 v[11:12], v[25:26], -v[11:12]
	v_add_f64 v[13:14], v[13:14], -v[21:22]
	v_ldexp_f64 v[21:22], v[25:26], -2
	v_add_f64 v[29:30], v[19:20], -v[23:24]
	v_add_f64 v[11:12], v[15:16], -v[11:12]
	v_add_f64 v[3:4], v[3:4], v[13:14]
	v_fract_f64_e32 v[13:14], v[21:22]
	v_cmp_neq_f64_e64 vcc, |v[21:22]|, s[0:1]
	v_add_f64 v[5:6], v[5:6], -v[29:30]
	v_add_f64 v[15:16], v[19:20], v[3:4]
	v_ldexp_f64 v[13:14], v[13:14], 2
	v_add_f64 v[21:22], v[11:12], v[15:16]
	v_cndmask_b32_e32 v14, 0, v14, vcc
	v_cndmask_b32_e32 v13, 0, v13, vcc
	v_add_f64 v[31:32], v[15:16], -v[19:20]
	v_add_f64 v[25:26], v[21:22], v[13:14]
	v_add_f64 v[11:12], v[21:22], -v[11:12]
	v_add_f64 v[33:34], v[15:16], -v[31:32]
	v_add_f64 v[3:4], v[3:4], -v[31:32]
	v_cmp_gt_f64_e32 vcc, 0, v[25:26]
	v_add_f64 v[25:26], v[19:20], -v[29:30]
	v_add_f64 v[11:12], v[15:16], -v[11:12]
	;; [unrolled: 1-line block ×3, first 2 shown]
	v_cndmask_b32_e32 v28, 0, v28, vcc
	v_add_f64 v[13:14], v[13:14], v[27:28]
	v_add_f64 v[25:26], v[23:24], -v[25:26]
	v_add_f64 v[3:4], v[3:4], v[19:20]
	v_add_f64 v[35:36], v[21:22], v[13:14]
	;; [unrolled: 1-line block ×3, first 2 shown]
	v_cvt_i32_f64_e32 v30, v[35:36]
	v_add_f64 v[3:4], v[5:6], v[3:4]
	v_cvt_f64_i32_e32 v[28:29], v30
	v_add_f64 v[13:14], v[13:14], -v[28:29]
	v_add_f64 v[3:4], v[9:10], v[3:4]
	v_add_f64 v[5:6], v[21:22], v[13:14]
	;; [unrolled: 1-line block ×3, first 2 shown]
	v_mov_b32_e32 v12, 0x3ff00000
	v_add_f64 v[9:10], v[5:6], -v[13:14]
	v_cmp_le_f64_e32 vcc, 0.5, v[5:6]
	v_add_f64 v[10:11], v[21:22], -v[9:10]
	v_cndmask_b32_e32 v28, 0, v12, vcc
	v_add_f64 v[5:6], v[5:6], -v[27:28]
	v_addc_co_u32_e64 v9, s[0:1], 0, v30, vcc
	s_mov_b32 s0, 0x33145c07
	s_mov_b32 s1, 0x3c91a626
	v_add_f64 v[3:4], v[3:4], v[10:11]
	v_add_f64 v[10:11], v[5:6], v[3:4]
	v_mul_f64 v[12:13], v[10:11], s[8:9]
	v_add_f64 v[5:6], v[10:11], -v[5:6]
	v_fma_f64 v[14:15], v[10:11], s[8:9], -v[12:13]
	v_add_f64 v[3:4], v[3:4], -v[5:6]
	v_fma_f64 v[5:6], v[10:11], s[0:1], v[14:15]
	v_fma_f64 v[5:6], v[3:4], s[8:9], v[5:6]
	v_add_f64 v[3:4], v[12:13], v[5:6]
	v_add_f64 v[10:11], v[3:4], -v[12:13]
	v_add_f64 v[5:6], v[5:6], -v[10:11]
.LBB37_535:
	s_andn2_saveexec_b64 s[0:1], s[10:11]
	s_cbranch_execz .LBB37_537
; %bb.536:
	s_mov_b32 s8, 0x6dc9c883
	s_mov_b32 s9, 0x3fe45f30
	v_mul_f64 v[3:4], |v[1:2]|, s[8:9]
	s_mov_b32 s8, 0x54442d18
	s_mov_b32 s9, 0xbff921fb
	s_mov_b32 s11, 0xbc91a626
	s_mov_b32 s10, 0x33145c00
	v_rndne_f64_e32 v[9:10], v[3:4]
	v_fma_f64 v[3:4], v[9:10], s[8:9], |v[1:2]|
	v_mul_f64 v[5:6], v[9:10], s[10:11]
	s_mov_b32 s8, 0x252049c0
	s_mov_b32 s9, 0xb97b839a
	v_fma_f64 v[15:16], v[9:10], s[10:11], v[3:4]
	v_add_f64 v[11:12], v[3:4], v[5:6]
	s_mov_b32 s11, 0x3c91a626
	v_add_f64 v[13:14], v[3:4], -v[11:12]
	v_add_f64 v[11:12], v[11:12], -v[15:16]
	v_add_f64 v[3:4], v[13:14], v[5:6]
	v_fma_f64 v[5:6], v[9:10], s[10:11], v[5:6]
	v_add_f64 v[3:4], v[11:12], v[3:4]
	v_add_f64 v[3:4], v[3:4], -v[5:6]
	v_fma_f64 v[5:6], v[9:10], s[8:9], v[3:4]
	v_cvt_i32_f64_e32 v9, v[9:10]
	v_add_f64 v[3:4], v[15:16], v[5:6]
	v_add_f64 v[11:12], v[3:4], -v[15:16]
	v_add_f64 v[5:6], v[5:6], -v[11:12]
.LBB37_537:
	s_or_b64 exec, exec, s[0:1]
	v_mul_f64 v[10:11], v[3:4], v[3:4]
	v_add_f64 v[12:13], v[5:6], v[5:6]
	s_mov_b32 s0, 0xc751c08c
	s_mov_b32 s1, 0x3ef5e089
	v_and_b32_e32 v9, 1, v9
	v_cmp_eq_u32_e32 vcc, 0, v9
	s_mov_b32 s10, 0x54442d18
	s_mov_b32 s11, 0xc00921fb
	v_fma_f64 v[14:15], v[3:4], v[3:4], -v[10:11]
	s_mov_b64 s[8:9], exec
	v_sub_f32_e32 v8, 1.0, v8
	v_fma_f64 v[12:13], v[3:4], v[12:13], v[14:15]
	v_add_f64 v[10:11], v[10:11], v[12:13]
	v_mov_b32_e32 v12, 0xa9a29f71
	v_mov_b32_e32 v13, 0xbf078809
	v_fma_f64 v[12:13], v[10:11], s[0:1], v[12:13]
	s_mov_b32 s0, 0x90a8aae0
	s_mov_b32 s1, 0x3f17746f
	v_fma_f64 v[12:13], v[10:11], v[12:13], s[0:1]
	s_mov_b32 s0, 0xa6fbf144
	s_mov_b32 s1, 0xbefbb44d
	;; [unrolled: 3-line block ×12, first 2 shown]
	v_fma_f64 v[12:13], v[10:11], v[12:13], s[0:1]
	s_movk_i32 s0, 0x1f8
	v_cmp_class_f64_e64 s[0:1], v[1:2], s0
	v_mul_f64 v[10:11], v[10:11], v[12:13]
	v_mul_f64 v[12:13], v[3:4], v[10:11]
	v_add_f64 v[14:15], v[3:4], v[12:13]
	v_fma_f64 v[10:11], v[3:4], v[10:11], -v[12:13]
	v_add_f64 v[3:4], v[14:15], -v[3:4]
	v_add_f64 v[5:6], v[5:6], v[10:11]
	v_add_f64 v[3:4], v[12:13], -v[3:4]
	v_add_f64 v[3:4], v[5:6], v[3:4]
	v_add_f64 v[5:6], v[14:15], v[3:4]
	v_rcp_f64_e32 v[10:11], v[5:6]
	v_fma_f64 v[12:13], -v[5:6], v[10:11], 1.0
	v_fma_f64 v[10:11], v[12:13], v[10:11], v[10:11]
	v_fma_f64 v[12:13], -v[5:6], v[10:11], 1.0
	v_fma_f64 v[10:11], v[12:13], v[10:11], v[10:11]
	v_add_f64 v[12:13], v[5:6], -v[14:15]
	v_mul_f64 v[14:15], v[5:6], v[10:11]
	v_add_f64 v[3:4], v[3:4], -v[12:13]
	v_fma_f64 v[12:13], v[10:11], v[5:6], -v[14:15]
	v_fma_f64 v[3:4], v[10:11], v[3:4], v[12:13]
	v_add_f64 v[12:13], v[14:15], v[3:4]
	v_add_f64 v[16:17], -v[12:13], 1.0
	v_add_f64 v[14:15], v[12:13], -v[14:15]
	v_add_f64 v[18:19], -v[16:17], 1.0
	v_add_f64 v[3:4], v[14:15], -v[3:4]
	v_add_f64 v[12:13], v[18:19], -v[12:13]
	v_add_f64 v[3:4], v[3:4], v[12:13]
	v_add_f64 v[3:4], v[16:17], v[3:4]
	v_mul_f64 v[3:4], v[10:11], v[3:4]
	v_add_f64 v[3:4], v[10:11], v[3:4]
	v_and_b32_e32 v10, 0x80000000, v2
	v_mov_b32_e32 v2, 0x7ff80000
	v_xor_b32_e32 v1, 0x80000000, v4
	v_cndmask_b32_e32 v3, v3, v5, vcc
	v_cndmask_b32_e32 v4, v1, v6, vcc
	v_cndmask_b32_e64 v1, 0, v3, s[0:1]
	v_xor_b32_e32 v3, v4, v10
	v_cndmask_b32_e64 v2, v2, v3, s[0:1]
	v_div_scale_f64 v[3:4], s[0:1], v[1:2], v[1:2], s[10:11]
	v_div_scale_f64 v[11:12], vcc, s[10:11], v[1:2], s[10:11]
	v_rcp_f64_e32 v[5:6], v[3:4]
	v_fma_f64 v[9:10], -v[3:4], v[5:6], 1.0
	v_fma_f64 v[5:6], v[5:6], v[9:10], v[5:6]
	v_fma_f64 v[9:10], -v[3:4], v[5:6], 1.0
	v_fma_f64 v[5:6], v[5:6], v[9:10], v[5:6]
	v_mul_f64 v[9:10], v[11:12], v[5:6]
	v_fma_f64 v[3:4], -v[3:4], v[9:10], v[11:12]
	v_div_fmas_f64 v[3:4], v[3:4], v[5:6], v[9:10]
	v_div_fixup_f64 v[1:2], v[3:4], v[1:2], s[10:11]
	v_cvt_f32_f64_e32 v1, v[1:2]
.LBB37_538:
	s_or_b64 exec, exec, s[6:7]
	s_orn2_b64 s[6:7], s[8:9], exec
.LBB37_539:
	s_or_b64 exec, exec, s[4:5]
	v_mov_b32_e32 v2, 0x7fc0
	s_and_saveexec_b64 s[0:1], s[6:7]
	s_cbranch_execz .LBB37_551
; %bb.540:
	s_mov_b32 s8, 0x41200000
	v_cmp_gt_f32_e32 vcc, s8, v8
	s_and_saveexec_b64 s[4:5], vcc
	s_cbranch_execz .LBB37_544
; %bb.541:
	s_mov_b64 s[6:7], 0
.LBB37_542:                             ; =>This Inner Loop Header: Depth=1
	v_div_scale_f32 v2, s[10:11], v8, v8, 1.0
	v_div_scale_f32 v3, vcc, 1.0, v8, 1.0
	v_rcp_f32_e32 v4, v2
	v_fma_f32 v5, -v2, v4, 1.0
	v_fmac_f32_e32 v4, v5, v4
	v_mul_f32_e32 v5, v3, v4
	v_fma_f32 v6, -v2, v5, v3
	v_fmac_f32_e32 v5, v6, v4
	v_fma_f32 v2, -v2, v5, v3
	v_div_fmas_f32 v2, v2, v4, v5
	v_div_fixup_f32 v2, v2, v8, 1.0
	v_add_f32_e32 v8, 1.0, v8
	v_cmp_ngt_f32_e32 vcc, s8, v8
	s_or_b64 s[6:7], vcc, s[6:7]
	v_sub_f32_e32 v1, v1, v2
	s_andn2_b64 exec, exec, s[6:7]
	s_cbranch_execnz .LBB37_542
; %bb.543:
	s_or_b64 exec, exec, s[6:7]
.LBB37_544:
	s_or_b64 exec, exec, s[4:5]
	s_mov_b32 s4, 0x41200000
	v_cmp_neq_f32_e32 vcc, s4, v8
                                        ; implicit-def: $vgpr2
	s_and_saveexec_b64 s[4:5], vcc
	s_xor_b64 s[4:5], exec, s[4:5]
	s_cbranch_execz .LBB37_548
; %bb.545:
	v_cvt_f64_f32_e32 v[2:3], v8
	s_mov_b32 s6, 0x85d8a000
	s_mov_b32 s7, 0x43763457
	v_cmp_gt_f64_e32 vcc, s[6:7], v[2:3]
	v_mov_b32_e32 v2, 0
	s_and_saveexec_b64 s[6:7], vcc
	s_cbranch_execz .LBB37_547
; %bb.546:
	v_mul_f32_e32 v2, v8, v8
	v_div_scale_f32 v3, s[8:9], v2, v2, 1.0
	v_div_scale_f32 v4, vcc, 1.0, v2, 1.0
	v_mov_b32_e32 v10, 0x3b820821
	v_rcp_f32_e32 v5, v3
	v_fma_f32 v6, -v3, v5, 1.0
	v_fmac_f32_e32 v5, v6, v5
	v_mul_f32_e32 v6, v4, v5
	v_fma_f32 v9, -v3, v6, v4
	v_fmac_f32_e32 v6, v9, v5
	v_fma_f32 v3, -v3, v6, v4
	v_div_fmas_f32 v3, v3, v5, v6
	v_mov_b32_e32 v4, 0x3daaaaab
	v_mov_b32_e32 v5, 0xbcaccacd
	;; [unrolled: 1-line block ×4, first 2 shown]
	v_div_fixup_f32 v2, v3, v2, 1.0
	v_fma_f32 v3, 0, v2, v4
	v_fmac_f32_e32 v5, v2, v3
	v_fmac_f32_e32 v6, v2, v5
	;; [unrolled: 1-line block ×4, first 2 shown]
	v_mov_b32_e32 v3, 0xbc088889
	v_fmac_f32_e32 v3, v2, v10
	v_fmac_f32_e32 v4, v2, v3
	v_mul_f32_e32 v2, v2, v4
.LBB37_547:
	s_or_b64 exec, exec, s[6:7]
	v_div_scale_f32 v3, s[6:7], v8, v8, -0.5
	v_div_scale_f32 v4, vcc, -0.5, v8, -0.5
	s_mov_b32 s6, 0x800000
	s_mov_b32 s7, 0x3f317217
	;; [unrolled: 1-line block ×3, first 2 shown]
	v_rcp_f32_e32 v5, v3
	v_fma_f32 v6, -v3, v5, 1.0
	v_fmac_f32_e32 v5, v6, v5
	v_mul_f32_e32 v6, v4, v5
	v_fma_f32 v9, -v3, v6, v4
	v_fmac_f32_e32 v6, v9, v5
	v_fma_f32 v3, -v3, v6, v4
	v_div_fmas_f32 v3, v3, v5, v6
	v_cmp_gt_f32_e32 vcc, s6, v8
	v_cndmask_b32_e64 v5, 0, 32, vcc
	v_ldexp_f32 v5, v8, v5
	v_log_f32_e32 v5, v5
	v_mov_b32_e32 v4, 0x41b17218
	v_cndmask_b32_e32 v4, 0, v4, vcc
	s_movk_i32 s6, 0x7fff
	v_mul_f32_e32 v9, 0x3f317217, v5
	v_fma_f32 v9, v5, s7, -v9
	v_fmac_f32_e32 v9, 0x3377d1cf, v5
	v_fmac_f32_e32 v9, 0x3f317217, v5
	v_cmp_lt_f32_e64 vcc, |v5|, s8
	v_cndmask_b32_e32 v5, v5, v9, vcc
	v_sub_f32_e32 v4, v5, v4
	v_mov_b32_e32 v6, 0x7fc0
	v_div_fixup_f32 v3, v3, v8, -0.5
	v_add_f32_e32 v3, v4, v3
	v_sub_f32_e32 v2, v3, v2
	v_add_f32_e32 v1, v1, v2
	v_bfe_u32 v2, v1, 16, 1
	v_cmp_o_f32_e32 vcc, v1, v1
	v_add3_u32 v1, v1, v2, s6
	v_cndmask_b32_sdwa v2, v6, v1, vcc dst_sel:DWORD dst_unused:UNUSED_PAD src0_sel:DWORD src1_sel:WORD_1
                                        ; implicit-def: $vgpr1
.LBB37_548:
	s_andn2_saveexec_b64 s[4:5], s[4:5]
; %bb.549:
	v_add_f32_e32 v1, 0x40101cb7, v1
	v_bfe_u32 v2, v1, 16, 1
	s_movk_i32 s6, 0x7fff
	v_add3_u32 v2, v1, v2, s6
	v_cmp_o_f32_e32 vcc, v1, v1
	v_mov_b32_e32 v1, 0x7fc0
	v_cndmask_b32_sdwa v2, v1, v2, vcc dst_sel:DWORD dst_unused:UNUSED_PAD src0_sel:DWORD src1_sel:WORD_1
; %bb.550:
	s_or_b64 exec, exec, s[4:5]
.LBB37_551:
	s_or_b64 exec, exec, s[0:1]
                                        ; implicit-def: $vgpr8
.LBB37_552:
	s_andn2_saveexec_b64 s[0:1], s[2:3]
; %bb.553:
	v_xor_b32_e32 v1, 0x80000000, v8
	v_and_b32_e32 v1, 0x80000000, v1
	v_or_b32_e32 v1, 0x7f800000, v1
	v_lshrrev_b32_e32 v2, 16, v1
; %bb.554:
	s_or_b64 exec, exec, s[0:1]
	v_add_u32_e32 v7, 0x80, v7
	global_store_short v0, v2, s[16:17]
	s_or_b64 exec, exec, s[48:49]
	v_cmp_gt_i32_e32 vcc, s55, v7
	s_and_saveexec_b64 s[48:49], vcc
	s_cbranch_execnz .LBB37_516
.LBB37_555:
	s_or_b64 exec, exec, s[48:49]
	v_cmp_gt_i32_e32 vcc, s55, v7
	s_and_saveexec_b64 s[48:49], vcc
	s_cbranch_execnz .LBB37_590
.LBB37_556:
	s_or_b64 exec, exec, s[48:49]
                                        ; implicit-def: $vgpr25
                                        ; implicit-def: $vgpr7
	s_andn2_saveexec_b64 s[0:1], s[38:39]
	s_cbranch_execnz .LBB37_8
.LBB37_557:
	s_endpgm
.LBB37_558:
	s_mov_b32 s57, 0
	v_mov_b32_e32 v0, 0
	v_mov_b32_e32 v2, 0
	;; [unrolled: 1-line block ×3, first 2 shown]
.LBB37_559:
	s_and_b32 s4, s58, 3
	s_cmp_eq_u32 s4, 0
	s_cbranch_scc1 .LBB37_562
; %bb.560:
	s_lshl_b32 s0, s57, 3
	s_add_u32 s0, s34, s0
	s_addc_u32 s1, s35, 0
	s_add_u32 s0, s0, 0xc4
	s_addc_u32 s1, s1, 0
	s_mul_i32 s2, s57, 12
	s_add_u32 s2, s34, s2
	s_addc_u32 s3, s35, 0
.LBB37_561:                             ; =>This Inner Loop Header: Depth=1
	s_load_dwordx2 s[6:7], s[2:3], 0x4
	s_load_dword s5, s[2:3], 0xc
	s_load_dwordx2 s[8:9], s[0:1], 0x0
	s_add_u32 s2, s2, 12
	s_addc_u32 s3, s3, 0
	s_waitcnt lgkmcnt(0)
	v_mul_hi_u32 v3, s7, v1
	s_add_u32 s0, s0, 8
	s_addc_u32 s1, s1, 0
	s_add_i32 s4, s4, -1
	v_add_u32_e32 v3, v1, v3
	v_lshrrev_b32_e32 v4, s5, v3
	v_mul_lo_u32 v3, v4, s6
	s_cmp_lg_u32 s4, 0
	v_sub_u32_e32 v3, v1, v3
	v_mad_u64_u32 v[0:1], s[6:7], v3, s8, v[0:1]
	v_mad_u64_u32 v[2:3], s[6:7], v3, s9, v[2:3]
	v_mov_b32_e32 v1, v4
	s_cbranch_scc1 .LBB37_561
.LBB37_562:
	s_cbranch_execnz .LBB37_565
.LBB37_563:
	s_waitcnt lgkmcnt(0)
	v_mul_hi_u32 v0, s25, v7
	s_andn2_b64 vcc, exec, s[42:43]
	v_add_u32_e32 v0, v7, v0
	v_lshrrev_b32_e32 v1, s26, v0
	v_mul_lo_u32 v0, v1, s24
	v_sub_u32_e32 v2, v7, v0
	v_mul_lo_u32 v0, v2, s20
	v_mul_lo_u32 v2, v2, s21
	s_cbranch_vccnz .LBB37_565
; %bb.564:
	v_mul_hi_u32 v3, s40, v1
	v_add_u32_e32 v3, v1, v3
	v_lshrrev_b32_e32 v3, s41, v3
	v_mul_lo_u32 v3, v3, s27
	v_sub_u32_e32 v3, v1, v3
	v_mad_u64_u32 v[0:1], s[0:1], v3, s22, v[0:1]
	v_mad_u64_u32 v[2:3], s[0:1], v3, s23, v[2:3]
.LBB37_565:
	s_waitcnt lgkmcnt(0)
	global_load_ushort v1, v2, s[18:19]
                                        ; implicit-def: $vgpr2
	s_waitcnt vmcnt(0)
	v_lshlrev_b32_e32 v8, 16, v1
	v_cmp_neq_f32_e32 vcc, 0, v8
	s_and_saveexec_b64 s[0:1], vcc
	s_xor_b64 s[2:3], exec, s[0:1]
	s_cbranch_execz .LBB37_587
; %bb.566:
	v_mov_b32_e32 v1, 0
	v_cmp_gt_f32_e32 vcc, 0, v8
	s_mov_b64 s[6:7], -1
	s_and_saveexec_b64 s[4:5], vcc
	s_cbranch_execz .LBB37_574
; %bb.567:
	v_trunc_f32_e32 v1, v8
	v_cmp_neq_f32_e32 vcc, v1, v8
	s_mov_b64 s[8:9], 0
	v_mov_b32_e32 v1, 0
	s_and_saveexec_b64 s[6:7], vcc
	s_cbranch_execz .LBB37_573
; %bb.568:
	v_cvt_f64_f32_e32 v[1:2], v8
	s_mov_b32 s0, 0
	s_mov_b32 s9, 0xc00921fb
	;; [unrolled: 1-line block ×3, first 2 shown]
	v_trunc_f64_e32 v[3:4], v[1:2]
	s_mov_b32 s1, 0x7ff00000
	v_cmp_neq_f64_e64 vcc, |v[1:2]|, s[0:1]
	v_bfrev_b32_e32 v5, 1
	s_mov_b32 s10, 0
	s_mov_b32 s11, 0x41d00000
                                        ; implicit-def: $vgpr9
	v_add_f64 v[3:4], v[1:2], -v[3:4]
	v_mul_f64 v[3:4], |v[3:4]|, s[8:9]
	v_cndmask_b32_e32 v2, v5, v4, vcc
	v_cndmask_b32_e32 v1, 0, v3, vcc
	v_cmp_nlt_f64_e64 s[10:11], |v[1:2]|, s[10:11]
                                        ; implicit-def: $vgpr3_vgpr4
                                        ; implicit-def: $vgpr5_vgpr6
	s_and_saveexec_b64 s[12:13], s[10:11]
	s_xor_b64 s[10:11], exec, s[12:13]
	s_cbranch_execz .LBB37_570
; %bb.569:
	v_trig_preop_f64 v[3:4], |v[1:2]|, 0
	s_mov_b32 s12, 0
	s_mov_b32 s13, 0x7b000000
	s_movk_i32 s9, 0xff80
	v_ldexp_f64 v[9:10], |v[1:2]|, s9
	v_cmp_ge_f64_e64 vcc, |v[1:2]|, s[12:13]
	v_trig_preop_f64 v[5:6], |v[1:2]|, 1
	v_and_b32_e32 v11, 0x7fffffff, v2
	v_trig_preop_f64 v[17:18], |v[1:2]|, 2
	v_mov_b32_e32 v28, 0x40100000
	v_mov_b32_e32 v27, 0
	s_mov_b32 s9, 0x3ff921fb
	v_cndmask_b32_e32 v10, v11, v10, vcc
	v_cndmask_b32_e32 v9, v1, v9, vcc
	v_mul_f64 v[11:12], v[3:4], v[9:10]
	v_mul_f64 v[13:14], v[5:6], v[9:10]
	;; [unrolled: 1-line block ×3, first 2 shown]
	v_fma_f64 v[3:4], v[3:4], v[9:10], -v[11:12]
	v_fma_f64 v[5:6], v[5:6], v[9:10], -v[13:14]
	;; [unrolled: 1-line block ×3, first 2 shown]
	v_add_f64 v[15:16], v[13:14], v[3:4]
	v_add_f64 v[19:20], v[15:16], -v[13:14]
	v_add_f64 v[25:26], v[11:12], v[15:16]
	v_add_f64 v[21:22], v[15:16], -v[19:20]
	v_add_f64 v[3:4], v[3:4], -v[19:20]
	v_add_f64 v[19:20], v[23:24], v[5:6]
	v_add_f64 v[11:12], v[25:26], -v[11:12]
	v_add_f64 v[13:14], v[13:14], -v[21:22]
	v_ldexp_f64 v[21:22], v[25:26], -2
	v_add_f64 v[29:30], v[19:20], -v[23:24]
	v_add_f64 v[11:12], v[15:16], -v[11:12]
	v_add_f64 v[3:4], v[3:4], v[13:14]
	v_fract_f64_e32 v[13:14], v[21:22]
	v_cmp_neq_f64_e64 vcc, |v[21:22]|, s[0:1]
	v_add_f64 v[5:6], v[5:6], -v[29:30]
	v_add_f64 v[15:16], v[19:20], v[3:4]
	v_ldexp_f64 v[13:14], v[13:14], 2
	v_add_f64 v[21:22], v[11:12], v[15:16]
	v_cndmask_b32_e32 v14, 0, v14, vcc
	v_cndmask_b32_e32 v13, 0, v13, vcc
	v_add_f64 v[31:32], v[15:16], -v[19:20]
	v_add_f64 v[25:26], v[21:22], v[13:14]
	v_add_f64 v[11:12], v[21:22], -v[11:12]
	v_add_f64 v[33:34], v[15:16], -v[31:32]
	;; [unrolled: 1-line block ×3, first 2 shown]
	v_cmp_gt_f64_e32 vcc, 0, v[25:26]
	v_add_f64 v[25:26], v[19:20], -v[29:30]
	v_add_f64 v[11:12], v[15:16], -v[11:12]
	;; [unrolled: 1-line block ×3, first 2 shown]
	v_cndmask_b32_e32 v28, 0, v28, vcc
	v_add_f64 v[13:14], v[13:14], v[27:28]
	v_add_f64 v[25:26], v[23:24], -v[25:26]
	v_add_f64 v[3:4], v[3:4], v[19:20]
	v_add_f64 v[35:36], v[21:22], v[13:14]
	v_add_f64 v[5:6], v[5:6], v[25:26]
	v_cvt_i32_f64_e32 v30, v[35:36]
	v_add_f64 v[3:4], v[5:6], v[3:4]
	v_cvt_f64_i32_e32 v[28:29], v30
	v_add_f64 v[13:14], v[13:14], -v[28:29]
	v_add_f64 v[3:4], v[9:10], v[3:4]
	v_add_f64 v[5:6], v[21:22], v[13:14]
	;; [unrolled: 1-line block ×3, first 2 shown]
	v_mov_b32_e32 v12, 0x3ff00000
	v_add_f64 v[9:10], v[5:6], -v[13:14]
	v_cmp_le_f64_e32 vcc, 0.5, v[5:6]
	v_add_f64 v[10:11], v[21:22], -v[9:10]
	v_cndmask_b32_e32 v28, 0, v12, vcc
	v_add_f64 v[5:6], v[5:6], -v[27:28]
	v_addc_co_u32_e64 v9, s[0:1], 0, v30, vcc
	s_mov_b32 s0, 0x33145c07
	s_mov_b32 s1, 0x3c91a626
	v_add_f64 v[3:4], v[3:4], v[10:11]
	v_add_f64 v[10:11], v[5:6], v[3:4]
	v_mul_f64 v[12:13], v[10:11], s[8:9]
	v_add_f64 v[5:6], v[10:11], -v[5:6]
	v_fma_f64 v[14:15], v[10:11], s[8:9], -v[12:13]
	v_add_f64 v[3:4], v[3:4], -v[5:6]
	v_fma_f64 v[5:6], v[10:11], s[0:1], v[14:15]
	v_fma_f64 v[5:6], v[3:4], s[8:9], v[5:6]
	v_add_f64 v[3:4], v[12:13], v[5:6]
	v_add_f64 v[10:11], v[3:4], -v[12:13]
	v_add_f64 v[5:6], v[5:6], -v[10:11]
.LBB37_570:
	s_andn2_saveexec_b64 s[0:1], s[10:11]
	s_cbranch_execz .LBB37_572
; %bb.571:
	s_mov_b32 s8, 0x6dc9c883
	s_mov_b32 s9, 0x3fe45f30
	v_mul_f64 v[3:4], |v[1:2]|, s[8:9]
	s_mov_b32 s8, 0x54442d18
	s_mov_b32 s9, 0xbff921fb
	;; [unrolled: 1-line block ×4, first 2 shown]
	v_rndne_f64_e32 v[9:10], v[3:4]
	v_fma_f64 v[3:4], v[9:10], s[8:9], |v[1:2]|
	v_mul_f64 v[5:6], v[9:10], s[10:11]
	s_mov_b32 s8, 0x252049c0
	s_mov_b32 s9, 0xb97b839a
	v_fma_f64 v[15:16], v[9:10], s[10:11], v[3:4]
	v_add_f64 v[11:12], v[3:4], v[5:6]
	s_mov_b32 s11, 0x3c91a626
	v_add_f64 v[13:14], v[3:4], -v[11:12]
	v_add_f64 v[11:12], v[11:12], -v[15:16]
	v_add_f64 v[3:4], v[13:14], v[5:6]
	v_fma_f64 v[5:6], v[9:10], s[10:11], v[5:6]
	v_add_f64 v[3:4], v[11:12], v[3:4]
	v_add_f64 v[3:4], v[3:4], -v[5:6]
	v_fma_f64 v[5:6], v[9:10], s[8:9], v[3:4]
	v_cvt_i32_f64_e32 v9, v[9:10]
	v_add_f64 v[3:4], v[15:16], v[5:6]
	v_add_f64 v[11:12], v[3:4], -v[15:16]
	v_add_f64 v[5:6], v[5:6], -v[11:12]
.LBB37_572:
	s_or_b64 exec, exec, s[0:1]
	v_mul_f64 v[10:11], v[3:4], v[3:4]
	v_add_f64 v[12:13], v[5:6], v[5:6]
	s_mov_b32 s0, 0xc751c08c
	s_mov_b32 s1, 0x3ef5e089
	v_and_b32_e32 v9, 1, v9
	v_cmp_eq_u32_e32 vcc, 0, v9
	s_mov_b32 s10, 0x54442d18
	s_mov_b32 s11, 0xc00921fb
	v_fma_f64 v[14:15], v[3:4], v[3:4], -v[10:11]
	s_mov_b64 s[8:9], exec
	v_sub_f32_e32 v8, 1.0, v8
	v_fma_f64 v[12:13], v[3:4], v[12:13], v[14:15]
	v_add_f64 v[10:11], v[10:11], v[12:13]
	v_mov_b32_e32 v12, 0xa9a29f71
	v_mov_b32_e32 v13, 0xbf078809
	v_fma_f64 v[12:13], v[10:11], s[0:1], v[12:13]
	s_mov_b32 s0, 0x90a8aae0
	s_mov_b32 s1, 0x3f17746f
	v_fma_f64 v[12:13], v[10:11], v[12:13], s[0:1]
	s_mov_b32 s0, 0xa6fbf144
	s_mov_b32 s1, 0xbefbb44d
	;; [unrolled: 3-line block ×12, first 2 shown]
	v_fma_f64 v[12:13], v[10:11], v[12:13], s[0:1]
	s_movk_i32 s0, 0x1f8
	v_cmp_class_f64_e64 s[0:1], v[1:2], s0
	v_mul_f64 v[10:11], v[10:11], v[12:13]
	v_mul_f64 v[12:13], v[3:4], v[10:11]
	v_add_f64 v[14:15], v[3:4], v[12:13]
	v_fma_f64 v[10:11], v[3:4], v[10:11], -v[12:13]
	v_add_f64 v[3:4], v[14:15], -v[3:4]
	v_add_f64 v[5:6], v[5:6], v[10:11]
	v_add_f64 v[3:4], v[12:13], -v[3:4]
	v_add_f64 v[3:4], v[5:6], v[3:4]
	v_add_f64 v[5:6], v[14:15], v[3:4]
	v_rcp_f64_e32 v[10:11], v[5:6]
	v_fma_f64 v[12:13], -v[5:6], v[10:11], 1.0
	v_fma_f64 v[10:11], v[12:13], v[10:11], v[10:11]
	v_fma_f64 v[12:13], -v[5:6], v[10:11], 1.0
	v_fma_f64 v[10:11], v[12:13], v[10:11], v[10:11]
	v_add_f64 v[12:13], v[5:6], -v[14:15]
	v_mul_f64 v[14:15], v[5:6], v[10:11]
	v_add_f64 v[3:4], v[3:4], -v[12:13]
	v_fma_f64 v[12:13], v[10:11], v[5:6], -v[14:15]
	v_fma_f64 v[3:4], v[10:11], v[3:4], v[12:13]
	v_add_f64 v[12:13], v[14:15], v[3:4]
	v_add_f64 v[16:17], -v[12:13], 1.0
	v_add_f64 v[14:15], v[12:13], -v[14:15]
	v_add_f64 v[18:19], -v[16:17], 1.0
	v_add_f64 v[3:4], v[14:15], -v[3:4]
	v_add_f64 v[12:13], v[18:19], -v[12:13]
	v_add_f64 v[3:4], v[3:4], v[12:13]
	v_add_f64 v[3:4], v[16:17], v[3:4]
	v_mul_f64 v[3:4], v[10:11], v[3:4]
	v_add_f64 v[3:4], v[10:11], v[3:4]
	v_and_b32_e32 v10, 0x80000000, v2
	v_mov_b32_e32 v2, 0x7ff80000
	v_xor_b32_e32 v1, 0x80000000, v4
	v_cndmask_b32_e32 v3, v3, v5, vcc
	v_cndmask_b32_e32 v4, v1, v6, vcc
	v_cndmask_b32_e64 v1, 0, v3, s[0:1]
	v_xor_b32_e32 v3, v4, v10
	v_cndmask_b32_e64 v2, v2, v3, s[0:1]
	v_div_scale_f64 v[3:4], s[0:1], v[1:2], v[1:2], s[10:11]
	v_div_scale_f64 v[11:12], vcc, s[10:11], v[1:2], s[10:11]
	v_rcp_f64_e32 v[5:6], v[3:4]
	v_fma_f64 v[9:10], -v[3:4], v[5:6], 1.0
	v_fma_f64 v[5:6], v[5:6], v[9:10], v[5:6]
	v_fma_f64 v[9:10], -v[3:4], v[5:6], 1.0
	v_fma_f64 v[5:6], v[5:6], v[9:10], v[5:6]
	v_mul_f64 v[9:10], v[11:12], v[5:6]
	v_fma_f64 v[3:4], -v[3:4], v[9:10], v[11:12]
	v_div_fmas_f64 v[3:4], v[3:4], v[5:6], v[9:10]
	v_div_fixup_f64 v[1:2], v[3:4], v[1:2], s[10:11]
	v_cvt_f32_f64_e32 v1, v[1:2]
.LBB37_573:
	s_or_b64 exec, exec, s[6:7]
	s_orn2_b64 s[6:7], s[8:9], exec
.LBB37_574:
	s_or_b64 exec, exec, s[4:5]
	v_mov_b32_e32 v2, 0x7fc0
	s_and_saveexec_b64 s[0:1], s[6:7]
	s_cbranch_execz .LBB37_586
; %bb.575:
	s_mov_b32 s8, 0x41200000
	v_cmp_gt_f32_e32 vcc, s8, v8
	s_and_saveexec_b64 s[4:5], vcc
	s_cbranch_execz .LBB37_579
; %bb.576:
	s_mov_b64 s[6:7], 0
.LBB37_577:                             ; =>This Inner Loop Header: Depth=1
	v_div_scale_f32 v2, s[10:11], v8, v8, 1.0
	v_div_scale_f32 v3, vcc, 1.0, v8, 1.0
	v_rcp_f32_e32 v4, v2
	v_fma_f32 v5, -v2, v4, 1.0
	v_fmac_f32_e32 v4, v5, v4
	v_mul_f32_e32 v5, v3, v4
	v_fma_f32 v6, -v2, v5, v3
	v_fmac_f32_e32 v5, v6, v4
	v_fma_f32 v2, -v2, v5, v3
	v_div_fmas_f32 v2, v2, v4, v5
	v_div_fixup_f32 v2, v2, v8, 1.0
	v_add_f32_e32 v8, 1.0, v8
	v_cmp_ngt_f32_e32 vcc, s8, v8
	s_or_b64 s[6:7], vcc, s[6:7]
	v_sub_f32_e32 v1, v1, v2
	s_andn2_b64 exec, exec, s[6:7]
	s_cbranch_execnz .LBB37_577
; %bb.578:
	s_or_b64 exec, exec, s[6:7]
.LBB37_579:
	s_or_b64 exec, exec, s[4:5]
	s_mov_b32 s4, 0x41200000
	v_cmp_neq_f32_e32 vcc, s4, v8
                                        ; implicit-def: $vgpr2
	s_and_saveexec_b64 s[4:5], vcc
	s_xor_b64 s[4:5], exec, s[4:5]
	s_cbranch_execz .LBB37_583
; %bb.580:
	v_cvt_f64_f32_e32 v[2:3], v8
	s_mov_b32 s6, 0x85d8a000
	s_mov_b32 s7, 0x43763457
	v_cmp_gt_f64_e32 vcc, s[6:7], v[2:3]
	v_mov_b32_e32 v2, 0
	s_and_saveexec_b64 s[6:7], vcc
	s_cbranch_execz .LBB37_582
; %bb.581:
	v_mul_f32_e32 v2, v8, v8
	v_div_scale_f32 v3, s[8:9], v2, v2, 1.0
	v_div_scale_f32 v4, vcc, 1.0, v2, 1.0
	v_mov_b32_e32 v10, 0x3b820821
	v_rcp_f32_e32 v5, v3
	v_fma_f32 v6, -v3, v5, 1.0
	v_fmac_f32_e32 v5, v6, v5
	v_mul_f32_e32 v6, v4, v5
	v_fma_f32 v9, -v3, v6, v4
	v_fmac_f32_e32 v6, v9, v5
	v_fma_f32 v3, -v3, v6, v4
	v_div_fmas_f32 v3, v3, v5, v6
	v_mov_b32_e32 v4, 0x3daaaaab
	v_mov_b32_e32 v5, 0xbcaccacd
	;; [unrolled: 1-line block ×4, first 2 shown]
	v_div_fixup_f32 v2, v3, v2, 1.0
	v_fma_f32 v3, 0, v2, v4
	v_fmac_f32_e32 v5, v2, v3
	v_fmac_f32_e32 v6, v2, v5
	;; [unrolled: 1-line block ×4, first 2 shown]
	v_mov_b32_e32 v3, 0xbc088889
	v_fmac_f32_e32 v3, v2, v10
	v_fmac_f32_e32 v4, v2, v3
	v_mul_f32_e32 v2, v2, v4
.LBB37_582:
	s_or_b64 exec, exec, s[6:7]
	v_div_scale_f32 v3, s[6:7], v8, v8, -0.5
	v_div_scale_f32 v4, vcc, -0.5, v8, -0.5
	s_mov_b32 s6, 0x800000
	s_mov_b32 s7, 0x3f317217
	;; [unrolled: 1-line block ×3, first 2 shown]
	v_rcp_f32_e32 v5, v3
	v_fma_f32 v6, -v3, v5, 1.0
	v_fmac_f32_e32 v5, v6, v5
	v_mul_f32_e32 v6, v4, v5
	v_fma_f32 v9, -v3, v6, v4
	v_fmac_f32_e32 v6, v9, v5
	v_fma_f32 v3, -v3, v6, v4
	v_div_fmas_f32 v3, v3, v5, v6
	v_cmp_gt_f32_e32 vcc, s6, v8
	v_cndmask_b32_e64 v5, 0, 32, vcc
	v_ldexp_f32 v5, v8, v5
	v_log_f32_e32 v5, v5
	v_mov_b32_e32 v4, 0x41b17218
	v_cndmask_b32_e32 v4, 0, v4, vcc
	s_movk_i32 s6, 0x7fff
	v_mul_f32_e32 v9, 0x3f317217, v5
	v_fma_f32 v9, v5, s7, -v9
	v_fmac_f32_e32 v9, 0x3377d1cf, v5
	v_fmac_f32_e32 v9, 0x3f317217, v5
	v_cmp_lt_f32_e64 vcc, |v5|, s8
	v_cndmask_b32_e32 v5, v5, v9, vcc
	v_sub_f32_e32 v4, v5, v4
	v_mov_b32_e32 v6, 0x7fc0
	v_div_fixup_f32 v3, v3, v8, -0.5
	v_add_f32_e32 v3, v4, v3
	v_sub_f32_e32 v2, v3, v2
	v_add_f32_e32 v1, v1, v2
	v_bfe_u32 v2, v1, 16, 1
	v_cmp_o_f32_e32 vcc, v1, v1
	v_add3_u32 v1, v1, v2, s6
	v_cndmask_b32_sdwa v2, v6, v1, vcc dst_sel:DWORD dst_unused:UNUSED_PAD src0_sel:DWORD src1_sel:WORD_1
                                        ; implicit-def: $vgpr1
.LBB37_583:
	s_andn2_saveexec_b64 s[4:5], s[4:5]
; %bb.584:
	v_add_f32_e32 v1, 0x40101cb7, v1
	v_bfe_u32 v2, v1, 16, 1
	s_movk_i32 s6, 0x7fff
	v_add3_u32 v2, v1, v2, s6
	v_cmp_o_f32_e32 vcc, v1, v1
	v_mov_b32_e32 v1, 0x7fc0
	v_cndmask_b32_sdwa v2, v1, v2, vcc dst_sel:DWORD dst_unused:UNUSED_PAD src0_sel:DWORD src1_sel:WORD_1
; %bb.585:
	s_or_b64 exec, exec, s[4:5]
.LBB37_586:
	s_or_b64 exec, exec, s[0:1]
                                        ; implicit-def: $vgpr8
.LBB37_587:
	s_andn2_saveexec_b64 s[0:1], s[2:3]
; %bb.588:
	v_xor_b32_e32 v1, 0x80000000, v8
	v_and_b32_e32 v1, 0x80000000, v1
	v_or_b32_e32 v1, 0x7f800000, v1
	v_lshrrev_b32_e32 v2, 16, v1
; %bb.589:
	s_or_b64 exec, exec, s[0:1]
	v_add_u32_e32 v7, 0x80, v7
	global_store_short v0, v2, s[16:17]
	s_or_b64 exec, exec, s[48:49]
	v_cmp_gt_i32_e32 vcc, s55, v7
	s_and_saveexec_b64 s[48:49], vcc
	s_cbranch_execz .LBB37_556
.LBB37_590:
	s_andn2_b64 vcc, exec, s[36:37]
	s_cbranch_vccnz .LBB37_595
; %bb.591:
	s_andn2_b64 vcc, exec, s[46:47]
	s_cbranch_vccnz .LBB37_596
; %bb.592:
	s_add_i32 s56, s56, 1
	s_cmp_eq_u32 s54, 2
	s_cbranch_scc1 .LBB37_597
; %bb.593:
	s_and_b32 s50, s56, 28
	v_mov_b32_e32 v2, 0
	s_mov_b32 s51, 0
	s_mov_b64 s[46:47], s[34:35]
	v_mov_b32_e32 v0, 0
	v_mov_b32_e32 v1, v7
.LBB37_594:                             ; =>This Inner Loop Header: Depth=1
	s_load_dwordx8 s[8:15], s[46:47], 0x4
	s_load_dwordx4 s[28:31], s[46:47], 0x24
	s_load_dwordx8 s[0:7], s[44:45], 0x0
	s_add_u32 s46, s46, 48
	s_addc_u32 s47, s47, 0
	s_waitcnt lgkmcnt(0)
	v_mul_hi_u32 v3, s9, v1
	s_add_i32 s51, s51, 4
	s_add_u32 s44, s44, 32
	s_addc_u32 s45, s45, 0
	v_add_u32_e32 v3, v1, v3
	v_lshrrev_b32_e32 v3, s10, v3
	v_mul_lo_u32 v4, v3, s8
	v_mul_hi_u32 v5, s12, v3
	s_cmp_eq_u32 s50, s51
	v_sub_u32_e32 v1, v1, v4
	v_add_u32_e32 v4, v3, v5
	v_mul_lo_u32 v5, v1, s0
	v_mul_lo_u32 v6, v1, s1
	v_lshrrev_b32_e32 v1, s13, v4
	v_mul_lo_u32 v4, v1, s11
	v_mul_hi_u32 v8, s15, v1
	v_sub_u32_e32 v3, v3, v4
	v_add_u32_e32 v4, v1, v8
	v_lshrrev_b32_e32 v4, s28, v4
	v_mul_hi_u32 v9, s30, v4
	v_mul_lo_u32 v10, v4, s14
	v_mul_lo_u32 v8, v3, s2
	;; [unrolled: 1-line block ×3, first 2 shown]
	v_sub_u32_e32 v10, v1, v10
	v_add_u32_e32 v1, v4, v9
	v_lshrrev_b32_e32 v1, s31, v1
	v_mul_lo_u32 v9, v1, s29
	v_mul_lo_u32 v11, v10, s4
	;; [unrolled: 1-line block ×3, first 2 shown]
	v_add3_u32 v0, v5, v0, v8
	v_sub_u32_e32 v4, v4, v9
	v_mul_lo_u32 v9, v4, s6
	v_mul_lo_u32 v4, v4, s7
	v_add3_u32 v2, v6, v2, v3
	v_add3_u32 v0, v11, v0, v9
	;; [unrolled: 1-line block ×3, first 2 shown]
	s_cbranch_scc0 .LBB37_594
	s_branch .LBB37_598
.LBB37_595:
                                        ; implicit-def: $vgpr0
                                        ; implicit-def: $vgpr2
	s_branch .LBB37_602
.LBB37_596:
	v_mov_b32_e32 v0, 0
	v_mov_b32_e32 v2, 0
	s_branch .LBB37_601
.LBB37_597:
	s_mov_b32 s50, 0
	v_mov_b32_e32 v0, 0
	v_mov_b32_e32 v2, 0
	;; [unrolled: 1-line block ×3, first 2 shown]
.LBB37_598:
	s_and_b32 s4, s56, 3
	s_cmp_eq_u32 s4, 0
	s_cbranch_scc1 .LBB37_601
; %bb.599:
	s_lshl_b32 s0, s50, 3
	s_add_u32 s0, s34, s0
	s_addc_u32 s1, s35, 0
	s_add_u32 s0, s0, 0xc4
	s_addc_u32 s1, s1, 0
	s_mul_i32 s2, s50, 12
	s_add_u32 s2, s34, s2
	s_addc_u32 s3, s35, 0
.LBB37_600:                             ; =>This Inner Loop Header: Depth=1
	s_load_dwordx2 s[6:7], s[2:3], 0x4
	s_load_dword s5, s[2:3], 0xc
	s_load_dwordx2 s[8:9], s[0:1], 0x0
	s_add_u32 s2, s2, 12
	s_addc_u32 s3, s3, 0
	s_waitcnt lgkmcnt(0)
	v_mul_hi_u32 v3, s7, v1
	s_add_u32 s0, s0, 8
	s_addc_u32 s1, s1, 0
	s_add_i32 s4, s4, -1
	v_add_u32_e32 v3, v1, v3
	v_lshrrev_b32_e32 v4, s5, v3
	v_mul_lo_u32 v3, v4, s6
	s_cmp_lg_u32 s4, 0
	v_sub_u32_e32 v3, v1, v3
	v_mad_u64_u32 v[0:1], s[6:7], v3, s8, v[0:1]
	v_mad_u64_u32 v[2:3], s[6:7], v3, s9, v[2:3]
	v_mov_b32_e32 v1, v4
	s_cbranch_scc1 .LBB37_600
.LBB37_601:
	s_cbranch_execnz .LBB37_604
.LBB37_602:
	s_waitcnt lgkmcnt(0)
	v_mul_hi_u32 v0, s25, v7
	s_andn2_b64 vcc, exec, s[42:43]
	v_add_u32_e32 v0, v7, v0
	v_lshrrev_b32_e32 v1, s26, v0
	v_mul_lo_u32 v0, v1, s24
	v_sub_u32_e32 v2, v7, v0
	v_mul_lo_u32 v0, v2, s20
	v_mul_lo_u32 v2, v2, s21
	s_cbranch_vccnz .LBB37_604
; %bb.603:
	v_mul_hi_u32 v3, s40, v1
	v_add_u32_e32 v3, v1, v3
	v_lshrrev_b32_e32 v3, s41, v3
	v_mul_lo_u32 v3, v3, s27
	v_sub_u32_e32 v3, v1, v3
	v_mad_u64_u32 v[0:1], s[0:1], v3, s22, v[0:1]
	v_mad_u64_u32 v[2:3], s[0:1], v3, s23, v[2:3]
.LBB37_604:
	s_waitcnt lgkmcnt(0)
	global_load_ushort v1, v2, s[18:19]
                                        ; implicit-def: $vgpr2
	s_waitcnt vmcnt(0)
	v_lshlrev_b32_e32 v7, 16, v1
	v_cmp_neq_f32_e32 vcc, 0, v7
	s_and_saveexec_b64 s[0:1], vcc
	s_xor_b64 s[2:3], exec, s[0:1]
	s_cbranch_execz .LBB37_626
; %bb.605:
	v_mov_b32_e32 v1, 0
	v_cmp_gt_f32_e32 vcc, 0, v7
	s_mov_b64 s[6:7], -1
	s_and_saveexec_b64 s[4:5], vcc
	s_cbranch_execz .LBB37_613
; %bb.606:
	v_trunc_f32_e32 v1, v7
	v_cmp_neq_f32_e32 vcc, v1, v7
	s_mov_b64 s[8:9], 0
	v_mov_b32_e32 v1, 0
	s_and_saveexec_b64 s[6:7], vcc
	s_cbranch_execz .LBB37_612
; %bb.607:
	v_cvt_f64_f32_e32 v[1:2], v7
	s_mov_b32 s0, 0
	s_mov_b32 s9, 0xc00921fb
	;; [unrolled: 1-line block ×3, first 2 shown]
	v_trunc_f64_e32 v[3:4], v[1:2]
	s_mov_b32 s1, 0x7ff00000
	v_cmp_neq_f64_e64 vcc, |v[1:2]|, s[0:1]
	v_bfrev_b32_e32 v5, 1
	s_mov_b32 s10, 0
	s_mov_b32 s11, 0x41d00000
                                        ; implicit-def: $vgpr8
	v_add_f64 v[3:4], v[1:2], -v[3:4]
	v_mul_f64 v[3:4], |v[3:4]|, s[8:9]
	v_cndmask_b32_e32 v2, v5, v4, vcc
	v_cndmask_b32_e32 v1, 0, v3, vcc
	v_cmp_nlt_f64_e64 s[10:11], |v[1:2]|, s[10:11]
                                        ; implicit-def: $vgpr3_vgpr4
                                        ; implicit-def: $vgpr5_vgpr6
	s_and_saveexec_b64 s[12:13], s[10:11]
	s_xor_b64 s[10:11], exec, s[12:13]
	s_cbranch_execz .LBB37_609
; %bb.608:
	v_trig_preop_f64 v[3:4], |v[1:2]|, 0
	s_mov_b32 s12, 0
	s_mov_b32 s13, 0x7b000000
	s_movk_i32 s9, 0xff80
	v_ldexp_f64 v[8:9], |v[1:2]|, s9
	v_cmp_ge_f64_e64 vcc, |v[1:2]|, s[12:13]
	v_trig_preop_f64 v[5:6], |v[1:2]|, 1
	v_and_b32_e32 v10, 0x7fffffff, v2
	v_trig_preop_f64 v[16:17], |v[1:2]|, 2
	v_mov_b32_e32 v27, 0x40100000
	v_mov_b32_e32 v26, 0
	s_mov_b32 s9, 0x3ff921fb
	v_cndmask_b32_e32 v9, v10, v9, vcc
	v_cndmask_b32_e32 v8, v1, v8, vcc
	v_mul_f64 v[10:11], v[3:4], v[8:9]
	v_mul_f64 v[12:13], v[5:6], v[8:9]
	;; [unrolled: 1-line block ×3, first 2 shown]
	v_fma_f64 v[3:4], v[3:4], v[8:9], -v[10:11]
	v_fma_f64 v[5:6], v[5:6], v[8:9], -v[12:13]
	;; [unrolled: 1-line block ×3, first 2 shown]
	v_add_f64 v[14:15], v[12:13], v[3:4]
	v_add_f64 v[18:19], v[14:15], -v[12:13]
	v_add_f64 v[24:25], v[10:11], v[14:15]
	v_add_f64 v[20:21], v[14:15], -v[18:19]
	v_add_f64 v[3:4], v[3:4], -v[18:19]
	v_add_f64 v[18:19], v[22:23], v[5:6]
	v_add_f64 v[10:11], v[24:25], -v[10:11]
	v_add_f64 v[12:13], v[12:13], -v[20:21]
	v_ldexp_f64 v[20:21], v[24:25], -2
	v_add_f64 v[28:29], v[18:19], -v[22:23]
	v_add_f64 v[10:11], v[14:15], -v[10:11]
	v_add_f64 v[3:4], v[3:4], v[12:13]
	v_fract_f64_e32 v[12:13], v[20:21]
	v_cmp_neq_f64_e64 vcc, |v[20:21]|, s[0:1]
	v_add_f64 v[5:6], v[5:6], -v[28:29]
	v_add_f64 v[14:15], v[18:19], v[3:4]
	v_ldexp_f64 v[12:13], v[12:13], 2
	v_add_f64 v[20:21], v[10:11], v[14:15]
	v_cndmask_b32_e32 v13, 0, v13, vcc
	v_cndmask_b32_e32 v12, 0, v12, vcc
	v_add_f64 v[30:31], v[14:15], -v[18:19]
	v_add_f64 v[24:25], v[20:21], v[12:13]
	v_add_f64 v[10:11], v[20:21], -v[10:11]
	v_add_f64 v[32:33], v[14:15], -v[30:31]
	;; [unrolled: 1-line block ×3, first 2 shown]
	v_cmp_gt_f64_e32 vcc, 0, v[24:25]
	v_add_f64 v[24:25], v[18:19], -v[28:29]
	v_add_f64 v[10:11], v[14:15], -v[10:11]
	;; [unrolled: 1-line block ×3, first 2 shown]
	v_cndmask_b32_e32 v27, 0, v27, vcc
	v_add_f64 v[12:13], v[12:13], v[26:27]
	v_add_f64 v[24:25], v[22:23], -v[24:25]
	v_add_f64 v[3:4], v[3:4], v[18:19]
	v_add_f64 v[34:35], v[20:21], v[12:13]
	;; [unrolled: 1-line block ×3, first 2 shown]
	v_cvt_i32_f64_e32 v29, v[34:35]
	v_add_f64 v[3:4], v[5:6], v[3:4]
	v_cvt_f64_i32_e32 v[27:28], v29
	v_add_f64 v[12:13], v[12:13], -v[27:28]
	v_add_f64 v[3:4], v[8:9], v[3:4]
	v_add_f64 v[5:6], v[20:21], v[12:13]
	;; [unrolled: 1-line block ×3, first 2 shown]
	v_mov_b32_e32 v11, 0x3ff00000
	v_add_f64 v[8:9], v[5:6], -v[12:13]
	v_cmp_le_f64_e32 vcc, 0.5, v[5:6]
	v_add_f64 v[9:10], v[20:21], -v[8:9]
	v_cndmask_b32_e32 v27, 0, v11, vcc
	v_add_f64 v[5:6], v[5:6], -v[26:27]
	v_addc_co_u32_e64 v8, s[0:1], 0, v29, vcc
	s_mov_b32 s0, 0x33145c07
	s_mov_b32 s1, 0x3c91a626
	v_add_f64 v[3:4], v[3:4], v[9:10]
	v_add_f64 v[9:10], v[5:6], v[3:4]
	v_mul_f64 v[11:12], v[9:10], s[8:9]
	v_add_f64 v[5:6], v[9:10], -v[5:6]
	v_fma_f64 v[13:14], v[9:10], s[8:9], -v[11:12]
	v_add_f64 v[3:4], v[3:4], -v[5:6]
	v_fma_f64 v[5:6], v[9:10], s[0:1], v[13:14]
	v_fma_f64 v[5:6], v[3:4], s[8:9], v[5:6]
	v_add_f64 v[3:4], v[11:12], v[5:6]
	v_add_f64 v[9:10], v[3:4], -v[11:12]
	v_add_f64 v[5:6], v[5:6], -v[9:10]
.LBB37_609:
	s_andn2_saveexec_b64 s[0:1], s[10:11]
	s_cbranch_execz .LBB37_611
; %bb.610:
	s_mov_b32 s8, 0x6dc9c883
	s_mov_b32 s9, 0x3fe45f30
	v_mul_f64 v[3:4], |v[1:2]|, s[8:9]
	s_mov_b32 s8, 0x54442d18
	s_mov_b32 s9, 0xbff921fb
	s_mov_b32 s11, 0xbc91a626
	s_mov_b32 s10, 0x33145c00
	v_rndne_f64_e32 v[8:9], v[3:4]
	v_fma_f64 v[3:4], v[8:9], s[8:9], |v[1:2]|
	v_mul_f64 v[5:6], v[8:9], s[10:11]
	s_mov_b32 s8, 0x252049c0
	s_mov_b32 s9, 0xb97b839a
	v_fma_f64 v[14:15], v[8:9], s[10:11], v[3:4]
	v_add_f64 v[10:11], v[3:4], v[5:6]
	s_mov_b32 s11, 0x3c91a626
	v_add_f64 v[12:13], v[3:4], -v[10:11]
	v_add_f64 v[10:11], v[10:11], -v[14:15]
	v_add_f64 v[3:4], v[12:13], v[5:6]
	v_fma_f64 v[5:6], v[8:9], s[10:11], v[5:6]
	v_add_f64 v[3:4], v[10:11], v[3:4]
	v_add_f64 v[3:4], v[3:4], -v[5:6]
	v_fma_f64 v[5:6], v[8:9], s[8:9], v[3:4]
	v_cvt_i32_f64_e32 v8, v[8:9]
	v_add_f64 v[3:4], v[14:15], v[5:6]
	v_add_f64 v[10:11], v[3:4], -v[14:15]
	v_add_f64 v[5:6], v[5:6], -v[10:11]
.LBB37_611:
	s_or_b64 exec, exec, s[0:1]
	v_mul_f64 v[9:10], v[3:4], v[3:4]
	v_add_f64 v[11:12], v[5:6], v[5:6]
	s_mov_b32 s0, 0xc751c08c
	s_mov_b32 s1, 0x3ef5e089
	v_and_b32_e32 v8, 1, v8
	v_cmp_eq_u32_e32 vcc, 0, v8
	s_mov_b32 s10, 0x54442d18
	s_mov_b32 s11, 0xc00921fb
	v_fma_f64 v[13:14], v[3:4], v[3:4], -v[9:10]
	s_mov_b64 s[8:9], exec
	v_sub_f32_e32 v7, 1.0, v7
	v_fma_f64 v[11:12], v[3:4], v[11:12], v[13:14]
	v_add_f64 v[9:10], v[9:10], v[11:12]
	v_mov_b32_e32 v11, 0xa9a29f71
	v_mov_b32_e32 v12, 0xbf078809
	v_fma_f64 v[11:12], v[9:10], s[0:1], v[11:12]
	s_mov_b32 s0, 0x90a8aae0
	s_mov_b32 s1, 0x3f17746f
	v_fma_f64 v[11:12], v[9:10], v[11:12], s[0:1]
	s_mov_b32 s0, 0xa6fbf144
	s_mov_b32 s1, 0xbefbb44d
	;; [unrolled: 3-line block ×12, first 2 shown]
	v_fma_f64 v[11:12], v[9:10], v[11:12], s[0:1]
	s_movk_i32 s0, 0x1f8
	v_cmp_class_f64_e64 s[0:1], v[1:2], s0
	v_mul_f64 v[9:10], v[9:10], v[11:12]
	v_mul_f64 v[11:12], v[3:4], v[9:10]
	v_add_f64 v[13:14], v[3:4], v[11:12]
	v_fma_f64 v[9:10], v[3:4], v[9:10], -v[11:12]
	v_add_f64 v[3:4], v[13:14], -v[3:4]
	v_add_f64 v[5:6], v[5:6], v[9:10]
	v_add_f64 v[3:4], v[11:12], -v[3:4]
	v_add_f64 v[3:4], v[5:6], v[3:4]
	v_add_f64 v[5:6], v[13:14], v[3:4]
	v_rcp_f64_e32 v[9:10], v[5:6]
	v_fma_f64 v[11:12], -v[5:6], v[9:10], 1.0
	v_fma_f64 v[9:10], v[11:12], v[9:10], v[9:10]
	v_fma_f64 v[11:12], -v[5:6], v[9:10], 1.0
	v_fma_f64 v[9:10], v[11:12], v[9:10], v[9:10]
	v_add_f64 v[11:12], v[5:6], -v[13:14]
	v_mul_f64 v[13:14], v[5:6], v[9:10]
	v_add_f64 v[3:4], v[3:4], -v[11:12]
	v_fma_f64 v[11:12], v[9:10], v[5:6], -v[13:14]
	v_fma_f64 v[3:4], v[9:10], v[3:4], v[11:12]
	v_add_f64 v[11:12], v[13:14], v[3:4]
	v_add_f64 v[15:16], -v[11:12], 1.0
	v_add_f64 v[13:14], v[11:12], -v[13:14]
	v_add_f64 v[17:18], -v[15:16], 1.0
	v_add_f64 v[3:4], v[13:14], -v[3:4]
	v_add_f64 v[11:12], v[17:18], -v[11:12]
	v_add_f64 v[3:4], v[3:4], v[11:12]
	v_add_f64 v[3:4], v[15:16], v[3:4]
	v_mul_f64 v[3:4], v[9:10], v[3:4]
	v_add_f64 v[3:4], v[9:10], v[3:4]
	v_and_b32_e32 v9, 0x80000000, v2
	v_mov_b32_e32 v2, 0x7ff80000
	v_xor_b32_e32 v1, 0x80000000, v4
	v_cndmask_b32_e32 v3, v3, v5, vcc
	v_cndmask_b32_e32 v4, v1, v6, vcc
	v_cndmask_b32_e64 v1, 0, v3, s[0:1]
	v_xor_b32_e32 v3, v4, v9
	v_cndmask_b32_e64 v2, v2, v3, s[0:1]
	v_div_scale_f64 v[3:4], s[0:1], v[1:2], v[1:2], s[10:11]
	v_div_scale_f64 v[10:11], vcc, s[10:11], v[1:2], s[10:11]
	v_rcp_f64_e32 v[5:6], v[3:4]
	v_fma_f64 v[8:9], -v[3:4], v[5:6], 1.0
	v_fma_f64 v[5:6], v[5:6], v[8:9], v[5:6]
	v_fma_f64 v[8:9], -v[3:4], v[5:6], 1.0
	v_fma_f64 v[5:6], v[5:6], v[8:9], v[5:6]
	v_mul_f64 v[8:9], v[10:11], v[5:6]
	v_fma_f64 v[3:4], -v[3:4], v[8:9], v[10:11]
	v_div_fmas_f64 v[3:4], v[3:4], v[5:6], v[8:9]
	v_div_fixup_f64 v[1:2], v[3:4], v[1:2], s[10:11]
	v_cvt_f32_f64_e32 v1, v[1:2]
.LBB37_612:
	s_or_b64 exec, exec, s[6:7]
	s_orn2_b64 s[6:7], s[8:9], exec
.LBB37_613:
	s_or_b64 exec, exec, s[4:5]
	v_mov_b32_e32 v2, 0x7fc0
	s_and_saveexec_b64 s[0:1], s[6:7]
	s_cbranch_execz .LBB37_625
; %bb.614:
	s_mov_b32 s8, 0x41200000
	v_cmp_gt_f32_e32 vcc, s8, v7
	s_and_saveexec_b64 s[4:5], vcc
	s_cbranch_execz .LBB37_618
; %bb.615:
	s_mov_b64 s[6:7], 0
.LBB37_616:                             ; =>This Inner Loop Header: Depth=1
	v_div_scale_f32 v2, s[10:11], v7, v7, 1.0
	v_div_scale_f32 v3, vcc, 1.0, v7, 1.0
	v_rcp_f32_e32 v4, v2
	v_fma_f32 v5, -v2, v4, 1.0
	v_fmac_f32_e32 v4, v5, v4
	v_mul_f32_e32 v5, v3, v4
	v_fma_f32 v6, -v2, v5, v3
	v_fmac_f32_e32 v5, v6, v4
	v_fma_f32 v2, -v2, v5, v3
	v_div_fmas_f32 v2, v2, v4, v5
	v_div_fixup_f32 v2, v2, v7, 1.0
	v_add_f32_e32 v7, 1.0, v7
	v_cmp_ngt_f32_e32 vcc, s8, v7
	s_or_b64 s[6:7], vcc, s[6:7]
	v_sub_f32_e32 v1, v1, v2
	s_andn2_b64 exec, exec, s[6:7]
	s_cbranch_execnz .LBB37_616
; %bb.617:
	s_or_b64 exec, exec, s[6:7]
.LBB37_618:
	s_or_b64 exec, exec, s[4:5]
	s_mov_b32 s4, 0x41200000
	v_cmp_neq_f32_e32 vcc, s4, v7
                                        ; implicit-def: $vgpr2
	s_and_saveexec_b64 s[4:5], vcc
	s_xor_b64 s[4:5], exec, s[4:5]
	s_cbranch_execz .LBB37_622
; %bb.619:
	v_cvt_f64_f32_e32 v[2:3], v7
	s_mov_b32 s6, 0x85d8a000
	s_mov_b32 s7, 0x43763457
	v_cmp_gt_f64_e32 vcc, s[6:7], v[2:3]
	v_mov_b32_e32 v2, 0
	s_and_saveexec_b64 s[6:7], vcc
	s_cbranch_execz .LBB37_621
; %bb.620:
	v_mul_f32_e32 v2, v7, v7
	v_div_scale_f32 v3, s[8:9], v2, v2, 1.0
	v_div_scale_f32 v4, vcc, 1.0, v2, 1.0
	v_mov_b32_e32 v9, 0x3b820821
	v_rcp_f32_e32 v5, v3
	v_fma_f32 v6, -v3, v5, 1.0
	v_fmac_f32_e32 v5, v6, v5
	v_mul_f32_e32 v6, v4, v5
	v_fma_f32 v8, -v3, v6, v4
	v_fmac_f32_e32 v6, v8, v5
	v_fma_f32 v3, -v3, v6, v4
	v_div_fmas_f32 v3, v3, v5, v6
	v_mov_b32_e32 v4, 0x3daaaaab
	v_mov_b32_e32 v5, 0xbcaccacd
	;; [unrolled: 1-line block ×4, first 2 shown]
	v_div_fixup_f32 v2, v3, v2, 1.0
	v_fma_f32 v3, 0, v2, v4
	v_fmac_f32_e32 v5, v2, v3
	v_fmac_f32_e32 v6, v2, v5
	;; [unrolled: 1-line block ×4, first 2 shown]
	v_mov_b32_e32 v3, 0xbc088889
	v_fmac_f32_e32 v3, v2, v9
	v_fmac_f32_e32 v4, v2, v3
	v_mul_f32_e32 v2, v2, v4
.LBB37_621:
	s_or_b64 exec, exec, s[6:7]
	v_div_scale_f32 v3, s[6:7], v7, v7, -0.5
	v_div_scale_f32 v4, vcc, -0.5, v7, -0.5
	s_mov_b32 s6, 0x800000
	s_mov_b32 s7, 0x3f317217
	;; [unrolled: 1-line block ×3, first 2 shown]
	v_rcp_f32_e32 v5, v3
	v_fma_f32 v6, -v3, v5, 1.0
	v_fmac_f32_e32 v5, v6, v5
	v_mul_f32_e32 v6, v4, v5
	v_fma_f32 v8, -v3, v6, v4
	v_fmac_f32_e32 v6, v8, v5
	v_fma_f32 v3, -v3, v6, v4
	v_div_fmas_f32 v3, v3, v5, v6
	v_cmp_gt_f32_e32 vcc, s6, v7
	v_cndmask_b32_e64 v5, 0, 32, vcc
	v_ldexp_f32 v5, v7, v5
	v_log_f32_e32 v5, v5
	v_mov_b32_e32 v4, 0x41b17218
	v_cndmask_b32_e32 v4, 0, v4, vcc
	s_movk_i32 s6, 0x7fff
	v_mul_f32_e32 v8, 0x3f317217, v5
	v_fma_f32 v8, v5, s7, -v8
	v_fmac_f32_e32 v8, 0x3377d1cf, v5
	v_fmac_f32_e32 v8, 0x3f317217, v5
	v_cmp_lt_f32_e64 vcc, |v5|, s8
	v_cndmask_b32_e32 v5, v5, v8, vcc
	v_sub_f32_e32 v4, v5, v4
	v_mov_b32_e32 v6, 0x7fc0
	v_div_fixup_f32 v3, v3, v7, -0.5
	v_add_f32_e32 v3, v4, v3
	v_sub_f32_e32 v2, v3, v2
	v_add_f32_e32 v1, v1, v2
	v_bfe_u32 v2, v1, 16, 1
	v_cmp_o_f32_e32 vcc, v1, v1
	v_add3_u32 v1, v1, v2, s6
	v_cndmask_b32_sdwa v2, v6, v1, vcc dst_sel:DWORD dst_unused:UNUSED_PAD src0_sel:DWORD src1_sel:WORD_1
                                        ; implicit-def: $vgpr1
.LBB37_622:
	s_andn2_saveexec_b64 s[4:5], s[4:5]
; %bb.623:
	v_add_f32_e32 v1, 0x40101cb7, v1
	v_bfe_u32 v2, v1, 16, 1
	s_movk_i32 s6, 0x7fff
	v_add3_u32 v2, v1, v2, s6
	v_cmp_o_f32_e32 vcc, v1, v1
	v_mov_b32_e32 v1, 0x7fc0
	v_cndmask_b32_sdwa v2, v1, v2, vcc dst_sel:DWORD dst_unused:UNUSED_PAD src0_sel:DWORD src1_sel:WORD_1
; %bb.624:
	s_or_b64 exec, exec, s[4:5]
.LBB37_625:
	s_or_b64 exec, exec, s[0:1]
                                        ; implicit-def: $vgpr7
.LBB37_626:
	s_andn2_saveexec_b64 s[0:1], s[2:3]
; %bb.627:
	v_xor_b32_e32 v1, 0x80000000, v7
	v_and_b32_e32 v1, 0x80000000, v1
	v_or_b32_e32 v1, 0x7f800000, v1
	v_lshrrev_b32_e32 v2, 16, v1
; %bb.628:
	s_or_b64 exec, exec, s[0:1]
	global_store_short v0, v2, s[16:17]
	s_or_b64 exec, exec, s[48:49]
                                        ; implicit-def: $vgpr25
                                        ; implicit-def: $vgpr7
	s_andn2_saveexec_b64 s[0:1], s[38:39]
	s_cbranch_execz .LBB37_557
	s_branch .LBB37_8
	.section	.rodata,"a",@progbits
	.p2align	6, 0x0
	.amdhsa_kernel _ZN2at6native32elementwise_kernel_manual_unrollILi128ELi8EZNS0_22gpu_kernel_impl_nocastIZZZNS0_19digamma_kernel_cudaERNS_18TensorIteratorBaseEENKUlvE_clEvENKUlvE2_clEvEUlN3c108BFloat16EE_EEvS4_RKT_EUlibE_EEviT1_
		.amdhsa_group_segment_fixed_size 0
		.amdhsa_private_segment_fixed_size 0
		.amdhsa_kernarg_size 360
		.amdhsa_user_sgpr_count 6
		.amdhsa_user_sgpr_private_segment_buffer 1
		.amdhsa_user_sgpr_dispatch_ptr 0
		.amdhsa_user_sgpr_queue_ptr 0
		.amdhsa_user_sgpr_kernarg_segment_ptr 1
		.amdhsa_user_sgpr_dispatch_id 0
		.amdhsa_user_sgpr_flat_scratch_init 0
		.amdhsa_user_sgpr_private_segment_size 0
		.amdhsa_uses_dynamic_stack 0
		.amdhsa_system_sgpr_private_segment_wavefront_offset 0
		.amdhsa_system_sgpr_workgroup_id_x 1
		.amdhsa_system_sgpr_workgroup_id_y 0
		.amdhsa_system_sgpr_workgroup_id_z 0
		.amdhsa_system_sgpr_workgroup_info 0
		.amdhsa_system_vgpr_workitem_id 0
		.amdhsa_next_free_vgpr 56
		.amdhsa_next_free_sgpr 60
		.amdhsa_reserve_vcc 1
		.amdhsa_reserve_flat_scratch 0
		.amdhsa_float_round_mode_32 0
		.amdhsa_float_round_mode_16_64 0
		.amdhsa_float_denorm_mode_32 3
		.amdhsa_float_denorm_mode_16_64 3
		.amdhsa_dx10_clamp 1
		.amdhsa_ieee_mode 1
		.amdhsa_fp16_overflow 0
		.amdhsa_exception_fp_ieee_invalid_op 0
		.amdhsa_exception_fp_denorm_src 0
		.amdhsa_exception_fp_ieee_div_zero 0
		.amdhsa_exception_fp_ieee_overflow 0
		.amdhsa_exception_fp_ieee_underflow 0
		.amdhsa_exception_fp_ieee_inexact 0
		.amdhsa_exception_int_div_zero 0
	.end_amdhsa_kernel
	.section	.text._ZN2at6native32elementwise_kernel_manual_unrollILi128ELi8EZNS0_22gpu_kernel_impl_nocastIZZZNS0_19digamma_kernel_cudaERNS_18TensorIteratorBaseEENKUlvE_clEvENKUlvE2_clEvEUlN3c108BFloat16EE_EEvS4_RKT_EUlibE_EEviT1_,"axG",@progbits,_ZN2at6native32elementwise_kernel_manual_unrollILi128ELi8EZNS0_22gpu_kernel_impl_nocastIZZZNS0_19digamma_kernel_cudaERNS_18TensorIteratorBaseEENKUlvE_clEvENKUlvE2_clEvEUlN3c108BFloat16EE_EEvS4_RKT_EUlibE_EEviT1_,comdat
.Lfunc_end37:
	.size	_ZN2at6native32elementwise_kernel_manual_unrollILi128ELi8EZNS0_22gpu_kernel_impl_nocastIZZZNS0_19digamma_kernel_cudaERNS_18TensorIteratorBaseEENKUlvE_clEvENKUlvE2_clEvEUlN3c108BFloat16EE_EEvS4_RKT_EUlibE_EEviT1_, .Lfunc_end37-_ZN2at6native32elementwise_kernel_manual_unrollILi128ELi8EZNS0_22gpu_kernel_impl_nocastIZZZNS0_19digamma_kernel_cudaERNS_18TensorIteratorBaseEENKUlvE_clEvENKUlvE2_clEvEUlN3c108BFloat16EE_EEvS4_RKT_EUlibE_EEviT1_
                                        ; -- End function
	.set _ZN2at6native32elementwise_kernel_manual_unrollILi128ELi8EZNS0_22gpu_kernel_impl_nocastIZZZNS0_19digamma_kernel_cudaERNS_18TensorIteratorBaseEENKUlvE_clEvENKUlvE2_clEvEUlN3c108BFloat16EE_EEvS4_RKT_EUlibE_EEviT1_.num_vgpr, 56
	.set _ZN2at6native32elementwise_kernel_manual_unrollILi128ELi8EZNS0_22gpu_kernel_impl_nocastIZZZNS0_19digamma_kernel_cudaERNS_18TensorIteratorBaseEENKUlvE_clEvENKUlvE2_clEvEUlN3c108BFloat16EE_EEvS4_RKT_EUlibE_EEviT1_.num_agpr, 0
	.set _ZN2at6native32elementwise_kernel_manual_unrollILi128ELi8EZNS0_22gpu_kernel_impl_nocastIZZZNS0_19digamma_kernel_cudaERNS_18TensorIteratorBaseEENKUlvE_clEvENKUlvE2_clEvEUlN3c108BFloat16EE_EEvS4_RKT_EUlibE_EEviT1_.numbered_sgpr, 60
	.set _ZN2at6native32elementwise_kernel_manual_unrollILi128ELi8EZNS0_22gpu_kernel_impl_nocastIZZZNS0_19digamma_kernel_cudaERNS_18TensorIteratorBaseEENKUlvE_clEvENKUlvE2_clEvEUlN3c108BFloat16EE_EEvS4_RKT_EUlibE_EEviT1_.num_named_barrier, 0
	.set _ZN2at6native32elementwise_kernel_manual_unrollILi128ELi8EZNS0_22gpu_kernel_impl_nocastIZZZNS0_19digamma_kernel_cudaERNS_18TensorIteratorBaseEENKUlvE_clEvENKUlvE2_clEvEUlN3c108BFloat16EE_EEvS4_RKT_EUlibE_EEviT1_.private_seg_size, 0
	.set _ZN2at6native32elementwise_kernel_manual_unrollILi128ELi8EZNS0_22gpu_kernel_impl_nocastIZZZNS0_19digamma_kernel_cudaERNS_18TensorIteratorBaseEENKUlvE_clEvENKUlvE2_clEvEUlN3c108BFloat16EE_EEvS4_RKT_EUlibE_EEviT1_.uses_vcc, 1
	.set _ZN2at6native32elementwise_kernel_manual_unrollILi128ELi8EZNS0_22gpu_kernel_impl_nocastIZZZNS0_19digamma_kernel_cudaERNS_18TensorIteratorBaseEENKUlvE_clEvENKUlvE2_clEvEUlN3c108BFloat16EE_EEvS4_RKT_EUlibE_EEviT1_.uses_flat_scratch, 0
	.set _ZN2at6native32elementwise_kernel_manual_unrollILi128ELi8EZNS0_22gpu_kernel_impl_nocastIZZZNS0_19digamma_kernel_cudaERNS_18TensorIteratorBaseEENKUlvE_clEvENKUlvE2_clEvEUlN3c108BFloat16EE_EEvS4_RKT_EUlibE_EEviT1_.has_dyn_sized_stack, 0
	.set _ZN2at6native32elementwise_kernel_manual_unrollILi128ELi8EZNS0_22gpu_kernel_impl_nocastIZZZNS0_19digamma_kernel_cudaERNS_18TensorIteratorBaseEENKUlvE_clEvENKUlvE2_clEvEUlN3c108BFloat16EE_EEvS4_RKT_EUlibE_EEviT1_.has_recursion, 0
	.set _ZN2at6native32elementwise_kernel_manual_unrollILi128ELi8EZNS0_22gpu_kernel_impl_nocastIZZZNS0_19digamma_kernel_cudaERNS_18TensorIteratorBaseEENKUlvE_clEvENKUlvE2_clEvEUlN3c108BFloat16EE_EEvS4_RKT_EUlibE_EEviT1_.has_indirect_call, 0
	.section	.AMDGPU.csdata,"",@progbits
; Kernel info:
; codeLenInByte = 50684
; TotalNumSgprs: 64
; NumVgprs: 56
; ScratchSize: 0
; MemoryBound: 0
; FloatMode: 240
; IeeeMode: 1
; LDSByteSize: 0 bytes/workgroup (compile time only)
; SGPRBlocks: 7
; VGPRBlocks: 13
; NumSGPRsForWavesPerEU: 64
; NumVGPRsForWavesPerEU: 56
; Occupancy: 4
; WaveLimiterHint : 1
; COMPUTE_PGM_RSRC2:SCRATCH_EN: 0
; COMPUTE_PGM_RSRC2:USER_SGPR: 6
; COMPUTE_PGM_RSRC2:TRAP_HANDLER: 0
; COMPUTE_PGM_RSRC2:TGID_X_EN: 1
; COMPUTE_PGM_RSRC2:TGID_Y_EN: 0
; COMPUTE_PGM_RSRC2:TGID_Z_EN: 0
; COMPUTE_PGM_RSRC2:TIDIG_COMP_CNT: 0
	.section	.text._ZN2at6native32elementwise_kernel_manual_unrollILi128ELi4EZNS0_15gpu_kernel_implIZZZNS0_19digamma_kernel_cudaERNS_18TensorIteratorBaseEENKUlvE_clEvENKUlvE2_clEvEUlN3c108BFloat16EE_EEvS4_RKT_EUlibE_EEviT1_,"axG",@progbits,_ZN2at6native32elementwise_kernel_manual_unrollILi128ELi4EZNS0_15gpu_kernel_implIZZZNS0_19digamma_kernel_cudaERNS_18TensorIteratorBaseEENKUlvE_clEvENKUlvE2_clEvEUlN3c108BFloat16EE_EEvS4_RKT_EUlibE_EEviT1_,comdat
	.globl	_ZN2at6native32elementwise_kernel_manual_unrollILi128ELi4EZNS0_15gpu_kernel_implIZZZNS0_19digamma_kernel_cudaERNS_18TensorIteratorBaseEENKUlvE_clEvENKUlvE2_clEvEUlN3c108BFloat16EE_EEvS4_RKT_EUlibE_EEviT1_ ; -- Begin function _ZN2at6native32elementwise_kernel_manual_unrollILi128ELi4EZNS0_15gpu_kernel_implIZZZNS0_19digamma_kernel_cudaERNS_18TensorIteratorBaseEENKUlvE_clEvENKUlvE2_clEvEUlN3c108BFloat16EE_EEvS4_RKT_EUlibE_EEviT1_
	.p2align	8
	.type	_ZN2at6native32elementwise_kernel_manual_unrollILi128ELi4EZNS0_15gpu_kernel_implIZZZNS0_19digamma_kernel_cudaERNS_18TensorIteratorBaseEENKUlvE_clEvENKUlvE2_clEvEUlN3c108BFloat16EE_EEvS4_RKT_EUlibE_EEviT1_,@function
_ZN2at6native32elementwise_kernel_manual_unrollILi128ELi4EZNS0_15gpu_kernel_implIZZZNS0_19digamma_kernel_cudaERNS_18TensorIteratorBaseEENKUlvE_clEvENKUlvE2_clEvEUlN3c108BFloat16EE_EEvS4_RKT_EUlibE_EEviT1_: ; @_ZN2at6native32elementwise_kernel_manual_unrollILi128ELi4EZNS0_15gpu_kernel_implIZZZNS0_19digamma_kernel_cudaERNS_18TensorIteratorBaseEENKUlvE_clEvENKUlvE2_clEvEUlN3c108BFloat16EE_EEvS4_RKT_EUlibE_EEviT1_
; %bb.0:
	v_mov_b32_e32 v1, 0
	global_load_ushort v1, v1, s[4:5] offset:33
	s_load_dwordx4 s[8:11], s[4:5], 0x8
	s_load_dwordx2 s[2:3], s[4:5], 0x18
	s_load_dword s40, s[4:5], 0x0
	v_lshl_or_b32 v6, s6, 9, v0
	v_or_b32_e32 v0, 0x180, v6
	s_mov_b64 s[12:13], 0
	s_mov_b64 s[6:7], 0
	s_waitcnt lgkmcnt(0)
	v_cmp_le_i32_e32 vcc, s40, v0
	s_waitcnt vmcnt(0)
	v_readfirstlane_b32 s33, v1
	s_and_b32 s0, 0xffff, s33
	s_lshr_b32 s42, s0, 8
	s_and_saveexec_b64 s[0:1], vcc
	s_xor_b64 s[4:5], exec, s[0:1]
	s_cbranch_execz .LBB38_1123
; %bb.1:
	v_cmp_gt_i32_e32 vcc, s40, v6
	s_mov_b64 s[18:19], -1
	s_mov_b64 s[20:21], 0
	s_mov_b64 s[14:15], 0
	s_and_saveexec_b64 s[16:17], vcc
	s_cbranch_execz .LBB38_276
; %bb.2:
	v_mul_lo_u32 v0, v6, s3
	v_mov_b32_e32 v1, s11
	s_and_b32 s22, 0xffff, s42
	s_cmp_lt_i32 s22, 11
	v_ashrrev_i32_e32 v2, 31, v0
	v_add_co_u32_e32 v0, vcc, s10, v0
	v_addc_co_u32_e32 v1, vcc, v1, v2, vcc
	s_cbranch_scc1 .LBB38_9
; %bb.3:
	s_cmp_gt_i32 s22, 25
	s_cbranch_scc0 .LBB38_42
; %bb.4:
	s_cmp_gt_i32 s22, 28
	s_cbranch_scc0 .LBB38_46
	;; [unrolled: 3-line block ×4, first 2 shown]
; %bb.7:
	s_cmp_eq_u32 s22, 46
	s_cbranch_scc0 .LBB38_52
; %bb.8:
	global_load_dword v2, v[0:1], off
	s_mov_b64 s[0:1], -1
	s_branch .LBB38_54
.LBB38_9:
                                        ; implicit-def: $vgpr2
	s_mov_b64 s[0:1], 0
	s_cbranch_execnz .LBB38_227
.LBB38_10:
	s_andn2_b64 vcc, exec, s[0:1]
	s_cbranch_vccnz .LBB38_274
.LBB38_11:
	s_waitcnt vmcnt(0)
	v_lshlrev_b32_e32 v7, 16, v2
	v_cmp_neq_f32_e32 vcc, 0, v7
                                        ; implicit-def: $vgpr2
	s_and_saveexec_b64 s[0:1], vcc
	s_xor_b64 s[6:7], exec, s[0:1]
	s_cbranch_execz .LBB38_33
; %bb.12:
	v_mov_b32_e32 v0, 0
	v_cmp_gt_f32_e32 vcc, 0, v7
	s_mov_b64 s[22:23], -1
	s_and_saveexec_b64 s[18:19], vcc
	s_cbranch_execz .LBB38_20
; %bb.13:
	v_trunc_f32_e32 v0, v7
	v_cmp_neq_f32_e32 vcc, v0, v7
	s_mov_b64 s[24:25], 0
	v_mov_b32_e32 v0, 0
	s_and_saveexec_b64 s[22:23], vcc
	s_cbranch_execz .LBB38_19
; %bb.14:
	v_cvt_f64_f32_e32 v[0:1], v7
	s_mov_b32 s26, 0
	s_mov_b32 s1, 0xc00921fb
	;; [unrolled: 1-line block ×3, first 2 shown]
	v_trunc_f64_e32 v[2:3], v[0:1]
	s_mov_b32 s27, 0x7ff00000
	v_cmp_neq_f64_e64 vcc, |v[0:1]|, s[26:27]
	v_bfrev_b32_e32 v4, 1
	s_mov_b32 s24, 0
	s_mov_b32 s25, 0x41d00000
                                        ; implicit-def: $vgpr8
	v_add_f64 v[2:3], v[0:1], -v[2:3]
	v_mul_f64 v[2:3], |v[2:3]|, s[0:1]
	v_cndmask_b32_e32 v1, v4, v3, vcc
	v_cndmask_b32_e32 v0, 0, v2, vcc
	v_cmp_nlt_f64_e64 s[24:25], |v[0:1]|, s[24:25]
                                        ; implicit-def: $vgpr2_vgpr3
                                        ; implicit-def: $vgpr4_vgpr5
	s_and_saveexec_b64 s[28:29], s[24:25]
	s_xor_b64 s[24:25], exec, s[28:29]
	s_cbranch_execz .LBB38_16
; %bb.15:
	v_trig_preop_f64 v[4:5], |v[0:1]|, 0
	s_mov_b32 s28, 0
	s_mov_b32 s29, 0x7b000000
	s_movk_i32 s1, 0xff80
	v_ldexp_f64 v[2:3], |v[0:1]|, s1
	v_cmp_ge_f64_e64 vcc, |v[0:1]|, s[28:29]
	v_trig_preop_f64 v[8:9], |v[0:1]|, 1
	v_and_b32_e32 v10, 0x7fffffff, v1
	v_trig_preop_f64 v[16:17], |v[0:1]|, 2
	v_mov_b32_e32 v28, 0x40100000
	s_mov_b32 s1, 0x3ff921fb
	v_cndmask_b32_e32 v3, v10, v3, vcc
	v_cndmask_b32_e32 v2, v0, v2, vcc
	v_mul_f64 v[10:11], v[4:5], v[2:3]
	v_mul_f64 v[12:13], v[8:9], v[2:3]
	;; [unrolled: 1-line block ×3, first 2 shown]
	v_fma_f64 v[4:5], v[4:5], v[2:3], -v[10:11]
	v_fma_f64 v[8:9], v[8:9], v[2:3], -v[12:13]
	;; [unrolled: 1-line block ×3, first 2 shown]
	v_add_f64 v[14:15], v[12:13], v[4:5]
	v_add_f64 v[18:19], v[14:15], -v[12:13]
	v_add_f64 v[24:25], v[10:11], v[14:15]
	v_add_f64 v[20:21], v[14:15], -v[18:19]
	v_add_f64 v[4:5], v[4:5], -v[18:19]
	v_add_f64 v[18:19], v[22:23], v[8:9]
	v_add_f64 v[10:11], v[24:25], -v[10:11]
	v_add_f64 v[12:13], v[12:13], -v[20:21]
	v_ldexp_f64 v[20:21], v[24:25], -2
	v_add_f64 v[10:11], v[14:15], -v[10:11]
	v_add_f64 v[4:5], v[4:5], v[12:13]
	v_fract_f64_e32 v[12:13], v[20:21]
	v_cmp_neq_f64_e64 vcc, |v[20:21]|, s[26:27]
	s_mov_b32 s26, 0x33145c07
	s_mov_b32 s27, 0x3c91a626
	v_add_f64 v[14:15], v[18:19], v[4:5]
	v_ldexp_f64 v[12:13], v[12:13], 2
	v_add_f64 v[20:21], v[10:11], v[14:15]
	v_cndmask_b32_e32 v13, 0, v13, vcc
	v_cndmask_b32_e32 v12, 0, v12, vcc
	v_add_f64 v[26:27], v[14:15], -v[18:19]
	v_add_f64 v[24:25], v[20:21], v[12:13]
	v_add_f64 v[10:11], v[20:21], -v[10:11]
	v_add_f64 v[4:5], v[4:5], -v[26:27]
	;; [unrolled: 1-line block ×3, first 2 shown]
	v_cmp_gt_f64_e32 vcc, 0, v[24:25]
	v_add_f64 v[24:25], v[18:19], -v[22:23]
	v_add_f64 v[10:11], v[14:15], -v[10:11]
	v_cndmask_b32_e32 v29, 0, v28, vcc
	v_mov_b32_e32 v28, 0
	v_add_f64 v[12:13], v[12:13], v[28:29]
	v_add_f64 v[8:9], v[8:9], -v[24:25]
	v_add_f64 v[24:25], v[18:19], -v[24:25]
	;; [unrolled: 1-line block ×3, first 2 shown]
	v_add_f64 v[26:27], v[20:21], v[12:13]
	v_add_f64 v[24:25], v[22:23], -v[24:25]
	v_add_f64 v[4:5], v[4:5], v[18:19]
	v_cvt_i32_f64_e32 v26, v[26:27]
	v_add_f64 v[8:9], v[8:9], v[24:25]
	v_cvt_f64_i32_e32 v[24:25], v26
	v_add_f64 v[12:13], v[12:13], -v[24:25]
	v_add_f64 v[4:5], v[8:9], v[4:5]
	v_add_f64 v[8:9], v[20:21], v[12:13]
	;; [unrolled: 1-line block ×3, first 2 shown]
	v_add_f64 v[4:5], v[8:9], -v[12:13]
	v_cmp_le_f64_e32 vcc, 0.5, v[8:9]
	v_add_f64 v[2:3], v[10:11], v[2:3]
	v_mov_b32_e32 v10, 0x3ff00000
	v_add_f64 v[4:5], v[20:21], -v[4:5]
	v_cndmask_b32_e32 v29, 0, v10, vcc
	v_add_f64 v[2:3], v[2:3], v[4:5]
	v_add_f64 v[4:5], v[8:9], -v[28:29]
	v_add_f64 v[8:9], v[4:5], v[2:3]
	v_mul_f64 v[10:11], v[8:9], s[0:1]
	v_add_f64 v[4:5], v[8:9], -v[4:5]
	v_fma_f64 v[12:13], v[8:9], s[0:1], -v[10:11]
	v_add_f64 v[2:3], v[2:3], -v[4:5]
	v_fma_f64 v[4:5], v[8:9], s[26:27], v[12:13]
	v_fma_f64 v[4:5], v[2:3], s[0:1], v[4:5]
	v_add_f64 v[2:3], v[10:11], v[4:5]
	v_add_f64 v[8:9], v[2:3], -v[10:11]
	v_add_f64 v[4:5], v[4:5], -v[8:9]
	v_addc_co_u32_e32 v8, vcc, 0, v26, vcc
.LBB38_16:
	s_andn2_saveexec_b64 s[0:1], s[24:25]
	s_cbranch_execz .LBB38_18
; %bb.17:
	s_mov_b32 s24, 0x6dc9c883
	s_mov_b32 s25, 0x3fe45f30
	v_mul_f64 v[2:3], |v[0:1]|, s[24:25]
	s_mov_b32 s24, 0x54442d18
	s_mov_b32 s25, 0xbff921fb
	;; [unrolled: 1-line block ×4, first 2 shown]
	v_rndne_f64_e32 v[8:9], v[2:3]
	v_fma_f64 v[2:3], v[8:9], s[24:25], |v[0:1]|
	v_mul_f64 v[4:5], v[8:9], s[26:27]
	s_mov_b32 s24, 0x252049c0
	s_mov_b32 s25, 0xb97b839a
	v_fma_f64 v[14:15], v[8:9], s[26:27], v[2:3]
	v_add_f64 v[10:11], v[2:3], v[4:5]
	s_mov_b32 s27, 0x3c91a626
	v_add_f64 v[12:13], v[2:3], -v[10:11]
	v_add_f64 v[10:11], v[10:11], -v[14:15]
	v_add_f64 v[2:3], v[12:13], v[4:5]
	v_fma_f64 v[4:5], v[8:9], s[26:27], v[4:5]
	v_add_f64 v[2:3], v[10:11], v[2:3]
	v_add_f64 v[2:3], v[2:3], -v[4:5]
	v_fma_f64 v[4:5], v[8:9], s[24:25], v[2:3]
	v_cvt_i32_f64_e32 v8, v[8:9]
	v_add_f64 v[2:3], v[14:15], v[4:5]
	v_add_f64 v[10:11], v[2:3], -v[14:15]
	v_add_f64 v[4:5], v[4:5], -v[10:11]
.LBB38_18:
	s_or_b64 exec, exec, s[0:1]
	v_mul_f64 v[9:10], v[2:3], v[2:3]
	v_add_f64 v[11:12], v[4:5], v[4:5]
	s_mov_b32 s0, 0xc751c08c
	s_mov_b32 s1, 0x3ef5e089
	v_and_b32_e32 v8, 1, v8
	v_cmp_eq_u32_e32 vcc, 0, v8
	s_mov_b32 s26, 0x54442d18
	s_mov_b32 s27, 0xc00921fb
	v_fma_f64 v[13:14], v[2:3], v[2:3], -v[9:10]
	s_mov_b64 s[24:25], exec
	v_sub_f32_e32 v7, 1.0, v7
	v_fma_f64 v[11:12], v[2:3], v[11:12], v[13:14]
	v_add_f64 v[9:10], v[9:10], v[11:12]
	v_mov_b32_e32 v11, 0xa9a29f71
	v_mov_b32_e32 v12, 0xbf078809
	v_fma_f64 v[11:12], v[9:10], s[0:1], v[11:12]
	s_mov_b32 s0, 0x90a8aae0
	s_mov_b32 s1, 0x3f17746f
	v_fma_f64 v[11:12], v[9:10], v[11:12], s[0:1]
	s_mov_b32 s0, 0xa6fbf144
	s_mov_b32 s1, 0xbefbb44d
	;; [unrolled: 3-line block ×12, first 2 shown]
	v_fma_f64 v[11:12], v[9:10], v[11:12], s[0:1]
	s_movk_i32 s0, 0x1f8
	v_cmp_class_f64_e64 s[0:1], v[0:1], s0
	v_mul_f64 v[9:10], v[9:10], v[11:12]
	v_mul_f64 v[11:12], v[2:3], v[9:10]
	v_add_f64 v[13:14], v[2:3], v[11:12]
	v_fma_f64 v[9:10], v[2:3], v[9:10], -v[11:12]
	v_add_f64 v[2:3], v[13:14], -v[2:3]
	v_add_f64 v[4:5], v[4:5], v[9:10]
	v_add_f64 v[2:3], v[11:12], -v[2:3]
	v_add_f64 v[2:3], v[4:5], v[2:3]
	v_add_f64 v[4:5], v[13:14], v[2:3]
	v_rcp_f64_e32 v[9:10], v[4:5]
	v_fma_f64 v[11:12], -v[4:5], v[9:10], 1.0
	v_fma_f64 v[9:10], v[11:12], v[9:10], v[9:10]
	v_fma_f64 v[11:12], -v[4:5], v[9:10], 1.0
	v_fma_f64 v[9:10], v[11:12], v[9:10], v[9:10]
	v_add_f64 v[11:12], v[4:5], -v[13:14]
	v_mul_f64 v[13:14], v[4:5], v[9:10]
	v_add_f64 v[2:3], v[2:3], -v[11:12]
	v_fma_f64 v[11:12], v[9:10], v[4:5], -v[13:14]
	v_fma_f64 v[2:3], v[9:10], v[2:3], v[11:12]
	v_add_f64 v[11:12], v[13:14], v[2:3]
	v_add_f64 v[15:16], -v[11:12], 1.0
	v_add_f64 v[13:14], v[11:12], -v[13:14]
	v_add_f64 v[17:18], -v[15:16], 1.0
	v_add_f64 v[2:3], v[13:14], -v[2:3]
	v_add_f64 v[11:12], v[17:18], -v[11:12]
	v_add_f64 v[2:3], v[2:3], v[11:12]
	v_add_f64 v[2:3], v[15:16], v[2:3]
	v_mul_f64 v[2:3], v[9:10], v[2:3]
	v_add_f64 v[2:3], v[9:10], v[2:3]
	v_and_b32_e32 v9, 0x80000000, v1
	v_mov_b32_e32 v1, 0x7ff80000
	v_xor_b32_e32 v0, 0x80000000, v3
	v_cndmask_b32_e32 v2, v2, v4, vcc
	v_cndmask_b32_e32 v3, v0, v5, vcc
	v_cndmask_b32_e64 v0, 0, v2, s[0:1]
	v_xor_b32_e32 v2, v3, v9
	v_cndmask_b32_e64 v1, v1, v2, s[0:1]
	v_div_scale_f64 v[2:3], s[0:1], v[0:1], v[0:1], s[26:27]
	v_div_scale_f64 v[10:11], vcc, s[26:27], v[0:1], s[26:27]
	v_rcp_f64_e32 v[4:5], v[2:3]
	v_fma_f64 v[8:9], -v[2:3], v[4:5], 1.0
	v_fma_f64 v[4:5], v[4:5], v[8:9], v[4:5]
	v_fma_f64 v[8:9], -v[2:3], v[4:5], 1.0
	v_fma_f64 v[4:5], v[4:5], v[8:9], v[4:5]
	v_mul_f64 v[8:9], v[10:11], v[4:5]
	v_fma_f64 v[2:3], -v[2:3], v[8:9], v[10:11]
	v_div_fmas_f64 v[2:3], v[2:3], v[4:5], v[8:9]
	v_div_fixup_f64 v[0:1], v[2:3], v[0:1], s[26:27]
	v_cvt_f32_f64_e32 v0, v[0:1]
.LBB38_19:
	s_or_b64 exec, exec, s[22:23]
	s_orn2_b64 s[22:23], s[24:25], exec
.LBB38_20:
	s_or_b64 exec, exec, s[18:19]
	v_mov_b32_e32 v2, 0x7fc0
	s_and_saveexec_b64 s[0:1], s[22:23]
	s_cbranch_execz .LBB38_32
; %bb.21:
	s_mov_b32 s24, 0x41200000
	v_cmp_gt_f32_e32 vcc, s24, v7
	s_and_saveexec_b64 s[18:19], vcc
	s_cbranch_execz .LBB38_25
; %bb.22:
	s_mov_b64 s[22:23], 0
.LBB38_23:                              ; =>This Inner Loop Header: Depth=1
	v_div_scale_f32 v1, s[26:27], v7, v7, 1.0
	v_div_scale_f32 v2, vcc, 1.0, v7, 1.0
	v_rcp_f32_e32 v3, v1
	v_fma_f32 v4, -v1, v3, 1.0
	v_fmac_f32_e32 v3, v4, v3
	v_mul_f32_e32 v4, v2, v3
	v_fma_f32 v5, -v1, v4, v2
	v_fmac_f32_e32 v4, v5, v3
	v_fma_f32 v1, -v1, v4, v2
	v_div_fmas_f32 v1, v1, v3, v4
	v_div_fixup_f32 v1, v1, v7, 1.0
	v_add_f32_e32 v7, 1.0, v7
	v_cmp_ngt_f32_e32 vcc, s24, v7
	s_or_b64 s[22:23], vcc, s[22:23]
	v_sub_f32_e32 v0, v0, v1
	s_andn2_b64 exec, exec, s[22:23]
	s_cbranch_execnz .LBB38_23
; %bb.24:
	s_or_b64 exec, exec, s[22:23]
.LBB38_25:
	s_or_b64 exec, exec, s[18:19]
	s_mov_b32 s18, 0x41200000
	v_cmp_neq_f32_e32 vcc, s18, v7
                                        ; implicit-def: $vgpr2
	s_and_saveexec_b64 s[18:19], vcc
	s_xor_b64 s[18:19], exec, s[18:19]
	s_cbranch_execz .LBB38_29
; %bb.26:
	v_cvt_f64_f32_e32 v[1:2], v7
	s_mov_b32 s22, 0x85d8a000
	s_mov_b32 s23, 0x43763457
	v_cmp_gt_f64_e32 vcc, s[22:23], v[1:2]
	v_mov_b32_e32 v1, 0
	s_and_saveexec_b64 s[22:23], vcc
	s_cbranch_execz .LBB38_28
; %bb.27:
	v_mul_f32_e32 v1, v7, v7
	v_div_scale_f32 v2, s[24:25], v1, v1, 1.0
	v_div_scale_f32 v3, vcc, 1.0, v1, 1.0
	v_mov_b32_e32 v9, 0x3b820821
	v_rcp_f32_e32 v4, v2
	v_fma_f32 v5, -v2, v4, 1.0
	v_fmac_f32_e32 v4, v5, v4
	v_mul_f32_e32 v5, v3, v4
	v_fma_f32 v8, -v2, v5, v3
	v_fmac_f32_e32 v5, v8, v4
	v_fma_f32 v2, -v2, v5, v3
	v_div_fmas_f32 v2, v2, v4, v5
	v_mov_b32_e32 v3, 0x3daaaaab
	v_mov_b32_e32 v4, 0xbcaccacd
	;; [unrolled: 1-line block ×4, first 2 shown]
	v_div_fixup_f32 v1, v2, v1, 1.0
	v_fma_f32 v2, 0, v1, v3
	v_fmac_f32_e32 v4, v1, v2
	v_fmac_f32_e32 v5, v1, v4
	;; [unrolled: 1-line block ×4, first 2 shown]
	v_mov_b32_e32 v2, 0xbc088889
	v_fmac_f32_e32 v2, v1, v9
	v_fmac_f32_e32 v3, v1, v2
	v_mul_f32_e32 v1, v1, v3
.LBB38_28:
	s_or_b64 exec, exec, s[22:23]
	v_div_scale_f32 v2, s[22:23], v7, v7, -0.5
	v_div_scale_f32 v3, vcc, -0.5, v7, -0.5
	s_mov_b32 s22, 0x800000
	s_mov_b32 s23, 0x3f317217
	;; [unrolled: 1-line block ×3, first 2 shown]
	v_rcp_f32_e32 v4, v2
	v_fma_f32 v5, -v2, v4, 1.0
	v_fmac_f32_e32 v4, v5, v4
	v_mul_f32_e32 v5, v3, v4
	v_fma_f32 v8, -v2, v5, v3
	v_fmac_f32_e32 v5, v8, v4
	v_fma_f32 v2, -v2, v5, v3
	v_div_fmas_f32 v2, v2, v4, v5
	v_cmp_gt_f32_e32 vcc, s22, v7
	v_cndmask_b32_e64 v4, 0, 32, vcc
	v_ldexp_f32 v4, v7, v4
	v_log_f32_e32 v4, v4
	v_mov_b32_e32 v3, 0x41b17218
	v_cndmask_b32_e32 v3, 0, v3, vcc
	s_movk_i32 s22, 0x7fff
	v_mul_f32_e32 v8, 0x3f317217, v4
	v_fma_f32 v8, v4, s23, -v8
	v_fmac_f32_e32 v8, 0x3377d1cf, v4
	v_fmac_f32_e32 v8, 0x3f317217, v4
	v_cmp_lt_f32_e64 vcc, |v4|, s24
	v_cndmask_b32_e32 v4, v4, v8, vcc
	v_sub_f32_e32 v3, v4, v3
	v_mov_b32_e32 v5, 0x7fc0
	v_div_fixup_f32 v2, v2, v7, -0.5
	v_add_f32_e32 v2, v3, v2
	v_sub_f32_e32 v1, v2, v1
	v_add_f32_e32 v0, v0, v1
	v_bfe_u32 v1, v0, 16, 1
	v_cmp_o_f32_e32 vcc, v0, v0
	v_add3_u32 v0, v0, v1, s22
	v_cndmask_b32_sdwa v2, v5, v0, vcc dst_sel:DWORD dst_unused:UNUSED_PAD src0_sel:DWORD src1_sel:WORD_1
                                        ; implicit-def: $vgpr0
.LBB38_29:
	s_andn2_saveexec_b64 s[18:19], s[18:19]
; %bb.30:
	v_add_f32_e32 v0, 0x40101cb7, v0
	v_bfe_u32 v1, v0, 16, 1
	s_movk_i32 s22, 0x7fff
	v_add3_u32 v1, v0, v1, s22
	v_cmp_o_f32_e32 vcc, v0, v0
	v_mov_b32_e32 v0, 0x7fc0
	v_cndmask_b32_sdwa v2, v0, v1, vcc dst_sel:DWORD dst_unused:UNUSED_PAD src0_sel:DWORD src1_sel:WORD_1
; %bb.31:
	s_or_b64 exec, exec, s[18:19]
.LBB38_32:
	s_or_b64 exec, exec, s[0:1]
                                        ; implicit-def: $vgpr7
.LBB38_33:
	s_andn2_saveexec_b64 s[0:1], s[6:7]
; %bb.34:
	v_xor_b32_e32 v0, 0x80000000, v7
	v_and_b32_e32 v0, 0x80000000, v0
	v_or_b32_e32 v0, 0x7f800000, v0
	v_lshrrev_b32_e32 v2, 16, v0
; %bb.35:
	s_or_b64 exec, exec, s[0:1]
	v_mul_lo_u32 v0, v6, s2
	v_mov_b32_e32 v1, s9
	s_and_b32 s24, s33, 0xff
	s_cmp_lt_i32 s24, 11
	v_ashrrev_i32_e32 v3, 31, v0
	v_add_co_u32_e32 v0, vcc, s8, v0
	v_addc_co_u32_e32 v1, vcc, v1, v3, vcc
	s_cbranch_scc1 .LBB38_43
; %bb.36:
	s_and_b32 s25, 0xffff, s24
	s_cmp_gt_i32 s25, 25
	s_cbranch_scc0 .LBB38_47
; %bb.37:
	s_cmp_gt_i32 s25, 28
	s_cbranch_scc0 .LBB38_49
; %bb.38:
	;; [unrolled: 3-line block ×4, first 2 shown]
	s_mov_b64 s[18:19], 0
	s_mov_b64 s[0:1], -1
	s_cmp_eq_u32 s25, 46
	s_mov_b64 s[6:7], 0
	s_cbranch_scc0 .LBB38_58
; %bb.41:
	v_and_b32_e32 v3, 0xffff, v2
	global_store_dword v[0:1], v3, off
	s_mov_b64 s[6:7], -1
	s_mov_b64 s[0:1], 0
	s_branch .LBB38_58
.LBB38_42:
	s_mov_b64 s[0:1], 0
                                        ; implicit-def: $vgpr2
	s_cbranch_execnz .LBB38_192
	s_branch .LBB38_226
.LBB38_43:
	s_mov_b64 s[0:1], 0
	s_mov_b64 s[6:7], 0
	s_cbranch_execnz .LBB38_127
.LBB38_44:
	s_andn2_b64 vcc, exec, s[6:7]
	s_cbranch_vccnz .LBB38_165
.LBB38_45:
	v_add_u32_e32 v6, 0x80, v6
	s_mov_b64 s[18:19], -1
	s_branch .LBB38_275
.LBB38_46:
	s_mov_b64 s[6:7], -1
	s_mov_b64 s[0:1], 0
                                        ; implicit-def: $vgpr2
	s_branch .LBB38_173
.LBB38_47:
	s_mov_b64 s[18:19], -1
	s_mov_b64 s[0:1], 0
	s_mov_b64 s[6:7], 0
	s_branch .LBB38_85
.LBB38_48:
	s_mov_b64 s[6:7], -1
	s_mov_b64 s[0:1], 0
                                        ; implicit-def: $vgpr2
	s_branch .LBB38_168
.LBB38_49:
	s_mov_b64 s[18:19], -1
	s_mov_b64 s[0:1], 0
	s_mov_b64 s[6:7], 0
	s_branch .LBB38_68
.LBB38_50:
	s_mov_b64 s[6:7], -1
	s_branch .LBB38_53
.LBB38_51:
	s_mov_b64 s[18:19], -1
	s_mov_b64 s[0:1], 0
	s_mov_b64 s[6:7], 0
	s_branch .LBB38_64
.LBB38_52:
	s_mov_b64 s[14:15], -1
.LBB38_53:
	s_mov_b64 s[0:1], 0
                                        ; implicit-def: $vgpr2
.LBB38_54:
	s_and_b64 vcc, exec, s[6:7]
	s_cbranch_vccz .LBB38_167
; %bb.55:
	s_cmp_eq_u32 s22, 44
	s_cbranch_scc0 .LBB38_166
; %bb.56:
	global_load_ubyte v2, v[0:1], off
	s_movk_i32 s6, 0xff
	v_mov_b32_e32 v3, 0x7f800001
	v_mov_b32_e32 v4, 0x400000
	;; [unrolled: 1-line block ×3, first 2 shown]
	s_mov_b64 s[0:1], -1
	s_mov_b64 s[14:15], 0
	s_waitcnt vmcnt(0)
	v_lshlrev_b32_e32 v7, 23, v2
	v_cmp_ne_u32_e32 vcc, s6, v2
	v_cndmask_b32_e32 v3, v3, v7, vcc
	v_cmp_ne_u32_e32 vcc, 0, v2
	v_cndmask_b32_e32 v2, v4, v3, vcc
	v_add_u32_e32 v3, 0x7fff, v2
	v_cmp_o_f32_e32 vcc, v2, v2
	v_cndmask_b32_sdwa v2, v5, v3, vcc dst_sel:DWORD dst_unused:UNUSED_PAD src0_sel:DWORD src1_sel:WORD_1
	s_branch .LBB38_167
.LBB38_57:
	s_mov_b64 s[18:19], -1
	s_mov_b64 s[0:1], 0
	s_mov_b64 s[6:7], 0
.LBB38_58:
	s_and_b64 vcc, exec, s[18:19]
	s_cbranch_vccz .LBB38_63
; %bb.59:
	s_cmp_eq_u32 s25, 44
	s_mov_b64 s[0:1], -1
	s_cbranch_scc0 .LBB38_63
; %bb.60:
	v_and_b32_e32 v4, 0xffff, v2
	v_bfe_u32 v3, v4, 7, 8
	s_movk_i32 s0, 0xff
	v_cmp_ne_u32_e32 vcc, s0, v3
	v_mov_b32_e32 v5, 0xff
	s_and_saveexec_b64 s[6:7], vcc
	s_cbranch_execz .LBB38_62
; %bb.61:
	v_lshlrev_b32_e32 v7, 16, v4
	s_mov_b32 s0, 0x3f0000
	v_lshrrev_b32_e32 v5, 7, v4
	v_and_b32_e32 v4, 64, v4
	v_and_or_b32 v3, v7, s0, v3
	v_cmp_ne_u32_e32 vcc, 0, v4
	v_cmp_ne_u32_e64 s[0:1], 0, v3
	s_and_b64 s[0:1], vcc, s[0:1]
	v_cndmask_b32_e64 v3, 0, 1, s[0:1]
	v_add_u32_e32 v5, v5, v3
.LBB38_62:
	s_or_b64 exec, exec, s[6:7]
	s_mov_b64 s[6:7], -1
	s_mov_b64 s[0:1], 0
	global_store_byte v[0:1], v5, off
.LBB38_63:
	s_mov_b64 s[18:19], 0
.LBB38_64:
	s_and_b64 vcc, exec, s[18:19]
	s_cbranch_vccz .LBB38_67
; %bb.65:
	s_cmp_eq_u32 s25, 29
	s_mov_b64 s[0:1], -1
	s_cbranch_scc0 .LBB38_67
; %bb.66:
	v_lshlrev_b32_e32 v3, 16, v2
	v_trunc_f32_e32 v3, v3
	v_mul_f32_e32 v4, 0x2f800000, v3
	v_floor_f32_e32 v5, v4
	v_fmac_f32_e32 v3, 0xcf800000, v5
	v_cvt_u32_f32_e32 v4, v5
	v_cvt_u32_f32_e32 v3, v3
	s_mov_b64 s[6:7], -1
	s_mov_b64 s[0:1], 0
	s_mov_b64 s[18:19], 0
	global_store_dwordx2 v[0:1], v[3:4], off
	s_branch .LBB38_68
.LBB38_67:
	s_mov_b64 s[18:19], 0
.LBB38_68:
	s_and_b64 vcc, exec, s[18:19]
	s_cbranch_vccz .LBB38_84
; %bb.69:
	s_cmp_lt_i32 s25, 27
	s_mov_b64 s[6:7], -1
	s_cbranch_scc1 .LBB38_75
; %bb.70:
	s_cmp_gt_i32 s25, 27
	s_cbranch_scc0 .LBB38_72
; %bb.71:
	v_lshlrev_b32_e32 v3, 16, v2
	v_cvt_u32_f32_e32 v3, v3
	s_mov_b64 s[6:7], 0
	global_store_dword v[0:1], v3, off
.LBB38_72:
	s_andn2_b64 vcc, exec, s[6:7]
	s_cbranch_vccnz .LBB38_74
; %bb.73:
	v_lshlrev_b32_e32 v3, 16, v2
	v_cvt_u32_f32_e32 v3, v3
	global_store_short v[0:1], v3, off
.LBB38_74:
	s_mov_b64 s[6:7], 0
.LBB38_75:
	s_andn2_b64 vcc, exec, s[6:7]
	s_cbranch_vccnz .LBB38_83
; %bb.76:
	v_lshlrev_b32_e32 v5, 16, v2
	v_and_b32_e32 v4, 0x7fffffff, v5
	s_mov_b32 s6, 0x43800000
	v_cmp_gt_u32_e32 vcc, s6, v4
	v_mov_b32_e32 v7, 0x80
	s_and_saveexec_b64 s[6:7], vcc
	s_cbranch_execz .LBB38_82
; %bb.77:
	s_mov_b32 s18, 0x3bffffff
	v_and_b32_e32 v3, 0xffff, v2
	v_cmp_lt_u32_e32 vcc, s18, v4
	s_mov_b64 s[18:19], 0
                                        ; implicit-def: $vgpr4
	s_and_saveexec_b64 s[22:23], vcc
	s_xor_b64 s[22:23], exec, s[22:23]
	s_cbranch_execz .LBB38_327
; %bb.78:
	v_bfe_u32 v4, v3, 4, 1
	s_mov_b32 s26, 0x487ffff
	v_add3_u32 v4, v5, v4, s26
	s_mov_b64 s[18:19], exec
	v_lshrrev_b32_e32 v4, 20, v4
                                        ; implicit-def: $vgpr5
	s_andn2_saveexec_b64 s[22:23], s[22:23]
	s_cbranch_execnz .LBB38_328
.LBB38_79:
	s_or_b64 exec, exec, s[22:23]
	v_mov_b32_e32 v7, 0
	s_and_saveexec_b64 s[22:23], s[18:19]
.LBB38_80:
	v_lshrrev_b32_e32 v3, 8, v3
	s_movk_i32 s18, 0x80
	v_and_or_b32 v7, v3, s18, v4
.LBB38_81:
	s_or_b64 exec, exec, s[22:23]
.LBB38_82:
	s_or_b64 exec, exec, s[6:7]
	global_store_byte v[0:1], v7, off
.LBB38_83:
	s_mov_b64 s[6:7], -1
.LBB38_84:
	s_mov_b64 s[18:19], 0
.LBB38_85:
	s_and_b64 vcc, exec, s[18:19]
	s_cbranch_vccz .LBB38_126
; %bb.86:
	s_cmp_gt_i32 s25, 22
	s_mov_b64 s[18:19], -1
	s_cbranch_scc0 .LBB38_118
; %bb.87:
	s_cmp_lt_i32 s25, 24
	s_mov_b64 s[6:7], -1
	s_cbranch_scc1 .LBB38_107
; %bb.88:
	s_cmp_gt_i32 s25, 24
	s_cbranch_scc0 .LBB38_96
; %bb.89:
	v_lshlrev_b32_e32 v5, 16, v2
	v_and_b32_e32 v4, 0x7fffffff, v5
	s_mov_b32 s6, 0x47800000
	v_cmp_gt_u32_e32 vcc, s6, v4
	v_mov_b32_e32 v7, 0x80
	s_and_saveexec_b64 s[6:7], vcc
	s_cbranch_execz .LBB38_95
; %bb.90:
	s_mov_b32 s18, 0x37ffffff
	v_and_b32_e32 v3, 0xffff, v2
	v_cmp_lt_u32_e32 vcc, s18, v4
	s_mov_b64 s[18:19], 0
                                        ; implicit-def: $vgpr4
	s_and_saveexec_b64 s[22:23], vcc
	s_xor_b64 s[22:23], exec, s[22:23]
	s_cbranch_execz .LBB38_331
; %bb.91:
	v_bfe_u32 v4, v3, 5, 1
	s_mov_b32 s26, 0x88fffff
	v_add3_u32 v4, v5, v4, s26
	s_mov_b64 s[18:19], exec
	v_lshrrev_b32_e32 v4, 21, v4
                                        ; implicit-def: $vgpr5
	s_andn2_saveexec_b64 s[22:23], s[22:23]
	s_cbranch_execnz .LBB38_332
.LBB38_92:
	s_or_b64 exec, exec, s[22:23]
	v_mov_b32_e32 v7, 0
	s_and_saveexec_b64 s[22:23], s[18:19]
.LBB38_93:
	v_lshrrev_b32_e32 v3, 8, v3
	s_movk_i32 s18, 0x80
	v_and_or_b32 v7, v3, s18, v4
.LBB38_94:
	s_or_b64 exec, exec, s[22:23]
.LBB38_95:
	s_or_b64 exec, exec, s[6:7]
	s_mov_b64 s[6:7], 0
	global_store_byte v[0:1], v7, off
.LBB38_96:
	s_and_b64 vcc, exec, s[6:7]
	s_cbranch_vccz .LBB38_106
; %bb.97:
	v_lshlrev_b32_e32 v5, 16, v2
	v_and_b32_e32 v7, 0x7fffffff, v5
	s_mov_b32 s6, 0x43f00000
	v_and_b32_e32 v3, 0xffff, v2
	v_cmp_gt_u32_e32 vcc, s6, v7
                                        ; implicit-def: $vgpr4
	s_and_saveexec_b64 s[6:7], vcc
	s_xor_b64 s[6:7], exec, s[6:7]
	s_cbranch_execz .LBB38_103
; %bb.98:
	s_mov_b32 s18, 0x3c7fffff
	v_cmp_lt_u32_e32 vcc, s18, v7
                                        ; implicit-def: $vgpr4
	s_and_saveexec_b64 s[18:19], vcc
	s_xor_b64 s[18:19], exec, s[18:19]
; %bb.99:
	v_bfe_u32 v4, v3, 4, 1
	s_mov_b32 s22, 0x407ffff
	v_add3_u32 v4, v5, v4, s22
	v_lshrrev_b32_e32 v5, 20, v4
	v_and_b32_e32 v4, 0xff00000, v4
	s_mov_b32 s22, 0x7f00000
	v_mov_b32_e32 v7, 0x7e
	v_cmp_ne_u32_e32 vcc, s22, v4
	v_cndmask_b32_e32 v4, v7, v5, vcc
                                        ; implicit-def: $vgpr5
; %bb.100:
	s_andn2_saveexec_b64 s[18:19], s[18:19]
; %bb.101:
	s_mov_b32 s22, 0x46800000
	v_add_f32_e64 v4, |v5|, s22
; %bb.102:
	s_or_b64 exec, exec, s[18:19]
                                        ; implicit-def: $vgpr7
.LBB38_103:
	s_andn2_saveexec_b64 s[6:7], s[6:7]
; %bb.104:
	s_mov_b32 s18, 0x7f800000
	v_mov_b32_e32 v4, 0x7e
	v_mov_b32_e32 v5, 0x7f
	v_cmp_lt_u32_e32 vcc, s18, v7
	v_cndmask_b32_e32 v4, v4, v5, vcc
; %bb.105:
	s_or_b64 exec, exec, s[6:7]
	v_lshrrev_b32_e32 v3, 8, v3
	s_movk_i32 s6, 0x80
	v_and_or_b32 v3, v3, s6, v4
	global_store_byte v[0:1], v3, off
.LBB38_106:
	s_mov_b64 s[6:7], 0
.LBB38_107:
	s_andn2_b64 vcc, exec, s[6:7]
	s_cbranch_vccnz .LBB38_117
; %bb.108:
	v_lshlrev_b32_e32 v5, 16, v2
	v_and_b32_e32 v7, 0x7fffffff, v5
	s_mov_b32 s6, 0x47800000
	v_and_b32_e32 v3, 0xffff, v2
	v_cmp_gt_u32_e32 vcc, s6, v7
                                        ; implicit-def: $vgpr4
	s_and_saveexec_b64 s[6:7], vcc
	s_xor_b64 s[6:7], exec, s[6:7]
	s_cbranch_execz .LBB38_114
; %bb.109:
	s_mov_b32 s18, 0x387fffff
	v_cmp_lt_u32_e32 vcc, s18, v7
                                        ; implicit-def: $vgpr4
	s_and_saveexec_b64 s[18:19], vcc
	s_xor_b64 s[18:19], exec, s[18:19]
; %bb.110:
	v_bfe_u32 v4, v3, 5, 1
	s_mov_b32 s22, 0x80fffff
	v_add3_u32 v4, v5, v4, s22
	v_lshrrev_b32_e32 v4, 21, v4
                                        ; implicit-def: $vgpr5
; %bb.111:
	s_andn2_saveexec_b64 s[18:19], s[18:19]
; %bb.112:
	s_mov_b32 s22, 0x43000000
	v_add_f32_e64 v4, |v5|, s22
; %bb.113:
	s_or_b64 exec, exec, s[18:19]
                                        ; implicit-def: $vgpr7
.LBB38_114:
	s_andn2_saveexec_b64 s[6:7], s[6:7]
; %bb.115:
	s_mov_b32 s18, 0x7f800000
	v_mov_b32_e32 v4, 0x7c
	v_mov_b32_e32 v5, 0x7f
	v_cmp_lt_u32_e32 vcc, s18, v7
	v_cndmask_b32_e32 v4, v4, v5, vcc
; %bb.116:
	s_or_b64 exec, exec, s[6:7]
	v_lshrrev_b32_e32 v3, 8, v3
	s_movk_i32 s6, 0x80
	v_and_or_b32 v3, v3, s6, v4
	global_store_byte v[0:1], v3, off
.LBB38_117:
	s_mov_b64 s[18:19], 0
	s_mov_b64 s[6:7], -1
.LBB38_118:
	s_andn2_b64 vcc, exec, s[18:19]
	s_cbranch_vccnz .LBB38_126
; %bb.119:
	s_cmp_gt_i32 s25, 14
	s_mov_b64 s[18:19], -1
	s_cbranch_scc0 .LBB38_123
; %bb.120:
	s_cmp_eq_u32 s25, 15
	s_mov_b64 s[0:1], -1
	s_cbranch_scc0 .LBB38_122
; %bb.121:
	global_store_short v[0:1], v2, off
	s_mov_b64 s[6:7], -1
	s_mov_b64 s[0:1], 0
.LBB38_122:
	s_mov_b64 s[18:19], 0
.LBB38_123:
	s_and_b64 vcc, exec, s[18:19]
	s_cbranch_vccz .LBB38_126
; %bb.124:
	s_cmp_eq_u32 s25, 11
	s_mov_b64 s[0:1], -1
	s_cbranch_scc0 .LBB38_126
; %bb.125:
	v_and_b32_e32 v3, 0x7fff, v2
	v_cmp_ne_u16_e32 vcc, 0, v3
	v_cndmask_b32_e64 v3, 0, 1, vcc
	s_mov_b64 s[6:7], -1
	s_mov_b64 s[0:1], 0
	global_store_byte v[0:1], v3, off
.LBB38_126:
	s_branch .LBB38_44
.LBB38_127:
	s_and_b32 s18, 0xffff, s24
	s_cmp_lt_i32 s18, 5
	s_mov_b64 s[6:7], -1
	s_cbranch_scc1 .LBB38_148
; %bb.128:
	s_cmp_lt_i32 s18, 8
	s_cbranch_scc1 .LBB38_138
; %bb.129:
	s_cmp_lt_i32 s18, 9
	s_cbranch_scc1 .LBB38_135
; %bb.130:
	s_cmp_gt_i32 s18, 9
	s_cbranch_scc0 .LBB38_132
; %bb.131:
	v_lshlrev_b32_e32 v3, 16, v2
	v_cvt_f64_f32_e32 v[7:8], v3
	v_mov_b32_e32 v9, 0
	v_mov_b32_e32 v10, v9
	s_mov_b64 s[6:7], 0
	global_store_dwordx4 v[0:1], v[7:10], off
.LBB38_132:
	s_andn2_b64 vcc, exec, s[6:7]
	s_cbranch_vccnz .LBB38_134
; %bb.133:
	v_lshlrev_b32_e32 v3, 16, v2
	v_mov_b32_e32 v4, 0
	global_store_dwordx2 v[0:1], v[3:4], off
.LBB38_134:
	s_mov_b64 s[6:7], 0
.LBB38_135:
	s_andn2_b64 vcc, exec, s[6:7]
	s_cbranch_vccnz .LBB38_137
; %bb.136:
	v_lshlrev_b32_e32 v3, 16, v2
	v_cvt_f16_f32_e32 v3, v3
	global_store_dword v[0:1], v3, off
.LBB38_137:
	s_mov_b64 s[6:7], 0
.LBB38_138:
	s_andn2_b64 vcc, exec, s[6:7]
	s_cbranch_vccnz .LBB38_147
; %bb.139:
	s_cmp_lt_i32 s18, 6
	s_mov_b64 s[6:7], -1
	s_cbranch_scc1 .LBB38_145
; %bb.140:
	s_cmp_gt_i32 s18, 6
	s_cbranch_scc0 .LBB38_142
; %bb.141:
	v_lshlrev_b32_e32 v3, 16, v2
	v_cvt_f64_f32_e32 v[3:4], v3
	s_mov_b64 s[6:7], 0
	global_store_dwordx2 v[0:1], v[3:4], off
.LBB38_142:
	s_andn2_b64 vcc, exec, s[6:7]
	s_cbranch_vccnz .LBB38_144
; %bb.143:
	v_lshlrev_b32_e32 v3, 16, v2
	global_store_dword v[0:1], v3, off
.LBB38_144:
	s_mov_b64 s[6:7], 0
.LBB38_145:
	s_andn2_b64 vcc, exec, s[6:7]
	s_cbranch_vccnz .LBB38_147
; %bb.146:
	v_lshlrev_b32_e32 v3, 16, v2
	v_cvt_f16_f32_e32 v3, v3
	global_store_short v[0:1], v3, off
.LBB38_147:
	s_mov_b64 s[6:7], 0
.LBB38_148:
	s_andn2_b64 vcc, exec, s[6:7]
	s_cbranch_vccnz .LBB38_164
; %bb.149:
	s_cmp_lt_i32 s18, 2
	s_mov_b64 s[6:7], -1
	s_cbranch_scc1 .LBB38_159
; %bb.150:
	s_cmp_lt_i32 s18, 3
	s_cbranch_scc1 .LBB38_156
; %bb.151:
	s_cmp_gt_i32 s18, 3
	s_cbranch_scc0 .LBB38_153
; %bb.152:
	v_lshlrev_b32_e32 v3, 16, v2
	v_trunc_f32_e32 v3, v3
	s_mov_b32 s6, 0x2f800000
	v_mul_f32_e64 v4, |v3|, s6
	v_floor_f32_e32 v4, v4
	s_mov_b32 s6, 0xcf800000
	v_cvt_u32_f32_e32 v5, v4
	v_fma_f32 v4, v4, s6, |v3|
	v_cvt_u32_f32_e32 v4, v4
	v_ashrrev_i32_e32 v7, 31, v3
	v_xor_b32_e32 v5, v5, v7
	s_mov_b64 s[6:7], 0
	v_xor_b32_e32 v3, v4, v7
	v_sub_co_u32_e32 v3, vcc, v3, v7
	v_subb_co_u32_e32 v4, vcc, v5, v7, vcc
	global_store_dwordx2 v[0:1], v[3:4], off
.LBB38_153:
	s_andn2_b64 vcc, exec, s[6:7]
	s_cbranch_vccnz .LBB38_155
; %bb.154:
	v_lshlrev_b32_e32 v3, 16, v2
	v_cvt_i32_f32_e32 v3, v3
	global_store_dword v[0:1], v3, off
.LBB38_155:
	s_mov_b64 s[6:7], 0
.LBB38_156:
	s_andn2_b64 vcc, exec, s[6:7]
	s_cbranch_vccnz .LBB38_158
; %bb.157:
	v_lshlrev_b32_e32 v3, 16, v2
	v_cvt_i32_f32_e32 v3, v3
	global_store_short v[0:1], v3, off
.LBB38_158:
	s_mov_b64 s[6:7], 0
.LBB38_159:
	s_andn2_b64 vcc, exec, s[6:7]
	s_cbranch_vccnz .LBB38_164
; %bb.160:
	s_mov_b64 s[6:7], -1
	s_cmp_gt_i32 s18, 0
	v_lshlrev_b32_e32 v2, 16, v2
	s_cbranch_scc0 .LBB38_162
; %bb.161:
	v_cvt_i32_f32_e32 v3, v2
	s_mov_b64 s[6:7], 0
	global_store_byte v[0:1], v3, off
.LBB38_162:
	s_andn2_b64 vcc, exec, s[6:7]
	s_cbranch_vccnz .LBB38_164
; %bb.163:
	v_trunc_f32_e32 v2, v2
	s_mov_b32 s6, 0x2f800000
	v_mul_f32_e64 v3, |v2|, s6
	v_floor_f32_e32 v3, v3
	s_mov_b32 s6, 0xcf800000
	v_fma_f32 v3, v3, s6, |v2|
	v_cvt_u32_f32_e32 v3, v3
	v_ashrrev_i32_e32 v2, 31, v2
	v_xor_b32_e32 v3, v3, v2
	v_sub_u32_e32 v2, v3, v2
	global_store_byte v[0:1], v2, off
.LBB38_164:
	s_branch .LBB38_45
.LBB38_165:
	s_mov_b64 s[18:19], 0
                                        ; implicit-def: $vgpr6
	s_branch .LBB38_275
.LBB38_166:
	s_mov_b64 s[14:15], -1
                                        ; implicit-def: $vgpr2
.LBB38_167:
	s_mov_b64 s[6:7], 0
.LBB38_168:
	s_and_b64 vcc, exec, s[6:7]
	s_cbranch_vccz .LBB38_172
; %bb.169:
	s_cmp_eq_u32 s22, 29
	s_cbranch_scc0 .LBB38_171
; %bb.170:
	global_load_dwordx2 v[2:3], v[0:1], off
	s_movk_i32 s6, 0x7fff
	s_mov_b64 s[0:1], -1
	s_mov_b64 s[14:15], 0
	s_waitcnt vmcnt(0)
	v_ffbh_u32_e32 v4, v3
	v_min_u32_e32 v4, 32, v4
	v_lshlrev_b64 v[2:3], v4, v[2:3]
	v_min_u32_e32 v2, 1, v2
	v_or_b32_e32 v2, v3, v2
	v_cvt_f32_u32_e32 v2, v2
	v_sub_u32_e32 v3, 32, v4
	v_ldexp_f32 v2, v2, v3
	v_bfe_u32 v3, v2, 16, 1
	v_add3_u32 v2, v2, v3, s6
	v_lshrrev_b32_e32 v2, 16, v2
	s_branch .LBB38_172
.LBB38_171:
	s_mov_b64 s[14:15], -1
                                        ; implicit-def: $vgpr2
.LBB38_172:
	s_mov_b64 s[6:7], 0
.LBB38_173:
	s_and_b64 vcc, exec, s[6:7]
	s_cbranch_vccz .LBB38_191
; %bb.174:
	s_cmp_lt_i32 s22, 27
	s_cbranch_scc1 .LBB38_177
; %bb.175:
	s_cmp_gt_i32 s22, 27
	s_cbranch_scc0 .LBB38_178
; %bb.176:
	global_load_dword v2, v[0:1], off
	s_movk_i32 s0, 0x7fff
	s_waitcnt vmcnt(0)
	v_cvt_f32_u32_e32 v2, v2
	v_bfe_u32 v3, v2, 16, 1
	v_add3_u32 v2, v2, v3, s0
	v_lshrrev_b32_e32 v2, 16, v2
	s_mov_b64 s[0:1], 0
	s_branch .LBB38_179
.LBB38_177:
	s_mov_b64 s[0:1], -1
                                        ; implicit-def: $vgpr2
	s_branch .LBB38_182
.LBB38_178:
	s_mov_b64 s[0:1], -1
                                        ; implicit-def: $vgpr2
.LBB38_179:
	s_andn2_b64 vcc, exec, s[0:1]
	s_cbranch_vccnz .LBB38_181
; %bb.180:
	global_load_ushort v2, v[0:1], off
	s_movk_i32 s0, 0x7fff
	s_waitcnt vmcnt(0)
	v_cvt_f32_u32_e32 v2, v2
	v_bfe_u32 v3, v2, 16, 1
	v_add3_u32 v2, v2, v3, s0
	v_lshrrev_b32_e32 v2, 16, v2
.LBB38_181:
	s_mov_b64 s[0:1], 0
.LBB38_182:
	s_andn2_b64 vcc, exec, s[0:1]
	s_cbranch_vccnz .LBB38_190
; %bb.183:
	global_load_ubyte v2, v[0:1], off
	s_movk_i32 s0, 0x7f
	s_waitcnt vmcnt(0)
	v_cmp_lt_i16_e32 vcc, s0, v2
	s_mov_b64 s[0:1], 0
	s_and_saveexec_b64 s[6:7], vcc
	s_xor_b64 s[6:7], exec, s[6:7]
	s_cbranch_execz .LBB38_203
; %bb.184:
	s_movk_i32 s0, 0x80
	v_cmp_eq_u16_e32 vcc, s0, v2
	s_mov_b64 s[0:1], -1
	s_and_saveexec_b64 s[18:19], vcc
; %bb.185:
	s_xor_b64 s[0:1], exec, -1
; %bb.186:
	s_or_b64 exec, exec, s[18:19]
	s_and_b64 s[0:1], s[0:1], exec
	s_or_saveexec_b64 s[6:7], s[6:7]
	v_mov_b32_e32 v3, 0x7f800001
	s_xor_b64 exec, exec, s[6:7]
	s_cbranch_execnz .LBB38_204
.LBB38_187:
	s_or_b64 exec, exec, s[6:7]
	s_and_saveexec_b64 s[6:7], s[0:1]
	s_cbranch_execz .LBB38_189
.LBB38_188:
	v_lshlrev_b32_e32 v3, 24, v2
	v_and_b32_e32 v2, 0xffff, v2
	v_and_b32_e32 v4, 7, v2
	v_ffbh_u32_e32 v7, v4
	v_min_u32_e32 v7, 32, v7
	v_subrev_u32_e32 v8, 28, v7
	v_bfe_u32 v5, v2, 3, 4
	v_lshlrev_b32_e32 v2, v8, v2
	v_sub_u32_e32 v7, 29, v7
	v_and_b32_e32 v2, 7, v2
	v_cmp_eq_u32_e32 vcc, 0, v5
	v_cndmask_b32_e32 v5, v5, v7, vcc
	v_cndmask_b32_e32 v2, v4, v2, vcc
	v_mov_b32_e32 v4, 0x3b800000
	v_lshlrev_b32_e32 v2, 20, v2
	v_and_b32_e32 v3, 0x80000000, v3
	v_lshl_add_u32 v4, v5, 23, v4
	v_or3_b32 v3, v3, v4, v2
.LBB38_189:
	s_or_b64 exec, exec, s[6:7]
	v_bfe_u32 v2, v3, 16, 1
	s_movk_i32 s0, 0x7fff
	v_add3_u32 v2, v3, v2, s0
	v_cmp_o_f32_e32 vcc, v3, v3
	v_mov_b32_e32 v3, 0x7fc0
	v_cndmask_b32_sdwa v2, v3, v2, vcc dst_sel:DWORD dst_unused:UNUSED_PAD src0_sel:DWORD src1_sel:WORD_1
.LBB38_190:
	s_mov_b64 s[0:1], -1
.LBB38_191:
	s_branch .LBB38_226
.LBB38_192:
	s_cmp_gt_i32 s22, 22
	s_cbranch_scc0 .LBB38_202
; %bb.193:
	s_cmp_lt_i32 s22, 24
	s_cbranch_scc1 .LBB38_205
; %bb.194:
	s_cmp_gt_i32 s22, 24
	s_cbranch_scc0 .LBB38_206
; %bb.195:
	global_load_ubyte v2, v[0:1], off
	s_movk_i32 s0, 0x7f
	s_waitcnt vmcnt(0)
	v_cmp_lt_i16_e32 vcc, s0, v2
	s_mov_b64 s[0:1], 0
	s_and_saveexec_b64 s[6:7], vcc
	s_xor_b64 s[6:7], exec, s[6:7]
	s_cbranch_execz .LBB38_218
; %bb.196:
	s_movk_i32 s0, 0x80
	v_cmp_eq_u16_e32 vcc, s0, v2
	s_mov_b64 s[0:1], -1
	s_and_saveexec_b64 s[18:19], vcc
; %bb.197:
	s_xor_b64 s[0:1], exec, -1
; %bb.198:
	s_or_b64 exec, exec, s[18:19]
	s_and_b64 s[0:1], s[0:1], exec
	s_or_saveexec_b64 s[6:7], s[6:7]
	v_mov_b32_e32 v3, 0x7f800001
	s_xor_b64 exec, exec, s[6:7]
	s_cbranch_execnz .LBB38_219
.LBB38_199:
	s_or_b64 exec, exec, s[6:7]
	s_and_saveexec_b64 s[6:7], s[0:1]
	s_cbranch_execz .LBB38_201
.LBB38_200:
	v_lshlrev_b32_e32 v3, 24, v2
	v_and_b32_e32 v2, 0xffff, v2
	v_and_b32_e32 v4, 3, v2
	v_ffbh_u32_e32 v7, v4
	v_min_u32_e32 v7, 32, v7
	v_subrev_u32_e32 v8, 29, v7
	v_bfe_u32 v5, v2, 2, 5
	v_lshlrev_b32_e32 v2, v8, v2
	v_sub_u32_e32 v7, 30, v7
	v_and_b32_e32 v2, 3, v2
	v_cmp_eq_u32_e32 vcc, 0, v5
	v_cndmask_b32_e32 v5, v5, v7, vcc
	v_cndmask_b32_e32 v2, v4, v2, vcc
	v_mov_b32_e32 v4, 0x37800000
	v_lshlrev_b32_e32 v2, 21, v2
	v_and_b32_e32 v3, 0x80000000, v3
	v_lshl_add_u32 v4, v5, 23, v4
	v_or3_b32 v3, v3, v4, v2
.LBB38_201:
	s_or_b64 exec, exec, s[6:7]
	v_bfe_u32 v2, v3, 16, 1
	s_movk_i32 s0, 0x7fff
	v_add3_u32 v2, v3, v2, s0
	v_cmp_o_f32_e32 vcc, v3, v3
	v_mov_b32_e32 v3, 0x7fc0
	v_cndmask_b32_sdwa v2, v3, v2, vcc dst_sel:DWORD dst_unused:UNUSED_PAD src0_sel:DWORD src1_sel:WORD_1
	s_mov_b64 s[0:1], 0
	s_branch .LBB38_207
.LBB38_202:
	s_mov_b64 s[6:7], -1
                                        ; implicit-def: $vgpr2
	s_branch .LBB38_213
.LBB38_203:
	s_or_saveexec_b64 s[6:7], s[6:7]
	v_mov_b32_e32 v3, 0x7f800001
	s_xor_b64 exec, exec, s[6:7]
	s_cbranch_execz .LBB38_187
.LBB38_204:
	v_cmp_ne_u16_e32 vcc, 0, v2
	s_andn2_b64 s[0:1], s[0:1], exec
	s_and_b64 s[18:19], vcc, exec
	v_mov_b32_e32 v3, 0
	s_or_b64 s[0:1], s[0:1], s[18:19]
	s_or_b64 exec, exec, s[6:7]
	s_and_saveexec_b64 s[6:7], s[0:1]
	s_cbranch_execnz .LBB38_188
	s_branch .LBB38_189
.LBB38_205:
	s_mov_b64 s[0:1], -1
                                        ; implicit-def: $vgpr2
	s_branch .LBB38_210
.LBB38_206:
	s_mov_b64 s[0:1], -1
                                        ; implicit-def: $vgpr2
.LBB38_207:
	s_and_b64 vcc, exec, s[0:1]
	s_cbranch_vccz .LBB38_209
; %bb.208:
	global_load_ubyte v2, v[0:1], off
	s_mov_b32 s0, 0x7f800000
	s_brev_b32 s1, 1
	s_movk_i32 s6, 0x7fff
	s_waitcnt vmcnt(0)
	v_lshlrev_b32_e32 v2, 24, v2
	v_and_b32_e32 v3, 0x7f000000, v2
	v_ffbh_u32_e32 v4, v3
	v_min_u32_e32 v4, 32, v4
	v_sub_u32_e64 v4, v4, 4 clamp
	v_lshlrev_b32_e32 v7, v4, v3
	v_lshlrev_b32_e32 v4, 23, v4
	v_lshrrev_b32_e32 v7, 4, v7
	v_add_u32_e32 v5, 0x1000000, v3
	v_sub_u32_e32 v4, v7, v4
	v_ashrrev_i32_e32 v5, 8, v5
	v_add_u32_e32 v4, 0x3c000000, v4
	v_and_or_b32 v4, v5, s0, v4
	v_cmp_ne_u32_e32 vcc, 0, v3
	v_cndmask_b32_e32 v3, 0, v4, vcc
	v_and_or_b32 v2, v2, s1, v3
	v_bfe_u32 v3, v3, 16, 1
	v_add3_u32 v3, v2, v3, s6
	v_cmp_o_f32_e32 vcc, v2, v2
	v_mov_b32_e32 v2, 0x7fc0
	v_cndmask_b32_sdwa v2, v2, v3, vcc dst_sel:DWORD dst_unused:UNUSED_PAD src0_sel:DWORD src1_sel:WORD_1
.LBB38_209:
	s_mov_b64 s[0:1], 0
.LBB38_210:
	s_andn2_b64 vcc, exec, s[0:1]
	s_cbranch_vccnz .LBB38_212
; %bb.211:
	global_load_ubyte v2, v[0:1], off
	s_movk_i32 s0, 0x7f00
	s_brev_b32 s1, 16
	s_brev_b32 s6, 1
	s_movk_i32 s7, 0x7fff
	s_waitcnt vmcnt(0)
	v_lshlrev_b16_e32 v3, 8, v2
	v_lshlrev_b32_e32 v2, 25, v2
	v_lshrrev_b32_e32 v4, 4, v2
	v_and_or_b32 v5, v3, s0, 0.5
	v_or_b32_e32 v4, 0x70000000, v4
	v_add_f32_e32 v5, -0.5, v5
	v_mul_f32_e32 v4, 0x7800000, v4
	v_cmp_gt_u32_e32 vcc, s1, v2
	v_bfe_i32 v3, v3, 0, 16
	v_cndmask_b32_e32 v2, v4, v5, vcc
	v_and_or_b32 v3, v3, s6, v2
	v_bfe_u32 v2, v2, 16, 1
	v_add3_u32 v2, v3, v2, s7
	v_cmp_o_f32_e32 vcc, v3, v3
	v_mov_b32_e32 v3, 0x7fc0
	v_cndmask_b32_sdwa v2, v3, v2, vcc dst_sel:DWORD dst_unused:UNUSED_PAD src0_sel:DWORD src1_sel:WORD_1
.LBB38_212:
	s_mov_b64 s[6:7], 0
	s_mov_b64 s[0:1], -1
.LBB38_213:
	s_andn2_b64 vcc, exec, s[6:7]
	s_cbranch_vccnz .LBB38_226
; %bb.214:
	s_cmp_gt_i32 s22, 14
	s_cbranch_scc0 .LBB38_217
; %bb.215:
	s_cmp_eq_u32 s22, 15
	s_cbranch_scc0 .LBB38_220
; %bb.216:
	global_load_ushort v2, v[0:1], off
	s_mov_b64 s[0:1], -1
	s_mov_b64 s[14:15], 0
	s_branch .LBB38_221
.LBB38_217:
	s_mov_b64 s[6:7], -1
                                        ; implicit-def: $vgpr2
	s_branch .LBB38_222
.LBB38_218:
	s_or_saveexec_b64 s[6:7], s[6:7]
	v_mov_b32_e32 v3, 0x7f800001
	s_xor_b64 exec, exec, s[6:7]
	s_cbranch_execz .LBB38_199
.LBB38_219:
	v_cmp_ne_u16_e32 vcc, 0, v2
	s_andn2_b64 s[0:1], s[0:1], exec
	s_and_b64 s[18:19], vcc, exec
	v_mov_b32_e32 v3, 0
	s_or_b64 s[0:1], s[0:1], s[18:19]
	s_or_b64 exec, exec, s[6:7]
	s_and_saveexec_b64 s[6:7], s[0:1]
	s_cbranch_execnz .LBB38_200
	s_branch .LBB38_201
.LBB38_220:
	s_mov_b64 s[14:15], -1
                                        ; implicit-def: $vgpr2
.LBB38_221:
	s_mov_b64 s[6:7], 0
.LBB38_222:
	s_and_b64 vcc, exec, s[6:7]
	s_cbranch_vccz .LBB38_226
; %bb.223:
	s_cmp_eq_u32 s22, 11
	s_cbranch_scc0 .LBB38_225
; %bb.224:
	global_load_ubyte v2, v[0:1], off
	s_mov_b64 s[0:1], -1
	s_mov_b64 s[14:15], 0
	s_waitcnt vmcnt(0)
	v_cmp_ne_u16_e32 vcc, 0, v2
	v_cndmask_b32_e64 v2, 0, 1.0, vcc
	v_lshrrev_b32_e32 v2, 16, v2
	s_branch .LBB38_226
.LBB38_225:
	s_mov_b64 s[14:15], -1
                                        ; implicit-def: $vgpr2
.LBB38_226:
	s_branch .LBB38_10
.LBB38_227:
	s_cmp_lt_i32 s22, 5
	s_cbranch_scc1 .LBB38_232
; %bb.228:
	s_cmp_lt_i32 s22, 8
	s_cbranch_scc1 .LBB38_233
; %bb.229:
	;; [unrolled: 3-line block ×3, first 2 shown]
	s_cmp_gt_i32 s22, 9
	s_cbranch_scc0 .LBB38_235
; %bb.231:
	global_load_dwordx2 v[2:3], v[0:1], off
	s_movk_i32 s0, 0x7fff
	s_waitcnt vmcnt(0)
	v_cvt_f32_f64_e32 v2, v[2:3]
	v_mov_b32_e32 v3, 0x7fc0
	v_bfe_u32 v4, v2, 16, 1
	v_cmp_o_f32_e32 vcc, v2, v2
	v_add3_u32 v2, v2, v4, s0
	v_cndmask_b32_sdwa v2, v3, v2, vcc dst_sel:DWORD dst_unused:UNUSED_PAD src0_sel:DWORD src1_sel:WORD_1
	s_mov_b64 s[0:1], 0
	s_branch .LBB38_236
.LBB38_232:
                                        ; implicit-def: $vgpr2
	s_branch .LBB38_254
.LBB38_233:
	s_mov_b64 s[0:1], -1
                                        ; implicit-def: $vgpr2
	s_branch .LBB38_242
.LBB38_234:
	s_mov_b64 s[0:1], -1
                                        ; implicit-def: $vgpr2
	s_branch .LBB38_239
.LBB38_235:
	s_mov_b64 s[0:1], -1
                                        ; implicit-def: $vgpr2
.LBB38_236:
	s_andn2_b64 vcc, exec, s[0:1]
	s_cbranch_vccnz .LBB38_238
; %bb.237:
	global_load_dword v2, v[0:1], off
	s_movk_i32 s0, 0x7fff
	v_mov_b32_e32 v3, 0x7fc0
	s_waitcnt vmcnt(0)
	v_bfe_u32 v4, v2, 16, 1
	v_cmp_o_f32_e32 vcc, v2, v2
	v_add3_u32 v2, v2, v4, s0
	v_cndmask_b32_sdwa v2, v3, v2, vcc dst_sel:DWORD dst_unused:UNUSED_PAD src0_sel:DWORD src1_sel:WORD_1
.LBB38_238:
	s_mov_b64 s[0:1], 0
.LBB38_239:
	s_andn2_b64 vcc, exec, s[0:1]
	s_cbranch_vccnz .LBB38_241
; %bb.240:
	global_load_dword v2, v[0:1], off
	s_movk_i32 s0, 0x7fff
	v_mov_b32_e32 v4, 0x7fc0
	s_waitcnt vmcnt(0)
	v_cvt_f32_f16_e32 v3, v2
	v_cmp_o_f16_e32 vcc, v2, v2
	v_bfe_u32 v2, v3, 16, 1
	v_add3_u32 v2, v3, v2, s0
	v_cndmask_b32_sdwa v2, v4, v2, vcc dst_sel:DWORD dst_unused:UNUSED_PAD src0_sel:DWORD src1_sel:WORD_1
.LBB38_241:
	s_mov_b64 s[0:1], 0
.LBB38_242:
	s_andn2_b64 vcc, exec, s[0:1]
	s_cbranch_vccnz .LBB38_253
; %bb.243:
	s_cmp_lt_i32 s22, 6
	s_cbranch_scc1 .LBB38_246
; %bb.244:
	s_cmp_gt_i32 s22, 6
	s_cbranch_scc0 .LBB38_247
; %bb.245:
	global_load_dwordx2 v[2:3], v[0:1], off
	s_movk_i32 s0, 0x7fff
	s_waitcnt vmcnt(0)
	v_cvt_f32_f64_e32 v2, v[2:3]
	v_mov_b32_e32 v3, 0x7fc0
	v_bfe_u32 v4, v2, 16, 1
	v_cmp_o_f32_e32 vcc, v2, v2
	v_add3_u32 v2, v2, v4, s0
	v_cndmask_b32_sdwa v2, v3, v2, vcc dst_sel:DWORD dst_unused:UNUSED_PAD src0_sel:DWORD src1_sel:WORD_1
	s_mov_b64 s[0:1], 0
	s_branch .LBB38_248
.LBB38_246:
	s_mov_b64 s[0:1], -1
                                        ; implicit-def: $vgpr2
	s_branch .LBB38_251
.LBB38_247:
	s_mov_b64 s[0:1], -1
                                        ; implicit-def: $vgpr2
.LBB38_248:
	s_andn2_b64 vcc, exec, s[0:1]
	s_cbranch_vccnz .LBB38_250
; %bb.249:
	global_load_dword v2, v[0:1], off
	s_movk_i32 s0, 0x7fff
	v_mov_b32_e32 v3, 0x7fc0
	s_waitcnt vmcnt(0)
	v_bfe_u32 v4, v2, 16, 1
	v_cmp_o_f32_e32 vcc, v2, v2
	v_add3_u32 v2, v2, v4, s0
	v_cndmask_b32_sdwa v2, v3, v2, vcc dst_sel:DWORD dst_unused:UNUSED_PAD src0_sel:DWORD src1_sel:WORD_1
.LBB38_250:
	s_mov_b64 s[0:1], 0
.LBB38_251:
	s_andn2_b64 vcc, exec, s[0:1]
	s_cbranch_vccnz .LBB38_253
; %bb.252:
	global_load_ushort v2, v[0:1], off
	s_movk_i32 s0, 0x7fff
	v_mov_b32_e32 v4, 0x7fc0
	s_waitcnt vmcnt(0)
	v_cvt_f32_f16_e32 v3, v2
	v_cmp_o_f16_e32 vcc, v2, v2
	v_bfe_u32 v2, v3, 16, 1
	v_add3_u32 v2, v3, v2, s0
	v_cndmask_b32_sdwa v2, v4, v2, vcc dst_sel:DWORD dst_unused:UNUSED_PAD src0_sel:DWORD src1_sel:WORD_1
.LBB38_253:
	s_cbranch_execnz .LBB38_273
.LBB38_254:
	s_cmp_lt_i32 s22, 2
	s_cbranch_scc1 .LBB38_258
; %bb.255:
	s_cmp_lt_i32 s22, 3
	s_cbranch_scc1 .LBB38_259
; %bb.256:
	s_cmp_gt_i32 s22, 3
	s_cbranch_scc0 .LBB38_260
; %bb.257:
	global_load_dwordx2 v[2:3], v[0:1], off
	s_movk_i32 s0, 0x7fff
	s_waitcnt vmcnt(0)
	v_xor_b32_e32 v5, v2, v3
	v_ffbh_i32_e32 v4, v3
	v_ashrrev_i32_e32 v5, 31, v5
	v_add_u32_e32 v4, -1, v4
	v_add_u32_e32 v5, 32, v5
	v_min_u32_e32 v4, v4, v5
	v_lshlrev_b64 v[2:3], v4, v[2:3]
	v_min_u32_e32 v2, 1, v2
	v_or_b32_e32 v2, v3, v2
	v_cvt_f32_i32_e32 v2, v2
	v_sub_u32_e32 v3, 32, v4
	v_ldexp_f32 v2, v2, v3
	v_bfe_u32 v3, v2, 16, 1
	v_add3_u32 v2, v2, v3, s0
	v_lshrrev_b32_e32 v2, 16, v2
	s_mov_b64 s[0:1], 0
	s_branch .LBB38_261
.LBB38_258:
	s_mov_b64 s[0:1], -1
                                        ; implicit-def: $vgpr2
	s_branch .LBB38_267
.LBB38_259:
	s_mov_b64 s[0:1], -1
                                        ; implicit-def: $vgpr2
	s_branch .LBB38_264
.LBB38_260:
	s_mov_b64 s[0:1], -1
                                        ; implicit-def: $vgpr2
.LBB38_261:
	s_andn2_b64 vcc, exec, s[0:1]
	s_cbranch_vccnz .LBB38_263
; %bb.262:
	global_load_dword v2, v[0:1], off
	s_movk_i32 s0, 0x7fff
	s_waitcnt vmcnt(0)
	v_cvt_f32_i32_e32 v2, v2
	v_bfe_u32 v3, v2, 16, 1
	v_add3_u32 v2, v2, v3, s0
	v_lshrrev_b32_e32 v2, 16, v2
.LBB38_263:
	s_mov_b64 s[0:1], 0
.LBB38_264:
	s_andn2_b64 vcc, exec, s[0:1]
	s_cbranch_vccnz .LBB38_266
; %bb.265:
	global_load_sshort v2, v[0:1], off
	s_movk_i32 s0, 0x7fff
	s_waitcnt vmcnt(0)
	v_cvt_f32_i32_e32 v2, v2
	v_bfe_u32 v3, v2, 16, 1
	v_add3_u32 v2, v2, v3, s0
	v_lshrrev_b32_e32 v2, 16, v2
.LBB38_266:
	s_mov_b64 s[0:1], 0
.LBB38_267:
	s_andn2_b64 vcc, exec, s[0:1]
	s_cbranch_vccnz .LBB38_273
; %bb.268:
	s_cmp_gt_i32 s22, 0
	s_cbranch_scc0 .LBB38_270
; %bb.269:
	global_load_sbyte v2, v[0:1], off
	s_movk_i32 s0, 0x7fff
	s_waitcnt vmcnt(0)
	v_cvt_f32_i32_e32 v2, v2
	v_bfe_u32 v3, v2, 16, 1
	v_add3_u32 v2, v2, v3, s0
	v_lshrrev_b32_e32 v2, 16, v2
	s_mov_b64 s[0:1], 0
	s_branch .LBB38_271
.LBB38_270:
	s_mov_b64 s[0:1], -1
                                        ; implicit-def: $vgpr2
.LBB38_271:
	s_andn2_b64 vcc, exec, s[0:1]
	s_cbranch_vccnz .LBB38_273
; %bb.272:
	global_load_ubyte v0, v[0:1], off
	s_movk_i32 s0, 0x7fff
	s_waitcnt vmcnt(0)
	v_cvt_f32_ubyte0_e32 v0, v0
	v_bfe_u32 v1, v0, 16, 1
	v_add3_u32 v0, v0, v1, s0
	v_lshrrev_b32_e32 v2, 16, v0
.LBB38_273:
	s_branch .LBB38_11
.LBB38_274:
	s_mov_b64 s[0:1], 0
                                        ; implicit-def: $vgpr6
	s_mov_b64 s[18:19], 0
.LBB38_275:
	s_and_b64 s[6:7], s[0:1], exec
	s_and_b64 s[14:15], s[14:15], exec
	s_orn2_b64 s[18:19], s[18:19], exec
.LBB38_276:
	s_or_b64 exec, exec, s[16:17]
	s_mov_b64 s[22:23], 0
	s_mov_b64 s[0:1], 0
                                        ; implicit-def: $vgpr0_vgpr1
                                        ; implicit-def: $vgpr3
	s_and_saveexec_b64 s[16:17], s[18:19]
	s_cbranch_execz .LBB38_285
; %bb.277:
	v_cmp_gt_i32_e32 vcc, s40, v6
	s_mov_b64 s[0:1], -1
	s_mov_b64 s[18:19], s[14:15]
	s_mov_b64 s[20:21], s[6:7]
	s_and_saveexec_b64 s[22:23], vcc
	s_cbranch_execz .LBB38_561
; %bb.278:
	v_mul_lo_u32 v0, v6, s3
	v_mov_b32_e32 v1, s11
	s_and_b32 s26, 0xffff, s42
	s_cmp_lt_i32 s26, 11
	s_waitcnt vmcnt(0)
	v_ashrrev_i32_e32 v2, 31, v0
	v_add_co_u32_e32 v0, vcc, s10, v0
	v_addc_co_u32_e32 v1, vcc, v1, v2, vcc
	s_cbranch_scc1 .LBB38_288
; %bb.279:
	s_cmp_gt_i32 s26, 25
	s_cbranch_scc0 .LBB38_321
; %bb.280:
	s_cmp_gt_i32 s26, 28
	s_cbranch_scc0 .LBB38_323
	;; [unrolled: 3-line block ×4, first 2 shown]
; %bb.283:
	s_cmp_eq_u32 s26, 46
	s_mov_b64 s[20:21], 0
	s_cbranch_scc0 .LBB38_333
; %bb.284:
	global_load_dword v2, v[0:1], off
	s_mov_b64 s[18:19], 0
	s_branch .LBB38_334
.LBB38_285:
	s_or_b64 exec, exec, s[16:17]
	s_mov_b64 s[16:17], 0
	s_and_saveexec_b64 s[18:19], s[14:15]
	s_cbranch_execnz .LBB38_931
.LBB38_286:
	s_or_b64 exec, exec, s[18:19]
	s_and_saveexec_b64 s[14:15], s[20:21]
	s_xor_b64 s[14:15], exec, s[14:15]
	s_cbranch_execz .LBB38_932
.LBB38_287:
	global_load_ubyte v2, v[0:1], off
	s_or_b64 s[0:1], s[0:1], exec
	s_waitcnt vmcnt(0)
	v_cmp_ne_u16_e32 vcc, 0, v2
	v_cndmask_b32_e64 v2, 0, 1.0, vcc
	v_lshrrev_b32_e32 v3, 16, v2
	s_or_b64 exec, exec, s[14:15]
	s_and_saveexec_b64 s[14:15], s[22:23]
	s_cbranch_execz .LBB38_978
	s_branch .LBB38_933
.LBB38_288:
	s_mov_b64 s[0:1], 0
                                        ; implicit-def: $vgpr2
	s_mov_b64 s[18:19], s[14:15]
	s_cbranch_execnz .LBB38_511
.LBB38_289:
	s_andn2_b64 vcc, exec, s[0:1]
	s_cbranch_vccnz .LBB38_559
.LBB38_290:
	s_waitcnt vmcnt(0)
	v_lshlrev_b32_e32 v7, 16, v2
	v_cmp_neq_f32_e32 vcc, 0, v7
                                        ; implicit-def: $vgpr2
	s_and_saveexec_b64 s[0:1], vcc
	s_xor_b64 s[20:21], exec, s[0:1]
	s_cbranch_execz .LBB38_312
; %bb.291:
	v_mov_b32_e32 v0, 0
	v_cmp_gt_f32_e32 vcc, 0, v7
	s_mov_b64 s[26:27], -1
	s_and_saveexec_b64 s[24:25], vcc
	s_cbranch_execz .LBB38_299
; %bb.292:
	v_trunc_f32_e32 v0, v7
	v_cmp_neq_f32_e32 vcc, v0, v7
	s_mov_b64 s[28:29], 0
	v_mov_b32_e32 v0, 0
	s_and_saveexec_b64 s[26:27], vcc
	s_cbranch_execz .LBB38_298
; %bb.293:
	v_cvt_f64_f32_e32 v[0:1], v7
	s_mov_b32 s30, 0
	s_mov_b32 s1, 0xc00921fb
	;; [unrolled: 1-line block ×3, first 2 shown]
	v_trunc_f64_e32 v[2:3], v[0:1]
	s_mov_b32 s31, 0x7ff00000
	v_cmp_neq_f64_e64 vcc, |v[0:1]|, s[30:31]
	v_bfrev_b32_e32 v4, 1
	s_mov_b32 s28, 0
	s_mov_b32 s29, 0x41d00000
                                        ; implicit-def: $vgpr8
	v_add_f64 v[2:3], v[0:1], -v[2:3]
	v_mul_f64 v[2:3], |v[2:3]|, s[0:1]
	v_cndmask_b32_e32 v1, v4, v3, vcc
	v_cndmask_b32_e32 v0, 0, v2, vcc
	v_cmp_nlt_f64_e64 s[28:29], |v[0:1]|, s[28:29]
                                        ; implicit-def: $vgpr2_vgpr3
                                        ; implicit-def: $vgpr4_vgpr5
	s_and_saveexec_b64 s[34:35], s[28:29]
	s_xor_b64 s[28:29], exec, s[34:35]
	s_cbranch_execz .LBB38_295
; %bb.294:
	v_trig_preop_f64 v[4:5], |v[0:1]|, 0
	s_mov_b32 s34, 0
	s_mov_b32 s35, 0x7b000000
	s_movk_i32 s1, 0xff80
	v_ldexp_f64 v[2:3], |v[0:1]|, s1
	v_cmp_ge_f64_e64 vcc, |v[0:1]|, s[34:35]
	v_trig_preop_f64 v[8:9], |v[0:1]|, 1
	v_and_b32_e32 v10, 0x7fffffff, v1
	v_trig_preop_f64 v[16:17], |v[0:1]|, 2
	v_mov_b32_e32 v28, 0x40100000
	s_mov_b32 s1, 0x3ff921fb
	v_cndmask_b32_e32 v3, v10, v3, vcc
	v_cndmask_b32_e32 v2, v0, v2, vcc
	v_mul_f64 v[10:11], v[4:5], v[2:3]
	v_mul_f64 v[12:13], v[8:9], v[2:3]
	;; [unrolled: 1-line block ×3, first 2 shown]
	v_fma_f64 v[4:5], v[4:5], v[2:3], -v[10:11]
	v_fma_f64 v[8:9], v[8:9], v[2:3], -v[12:13]
	;; [unrolled: 1-line block ×3, first 2 shown]
	v_add_f64 v[14:15], v[12:13], v[4:5]
	v_add_f64 v[18:19], v[14:15], -v[12:13]
	v_add_f64 v[24:25], v[10:11], v[14:15]
	v_add_f64 v[20:21], v[14:15], -v[18:19]
	v_add_f64 v[4:5], v[4:5], -v[18:19]
	v_add_f64 v[18:19], v[22:23], v[8:9]
	v_add_f64 v[10:11], v[24:25], -v[10:11]
	v_add_f64 v[12:13], v[12:13], -v[20:21]
	v_ldexp_f64 v[20:21], v[24:25], -2
	v_add_f64 v[10:11], v[14:15], -v[10:11]
	v_add_f64 v[4:5], v[4:5], v[12:13]
	v_fract_f64_e32 v[12:13], v[20:21]
	v_cmp_neq_f64_e64 vcc, |v[20:21]|, s[30:31]
	s_mov_b32 s30, 0x33145c07
	s_mov_b32 s31, 0x3c91a626
	v_add_f64 v[14:15], v[18:19], v[4:5]
	v_ldexp_f64 v[12:13], v[12:13], 2
	v_add_f64 v[20:21], v[10:11], v[14:15]
	v_cndmask_b32_e32 v13, 0, v13, vcc
	v_cndmask_b32_e32 v12, 0, v12, vcc
	v_add_f64 v[26:27], v[14:15], -v[18:19]
	v_add_f64 v[24:25], v[20:21], v[12:13]
	v_add_f64 v[10:11], v[20:21], -v[10:11]
	v_add_f64 v[4:5], v[4:5], -v[26:27]
	;; [unrolled: 1-line block ×3, first 2 shown]
	v_cmp_gt_f64_e32 vcc, 0, v[24:25]
	v_add_f64 v[24:25], v[18:19], -v[22:23]
	v_add_f64 v[10:11], v[14:15], -v[10:11]
	v_cndmask_b32_e32 v29, 0, v28, vcc
	v_mov_b32_e32 v28, 0
	v_add_f64 v[12:13], v[12:13], v[28:29]
	v_add_f64 v[8:9], v[8:9], -v[24:25]
	v_add_f64 v[24:25], v[18:19], -v[24:25]
	v_add_f64 v[18:19], v[18:19], -v[26:27]
	v_add_f64 v[26:27], v[20:21], v[12:13]
	v_add_f64 v[24:25], v[22:23], -v[24:25]
	v_add_f64 v[4:5], v[4:5], v[18:19]
	v_cvt_i32_f64_e32 v26, v[26:27]
	v_add_f64 v[8:9], v[8:9], v[24:25]
	v_cvt_f64_i32_e32 v[24:25], v26
	v_add_f64 v[12:13], v[12:13], -v[24:25]
	v_add_f64 v[4:5], v[8:9], v[4:5]
	v_add_f64 v[8:9], v[20:21], v[12:13]
	;; [unrolled: 1-line block ×3, first 2 shown]
	v_add_f64 v[4:5], v[8:9], -v[12:13]
	v_cmp_le_f64_e32 vcc, 0.5, v[8:9]
	v_add_f64 v[2:3], v[10:11], v[2:3]
	v_mov_b32_e32 v10, 0x3ff00000
	v_add_f64 v[4:5], v[20:21], -v[4:5]
	v_cndmask_b32_e32 v29, 0, v10, vcc
	v_add_f64 v[2:3], v[2:3], v[4:5]
	v_add_f64 v[4:5], v[8:9], -v[28:29]
	v_add_f64 v[8:9], v[4:5], v[2:3]
	v_mul_f64 v[10:11], v[8:9], s[0:1]
	v_add_f64 v[4:5], v[8:9], -v[4:5]
	v_fma_f64 v[12:13], v[8:9], s[0:1], -v[10:11]
	v_add_f64 v[2:3], v[2:3], -v[4:5]
	v_fma_f64 v[4:5], v[8:9], s[30:31], v[12:13]
	v_fma_f64 v[4:5], v[2:3], s[0:1], v[4:5]
	v_add_f64 v[2:3], v[10:11], v[4:5]
	v_add_f64 v[8:9], v[2:3], -v[10:11]
	v_add_f64 v[4:5], v[4:5], -v[8:9]
	v_addc_co_u32_e32 v8, vcc, 0, v26, vcc
.LBB38_295:
	s_andn2_saveexec_b64 s[0:1], s[28:29]
	s_cbranch_execz .LBB38_297
; %bb.296:
	s_mov_b32 s28, 0x6dc9c883
	s_mov_b32 s29, 0x3fe45f30
	v_mul_f64 v[2:3], |v[0:1]|, s[28:29]
	s_mov_b32 s28, 0x54442d18
	s_mov_b32 s29, 0xbff921fb
	;; [unrolled: 1-line block ×4, first 2 shown]
	v_rndne_f64_e32 v[8:9], v[2:3]
	v_fma_f64 v[2:3], v[8:9], s[28:29], |v[0:1]|
	v_mul_f64 v[4:5], v[8:9], s[30:31]
	s_mov_b32 s28, 0x252049c0
	s_mov_b32 s29, 0xb97b839a
	v_fma_f64 v[14:15], v[8:9], s[30:31], v[2:3]
	v_add_f64 v[10:11], v[2:3], v[4:5]
	s_mov_b32 s31, 0x3c91a626
	v_add_f64 v[12:13], v[2:3], -v[10:11]
	v_add_f64 v[10:11], v[10:11], -v[14:15]
	v_add_f64 v[2:3], v[12:13], v[4:5]
	v_fma_f64 v[4:5], v[8:9], s[30:31], v[4:5]
	v_add_f64 v[2:3], v[10:11], v[2:3]
	v_add_f64 v[2:3], v[2:3], -v[4:5]
	v_fma_f64 v[4:5], v[8:9], s[28:29], v[2:3]
	v_cvt_i32_f64_e32 v8, v[8:9]
	v_add_f64 v[2:3], v[14:15], v[4:5]
	v_add_f64 v[10:11], v[2:3], -v[14:15]
	v_add_f64 v[4:5], v[4:5], -v[10:11]
.LBB38_297:
	s_or_b64 exec, exec, s[0:1]
	v_mul_f64 v[9:10], v[2:3], v[2:3]
	v_add_f64 v[11:12], v[4:5], v[4:5]
	s_mov_b32 s0, 0xc751c08c
	s_mov_b32 s1, 0x3ef5e089
	v_and_b32_e32 v8, 1, v8
	v_cmp_eq_u32_e32 vcc, 0, v8
	s_mov_b32 s30, 0x54442d18
	s_mov_b32 s31, 0xc00921fb
	v_fma_f64 v[13:14], v[2:3], v[2:3], -v[9:10]
	s_mov_b64 s[28:29], exec
	v_sub_f32_e32 v7, 1.0, v7
	v_fma_f64 v[11:12], v[2:3], v[11:12], v[13:14]
	v_add_f64 v[9:10], v[9:10], v[11:12]
	v_mov_b32_e32 v11, 0xa9a29f71
	v_mov_b32_e32 v12, 0xbf078809
	v_fma_f64 v[11:12], v[9:10], s[0:1], v[11:12]
	s_mov_b32 s0, 0x90a8aae0
	s_mov_b32 s1, 0x3f17746f
	v_fma_f64 v[11:12], v[9:10], v[11:12], s[0:1]
	s_mov_b32 s0, 0xa6fbf144
	s_mov_b32 s1, 0xbefbb44d
	;; [unrolled: 3-line block ×12, first 2 shown]
	v_fma_f64 v[11:12], v[9:10], v[11:12], s[0:1]
	s_movk_i32 s0, 0x1f8
	v_cmp_class_f64_e64 s[0:1], v[0:1], s0
	v_mul_f64 v[9:10], v[9:10], v[11:12]
	v_mul_f64 v[11:12], v[2:3], v[9:10]
	v_add_f64 v[13:14], v[2:3], v[11:12]
	v_fma_f64 v[9:10], v[2:3], v[9:10], -v[11:12]
	v_add_f64 v[2:3], v[13:14], -v[2:3]
	v_add_f64 v[4:5], v[4:5], v[9:10]
	v_add_f64 v[2:3], v[11:12], -v[2:3]
	v_add_f64 v[2:3], v[4:5], v[2:3]
	v_add_f64 v[4:5], v[13:14], v[2:3]
	v_rcp_f64_e32 v[9:10], v[4:5]
	v_fma_f64 v[11:12], -v[4:5], v[9:10], 1.0
	v_fma_f64 v[9:10], v[11:12], v[9:10], v[9:10]
	v_fma_f64 v[11:12], -v[4:5], v[9:10], 1.0
	v_fma_f64 v[9:10], v[11:12], v[9:10], v[9:10]
	v_add_f64 v[11:12], v[4:5], -v[13:14]
	v_mul_f64 v[13:14], v[4:5], v[9:10]
	v_add_f64 v[2:3], v[2:3], -v[11:12]
	v_fma_f64 v[11:12], v[9:10], v[4:5], -v[13:14]
	v_fma_f64 v[2:3], v[9:10], v[2:3], v[11:12]
	v_add_f64 v[11:12], v[13:14], v[2:3]
	v_add_f64 v[15:16], -v[11:12], 1.0
	v_add_f64 v[13:14], v[11:12], -v[13:14]
	v_add_f64 v[17:18], -v[15:16], 1.0
	v_add_f64 v[2:3], v[13:14], -v[2:3]
	v_add_f64 v[11:12], v[17:18], -v[11:12]
	v_add_f64 v[2:3], v[2:3], v[11:12]
	v_add_f64 v[2:3], v[15:16], v[2:3]
	v_mul_f64 v[2:3], v[9:10], v[2:3]
	v_add_f64 v[2:3], v[9:10], v[2:3]
	v_and_b32_e32 v9, 0x80000000, v1
	v_mov_b32_e32 v1, 0x7ff80000
	v_xor_b32_e32 v0, 0x80000000, v3
	v_cndmask_b32_e32 v2, v2, v4, vcc
	v_cndmask_b32_e32 v3, v0, v5, vcc
	v_cndmask_b32_e64 v0, 0, v2, s[0:1]
	v_xor_b32_e32 v2, v3, v9
	v_cndmask_b32_e64 v1, v1, v2, s[0:1]
	v_div_scale_f64 v[2:3], s[0:1], v[0:1], v[0:1], s[30:31]
	v_div_scale_f64 v[10:11], vcc, s[30:31], v[0:1], s[30:31]
	v_rcp_f64_e32 v[4:5], v[2:3]
	v_fma_f64 v[8:9], -v[2:3], v[4:5], 1.0
	v_fma_f64 v[4:5], v[4:5], v[8:9], v[4:5]
	v_fma_f64 v[8:9], -v[2:3], v[4:5], 1.0
	v_fma_f64 v[4:5], v[4:5], v[8:9], v[4:5]
	v_mul_f64 v[8:9], v[10:11], v[4:5]
	v_fma_f64 v[2:3], -v[2:3], v[8:9], v[10:11]
	v_div_fmas_f64 v[2:3], v[2:3], v[4:5], v[8:9]
	v_div_fixup_f64 v[0:1], v[2:3], v[0:1], s[30:31]
	v_cvt_f32_f64_e32 v0, v[0:1]
.LBB38_298:
	s_or_b64 exec, exec, s[26:27]
	s_orn2_b64 s[26:27], s[28:29], exec
.LBB38_299:
	s_or_b64 exec, exec, s[24:25]
	v_mov_b32_e32 v2, 0x7fc0
	s_and_saveexec_b64 s[0:1], s[26:27]
	s_cbranch_execz .LBB38_311
; %bb.300:
	s_mov_b32 s28, 0x41200000
	v_cmp_gt_f32_e32 vcc, s28, v7
	s_and_saveexec_b64 s[24:25], vcc
	s_cbranch_execz .LBB38_304
; %bb.301:
	s_mov_b64 s[26:27], 0
.LBB38_302:                             ; =>This Inner Loop Header: Depth=1
	v_div_scale_f32 v1, s[30:31], v7, v7, 1.0
	v_div_scale_f32 v2, vcc, 1.0, v7, 1.0
	v_rcp_f32_e32 v3, v1
	v_fma_f32 v4, -v1, v3, 1.0
	v_fmac_f32_e32 v3, v4, v3
	v_mul_f32_e32 v4, v2, v3
	v_fma_f32 v5, -v1, v4, v2
	v_fmac_f32_e32 v4, v5, v3
	v_fma_f32 v1, -v1, v4, v2
	v_div_fmas_f32 v1, v1, v3, v4
	v_div_fixup_f32 v1, v1, v7, 1.0
	v_add_f32_e32 v7, 1.0, v7
	v_cmp_ngt_f32_e32 vcc, s28, v7
	s_or_b64 s[26:27], vcc, s[26:27]
	v_sub_f32_e32 v0, v0, v1
	s_andn2_b64 exec, exec, s[26:27]
	s_cbranch_execnz .LBB38_302
; %bb.303:
	s_or_b64 exec, exec, s[26:27]
.LBB38_304:
	s_or_b64 exec, exec, s[24:25]
	s_mov_b32 s24, 0x41200000
	v_cmp_neq_f32_e32 vcc, s24, v7
                                        ; implicit-def: $vgpr2
	s_and_saveexec_b64 s[24:25], vcc
	s_xor_b64 s[24:25], exec, s[24:25]
	s_cbranch_execz .LBB38_308
; %bb.305:
	v_cvt_f64_f32_e32 v[1:2], v7
	s_mov_b32 s26, 0x85d8a000
	s_mov_b32 s27, 0x43763457
	v_cmp_gt_f64_e32 vcc, s[26:27], v[1:2]
	v_mov_b32_e32 v1, 0
	s_and_saveexec_b64 s[26:27], vcc
	s_cbranch_execz .LBB38_307
; %bb.306:
	v_mul_f32_e32 v1, v7, v7
	v_div_scale_f32 v2, s[28:29], v1, v1, 1.0
	v_div_scale_f32 v3, vcc, 1.0, v1, 1.0
	v_mov_b32_e32 v9, 0x3b820821
	v_rcp_f32_e32 v4, v2
	v_fma_f32 v5, -v2, v4, 1.0
	v_fmac_f32_e32 v4, v5, v4
	v_mul_f32_e32 v5, v3, v4
	v_fma_f32 v8, -v2, v5, v3
	v_fmac_f32_e32 v5, v8, v4
	v_fma_f32 v2, -v2, v5, v3
	v_div_fmas_f32 v2, v2, v4, v5
	v_mov_b32_e32 v3, 0x3daaaaab
	v_mov_b32_e32 v4, 0xbcaccacd
	;; [unrolled: 1-line block ×4, first 2 shown]
	v_div_fixup_f32 v1, v2, v1, 1.0
	v_fma_f32 v2, 0, v1, v3
	v_fmac_f32_e32 v4, v1, v2
	v_fmac_f32_e32 v5, v1, v4
	v_fmac_f32_e32 v8, v1, v5
	v_fmac_f32_e32 v9, v1, v8
	v_mov_b32_e32 v2, 0xbc088889
	v_fmac_f32_e32 v2, v1, v9
	v_fmac_f32_e32 v3, v1, v2
	v_mul_f32_e32 v1, v1, v3
.LBB38_307:
	s_or_b64 exec, exec, s[26:27]
	v_div_scale_f32 v2, s[26:27], v7, v7, -0.5
	v_div_scale_f32 v3, vcc, -0.5, v7, -0.5
	s_mov_b32 s26, 0x800000
	s_mov_b32 s27, 0x3f317217
	;; [unrolled: 1-line block ×3, first 2 shown]
	v_rcp_f32_e32 v4, v2
	v_fma_f32 v5, -v2, v4, 1.0
	v_fmac_f32_e32 v4, v5, v4
	v_mul_f32_e32 v5, v3, v4
	v_fma_f32 v8, -v2, v5, v3
	v_fmac_f32_e32 v5, v8, v4
	v_fma_f32 v2, -v2, v5, v3
	v_div_fmas_f32 v2, v2, v4, v5
	v_cmp_gt_f32_e32 vcc, s26, v7
	v_cndmask_b32_e64 v4, 0, 32, vcc
	v_ldexp_f32 v4, v7, v4
	v_log_f32_e32 v4, v4
	v_mov_b32_e32 v3, 0x41b17218
	v_cndmask_b32_e32 v3, 0, v3, vcc
	s_movk_i32 s26, 0x7fff
	v_mul_f32_e32 v8, 0x3f317217, v4
	v_fma_f32 v8, v4, s27, -v8
	v_fmac_f32_e32 v8, 0x3377d1cf, v4
	v_fmac_f32_e32 v8, 0x3f317217, v4
	v_cmp_lt_f32_e64 vcc, |v4|, s28
	v_cndmask_b32_e32 v4, v4, v8, vcc
	v_sub_f32_e32 v3, v4, v3
	v_mov_b32_e32 v5, 0x7fc0
	v_div_fixup_f32 v2, v2, v7, -0.5
	v_add_f32_e32 v2, v3, v2
	v_sub_f32_e32 v1, v2, v1
	v_add_f32_e32 v0, v0, v1
	v_bfe_u32 v1, v0, 16, 1
	v_cmp_o_f32_e32 vcc, v0, v0
	v_add3_u32 v0, v0, v1, s26
	v_cndmask_b32_sdwa v2, v5, v0, vcc dst_sel:DWORD dst_unused:UNUSED_PAD src0_sel:DWORD src1_sel:WORD_1
                                        ; implicit-def: $vgpr0
.LBB38_308:
	s_andn2_saveexec_b64 s[24:25], s[24:25]
; %bb.309:
	v_add_f32_e32 v0, 0x40101cb7, v0
	v_bfe_u32 v1, v0, 16, 1
	s_movk_i32 s26, 0x7fff
	v_add3_u32 v1, v0, v1, s26
	v_cmp_o_f32_e32 vcc, v0, v0
	v_mov_b32_e32 v0, 0x7fc0
	v_cndmask_b32_sdwa v2, v0, v1, vcc dst_sel:DWORD dst_unused:UNUSED_PAD src0_sel:DWORD src1_sel:WORD_1
; %bb.310:
	s_or_b64 exec, exec, s[24:25]
.LBB38_311:
	s_or_b64 exec, exec, s[0:1]
                                        ; implicit-def: $vgpr7
.LBB38_312:
	s_andn2_saveexec_b64 s[0:1], s[20:21]
; %bb.313:
	v_xor_b32_e32 v0, 0x80000000, v7
	v_and_b32_e32 v0, 0x80000000, v0
	v_or_b32_e32 v0, 0x7f800000, v0
	v_lshrrev_b32_e32 v2, 16, v0
; %bb.314:
	s_or_b64 exec, exec, s[0:1]
	v_mul_lo_u32 v0, v6, s2
	v_mov_b32_e32 v1, s9
	s_and_b32 s28, s33, 0xff
	s_cmp_lt_i32 s28, 11
	v_ashrrev_i32_e32 v3, 31, v0
	v_add_co_u32_e32 v0, vcc, s8, v0
	v_addc_co_u32_e32 v1, vcc, v1, v3, vcc
	s_cbranch_scc1 .LBB38_322
; %bb.315:
	s_and_b32 s29, 0xffff, s28
	s_cmp_gt_i32 s29, 25
	s_cbranch_scc0 .LBB38_324
; %bb.316:
	s_cmp_gt_i32 s29, 28
	s_cbranch_scc0 .LBB38_326
; %bb.317:
	;; [unrolled: 3-line block ×4, first 2 shown]
	s_mov_b64 s[24:25], 0
	s_mov_b64 s[0:1], -1
	s_cmp_eq_u32 s29, 46
	s_mov_b64 s[20:21], 0
	s_cbranch_scc0 .LBB38_338
; %bb.320:
	v_and_b32_e32 v3, 0xffff, v2
	global_store_dword v[0:1], v3, off
	s_mov_b64 s[20:21], -1
	s_mov_b64 s[0:1], 0
	s_branch .LBB38_338
.LBB38_321:
	s_mov_b64 s[20:21], -1
	s_mov_b64 s[0:1], 0
	s_mov_b64 s[18:19], s[14:15]
                                        ; implicit-def: $vgpr2
	s_branch .LBB38_475
.LBB38_322:
	s_mov_b64 s[24:25], -1
	s_mov_b64 s[20:21], 0
	s_mov_b64 s[0:1], s[6:7]
	s_branch .LBB38_407
.LBB38_323:
	s_mov_b64 s[20:21], -1
	s_mov_b64 s[0:1], 0
	s_mov_b64 s[18:19], s[14:15]
                                        ; implicit-def: $vgpr2
	s_branch .LBB38_456
.LBB38_324:
	s_mov_b64 s[24:25], -1
	s_mov_b64 s[20:21], 0
	s_mov_b64 s[0:1], s[6:7]
	s_branch .LBB38_365
.LBB38_325:
	s_mov_b64 s[20:21], -1
	s_mov_b64 s[0:1], 0
	s_mov_b64 s[18:19], s[14:15]
                                        ; implicit-def: $vgpr2
	s_branch .LBB38_451
.LBB38_326:
	s_mov_b64 s[24:25], -1
	s_mov_b64 s[20:21], 0
	s_mov_b64 s[0:1], s[6:7]
	s_branch .LBB38_348
.LBB38_327:
	s_andn2_saveexec_b64 s[22:23], s[22:23]
	s_cbranch_execz .LBB38_79
.LBB38_328:
	s_mov_b32 s26, 0x46000000
	v_add_f32_e64 v4, |v5|, s26
	v_and_b32_e32 v4, 0xff, v4
	v_cmp_ne_u32_e32 vcc, 0, v4
	s_andn2_b64 s[18:19], s[18:19], exec
	s_and_b64 s[26:27], vcc, exec
	s_or_b64 s[18:19], s[18:19], s[26:27]
	s_or_b64 exec, exec, s[22:23]
	v_mov_b32_e32 v7, 0
	s_and_saveexec_b64 s[22:23], s[18:19]
	s_cbranch_execnz .LBB38_80
	s_branch .LBB38_81
.LBB38_329:
	s_mov_b64 s[20:21], -1
	s_mov_b64 s[0:1], 0
	s_mov_b64 s[18:19], s[14:15]
                                        ; implicit-def: $vgpr2
	s_branch .LBB38_334
.LBB38_330:
	s_mov_b64 s[24:25], -1
	s_mov_b64 s[20:21], 0
	s_mov_b64 s[0:1], s[6:7]
	s_branch .LBB38_344
.LBB38_331:
	s_andn2_saveexec_b64 s[22:23], s[22:23]
	s_cbranch_execz .LBB38_92
.LBB38_332:
	s_mov_b32 s26, 0x42800000
	v_add_f32_e64 v4, |v5|, s26
	v_and_b32_e32 v4, 0xff, v4
	v_cmp_ne_u32_e32 vcc, 0, v4
	s_andn2_b64 s[18:19], s[18:19], exec
	s_and_b64 s[26:27], vcc, exec
	s_or_b64 s[18:19], s[18:19], s[26:27]
	s_or_b64 exec, exec, s[22:23]
	v_mov_b32_e32 v7, 0
	s_and_saveexec_b64 s[22:23], s[18:19]
	s_cbranch_execnz .LBB38_93
	s_branch .LBB38_94
.LBB38_333:
	s_mov_b64 s[18:19], -1
                                        ; implicit-def: $vgpr2
	s_mov_b64 s[0:1], 0
.LBB38_334:
	s_and_b64 vcc, exec, s[20:21]
	s_cbranch_vccz .LBB38_450
; %bb.335:
	s_cmp_eq_u32 s26, 44
	s_cbranch_scc0 .LBB38_449
; %bb.336:
	global_load_ubyte v2, v[0:1], off
	s_movk_i32 s18, 0xff
	v_mov_b32_e32 v3, 0x7f800001
	v_mov_b32_e32 v4, 0x400000
	;; [unrolled: 1-line block ×3, first 2 shown]
	s_mov_b64 s[0:1], -1
	s_waitcnt vmcnt(0)
	v_lshlrev_b32_e32 v7, 23, v2
	v_cmp_ne_u32_e32 vcc, s18, v2
	v_cndmask_b32_e32 v3, v3, v7, vcc
	v_cmp_ne_u32_e32 vcc, 0, v2
	v_cndmask_b32_e32 v2, v4, v3, vcc
	v_add_u32_e32 v3, 0x7fff, v2
	v_cmp_o_f32_e32 vcc, v2, v2
	v_cndmask_b32_sdwa v2, v5, v3, vcc dst_sel:DWORD dst_unused:UNUSED_PAD src0_sel:DWORD src1_sel:WORD_1
	s_mov_b64 s[18:19], 0
	s_branch .LBB38_450
.LBB38_337:
	s_mov_b64 s[24:25], -1
	s_mov_b64 s[20:21], 0
	s_mov_b64 s[0:1], s[6:7]
.LBB38_338:
	s_and_b64 vcc, exec, s[24:25]
	s_cbranch_vccz .LBB38_343
; %bb.339:
	s_cmp_eq_u32 s29, 44
	s_mov_b64 s[0:1], -1
	s_cbranch_scc0 .LBB38_343
; %bb.340:
	v_and_b32_e32 v4, 0xffff, v2
	v_bfe_u32 v3, v4, 7, 8
	s_movk_i32 s0, 0xff
	v_cmp_ne_u32_e32 vcc, s0, v3
	v_mov_b32_e32 v5, 0xff
	s_and_saveexec_b64 s[20:21], vcc
	s_cbranch_execz .LBB38_342
; %bb.341:
	v_lshlrev_b32_e32 v7, 16, v4
	s_mov_b32 s0, 0x3f0000
	v_lshrrev_b32_e32 v5, 7, v4
	v_and_b32_e32 v4, 64, v4
	v_and_or_b32 v3, v7, s0, v3
	v_cmp_ne_u32_e32 vcc, 0, v4
	v_cmp_ne_u32_e64 s[0:1], 0, v3
	s_and_b64 s[0:1], vcc, s[0:1]
	v_cndmask_b32_e64 v3, 0, 1, s[0:1]
	v_add_u32_e32 v5, v5, v3
.LBB38_342:
	s_or_b64 exec, exec, s[20:21]
	s_mov_b64 s[20:21], -1
	s_mov_b64 s[0:1], 0
	global_store_byte v[0:1], v5, off
.LBB38_343:
	s_mov_b64 s[24:25], 0
.LBB38_344:
	s_and_b64 vcc, exec, s[24:25]
	s_cbranch_vccz .LBB38_347
; %bb.345:
	s_cmp_eq_u32 s29, 29
	s_mov_b64 s[0:1], -1
	s_cbranch_scc0 .LBB38_347
; %bb.346:
	v_lshlrev_b32_e32 v3, 16, v2
	v_trunc_f32_e32 v3, v3
	v_mul_f32_e32 v4, 0x2f800000, v3
	v_floor_f32_e32 v5, v4
	v_fmac_f32_e32 v3, 0xcf800000, v5
	v_cvt_u32_f32_e32 v4, v5
	v_cvt_u32_f32_e32 v3, v3
	s_mov_b64 s[20:21], -1
	s_mov_b64 s[0:1], 0
	s_mov_b64 s[24:25], 0
	global_store_dwordx2 v[0:1], v[3:4], off
	s_branch .LBB38_348
.LBB38_347:
	s_mov_b64 s[24:25], 0
.LBB38_348:
	s_and_b64 vcc, exec, s[24:25]
	s_cbranch_vccz .LBB38_364
; %bb.349:
	s_cmp_lt_i32 s29, 27
	s_mov_b64 s[20:21], -1
	s_cbranch_scc1 .LBB38_355
; %bb.350:
	s_cmp_gt_i32 s29, 27
	s_cbranch_scc0 .LBB38_352
; %bb.351:
	v_lshlrev_b32_e32 v3, 16, v2
	v_cvt_u32_f32_e32 v3, v3
	s_mov_b64 s[20:21], 0
	global_store_dword v[0:1], v3, off
.LBB38_352:
	s_andn2_b64 vcc, exec, s[20:21]
	s_cbranch_vccnz .LBB38_354
; %bb.353:
	v_lshlrev_b32_e32 v3, 16, v2
	v_cvt_u32_f32_e32 v3, v3
	global_store_short v[0:1], v3, off
.LBB38_354:
	s_mov_b64 s[20:21], 0
.LBB38_355:
	s_andn2_b64 vcc, exec, s[20:21]
	s_cbranch_vccnz .LBB38_363
; %bb.356:
	v_lshlrev_b32_e32 v5, 16, v2
	v_and_b32_e32 v4, 0x7fffffff, v5
	s_mov_b32 s20, 0x43800000
	v_cmp_gt_u32_e32 vcc, s20, v4
	v_mov_b32_e32 v7, 0x80
	s_and_saveexec_b64 s[20:21], vcc
	s_cbranch_execz .LBB38_362
; %bb.357:
	s_mov_b32 s24, 0x3bffffff
	v_and_b32_e32 v3, 0xffff, v2
	v_cmp_lt_u32_e32 vcc, s24, v4
	s_mov_b64 s[24:25], 0
                                        ; implicit-def: $vgpr4
	s_and_saveexec_b64 s[26:27], vcc
	s_xor_b64 s[26:27], exec, s[26:27]
	s_cbranch_execz .LBB38_574
; %bb.358:
	v_bfe_u32 v4, v3, 4, 1
	s_mov_b32 s30, 0x487ffff
	v_add3_u32 v4, v5, v4, s30
	s_mov_b64 s[24:25], exec
	v_lshrrev_b32_e32 v4, 20, v4
                                        ; implicit-def: $vgpr5
	s_andn2_saveexec_b64 s[26:27], s[26:27]
	s_cbranch_execnz .LBB38_575
.LBB38_359:
	s_or_b64 exec, exec, s[26:27]
	v_mov_b32_e32 v7, 0
	s_and_saveexec_b64 s[26:27], s[24:25]
.LBB38_360:
	v_lshrrev_b32_e32 v3, 8, v3
	s_movk_i32 s24, 0x80
	v_and_or_b32 v7, v3, s24, v4
.LBB38_361:
	s_or_b64 exec, exec, s[26:27]
.LBB38_362:
	s_or_b64 exec, exec, s[20:21]
	global_store_byte v[0:1], v7, off
.LBB38_363:
	s_mov_b64 s[20:21], -1
.LBB38_364:
	s_mov_b64 s[24:25], 0
.LBB38_365:
	s_and_b64 vcc, exec, s[24:25]
	s_cbranch_vccz .LBB38_406
; %bb.366:
	s_cmp_gt_i32 s29, 22
	s_mov_b64 s[24:25], -1
	s_cbranch_scc0 .LBB38_398
; %bb.367:
	s_cmp_lt_i32 s29, 24
	s_mov_b64 s[20:21], -1
	s_cbranch_scc1 .LBB38_387
; %bb.368:
	s_cmp_gt_i32 s29, 24
	s_cbranch_scc0 .LBB38_376
; %bb.369:
	v_lshlrev_b32_e32 v5, 16, v2
	v_and_b32_e32 v4, 0x7fffffff, v5
	s_mov_b32 s20, 0x47800000
	v_cmp_gt_u32_e32 vcc, s20, v4
	v_mov_b32_e32 v7, 0x80
	s_and_saveexec_b64 s[20:21], vcc
	s_cbranch_execz .LBB38_375
; %bb.370:
	s_mov_b32 s24, 0x37ffffff
	v_and_b32_e32 v3, 0xffff, v2
	v_cmp_lt_u32_e32 vcc, s24, v4
	s_mov_b64 s[24:25], 0
                                        ; implicit-def: $vgpr4
	s_and_saveexec_b64 s[26:27], vcc
	s_xor_b64 s[26:27], exec, s[26:27]
	s_cbranch_execz .LBB38_577
; %bb.371:
	v_bfe_u32 v4, v3, 5, 1
	s_mov_b32 s30, 0x88fffff
	v_add3_u32 v4, v5, v4, s30
	s_mov_b64 s[24:25], exec
	v_lshrrev_b32_e32 v4, 21, v4
                                        ; implicit-def: $vgpr5
	s_andn2_saveexec_b64 s[26:27], s[26:27]
	s_cbranch_execnz .LBB38_578
.LBB38_372:
	s_or_b64 exec, exec, s[26:27]
	v_mov_b32_e32 v7, 0
	s_and_saveexec_b64 s[26:27], s[24:25]
.LBB38_373:
	v_lshrrev_b32_e32 v3, 8, v3
	s_movk_i32 s24, 0x80
	v_and_or_b32 v7, v3, s24, v4
.LBB38_374:
	s_or_b64 exec, exec, s[26:27]
.LBB38_375:
	s_or_b64 exec, exec, s[20:21]
	s_mov_b64 s[20:21], 0
	global_store_byte v[0:1], v7, off
.LBB38_376:
	s_and_b64 vcc, exec, s[20:21]
	s_cbranch_vccz .LBB38_386
; %bb.377:
	v_lshlrev_b32_e32 v5, 16, v2
	v_and_b32_e32 v7, 0x7fffffff, v5
	s_mov_b32 s20, 0x43f00000
	v_and_b32_e32 v3, 0xffff, v2
	v_cmp_gt_u32_e32 vcc, s20, v7
                                        ; implicit-def: $vgpr4
	s_and_saveexec_b64 s[20:21], vcc
	s_xor_b64 s[20:21], exec, s[20:21]
	s_cbranch_execz .LBB38_383
; %bb.378:
	s_mov_b32 s24, 0x3c7fffff
	v_cmp_lt_u32_e32 vcc, s24, v7
                                        ; implicit-def: $vgpr4
	s_and_saveexec_b64 s[24:25], vcc
	s_xor_b64 s[24:25], exec, s[24:25]
; %bb.379:
	v_bfe_u32 v4, v3, 4, 1
	s_mov_b32 s26, 0x407ffff
	v_add3_u32 v4, v5, v4, s26
	v_lshrrev_b32_e32 v5, 20, v4
	v_and_b32_e32 v4, 0xff00000, v4
	s_mov_b32 s26, 0x7f00000
	v_mov_b32_e32 v7, 0x7e
	v_cmp_ne_u32_e32 vcc, s26, v4
	v_cndmask_b32_e32 v4, v7, v5, vcc
                                        ; implicit-def: $vgpr5
; %bb.380:
	s_andn2_saveexec_b64 s[24:25], s[24:25]
; %bb.381:
	s_mov_b32 s26, 0x46800000
	v_add_f32_e64 v4, |v5|, s26
; %bb.382:
	s_or_b64 exec, exec, s[24:25]
                                        ; implicit-def: $vgpr7
.LBB38_383:
	s_andn2_saveexec_b64 s[20:21], s[20:21]
; %bb.384:
	s_mov_b32 s24, 0x7f800000
	v_mov_b32_e32 v4, 0x7e
	v_mov_b32_e32 v5, 0x7f
	v_cmp_lt_u32_e32 vcc, s24, v7
	v_cndmask_b32_e32 v4, v4, v5, vcc
; %bb.385:
	s_or_b64 exec, exec, s[20:21]
	v_lshrrev_b32_e32 v3, 8, v3
	s_movk_i32 s20, 0x80
	v_and_or_b32 v3, v3, s20, v4
	global_store_byte v[0:1], v3, off
.LBB38_386:
	s_mov_b64 s[20:21], 0
.LBB38_387:
	s_andn2_b64 vcc, exec, s[20:21]
	s_cbranch_vccnz .LBB38_397
; %bb.388:
	v_lshlrev_b32_e32 v5, 16, v2
	v_and_b32_e32 v7, 0x7fffffff, v5
	s_mov_b32 s20, 0x47800000
	v_and_b32_e32 v3, 0xffff, v2
	v_cmp_gt_u32_e32 vcc, s20, v7
                                        ; implicit-def: $vgpr4
	s_and_saveexec_b64 s[20:21], vcc
	s_xor_b64 s[20:21], exec, s[20:21]
	s_cbranch_execz .LBB38_394
; %bb.389:
	s_mov_b32 s24, 0x387fffff
	v_cmp_lt_u32_e32 vcc, s24, v7
                                        ; implicit-def: $vgpr4
	s_and_saveexec_b64 s[24:25], vcc
	s_xor_b64 s[24:25], exec, s[24:25]
; %bb.390:
	v_bfe_u32 v4, v3, 5, 1
	s_mov_b32 s26, 0x80fffff
	v_add3_u32 v4, v5, v4, s26
	v_lshrrev_b32_e32 v4, 21, v4
                                        ; implicit-def: $vgpr5
; %bb.391:
	s_andn2_saveexec_b64 s[24:25], s[24:25]
; %bb.392:
	s_mov_b32 s26, 0x43000000
	v_add_f32_e64 v4, |v5|, s26
; %bb.393:
	s_or_b64 exec, exec, s[24:25]
                                        ; implicit-def: $vgpr7
.LBB38_394:
	s_andn2_saveexec_b64 s[20:21], s[20:21]
; %bb.395:
	s_mov_b32 s24, 0x7f800000
	v_mov_b32_e32 v4, 0x7c
	v_mov_b32_e32 v5, 0x7f
	v_cmp_lt_u32_e32 vcc, s24, v7
	v_cndmask_b32_e32 v4, v4, v5, vcc
; %bb.396:
	s_or_b64 exec, exec, s[20:21]
	v_lshrrev_b32_e32 v3, 8, v3
	s_movk_i32 s20, 0x80
	v_and_or_b32 v3, v3, s20, v4
	global_store_byte v[0:1], v3, off
.LBB38_397:
	s_mov_b64 s[24:25], 0
	s_mov_b64 s[20:21], -1
.LBB38_398:
	s_andn2_b64 vcc, exec, s[24:25]
	s_cbranch_vccnz .LBB38_406
; %bb.399:
	s_cmp_gt_i32 s29, 14
	s_mov_b64 s[24:25], -1
	s_cbranch_scc0 .LBB38_403
; %bb.400:
	s_cmp_eq_u32 s29, 15
	s_mov_b64 s[0:1], -1
	s_cbranch_scc0 .LBB38_402
; %bb.401:
	global_store_short v[0:1], v2, off
	s_mov_b64 s[20:21], -1
	s_mov_b64 s[0:1], 0
.LBB38_402:
	s_mov_b64 s[24:25], 0
.LBB38_403:
	s_and_b64 vcc, exec, s[24:25]
	s_cbranch_vccz .LBB38_406
; %bb.404:
	s_cmp_eq_u32 s29, 11
	s_mov_b64 s[0:1], -1
	s_cbranch_scc0 .LBB38_406
; %bb.405:
	v_and_b32_e32 v3, 0x7fff, v2
	v_cmp_ne_u16_e32 vcc, 0, v3
	v_cndmask_b32_e64 v3, 0, 1, vcc
	s_mov_b64 s[20:21], -1
	s_mov_b64 s[0:1], 0
	global_store_byte v[0:1], v3, off
.LBB38_406:
	s_mov_b64 s[24:25], 0
.LBB38_407:
	s_and_b64 vcc, exec, s[24:25]
	s_cbranch_vccz .LBB38_446
; %bb.408:
	s_and_b32 s24, 0xffff, s28
	s_cmp_lt_i32 s24, 5
	s_mov_b64 s[20:21], -1
	s_cbranch_scc1 .LBB38_429
; %bb.409:
	s_cmp_lt_i32 s24, 8
	s_cbranch_scc1 .LBB38_419
; %bb.410:
	s_cmp_lt_i32 s24, 9
	s_cbranch_scc1 .LBB38_416
; %bb.411:
	s_cmp_gt_i32 s24, 9
	s_cbranch_scc0 .LBB38_413
; %bb.412:
	v_lshlrev_b32_e32 v3, 16, v2
	v_cvt_f64_f32_e32 v[7:8], v3
	v_mov_b32_e32 v9, 0
	v_mov_b32_e32 v10, v9
	s_mov_b64 s[20:21], 0
	global_store_dwordx4 v[0:1], v[7:10], off
.LBB38_413:
	s_andn2_b64 vcc, exec, s[20:21]
	s_cbranch_vccnz .LBB38_415
; %bb.414:
	v_lshlrev_b32_e32 v3, 16, v2
	v_mov_b32_e32 v4, 0
	global_store_dwordx2 v[0:1], v[3:4], off
.LBB38_415:
	s_mov_b64 s[20:21], 0
.LBB38_416:
	s_andn2_b64 vcc, exec, s[20:21]
	s_cbranch_vccnz .LBB38_418
; %bb.417:
	v_lshlrev_b32_e32 v3, 16, v2
	v_cvt_f16_f32_e32 v3, v3
	global_store_dword v[0:1], v3, off
.LBB38_418:
	s_mov_b64 s[20:21], 0
.LBB38_419:
	s_andn2_b64 vcc, exec, s[20:21]
	s_cbranch_vccnz .LBB38_428
; %bb.420:
	s_cmp_lt_i32 s24, 6
	s_mov_b64 s[20:21], -1
	s_cbranch_scc1 .LBB38_426
; %bb.421:
	s_cmp_gt_i32 s24, 6
	s_cbranch_scc0 .LBB38_423
; %bb.422:
	v_lshlrev_b32_e32 v3, 16, v2
	v_cvt_f64_f32_e32 v[3:4], v3
	s_mov_b64 s[20:21], 0
	global_store_dwordx2 v[0:1], v[3:4], off
.LBB38_423:
	s_andn2_b64 vcc, exec, s[20:21]
	s_cbranch_vccnz .LBB38_425
; %bb.424:
	v_lshlrev_b32_e32 v3, 16, v2
	global_store_dword v[0:1], v3, off
.LBB38_425:
	s_mov_b64 s[20:21], 0
.LBB38_426:
	s_andn2_b64 vcc, exec, s[20:21]
	s_cbranch_vccnz .LBB38_428
; %bb.427:
	v_lshlrev_b32_e32 v3, 16, v2
	v_cvt_f16_f32_e32 v3, v3
	global_store_short v[0:1], v3, off
.LBB38_428:
	s_mov_b64 s[20:21], 0
.LBB38_429:
	s_andn2_b64 vcc, exec, s[20:21]
	s_cbranch_vccnz .LBB38_445
; %bb.430:
	s_cmp_lt_i32 s24, 2
	s_mov_b64 s[20:21], -1
	s_cbranch_scc1 .LBB38_440
; %bb.431:
	s_cmp_lt_i32 s24, 3
	s_cbranch_scc1 .LBB38_437
; %bb.432:
	s_cmp_gt_i32 s24, 3
	s_cbranch_scc0 .LBB38_434
; %bb.433:
	v_lshlrev_b32_e32 v3, 16, v2
	v_trunc_f32_e32 v3, v3
	s_mov_b32 s20, 0x2f800000
	v_mul_f32_e64 v4, |v3|, s20
	v_floor_f32_e32 v4, v4
	s_mov_b32 s20, 0xcf800000
	v_cvt_u32_f32_e32 v5, v4
	v_fma_f32 v4, v4, s20, |v3|
	v_cvt_u32_f32_e32 v4, v4
	v_ashrrev_i32_e32 v7, 31, v3
	v_xor_b32_e32 v5, v5, v7
	s_mov_b64 s[20:21], 0
	v_xor_b32_e32 v3, v4, v7
	v_sub_co_u32_e32 v3, vcc, v3, v7
	v_subb_co_u32_e32 v4, vcc, v5, v7, vcc
	global_store_dwordx2 v[0:1], v[3:4], off
.LBB38_434:
	s_andn2_b64 vcc, exec, s[20:21]
	s_cbranch_vccnz .LBB38_436
; %bb.435:
	v_lshlrev_b32_e32 v3, 16, v2
	v_cvt_i32_f32_e32 v3, v3
	global_store_dword v[0:1], v3, off
.LBB38_436:
	s_mov_b64 s[20:21], 0
.LBB38_437:
	s_andn2_b64 vcc, exec, s[20:21]
	s_cbranch_vccnz .LBB38_439
; %bb.438:
	v_lshlrev_b32_e32 v3, 16, v2
	v_cvt_i32_f32_e32 v3, v3
	global_store_short v[0:1], v3, off
.LBB38_439:
	s_mov_b64 s[20:21], 0
.LBB38_440:
	s_andn2_b64 vcc, exec, s[20:21]
	s_cbranch_vccnz .LBB38_445
; %bb.441:
	s_mov_b64 s[20:21], -1
	s_cmp_gt_i32 s24, 0
	v_lshlrev_b32_e32 v2, 16, v2
	s_cbranch_scc0 .LBB38_443
; %bb.442:
	v_cvt_i32_f32_e32 v3, v2
	s_mov_b64 s[20:21], 0
	global_store_byte v[0:1], v3, off
.LBB38_443:
	s_andn2_b64 vcc, exec, s[20:21]
	s_cbranch_vccnz .LBB38_445
; %bb.444:
	v_trunc_f32_e32 v2, v2
	s_mov_b32 s20, 0x2f800000
	v_mul_f32_e64 v3, |v2|, s20
	v_floor_f32_e32 v3, v3
	s_mov_b32 s20, 0xcf800000
	v_fma_f32 v3, v3, s20, |v2|
	v_cvt_u32_f32_e32 v3, v3
	v_ashrrev_i32_e32 v2, 31, v2
	v_xor_b32_e32 v3, v3, v2
	v_sub_u32_e32 v2, v3, v2
	global_store_byte v[0:1], v2, off
.LBB38_445:
	s_mov_b64 s[20:21], -1
.LBB38_446:
	s_andn2_b64 vcc, exec, s[20:21]
	s_cbranch_vccnz .LBB38_448
; %bb.447:
	v_add_u32_e32 v6, 0x80, v6
	s_mov_b64 s[24:25], -1
	s_branch .LBB38_560
.LBB38_448:
	s_mov_b64 s[24:25], 0
                                        ; implicit-def: $vgpr6
	s_branch .LBB38_560
.LBB38_449:
	s_mov_b64 s[18:19], -1
                                        ; implicit-def: $vgpr2
.LBB38_450:
	s_mov_b64 s[20:21], 0
.LBB38_451:
	s_and_b64 vcc, exec, s[20:21]
	s_cbranch_vccz .LBB38_455
; %bb.452:
	s_cmp_eq_u32 s26, 29
	s_cbranch_scc0 .LBB38_454
; %bb.453:
	global_load_dwordx2 v[2:3], v[0:1], off
	s_movk_i32 s18, 0x7fff
	s_mov_b64 s[0:1], -1
	s_mov_b64 s[20:21], 0
	s_waitcnt vmcnt(0)
	v_ffbh_u32_e32 v4, v3
	v_min_u32_e32 v4, 32, v4
	v_lshlrev_b64 v[2:3], v4, v[2:3]
	v_min_u32_e32 v2, 1, v2
	v_or_b32_e32 v2, v3, v2
	v_cvt_f32_u32_e32 v2, v2
	v_sub_u32_e32 v3, 32, v4
	v_ldexp_f32 v2, v2, v3
	v_bfe_u32 v3, v2, 16, 1
	v_add3_u32 v2, v2, v3, s18
	v_lshrrev_b32_e32 v2, 16, v2
	s_mov_b64 s[18:19], 0
	s_branch .LBB38_456
.LBB38_454:
	s_mov_b64 s[18:19], -1
                                        ; implicit-def: $vgpr2
.LBB38_455:
	s_mov_b64 s[20:21], 0
.LBB38_456:
	s_and_b64 vcc, exec, s[20:21]
	s_cbranch_vccz .LBB38_474
; %bb.457:
	s_cmp_lt_i32 s26, 27
	s_cbranch_scc1 .LBB38_460
; %bb.458:
	s_cmp_gt_i32 s26, 27
	s_cbranch_scc0 .LBB38_461
; %bb.459:
	global_load_dword v2, v[0:1], off
	s_movk_i32 s0, 0x7fff
	s_waitcnt vmcnt(0)
	v_cvt_f32_u32_e32 v2, v2
	v_bfe_u32 v3, v2, 16, 1
	v_add3_u32 v2, v2, v3, s0
	v_lshrrev_b32_e32 v2, 16, v2
	s_mov_b64 s[0:1], 0
	s_branch .LBB38_462
.LBB38_460:
	s_mov_b64 s[0:1], -1
                                        ; implicit-def: $vgpr2
	s_branch .LBB38_465
.LBB38_461:
	s_mov_b64 s[0:1], -1
                                        ; implicit-def: $vgpr2
.LBB38_462:
	s_andn2_b64 vcc, exec, s[0:1]
	s_cbranch_vccnz .LBB38_464
; %bb.463:
	global_load_ushort v2, v[0:1], off
	s_movk_i32 s0, 0x7fff
	s_waitcnt vmcnt(0)
	v_cvt_f32_u32_e32 v2, v2
	v_bfe_u32 v3, v2, 16, 1
	v_add3_u32 v2, v2, v3, s0
	v_lshrrev_b32_e32 v2, 16, v2
.LBB38_464:
	s_mov_b64 s[0:1], 0
.LBB38_465:
	s_andn2_b64 vcc, exec, s[0:1]
	s_cbranch_vccnz .LBB38_473
; %bb.466:
	global_load_ubyte v2, v[0:1], off
	s_movk_i32 s0, 0x7f
	s_waitcnt vmcnt(0)
	v_cmp_lt_i16_e32 vcc, s0, v2
	s_mov_b64 s[0:1], 0
	s_and_saveexec_b64 s[20:21], vcc
	s_xor_b64 s[20:21], exec, s[20:21]
	s_cbranch_execz .LBB38_487
; %bb.467:
	s_movk_i32 s0, 0x80
	v_cmp_eq_u16_e32 vcc, s0, v2
	s_mov_b64 s[0:1], -1
	s_and_saveexec_b64 s[24:25], vcc
; %bb.468:
	s_xor_b64 s[0:1], exec, -1
; %bb.469:
	s_or_b64 exec, exec, s[24:25]
	s_and_b64 s[0:1], s[0:1], exec
	s_or_saveexec_b64 s[20:21], s[20:21]
	v_mov_b32_e32 v3, 0x7f800001
	s_xor_b64 exec, exec, s[20:21]
	s_cbranch_execnz .LBB38_488
.LBB38_470:
	s_or_b64 exec, exec, s[20:21]
	s_and_saveexec_b64 s[20:21], s[0:1]
	s_cbranch_execz .LBB38_472
.LBB38_471:
	v_lshlrev_b32_e32 v3, 24, v2
	v_and_b32_e32 v2, 0xffff, v2
	v_and_b32_e32 v4, 7, v2
	v_ffbh_u32_e32 v7, v4
	v_min_u32_e32 v7, 32, v7
	v_subrev_u32_e32 v8, 28, v7
	v_bfe_u32 v5, v2, 3, 4
	v_lshlrev_b32_e32 v2, v8, v2
	v_sub_u32_e32 v7, 29, v7
	v_and_b32_e32 v2, 7, v2
	v_cmp_eq_u32_e32 vcc, 0, v5
	v_cndmask_b32_e32 v5, v5, v7, vcc
	v_cndmask_b32_e32 v2, v4, v2, vcc
	v_mov_b32_e32 v4, 0x3b800000
	v_lshlrev_b32_e32 v2, 20, v2
	v_and_b32_e32 v3, 0x80000000, v3
	v_lshl_add_u32 v4, v5, 23, v4
	v_or3_b32 v3, v3, v4, v2
.LBB38_472:
	s_or_b64 exec, exec, s[20:21]
	v_bfe_u32 v2, v3, 16, 1
	s_movk_i32 s0, 0x7fff
	v_add3_u32 v2, v3, v2, s0
	v_cmp_o_f32_e32 vcc, v3, v3
	v_mov_b32_e32 v3, 0x7fc0
	v_cndmask_b32_sdwa v2, v3, v2, vcc dst_sel:DWORD dst_unused:UNUSED_PAD src0_sel:DWORD src1_sel:WORD_1
.LBB38_473:
	s_mov_b64 s[0:1], -1
.LBB38_474:
	s_mov_b64 s[20:21], 0
.LBB38_475:
	s_and_b64 vcc, exec, s[20:21]
	s_cbranch_vccz .LBB38_510
; %bb.476:
	s_cmp_gt_i32 s26, 22
	s_cbranch_scc0 .LBB38_486
; %bb.477:
	s_cmp_lt_i32 s26, 24
	s_cbranch_scc1 .LBB38_489
; %bb.478:
	s_cmp_gt_i32 s26, 24
	s_cbranch_scc0 .LBB38_490
; %bb.479:
	global_load_ubyte v2, v[0:1], off
	s_movk_i32 s0, 0x7f
	s_waitcnt vmcnt(0)
	v_cmp_lt_i16_e32 vcc, s0, v2
	s_mov_b64 s[0:1], 0
	s_and_saveexec_b64 s[20:21], vcc
	s_xor_b64 s[20:21], exec, s[20:21]
	s_cbranch_execz .LBB38_502
; %bb.480:
	s_movk_i32 s0, 0x80
	v_cmp_eq_u16_e32 vcc, s0, v2
	s_mov_b64 s[0:1], -1
	s_and_saveexec_b64 s[24:25], vcc
; %bb.481:
	s_xor_b64 s[0:1], exec, -1
; %bb.482:
	s_or_b64 exec, exec, s[24:25]
	s_and_b64 s[0:1], s[0:1], exec
	s_or_saveexec_b64 s[20:21], s[20:21]
	v_mov_b32_e32 v3, 0x7f800001
	s_xor_b64 exec, exec, s[20:21]
	s_cbranch_execnz .LBB38_503
.LBB38_483:
	s_or_b64 exec, exec, s[20:21]
	s_and_saveexec_b64 s[20:21], s[0:1]
	s_cbranch_execz .LBB38_485
.LBB38_484:
	v_lshlrev_b32_e32 v3, 24, v2
	v_and_b32_e32 v2, 0xffff, v2
	v_and_b32_e32 v4, 3, v2
	v_ffbh_u32_e32 v7, v4
	v_min_u32_e32 v7, 32, v7
	v_subrev_u32_e32 v8, 29, v7
	v_bfe_u32 v5, v2, 2, 5
	v_lshlrev_b32_e32 v2, v8, v2
	v_sub_u32_e32 v7, 30, v7
	v_and_b32_e32 v2, 3, v2
	v_cmp_eq_u32_e32 vcc, 0, v5
	v_cndmask_b32_e32 v5, v5, v7, vcc
	v_cndmask_b32_e32 v2, v4, v2, vcc
	v_mov_b32_e32 v4, 0x37800000
	v_lshlrev_b32_e32 v2, 21, v2
	v_and_b32_e32 v3, 0x80000000, v3
	v_lshl_add_u32 v4, v5, 23, v4
	v_or3_b32 v3, v3, v4, v2
.LBB38_485:
	s_or_b64 exec, exec, s[20:21]
	v_bfe_u32 v2, v3, 16, 1
	s_movk_i32 s0, 0x7fff
	v_add3_u32 v2, v3, v2, s0
	v_cmp_o_f32_e32 vcc, v3, v3
	v_mov_b32_e32 v3, 0x7fc0
	v_cndmask_b32_sdwa v2, v3, v2, vcc dst_sel:DWORD dst_unused:UNUSED_PAD src0_sel:DWORD src1_sel:WORD_1
	s_mov_b64 s[0:1], 0
	s_branch .LBB38_491
.LBB38_486:
	s_mov_b64 s[20:21], -1
                                        ; implicit-def: $vgpr2
	s_branch .LBB38_497
.LBB38_487:
	s_or_saveexec_b64 s[20:21], s[20:21]
	v_mov_b32_e32 v3, 0x7f800001
	s_xor_b64 exec, exec, s[20:21]
	s_cbranch_execz .LBB38_470
.LBB38_488:
	v_cmp_ne_u16_e32 vcc, 0, v2
	s_andn2_b64 s[0:1], s[0:1], exec
	s_and_b64 s[24:25], vcc, exec
	v_mov_b32_e32 v3, 0
	s_or_b64 s[0:1], s[0:1], s[24:25]
	s_or_b64 exec, exec, s[20:21]
	s_and_saveexec_b64 s[20:21], s[0:1]
	s_cbranch_execnz .LBB38_471
	s_branch .LBB38_472
.LBB38_489:
	s_mov_b64 s[0:1], -1
                                        ; implicit-def: $vgpr2
	s_branch .LBB38_494
.LBB38_490:
	s_mov_b64 s[0:1], -1
                                        ; implicit-def: $vgpr2
.LBB38_491:
	s_and_b64 vcc, exec, s[0:1]
	s_cbranch_vccz .LBB38_493
; %bb.492:
	global_load_ubyte v2, v[0:1], off
	s_mov_b32 s0, 0x7f800000
	s_brev_b32 s1, 1
	s_movk_i32 s20, 0x7fff
	s_waitcnt vmcnt(0)
	v_lshlrev_b32_e32 v2, 24, v2
	v_and_b32_e32 v3, 0x7f000000, v2
	v_ffbh_u32_e32 v4, v3
	v_min_u32_e32 v4, 32, v4
	v_sub_u32_e64 v4, v4, 4 clamp
	v_lshlrev_b32_e32 v7, v4, v3
	v_lshlrev_b32_e32 v4, 23, v4
	v_lshrrev_b32_e32 v7, 4, v7
	v_add_u32_e32 v5, 0x1000000, v3
	v_sub_u32_e32 v4, v7, v4
	v_ashrrev_i32_e32 v5, 8, v5
	v_add_u32_e32 v4, 0x3c000000, v4
	v_and_or_b32 v4, v5, s0, v4
	v_cmp_ne_u32_e32 vcc, 0, v3
	v_cndmask_b32_e32 v3, 0, v4, vcc
	v_and_or_b32 v2, v2, s1, v3
	v_bfe_u32 v3, v3, 16, 1
	v_add3_u32 v3, v2, v3, s20
	v_cmp_o_f32_e32 vcc, v2, v2
	v_mov_b32_e32 v2, 0x7fc0
	v_cndmask_b32_sdwa v2, v2, v3, vcc dst_sel:DWORD dst_unused:UNUSED_PAD src0_sel:DWORD src1_sel:WORD_1
.LBB38_493:
	s_mov_b64 s[0:1], 0
.LBB38_494:
	s_andn2_b64 vcc, exec, s[0:1]
	s_cbranch_vccnz .LBB38_496
; %bb.495:
	global_load_ubyte v2, v[0:1], off
	s_movk_i32 s0, 0x7f00
	s_brev_b32 s1, 16
	s_brev_b32 s20, 1
	s_movk_i32 s21, 0x7fff
	s_waitcnt vmcnt(0)
	v_lshlrev_b16_e32 v3, 8, v2
	v_lshlrev_b32_e32 v2, 25, v2
	v_lshrrev_b32_e32 v4, 4, v2
	v_and_or_b32 v5, v3, s0, 0.5
	v_or_b32_e32 v4, 0x70000000, v4
	v_add_f32_e32 v5, -0.5, v5
	v_mul_f32_e32 v4, 0x7800000, v4
	v_cmp_gt_u32_e32 vcc, s1, v2
	v_bfe_i32 v3, v3, 0, 16
	v_cndmask_b32_e32 v2, v4, v5, vcc
	v_and_or_b32 v3, v3, s20, v2
	v_bfe_u32 v2, v2, 16, 1
	v_add3_u32 v2, v3, v2, s21
	v_cmp_o_f32_e32 vcc, v3, v3
	v_mov_b32_e32 v3, 0x7fc0
	v_cndmask_b32_sdwa v2, v3, v2, vcc dst_sel:DWORD dst_unused:UNUSED_PAD src0_sel:DWORD src1_sel:WORD_1
.LBB38_496:
	s_mov_b64 s[20:21], 0
	s_mov_b64 s[0:1], -1
.LBB38_497:
	s_andn2_b64 vcc, exec, s[20:21]
	s_cbranch_vccnz .LBB38_510
; %bb.498:
	s_cmp_gt_i32 s26, 14
	s_cbranch_scc0 .LBB38_501
; %bb.499:
	s_cmp_eq_u32 s26, 15
	s_cbranch_scc0 .LBB38_504
; %bb.500:
	global_load_ushort v2, v[0:1], off
	s_mov_b64 s[0:1], -1
	s_mov_b64 s[18:19], 0
	s_branch .LBB38_505
.LBB38_501:
	s_mov_b64 s[20:21], -1
                                        ; implicit-def: $vgpr2
	s_branch .LBB38_506
.LBB38_502:
	s_or_saveexec_b64 s[20:21], s[20:21]
	v_mov_b32_e32 v3, 0x7f800001
	s_xor_b64 exec, exec, s[20:21]
	s_cbranch_execz .LBB38_483
.LBB38_503:
	v_cmp_ne_u16_e32 vcc, 0, v2
	s_andn2_b64 s[0:1], s[0:1], exec
	s_and_b64 s[24:25], vcc, exec
	v_mov_b32_e32 v3, 0
	s_or_b64 s[0:1], s[0:1], s[24:25]
	s_or_b64 exec, exec, s[20:21]
	s_and_saveexec_b64 s[20:21], s[0:1]
	s_cbranch_execnz .LBB38_484
	s_branch .LBB38_485
.LBB38_504:
	s_mov_b64 s[18:19], -1
                                        ; implicit-def: $vgpr2
.LBB38_505:
	s_mov_b64 s[20:21], 0
.LBB38_506:
	s_and_b64 vcc, exec, s[20:21]
	s_cbranch_vccz .LBB38_510
; %bb.507:
	s_cmp_eq_u32 s26, 11
	s_cbranch_scc0 .LBB38_509
; %bb.508:
	global_load_ubyte v2, v[0:1], off
	s_mov_b64 s[0:1], -1
	s_mov_b64 s[18:19], 0
	s_waitcnt vmcnt(0)
	v_cmp_ne_u16_e32 vcc, 0, v2
	v_cndmask_b32_e64 v2, 0, 1.0, vcc
	v_lshrrev_b32_e32 v2, 16, v2
	s_branch .LBB38_510
.LBB38_509:
	s_mov_b64 s[18:19], -1
                                        ; implicit-def: $vgpr2
.LBB38_510:
	s_branch .LBB38_289
.LBB38_511:
	s_cmp_lt_i32 s26, 5
	s_cbranch_scc1 .LBB38_516
; %bb.512:
	s_cmp_lt_i32 s26, 8
	s_cbranch_scc1 .LBB38_517
; %bb.513:
	;; [unrolled: 3-line block ×3, first 2 shown]
	s_cmp_gt_i32 s26, 9
	s_cbranch_scc0 .LBB38_519
; %bb.515:
	global_load_dwordx2 v[2:3], v[0:1], off
	s_movk_i32 s0, 0x7fff
	s_waitcnt vmcnt(0)
	v_cvt_f32_f64_e32 v2, v[2:3]
	v_mov_b32_e32 v3, 0x7fc0
	v_bfe_u32 v4, v2, 16, 1
	v_cmp_o_f32_e32 vcc, v2, v2
	v_add3_u32 v2, v2, v4, s0
	v_cndmask_b32_sdwa v2, v3, v2, vcc dst_sel:DWORD dst_unused:UNUSED_PAD src0_sel:DWORD src1_sel:WORD_1
	s_mov_b64 s[0:1], 0
	s_branch .LBB38_520
.LBB38_516:
	s_mov_b64 s[0:1], -1
                                        ; implicit-def: $vgpr2
	s_branch .LBB38_538
.LBB38_517:
	s_mov_b64 s[0:1], -1
                                        ; implicit-def: $vgpr2
	s_branch .LBB38_526
.LBB38_518:
	s_mov_b64 s[0:1], -1
                                        ; implicit-def: $vgpr2
	s_branch .LBB38_523
.LBB38_519:
	s_mov_b64 s[0:1], -1
                                        ; implicit-def: $vgpr2
.LBB38_520:
	s_andn2_b64 vcc, exec, s[0:1]
	s_cbranch_vccnz .LBB38_522
; %bb.521:
	global_load_dword v2, v[0:1], off
	s_movk_i32 s0, 0x7fff
	v_mov_b32_e32 v3, 0x7fc0
	s_waitcnt vmcnt(0)
	v_bfe_u32 v4, v2, 16, 1
	v_cmp_o_f32_e32 vcc, v2, v2
	v_add3_u32 v2, v2, v4, s0
	v_cndmask_b32_sdwa v2, v3, v2, vcc dst_sel:DWORD dst_unused:UNUSED_PAD src0_sel:DWORD src1_sel:WORD_1
.LBB38_522:
	s_mov_b64 s[0:1], 0
.LBB38_523:
	s_andn2_b64 vcc, exec, s[0:1]
	s_cbranch_vccnz .LBB38_525
; %bb.524:
	global_load_dword v2, v[0:1], off
	s_movk_i32 s0, 0x7fff
	v_mov_b32_e32 v4, 0x7fc0
	s_waitcnt vmcnt(0)
	v_cvt_f32_f16_e32 v3, v2
	v_cmp_o_f16_e32 vcc, v2, v2
	v_bfe_u32 v2, v3, 16, 1
	v_add3_u32 v2, v3, v2, s0
	v_cndmask_b32_sdwa v2, v4, v2, vcc dst_sel:DWORD dst_unused:UNUSED_PAD src0_sel:DWORD src1_sel:WORD_1
.LBB38_525:
	s_mov_b64 s[0:1], 0
.LBB38_526:
	s_andn2_b64 vcc, exec, s[0:1]
	s_cbranch_vccnz .LBB38_537
; %bb.527:
	s_cmp_lt_i32 s26, 6
	s_cbranch_scc1 .LBB38_530
; %bb.528:
	s_cmp_gt_i32 s26, 6
	s_cbranch_scc0 .LBB38_531
; %bb.529:
	global_load_dwordx2 v[2:3], v[0:1], off
	s_movk_i32 s0, 0x7fff
	s_waitcnt vmcnt(0)
	v_cvt_f32_f64_e32 v2, v[2:3]
	v_mov_b32_e32 v3, 0x7fc0
	v_bfe_u32 v4, v2, 16, 1
	v_cmp_o_f32_e32 vcc, v2, v2
	v_add3_u32 v2, v2, v4, s0
	v_cndmask_b32_sdwa v2, v3, v2, vcc dst_sel:DWORD dst_unused:UNUSED_PAD src0_sel:DWORD src1_sel:WORD_1
	s_mov_b64 s[0:1], 0
	s_branch .LBB38_532
.LBB38_530:
	s_mov_b64 s[0:1], -1
                                        ; implicit-def: $vgpr2
	s_branch .LBB38_535
.LBB38_531:
	s_mov_b64 s[0:1], -1
                                        ; implicit-def: $vgpr2
.LBB38_532:
	s_andn2_b64 vcc, exec, s[0:1]
	s_cbranch_vccnz .LBB38_534
; %bb.533:
	global_load_dword v2, v[0:1], off
	s_movk_i32 s0, 0x7fff
	v_mov_b32_e32 v3, 0x7fc0
	s_waitcnt vmcnt(0)
	v_bfe_u32 v4, v2, 16, 1
	v_cmp_o_f32_e32 vcc, v2, v2
	v_add3_u32 v2, v2, v4, s0
	v_cndmask_b32_sdwa v2, v3, v2, vcc dst_sel:DWORD dst_unused:UNUSED_PAD src0_sel:DWORD src1_sel:WORD_1
.LBB38_534:
	s_mov_b64 s[0:1], 0
.LBB38_535:
	s_andn2_b64 vcc, exec, s[0:1]
	s_cbranch_vccnz .LBB38_537
; %bb.536:
	global_load_ushort v2, v[0:1], off
	s_movk_i32 s0, 0x7fff
	v_mov_b32_e32 v4, 0x7fc0
	s_waitcnt vmcnt(0)
	v_cvt_f32_f16_e32 v3, v2
	v_cmp_o_f16_e32 vcc, v2, v2
	v_bfe_u32 v2, v3, 16, 1
	v_add3_u32 v2, v3, v2, s0
	v_cndmask_b32_sdwa v2, v4, v2, vcc dst_sel:DWORD dst_unused:UNUSED_PAD src0_sel:DWORD src1_sel:WORD_1
.LBB38_537:
	s_mov_b64 s[0:1], 0
.LBB38_538:
	s_andn2_b64 vcc, exec, s[0:1]
	s_cbranch_vccnz .LBB38_558
; %bb.539:
	s_cmp_lt_i32 s26, 2
	s_cbranch_scc1 .LBB38_543
; %bb.540:
	s_cmp_lt_i32 s26, 3
	s_cbranch_scc1 .LBB38_544
; %bb.541:
	s_cmp_gt_i32 s26, 3
	s_cbranch_scc0 .LBB38_545
; %bb.542:
	global_load_dwordx2 v[2:3], v[0:1], off
	s_movk_i32 s0, 0x7fff
	s_waitcnt vmcnt(0)
	v_xor_b32_e32 v5, v2, v3
	v_ffbh_i32_e32 v4, v3
	v_ashrrev_i32_e32 v5, 31, v5
	v_add_u32_e32 v4, -1, v4
	v_add_u32_e32 v5, 32, v5
	v_min_u32_e32 v4, v4, v5
	v_lshlrev_b64 v[2:3], v4, v[2:3]
	v_min_u32_e32 v2, 1, v2
	v_or_b32_e32 v2, v3, v2
	v_cvt_f32_i32_e32 v2, v2
	v_sub_u32_e32 v3, 32, v4
	v_ldexp_f32 v2, v2, v3
	v_bfe_u32 v3, v2, 16, 1
	v_add3_u32 v2, v2, v3, s0
	v_lshrrev_b32_e32 v2, 16, v2
	s_mov_b64 s[0:1], 0
	s_branch .LBB38_546
.LBB38_543:
	s_mov_b64 s[0:1], -1
                                        ; implicit-def: $vgpr2
	s_branch .LBB38_552
.LBB38_544:
	s_mov_b64 s[0:1], -1
                                        ; implicit-def: $vgpr2
	s_branch .LBB38_549
.LBB38_545:
	s_mov_b64 s[0:1], -1
                                        ; implicit-def: $vgpr2
.LBB38_546:
	s_andn2_b64 vcc, exec, s[0:1]
	s_cbranch_vccnz .LBB38_548
; %bb.547:
	global_load_dword v2, v[0:1], off
	s_movk_i32 s0, 0x7fff
	s_waitcnt vmcnt(0)
	v_cvt_f32_i32_e32 v2, v2
	v_bfe_u32 v3, v2, 16, 1
	v_add3_u32 v2, v2, v3, s0
	v_lshrrev_b32_e32 v2, 16, v2
.LBB38_548:
	s_mov_b64 s[0:1], 0
.LBB38_549:
	s_andn2_b64 vcc, exec, s[0:1]
	s_cbranch_vccnz .LBB38_551
; %bb.550:
	global_load_sshort v2, v[0:1], off
	s_movk_i32 s0, 0x7fff
	s_waitcnt vmcnt(0)
	v_cvt_f32_i32_e32 v2, v2
	v_bfe_u32 v3, v2, 16, 1
	v_add3_u32 v2, v2, v3, s0
	v_lshrrev_b32_e32 v2, 16, v2
.LBB38_551:
	s_mov_b64 s[0:1], 0
.LBB38_552:
	s_andn2_b64 vcc, exec, s[0:1]
	s_cbranch_vccnz .LBB38_558
; %bb.553:
	s_cmp_gt_i32 s26, 0
	s_cbranch_scc0 .LBB38_555
; %bb.554:
	global_load_sbyte v2, v[0:1], off
	s_movk_i32 s0, 0x7fff
	s_waitcnt vmcnt(0)
	v_cvt_f32_i32_e32 v2, v2
	v_bfe_u32 v3, v2, 16, 1
	v_add3_u32 v2, v2, v3, s0
	v_lshrrev_b32_e32 v2, 16, v2
	s_mov_b64 s[0:1], 0
	s_branch .LBB38_556
.LBB38_555:
	s_mov_b64 s[0:1], -1
                                        ; implicit-def: $vgpr2
.LBB38_556:
	s_andn2_b64 vcc, exec, s[0:1]
	s_cbranch_vccnz .LBB38_558
; %bb.557:
	global_load_ubyte v0, v[0:1], off
	s_movk_i32 s0, 0x7fff
	s_waitcnt vmcnt(0)
	v_cvt_f32_ubyte0_e32 v0, v0
	v_bfe_u32 v1, v0, 16, 1
	v_add3_u32 v0, v0, v1, s0
	v_lshrrev_b32_e32 v2, 16, v0
.LBB38_558:
	s_branch .LBB38_290
.LBB38_559:
	s_mov_b64 s[24:25], 0
                                        ; implicit-def: $vgpr6
	s_mov_b64 s[0:1], s[6:7]
.LBB38_560:
	s_andn2_b64 s[20:21], s[6:7], exec
	s_and_b64 s[0:1], s[0:1], exec
	s_or_b64 s[20:21], s[20:21], s[0:1]
	s_andn2_b64 s[0:1], s[14:15], exec
	s_and_b64 s[18:19], s[18:19], exec
	s_or_b64 s[18:19], s[0:1], s[18:19]
	s_orn2_b64 s[0:1], s[24:25], exec
.LBB38_561:
	s_or_b64 exec, exec, s[22:23]
	s_mov_b64 s[24:25], 0
	s_mov_b64 s[26:27], 0
	;; [unrolled: 1-line block ×3, first 2 shown]
                                        ; implicit-def: $vgpr0_vgpr1
                                        ; implicit-def: $vgpr3
	s_and_saveexec_b64 s[22:23], s[0:1]
	s_cbranch_execz .LBB38_930
; %bb.562:
	v_cmp_gt_i32_e32 vcc, s40, v6
	s_mov_b64 s[34:35], -1
	s_mov_b64 s[0:1], s[18:19]
	s_mov_b64 s[28:29], s[20:21]
	s_and_saveexec_b64 s[24:25], vcc
	s_cbranch_execz .LBB38_844
; %bb.563:
	v_mul_lo_u32 v0, v6, s3
	v_mov_b32_e32 v1, s11
	s_and_b32 s34, 0xffff, s42
	s_cmp_lt_i32 s34, 11
	s_waitcnt vmcnt(0)
	v_ashrrev_i32_e32 v2, 31, v0
	v_add_co_u32_e32 v0, vcc, s10, v0
	v_addc_co_u32_e32 v1, vcc, v1, v2, vcc
	s_cbranch_scc1 .LBB38_570
; %bb.564:
	s_cmp_gt_i32 s34, 25
	s_cbranch_scc0 .LBB38_571
; %bb.565:
	s_cmp_gt_i32 s34, 28
	s_cbranch_scc0 .LBB38_572
	;; [unrolled: 3-line block ×4, first 2 shown]
; %bb.568:
	s_cmp_eq_u32 s34, 46
	s_mov_b64 s[28:29], 0
	s_cbranch_scc0 .LBB38_579
; %bb.569:
	global_load_dword v2, v[0:1], off
	s_mov_b64 s[0:1], -1
	s_branch .LBB38_580
.LBB38_570:
	s_mov_b64 s[28:29], -1
	s_mov_b64 s[0:1], 0
                                        ; implicit-def: $vgpr2
	s_mov_b64 s[26:27], s[18:19]
	s_branch .LBB38_645
.LBB38_571:
	s_mov_b64 s[28:29], -1
	s_mov_b64 s[0:1], 0
	s_mov_b64 s[26:27], s[18:19]
                                        ; implicit-def: $vgpr2
	s_branch .LBB38_609
.LBB38_572:
	s_mov_b64 s[28:29], -1
	s_mov_b64 s[0:1], 0
	s_mov_b64 s[26:27], s[18:19]
                                        ; implicit-def: $vgpr2
	s_branch .LBB38_590
.LBB38_573:
	s_mov_b64 s[28:29], -1
	s_mov_b64 s[0:1], 0
	s_mov_b64 s[26:27], s[18:19]
                                        ; implicit-def: $vgpr2
	s_branch .LBB38_585
.LBB38_574:
	s_andn2_saveexec_b64 s[26:27], s[26:27]
	s_cbranch_execz .LBB38_359
.LBB38_575:
	s_mov_b32 s30, 0x46000000
	v_add_f32_e64 v4, |v5|, s30
	v_and_b32_e32 v4, 0xff, v4
	v_cmp_ne_u32_e32 vcc, 0, v4
	s_andn2_b64 s[24:25], s[24:25], exec
	s_and_b64 s[30:31], vcc, exec
	s_or_b64 s[24:25], s[24:25], s[30:31]
	s_or_b64 exec, exec, s[26:27]
	v_mov_b32_e32 v7, 0
	s_and_saveexec_b64 s[26:27], s[24:25]
	s_cbranch_execnz .LBB38_360
	s_branch .LBB38_361
.LBB38_576:
	s_mov_b64 s[28:29], -1
	s_mov_b64 s[0:1], 0
	s_mov_b64 s[26:27], s[18:19]
                                        ; implicit-def: $vgpr2
	s_branch .LBB38_580
.LBB38_577:
	s_andn2_saveexec_b64 s[26:27], s[26:27]
	s_cbranch_execz .LBB38_372
.LBB38_578:
	s_mov_b32 s30, 0x42800000
	v_add_f32_e64 v4, |v5|, s30
	v_and_b32_e32 v4, 0xff, v4
	v_cmp_ne_u32_e32 vcc, 0, v4
	s_andn2_b64 s[24:25], s[24:25], exec
	s_and_b64 s[30:31], vcc, exec
	s_or_b64 s[24:25], s[24:25], s[30:31]
	s_or_b64 exec, exec, s[26:27]
	v_mov_b32_e32 v7, 0
	s_and_saveexec_b64 s[26:27], s[24:25]
	s_cbranch_execnz .LBB38_373
	s_branch .LBB38_374
.LBB38_579:
	s_mov_b64 s[26:27], -1
                                        ; implicit-def: $vgpr2
	s_mov_b64 s[0:1], 0
.LBB38_580:
	s_and_b64 vcc, exec, s[28:29]
	s_cbranch_vccz .LBB38_584
; %bb.581:
	s_cmp_eq_u32 s34, 44
	s_cbranch_scc0 .LBB38_583
; %bb.582:
	global_load_ubyte v2, v[0:1], off
	s_movk_i32 s26, 0xff
	v_mov_b32_e32 v3, 0x7f800001
	v_mov_b32_e32 v4, 0x400000
	;; [unrolled: 1-line block ×3, first 2 shown]
	s_mov_b64 s[0:1], -1
	s_waitcnt vmcnt(0)
	v_lshlrev_b32_e32 v7, 23, v2
	v_cmp_ne_u32_e32 vcc, s26, v2
	v_cndmask_b32_e32 v3, v3, v7, vcc
	v_cmp_ne_u32_e32 vcc, 0, v2
	v_cndmask_b32_e32 v2, v4, v3, vcc
	v_add_u32_e32 v3, 0x7fff, v2
	v_cmp_o_f32_e32 vcc, v2, v2
	v_cndmask_b32_sdwa v2, v5, v3, vcc dst_sel:DWORD dst_unused:UNUSED_PAD src0_sel:DWORD src1_sel:WORD_1
	s_mov_b64 s[26:27], 0
	s_branch .LBB38_584
.LBB38_583:
	s_mov_b64 s[26:27], -1
                                        ; implicit-def: $vgpr2
.LBB38_584:
	s_mov_b64 s[28:29], 0
.LBB38_585:
	s_and_b64 vcc, exec, s[28:29]
	s_cbranch_vccz .LBB38_589
; %bb.586:
	s_cmp_eq_u32 s34, 29
	s_cbranch_scc0 .LBB38_588
; %bb.587:
	global_load_dwordx2 v[2:3], v[0:1], off
	s_movk_i32 s26, 0x7fff
	s_mov_b64 s[0:1], -1
	s_mov_b64 s[28:29], 0
	s_waitcnt vmcnt(0)
	v_ffbh_u32_e32 v4, v3
	v_min_u32_e32 v4, 32, v4
	v_lshlrev_b64 v[2:3], v4, v[2:3]
	v_min_u32_e32 v2, 1, v2
	v_or_b32_e32 v2, v3, v2
	v_cvt_f32_u32_e32 v2, v2
	v_sub_u32_e32 v3, 32, v4
	v_ldexp_f32 v2, v2, v3
	v_bfe_u32 v3, v2, 16, 1
	v_add3_u32 v2, v2, v3, s26
	v_lshrrev_b32_e32 v2, 16, v2
	s_mov_b64 s[26:27], 0
	s_branch .LBB38_590
.LBB38_588:
	s_mov_b64 s[26:27], -1
                                        ; implicit-def: $vgpr2
.LBB38_589:
	s_mov_b64 s[28:29], 0
.LBB38_590:
	s_and_b64 vcc, exec, s[28:29]
	s_cbranch_vccz .LBB38_608
; %bb.591:
	s_cmp_lt_i32 s34, 27
	s_cbranch_scc1 .LBB38_594
; %bb.592:
	s_cmp_gt_i32 s34, 27
	s_cbranch_scc0 .LBB38_595
; %bb.593:
	global_load_dword v2, v[0:1], off
	s_movk_i32 s0, 0x7fff
	s_waitcnt vmcnt(0)
	v_cvt_f32_u32_e32 v2, v2
	v_bfe_u32 v3, v2, 16, 1
	v_add3_u32 v2, v2, v3, s0
	v_lshrrev_b32_e32 v2, 16, v2
	s_mov_b64 s[0:1], 0
	s_branch .LBB38_596
.LBB38_594:
	s_mov_b64 s[0:1], -1
                                        ; implicit-def: $vgpr2
	s_branch .LBB38_599
.LBB38_595:
	s_mov_b64 s[0:1], -1
                                        ; implicit-def: $vgpr2
.LBB38_596:
	s_andn2_b64 vcc, exec, s[0:1]
	s_cbranch_vccnz .LBB38_598
; %bb.597:
	global_load_ushort v2, v[0:1], off
	s_movk_i32 s0, 0x7fff
	s_waitcnt vmcnt(0)
	v_cvt_f32_u32_e32 v2, v2
	v_bfe_u32 v3, v2, 16, 1
	v_add3_u32 v2, v2, v3, s0
	v_lshrrev_b32_e32 v2, 16, v2
.LBB38_598:
	s_mov_b64 s[0:1], 0
.LBB38_599:
	s_andn2_b64 vcc, exec, s[0:1]
	s_cbranch_vccnz .LBB38_607
; %bb.600:
	global_load_ubyte v2, v[0:1], off
	s_movk_i32 s0, 0x7f
	s_waitcnt vmcnt(0)
	v_cmp_lt_i16_e32 vcc, s0, v2
	s_mov_b64 s[0:1], 0
	s_and_saveexec_b64 s[28:29], vcc
	s_xor_b64 s[28:29], exec, s[28:29]
	s_cbranch_execz .LBB38_621
; %bb.601:
	s_movk_i32 s0, 0x80
	v_cmp_eq_u16_e32 vcc, s0, v2
	s_mov_b64 s[0:1], -1
	s_and_saveexec_b64 s[30:31], vcc
; %bb.602:
	s_xor_b64 s[0:1], exec, -1
; %bb.603:
	s_or_b64 exec, exec, s[30:31]
	s_and_b64 s[0:1], s[0:1], exec
	s_or_saveexec_b64 s[28:29], s[28:29]
	v_mov_b32_e32 v3, 0x7f800001
	s_xor_b64 exec, exec, s[28:29]
	s_cbranch_execnz .LBB38_622
.LBB38_604:
	s_or_b64 exec, exec, s[28:29]
	s_and_saveexec_b64 s[28:29], s[0:1]
	s_cbranch_execz .LBB38_606
.LBB38_605:
	v_lshlrev_b32_e32 v3, 24, v2
	v_and_b32_e32 v2, 0xffff, v2
	v_and_b32_e32 v4, 7, v2
	v_ffbh_u32_e32 v7, v4
	v_min_u32_e32 v7, 32, v7
	v_subrev_u32_e32 v8, 28, v7
	v_bfe_u32 v5, v2, 3, 4
	v_lshlrev_b32_e32 v2, v8, v2
	v_sub_u32_e32 v7, 29, v7
	v_and_b32_e32 v2, 7, v2
	v_cmp_eq_u32_e32 vcc, 0, v5
	v_cndmask_b32_e32 v5, v5, v7, vcc
	v_cndmask_b32_e32 v2, v4, v2, vcc
	v_mov_b32_e32 v4, 0x3b800000
	v_lshlrev_b32_e32 v2, 20, v2
	v_and_b32_e32 v3, 0x80000000, v3
	v_lshl_add_u32 v4, v5, 23, v4
	v_or3_b32 v3, v3, v4, v2
.LBB38_606:
	s_or_b64 exec, exec, s[28:29]
	v_bfe_u32 v2, v3, 16, 1
	s_movk_i32 s0, 0x7fff
	v_add3_u32 v2, v3, v2, s0
	v_cmp_o_f32_e32 vcc, v3, v3
	v_mov_b32_e32 v3, 0x7fc0
	v_cndmask_b32_sdwa v2, v3, v2, vcc dst_sel:DWORD dst_unused:UNUSED_PAD src0_sel:DWORD src1_sel:WORD_1
.LBB38_607:
	s_mov_b64 s[0:1], -1
.LBB38_608:
	s_mov_b64 s[28:29], 0
.LBB38_609:
	s_and_b64 vcc, exec, s[28:29]
	s_cbranch_vccz .LBB38_644
; %bb.610:
	s_cmp_gt_i32 s34, 22
	s_cbranch_scc0 .LBB38_620
; %bb.611:
	s_cmp_lt_i32 s34, 24
	s_cbranch_scc1 .LBB38_623
; %bb.612:
	s_cmp_gt_i32 s34, 24
	s_cbranch_scc0 .LBB38_624
; %bb.613:
	global_load_ubyte v2, v[0:1], off
	s_movk_i32 s0, 0x7f
	s_waitcnt vmcnt(0)
	v_cmp_lt_i16_e32 vcc, s0, v2
	s_mov_b64 s[0:1], 0
	s_and_saveexec_b64 s[28:29], vcc
	s_xor_b64 s[28:29], exec, s[28:29]
	s_cbranch_execz .LBB38_636
; %bb.614:
	s_movk_i32 s0, 0x80
	v_cmp_eq_u16_e32 vcc, s0, v2
	s_mov_b64 s[0:1], -1
	s_and_saveexec_b64 s[30:31], vcc
; %bb.615:
	s_xor_b64 s[0:1], exec, -1
; %bb.616:
	s_or_b64 exec, exec, s[30:31]
	s_and_b64 s[0:1], s[0:1], exec
	s_or_saveexec_b64 s[28:29], s[28:29]
	v_mov_b32_e32 v3, 0x7f800001
	s_xor_b64 exec, exec, s[28:29]
	s_cbranch_execnz .LBB38_637
.LBB38_617:
	s_or_b64 exec, exec, s[28:29]
	s_and_saveexec_b64 s[28:29], s[0:1]
	s_cbranch_execz .LBB38_619
.LBB38_618:
	v_lshlrev_b32_e32 v3, 24, v2
	v_and_b32_e32 v2, 0xffff, v2
	v_and_b32_e32 v4, 3, v2
	v_ffbh_u32_e32 v7, v4
	v_min_u32_e32 v7, 32, v7
	v_subrev_u32_e32 v8, 29, v7
	v_bfe_u32 v5, v2, 2, 5
	v_lshlrev_b32_e32 v2, v8, v2
	v_sub_u32_e32 v7, 30, v7
	v_and_b32_e32 v2, 3, v2
	v_cmp_eq_u32_e32 vcc, 0, v5
	v_cndmask_b32_e32 v5, v5, v7, vcc
	v_cndmask_b32_e32 v2, v4, v2, vcc
	v_mov_b32_e32 v4, 0x37800000
	v_lshlrev_b32_e32 v2, 21, v2
	v_and_b32_e32 v3, 0x80000000, v3
	v_lshl_add_u32 v4, v5, 23, v4
	v_or3_b32 v3, v3, v4, v2
.LBB38_619:
	s_or_b64 exec, exec, s[28:29]
	v_bfe_u32 v2, v3, 16, 1
	s_movk_i32 s0, 0x7fff
	v_add3_u32 v2, v3, v2, s0
	v_cmp_o_f32_e32 vcc, v3, v3
	v_mov_b32_e32 v3, 0x7fc0
	v_cndmask_b32_sdwa v2, v3, v2, vcc dst_sel:DWORD dst_unused:UNUSED_PAD src0_sel:DWORD src1_sel:WORD_1
	s_mov_b64 s[0:1], 0
	s_branch .LBB38_625
.LBB38_620:
	s_mov_b64 s[28:29], -1
                                        ; implicit-def: $vgpr2
	s_branch .LBB38_631
.LBB38_621:
	s_or_saveexec_b64 s[28:29], s[28:29]
	v_mov_b32_e32 v3, 0x7f800001
	s_xor_b64 exec, exec, s[28:29]
	s_cbranch_execz .LBB38_604
.LBB38_622:
	v_cmp_ne_u16_e32 vcc, 0, v2
	s_andn2_b64 s[0:1], s[0:1], exec
	s_and_b64 s[30:31], vcc, exec
	v_mov_b32_e32 v3, 0
	s_or_b64 s[0:1], s[0:1], s[30:31]
	s_or_b64 exec, exec, s[28:29]
	s_and_saveexec_b64 s[28:29], s[0:1]
	s_cbranch_execnz .LBB38_605
	s_branch .LBB38_606
.LBB38_623:
	s_mov_b64 s[0:1], -1
                                        ; implicit-def: $vgpr2
	s_branch .LBB38_628
.LBB38_624:
	s_mov_b64 s[0:1], -1
                                        ; implicit-def: $vgpr2
.LBB38_625:
	s_and_b64 vcc, exec, s[0:1]
	s_cbranch_vccz .LBB38_627
; %bb.626:
	global_load_ubyte v2, v[0:1], off
	s_mov_b32 s0, 0x7f800000
	s_brev_b32 s1, 1
	s_movk_i32 s28, 0x7fff
	s_waitcnt vmcnt(0)
	v_lshlrev_b32_e32 v2, 24, v2
	v_and_b32_e32 v3, 0x7f000000, v2
	v_ffbh_u32_e32 v4, v3
	v_min_u32_e32 v4, 32, v4
	v_sub_u32_e64 v4, v4, 4 clamp
	v_lshlrev_b32_e32 v7, v4, v3
	v_lshlrev_b32_e32 v4, 23, v4
	v_lshrrev_b32_e32 v7, 4, v7
	v_add_u32_e32 v5, 0x1000000, v3
	v_sub_u32_e32 v4, v7, v4
	v_ashrrev_i32_e32 v5, 8, v5
	v_add_u32_e32 v4, 0x3c000000, v4
	v_and_or_b32 v4, v5, s0, v4
	v_cmp_ne_u32_e32 vcc, 0, v3
	v_cndmask_b32_e32 v3, 0, v4, vcc
	v_and_or_b32 v2, v2, s1, v3
	v_bfe_u32 v3, v3, 16, 1
	v_add3_u32 v3, v2, v3, s28
	v_cmp_o_f32_e32 vcc, v2, v2
	v_mov_b32_e32 v2, 0x7fc0
	v_cndmask_b32_sdwa v2, v2, v3, vcc dst_sel:DWORD dst_unused:UNUSED_PAD src0_sel:DWORD src1_sel:WORD_1
.LBB38_627:
	s_mov_b64 s[0:1], 0
.LBB38_628:
	s_andn2_b64 vcc, exec, s[0:1]
	s_cbranch_vccnz .LBB38_630
; %bb.629:
	global_load_ubyte v2, v[0:1], off
	s_movk_i32 s0, 0x7f00
	s_brev_b32 s1, 16
	s_brev_b32 s28, 1
	s_movk_i32 s29, 0x7fff
	s_waitcnt vmcnt(0)
	v_lshlrev_b16_e32 v3, 8, v2
	v_lshlrev_b32_e32 v2, 25, v2
	v_lshrrev_b32_e32 v4, 4, v2
	v_and_or_b32 v5, v3, s0, 0.5
	v_or_b32_e32 v4, 0x70000000, v4
	v_add_f32_e32 v5, -0.5, v5
	v_mul_f32_e32 v4, 0x7800000, v4
	v_cmp_gt_u32_e32 vcc, s1, v2
	v_bfe_i32 v3, v3, 0, 16
	v_cndmask_b32_e32 v2, v4, v5, vcc
	v_and_or_b32 v3, v3, s28, v2
	v_bfe_u32 v2, v2, 16, 1
	v_add3_u32 v2, v3, v2, s29
	v_cmp_o_f32_e32 vcc, v3, v3
	v_mov_b32_e32 v3, 0x7fc0
	v_cndmask_b32_sdwa v2, v3, v2, vcc dst_sel:DWORD dst_unused:UNUSED_PAD src0_sel:DWORD src1_sel:WORD_1
.LBB38_630:
	s_mov_b64 s[28:29], 0
	s_mov_b64 s[0:1], -1
.LBB38_631:
	s_andn2_b64 vcc, exec, s[28:29]
	s_cbranch_vccnz .LBB38_644
; %bb.632:
	s_cmp_gt_i32 s34, 14
	s_cbranch_scc0 .LBB38_635
; %bb.633:
	s_cmp_eq_u32 s34, 15
	s_cbranch_scc0 .LBB38_638
; %bb.634:
	global_load_ushort v2, v[0:1], off
	s_mov_b64 s[0:1], -1
	s_mov_b64 s[26:27], 0
	s_branch .LBB38_639
.LBB38_635:
	s_mov_b64 s[28:29], -1
                                        ; implicit-def: $vgpr2
	s_branch .LBB38_640
.LBB38_636:
	s_or_saveexec_b64 s[28:29], s[28:29]
	v_mov_b32_e32 v3, 0x7f800001
	s_xor_b64 exec, exec, s[28:29]
	s_cbranch_execz .LBB38_617
.LBB38_637:
	v_cmp_ne_u16_e32 vcc, 0, v2
	s_andn2_b64 s[0:1], s[0:1], exec
	s_and_b64 s[30:31], vcc, exec
	v_mov_b32_e32 v3, 0
	s_or_b64 s[0:1], s[0:1], s[30:31]
	s_or_b64 exec, exec, s[28:29]
	s_and_saveexec_b64 s[28:29], s[0:1]
	s_cbranch_execnz .LBB38_618
	s_branch .LBB38_619
.LBB38_638:
	s_mov_b64 s[26:27], -1
                                        ; implicit-def: $vgpr2
.LBB38_639:
	s_mov_b64 s[28:29], 0
.LBB38_640:
	s_and_b64 vcc, exec, s[28:29]
	s_cbranch_vccz .LBB38_644
; %bb.641:
	s_cmp_eq_u32 s34, 11
	s_cbranch_scc0 .LBB38_643
; %bb.642:
	global_load_ubyte v2, v[0:1], off
	s_mov_b64 s[0:1], -1
	s_mov_b64 s[26:27], 0
	s_waitcnt vmcnt(0)
	v_cmp_ne_u16_e32 vcc, 0, v2
	v_cndmask_b32_e64 v2, 0, 1.0, vcc
	v_lshrrev_b32_e32 v2, 16, v2
	s_branch .LBB38_644
.LBB38_643:
	s_mov_b64 s[26:27], -1
                                        ; implicit-def: $vgpr2
.LBB38_644:
	s_mov_b64 s[28:29], 0
.LBB38_645:
	s_and_b64 vcc, exec, s[28:29]
	s_cbranch_vccz .LBB38_694
; %bb.646:
	s_cmp_lt_i32 s34, 5
	s_cbranch_scc1 .LBB38_651
; %bb.647:
	s_cmp_lt_i32 s34, 8
	s_cbranch_scc1 .LBB38_652
	;; [unrolled: 3-line block ×3, first 2 shown]
; %bb.649:
	s_cmp_gt_i32 s34, 9
	s_cbranch_scc0 .LBB38_654
; %bb.650:
	global_load_dwordx2 v[2:3], v[0:1], off
	s_movk_i32 s0, 0x7fff
	s_waitcnt vmcnt(0)
	v_cvt_f32_f64_e32 v2, v[2:3]
	v_mov_b32_e32 v3, 0x7fc0
	v_bfe_u32 v4, v2, 16, 1
	v_cmp_o_f32_e32 vcc, v2, v2
	v_add3_u32 v2, v2, v4, s0
	v_cndmask_b32_sdwa v2, v3, v2, vcc dst_sel:DWORD dst_unused:UNUSED_PAD src0_sel:DWORD src1_sel:WORD_1
	s_mov_b64 s[0:1], 0
	s_branch .LBB38_655
.LBB38_651:
	s_mov_b64 s[0:1], -1
                                        ; implicit-def: $vgpr2
	s_branch .LBB38_673
.LBB38_652:
	s_mov_b64 s[0:1], -1
                                        ; implicit-def: $vgpr2
	s_branch .LBB38_661
.LBB38_653:
	s_mov_b64 s[0:1], -1
                                        ; implicit-def: $vgpr2
	s_branch .LBB38_658
.LBB38_654:
	s_mov_b64 s[0:1], -1
                                        ; implicit-def: $vgpr2
.LBB38_655:
	s_andn2_b64 vcc, exec, s[0:1]
	s_cbranch_vccnz .LBB38_657
; %bb.656:
	global_load_dword v2, v[0:1], off
	s_movk_i32 s0, 0x7fff
	v_mov_b32_e32 v3, 0x7fc0
	s_waitcnt vmcnt(0)
	v_bfe_u32 v4, v2, 16, 1
	v_cmp_o_f32_e32 vcc, v2, v2
	v_add3_u32 v2, v2, v4, s0
	v_cndmask_b32_sdwa v2, v3, v2, vcc dst_sel:DWORD dst_unused:UNUSED_PAD src0_sel:DWORD src1_sel:WORD_1
.LBB38_657:
	s_mov_b64 s[0:1], 0
.LBB38_658:
	s_andn2_b64 vcc, exec, s[0:1]
	s_cbranch_vccnz .LBB38_660
; %bb.659:
	global_load_dword v2, v[0:1], off
	s_movk_i32 s0, 0x7fff
	v_mov_b32_e32 v4, 0x7fc0
	s_waitcnt vmcnt(0)
	v_cvt_f32_f16_e32 v3, v2
	v_cmp_o_f16_e32 vcc, v2, v2
	v_bfe_u32 v2, v3, 16, 1
	v_add3_u32 v2, v3, v2, s0
	v_cndmask_b32_sdwa v2, v4, v2, vcc dst_sel:DWORD dst_unused:UNUSED_PAD src0_sel:DWORD src1_sel:WORD_1
.LBB38_660:
	s_mov_b64 s[0:1], 0
.LBB38_661:
	s_andn2_b64 vcc, exec, s[0:1]
	s_cbranch_vccnz .LBB38_672
; %bb.662:
	s_cmp_lt_i32 s34, 6
	s_cbranch_scc1 .LBB38_665
; %bb.663:
	s_cmp_gt_i32 s34, 6
	s_cbranch_scc0 .LBB38_666
; %bb.664:
	global_load_dwordx2 v[2:3], v[0:1], off
	s_movk_i32 s0, 0x7fff
	s_waitcnt vmcnt(0)
	v_cvt_f32_f64_e32 v2, v[2:3]
	v_mov_b32_e32 v3, 0x7fc0
	v_bfe_u32 v4, v2, 16, 1
	v_cmp_o_f32_e32 vcc, v2, v2
	v_add3_u32 v2, v2, v4, s0
	v_cndmask_b32_sdwa v2, v3, v2, vcc dst_sel:DWORD dst_unused:UNUSED_PAD src0_sel:DWORD src1_sel:WORD_1
	s_mov_b64 s[0:1], 0
	s_branch .LBB38_667
.LBB38_665:
	s_mov_b64 s[0:1], -1
                                        ; implicit-def: $vgpr2
	s_branch .LBB38_670
.LBB38_666:
	s_mov_b64 s[0:1], -1
                                        ; implicit-def: $vgpr2
.LBB38_667:
	s_andn2_b64 vcc, exec, s[0:1]
	s_cbranch_vccnz .LBB38_669
; %bb.668:
	global_load_dword v2, v[0:1], off
	s_movk_i32 s0, 0x7fff
	v_mov_b32_e32 v3, 0x7fc0
	s_waitcnt vmcnt(0)
	v_bfe_u32 v4, v2, 16, 1
	v_cmp_o_f32_e32 vcc, v2, v2
	v_add3_u32 v2, v2, v4, s0
	v_cndmask_b32_sdwa v2, v3, v2, vcc dst_sel:DWORD dst_unused:UNUSED_PAD src0_sel:DWORD src1_sel:WORD_1
.LBB38_669:
	s_mov_b64 s[0:1], 0
.LBB38_670:
	s_andn2_b64 vcc, exec, s[0:1]
	s_cbranch_vccnz .LBB38_672
; %bb.671:
	global_load_ushort v2, v[0:1], off
	s_movk_i32 s0, 0x7fff
	v_mov_b32_e32 v4, 0x7fc0
	s_waitcnt vmcnt(0)
	v_cvt_f32_f16_e32 v3, v2
	v_cmp_o_f16_e32 vcc, v2, v2
	v_bfe_u32 v2, v3, 16, 1
	v_add3_u32 v2, v3, v2, s0
	v_cndmask_b32_sdwa v2, v4, v2, vcc dst_sel:DWORD dst_unused:UNUSED_PAD src0_sel:DWORD src1_sel:WORD_1
.LBB38_672:
	s_mov_b64 s[0:1], 0
.LBB38_673:
	s_andn2_b64 vcc, exec, s[0:1]
	s_cbranch_vccnz .LBB38_693
; %bb.674:
	s_cmp_lt_i32 s34, 2
	s_cbranch_scc1 .LBB38_678
; %bb.675:
	s_cmp_lt_i32 s34, 3
	s_cbranch_scc1 .LBB38_679
; %bb.676:
	s_cmp_gt_i32 s34, 3
	s_cbranch_scc0 .LBB38_680
; %bb.677:
	global_load_dwordx2 v[2:3], v[0:1], off
	s_movk_i32 s0, 0x7fff
	s_waitcnt vmcnt(0)
	v_xor_b32_e32 v5, v2, v3
	v_ffbh_i32_e32 v4, v3
	v_ashrrev_i32_e32 v5, 31, v5
	v_add_u32_e32 v4, -1, v4
	v_add_u32_e32 v5, 32, v5
	v_min_u32_e32 v4, v4, v5
	v_lshlrev_b64 v[2:3], v4, v[2:3]
	v_min_u32_e32 v2, 1, v2
	v_or_b32_e32 v2, v3, v2
	v_cvt_f32_i32_e32 v2, v2
	v_sub_u32_e32 v3, 32, v4
	v_ldexp_f32 v2, v2, v3
	v_bfe_u32 v3, v2, 16, 1
	v_add3_u32 v2, v2, v3, s0
	v_lshrrev_b32_e32 v2, 16, v2
	s_mov_b64 s[0:1], 0
	s_branch .LBB38_681
.LBB38_678:
	s_mov_b64 s[0:1], -1
                                        ; implicit-def: $vgpr2
	s_branch .LBB38_687
.LBB38_679:
	s_mov_b64 s[0:1], -1
                                        ; implicit-def: $vgpr2
	s_branch .LBB38_684
.LBB38_680:
	s_mov_b64 s[0:1], -1
                                        ; implicit-def: $vgpr2
.LBB38_681:
	s_andn2_b64 vcc, exec, s[0:1]
	s_cbranch_vccnz .LBB38_683
; %bb.682:
	global_load_dword v2, v[0:1], off
	s_movk_i32 s0, 0x7fff
	s_waitcnt vmcnt(0)
	v_cvt_f32_i32_e32 v2, v2
	v_bfe_u32 v3, v2, 16, 1
	v_add3_u32 v2, v2, v3, s0
	v_lshrrev_b32_e32 v2, 16, v2
.LBB38_683:
	s_mov_b64 s[0:1], 0
.LBB38_684:
	s_andn2_b64 vcc, exec, s[0:1]
	s_cbranch_vccnz .LBB38_686
; %bb.685:
	global_load_sshort v2, v[0:1], off
	s_movk_i32 s0, 0x7fff
	s_waitcnt vmcnt(0)
	v_cvt_f32_i32_e32 v2, v2
	v_bfe_u32 v3, v2, 16, 1
	v_add3_u32 v2, v2, v3, s0
	v_lshrrev_b32_e32 v2, 16, v2
.LBB38_686:
	s_mov_b64 s[0:1], 0
.LBB38_687:
	s_andn2_b64 vcc, exec, s[0:1]
	s_cbranch_vccnz .LBB38_693
; %bb.688:
	s_cmp_gt_i32 s34, 0
	s_cbranch_scc0 .LBB38_690
; %bb.689:
	global_load_sbyte v2, v[0:1], off
	s_movk_i32 s0, 0x7fff
	s_waitcnt vmcnt(0)
	v_cvt_f32_i32_e32 v2, v2
	v_bfe_u32 v3, v2, 16, 1
	v_add3_u32 v2, v2, v3, s0
	v_lshrrev_b32_e32 v2, 16, v2
	s_mov_b64 s[0:1], 0
	s_branch .LBB38_691
.LBB38_690:
	s_mov_b64 s[0:1], -1
                                        ; implicit-def: $vgpr2
.LBB38_691:
	s_andn2_b64 vcc, exec, s[0:1]
	s_cbranch_vccnz .LBB38_693
; %bb.692:
	global_load_ubyte v0, v[0:1], off
	s_movk_i32 s0, 0x7fff
	s_waitcnt vmcnt(0)
	v_cvt_f32_ubyte0_e32 v0, v0
	v_bfe_u32 v1, v0, 16, 1
	v_add3_u32 v0, v0, v1, s0
	v_lshrrev_b32_e32 v2, 16, v0
.LBB38_693:
	s_mov_b64 s[0:1], -1
.LBB38_694:
	s_andn2_b64 vcc, exec, s[0:1]
	s_cbranch_vccnz .LBB38_726
; %bb.695:
	s_waitcnt vmcnt(0)
	v_lshlrev_b32_e32 v7, 16, v2
	v_cmp_neq_f32_e32 vcc, 0, v7
                                        ; implicit-def: $vgpr2
	s_and_saveexec_b64 s[0:1], vcc
	s_xor_b64 s[28:29], exec, s[0:1]
	s_cbranch_execz .LBB38_717
; %bb.696:
	v_mov_b32_e32 v0, 0
	v_cmp_gt_f32_e32 vcc, 0, v7
	s_mov_b64 s[34:35], -1
	s_and_saveexec_b64 s[30:31], vcc
	s_cbranch_execz .LBB38_704
; %bb.697:
	v_trunc_f32_e32 v0, v7
	v_cmp_neq_f32_e32 vcc, v0, v7
	s_mov_b64 s[36:37], 0
	v_mov_b32_e32 v0, 0
	s_and_saveexec_b64 s[34:35], vcc
	s_cbranch_execz .LBB38_703
; %bb.698:
	v_cvt_f64_f32_e32 v[0:1], v7
	s_mov_b32 s38, 0
	s_mov_b32 s1, 0xc00921fb
	;; [unrolled: 1-line block ×3, first 2 shown]
	v_trunc_f64_e32 v[2:3], v[0:1]
	s_mov_b32 s39, 0x7ff00000
	v_cmp_neq_f64_e64 vcc, |v[0:1]|, s[38:39]
	v_bfrev_b32_e32 v4, 1
	s_mov_b32 s36, 0
	s_mov_b32 s37, 0x41d00000
                                        ; implicit-def: $vgpr8
	v_add_f64 v[2:3], v[0:1], -v[2:3]
	v_mul_f64 v[2:3], |v[2:3]|, s[0:1]
	v_cndmask_b32_e32 v1, v4, v3, vcc
	v_cndmask_b32_e32 v0, 0, v2, vcc
	v_cmp_nlt_f64_e64 s[36:37], |v[0:1]|, s[36:37]
                                        ; implicit-def: $vgpr2_vgpr3
                                        ; implicit-def: $vgpr4_vgpr5
	s_and_saveexec_b64 s[44:45], s[36:37]
	s_xor_b64 s[36:37], exec, s[44:45]
	s_cbranch_execz .LBB38_700
; %bb.699:
	v_trig_preop_f64 v[4:5], |v[0:1]|, 0
	s_mov_b32 s44, 0
	s_mov_b32 s45, 0x7b000000
	s_movk_i32 s1, 0xff80
	v_ldexp_f64 v[2:3], |v[0:1]|, s1
	v_cmp_ge_f64_e64 vcc, |v[0:1]|, s[44:45]
	v_trig_preop_f64 v[8:9], |v[0:1]|, 1
	v_and_b32_e32 v10, 0x7fffffff, v1
	v_trig_preop_f64 v[16:17], |v[0:1]|, 2
	v_mov_b32_e32 v28, 0x40100000
	s_mov_b32 s1, 0x3ff921fb
	v_cndmask_b32_e32 v3, v10, v3, vcc
	v_cndmask_b32_e32 v2, v0, v2, vcc
	v_mul_f64 v[10:11], v[4:5], v[2:3]
	v_mul_f64 v[12:13], v[8:9], v[2:3]
	;; [unrolled: 1-line block ×3, first 2 shown]
	v_fma_f64 v[4:5], v[4:5], v[2:3], -v[10:11]
	v_fma_f64 v[8:9], v[8:9], v[2:3], -v[12:13]
	;; [unrolled: 1-line block ×3, first 2 shown]
	v_add_f64 v[14:15], v[12:13], v[4:5]
	v_add_f64 v[18:19], v[14:15], -v[12:13]
	v_add_f64 v[24:25], v[10:11], v[14:15]
	v_add_f64 v[20:21], v[14:15], -v[18:19]
	v_add_f64 v[4:5], v[4:5], -v[18:19]
	v_add_f64 v[18:19], v[22:23], v[8:9]
	v_add_f64 v[10:11], v[24:25], -v[10:11]
	v_add_f64 v[12:13], v[12:13], -v[20:21]
	v_ldexp_f64 v[20:21], v[24:25], -2
	v_add_f64 v[10:11], v[14:15], -v[10:11]
	v_add_f64 v[4:5], v[4:5], v[12:13]
	v_fract_f64_e32 v[12:13], v[20:21]
	v_cmp_neq_f64_e64 vcc, |v[20:21]|, s[38:39]
	s_mov_b32 s38, 0x33145c07
	s_mov_b32 s39, 0x3c91a626
	v_add_f64 v[14:15], v[18:19], v[4:5]
	v_ldexp_f64 v[12:13], v[12:13], 2
	v_add_f64 v[20:21], v[10:11], v[14:15]
	v_cndmask_b32_e32 v13, 0, v13, vcc
	v_cndmask_b32_e32 v12, 0, v12, vcc
	v_add_f64 v[26:27], v[14:15], -v[18:19]
	v_add_f64 v[24:25], v[20:21], v[12:13]
	v_add_f64 v[10:11], v[20:21], -v[10:11]
	v_add_f64 v[4:5], v[4:5], -v[26:27]
	;; [unrolled: 1-line block ×3, first 2 shown]
	v_cmp_gt_f64_e32 vcc, 0, v[24:25]
	v_add_f64 v[24:25], v[18:19], -v[22:23]
	v_add_f64 v[10:11], v[14:15], -v[10:11]
	v_cndmask_b32_e32 v29, 0, v28, vcc
	v_mov_b32_e32 v28, 0
	v_add_f64 v[12:13], v[12:13], v[28:29]
	v_add_f64 v[8:9], v[8:9], -v[24:25]
	v_add_f64 v[24:25], v[18:19], -v[24:25]
	;; [unrolled: 1-line block ×3, first 2 shown]
	v_add_f64 v[26:27], v[20:21], v[12:13]
	v_add_f64 v[24:25], v[22:23], -v[24:25]
	v_add_f64 v[4:5], v[4:5], v[18:19]
	v_cvt_i32_f64_e32 v26, v[26:27]
	v_add_f64 v[8:9], v[8:9], v[24:25]
	v_cvt_f64_i32_e32 v[24:25], v26
	v_add_f64 v[12:13], v[12:13], -v[24:25]
	v_add_f64 v[4:5], v[8:9], v[4:5]
	v_add_f64 v[8:9], v[20:21], v[12:13]
	;; [unrolled: 1-line block ×3, first 2 shown]
	v_add_f64 v[4:5], v[8:9], -v[12:13]
	v_cmp_le_f64_e32 vcc, 0.5, v[8:9]
	v_add_f64 v[2:3], v[10:11], v[2:3]
	v_mov_b32_e32 v10, 0x3ff00000
	v_add_f64 v[4:5], v[20:21], -v[4:5]
	v_cndmask_b32_e32 v29, 0, v10, vcc
	v_add_f64 v[2:3], v[2:3], v[4:5]
	v_add_f64 v[4:5], v[8:9], -v[28:29]
	v_add_f64 v[8:9], v[4:5], v[2:3]
	v_mul_f64 v[10:11], v[8:9], s[0:1]
	v_add_f64 v[4:5], v[8:9], -v[4:5]
	v_fma_f64 v[12:13], v[8:9], s[0:1], -v[10:11]
	v_add_f64 v[2:3], v[2:3], -v[4:5]
	v_fma_f64 v[4:5], v[8:9], s[38:39], v[12:13]
	v_fma_f64 v[4:5], v[2:3], s[0:1], v[4:5]
	v_add_f64 v[2:3], v[10:11], v[4:5]
	v_add_f64 v[8:9], v[2:3], -v[10:11]
	v_add_f64 v[4:5], v[4:5], -v[8:9]
	v_addc_co_u32_e32 v8, vcc, 0, v26, vcc
.LBB38_700:
	s_andn2_saveexec_b64 s[0:1], s[36:37]
	s_cbranch_execz .LBB38_702
; %bb.701:
	s_mov_b32 s36, 0x6dc9c883
	s_mov_b32 s37, 0x3fe45f30
	v_mul_f64 v[2:3], |v[0:1]|, s[36:37]
	s_mov_b32 s36, 0x54442d18
	s_mov_b32 s37, 0xbff921fb
	;; [unrolled: 1-line block ×4, first 2 shown]
	v_rndne_f64_e32 v[8:9], v[2:3]
	v_fma_f64 v[2:3], v[8:9], s[36:37], |v[0:1]|
	v_mul_f64 v[4:5], v[8:9], s[38:39]
	s_mov_b32 s36, 0x252049c0
	s_mov_b32 s37, 0xb97b839a
	v_fma_f64 v[14:15], v[8:9], s[38:39], v[2:3]
	v_add_f64 v[10:11], v[2:3], v[4:5]
	s_mov_b32 s39, 0x3c91a626
	v_add_f64 v[12:13], v[2:3], -v[10:11]
	v_add_f64 v[10:11], v[10:11], -v[14:15]
	v_add_f64 v[2:3], v[12:13], v[4:5]
	v_fma_f64 v[4:5], v[8:9], s[38:39], v[4:5]
	v_add_f64 v[2:3], v[10:11], v[2:3]
	v_add_f64 v[2:3], v[2:3], -v[4:5]
	v_fma_f64 v[4:5], v[8:9], s[36:37], v[2:3]
	v_cvt_i32_f64_e32 v8, v[8:9]
	v_add_f64 v[2:3], v[14:15], v[4:5]
	v_add_f64 v[10:11], v[2:3], -v[14:15]
	v_add_f64 v[4:5], v[4:5], -v[10:11]
.LBB38_702:
	s_or_b64 exec, exec, s[0:1]
	v_mul_f64 v[9:10], v[2:3], v[2:3]
	v_add_f64 v[11:12], v[4:5], v[4:5]
	s_mov_b32 s0, 0xc751c08c
	s_mov_b32 s1, 0x3ef5e089
	v_and_b32_e32 v8, 1, v8
	v_cmp_eq_u32_e32 vcc, 0, v8
	s_mov_b32 s38, 0x54442d18
	s_mov_b32 s39, 0xc00921fb
	v_fma_f64 v[13:14], v[2:3], v[2:3], -v[9:10]
	s_mov_b64 s[36:37], exec
	v_sub_f32_e32 v7, 1.0, v7
	v_fma_f64 v[11:12], v[2:3], v[11:12], v[13:14]
	v_add_f64 v[9:10], v[9:10], v[11:12]
	v_mov_b32_e32 v11, 0xa9a29f71
	v_mov_b32_e32 v12, 0xbf078809
	v_fma_f64 v[11:12], v[9:10], s[0:1], v[11:12]
	s_mov_b32 s0, 0x90a8aae0
	s_mov_b32 s1, 0x3f17746f
	v_fma_f64 v[11:12], v[9:10], v[11:12], s[0:1]
	s_mov_b32 s0, 0xa6fbf144
	s_mov_b32 s1, 0xbefbb44d
	;; [unrolled: 3-line block ×12, first 2 shown]
	v_fma_f64 v[11:12], v[9:10], v[11:12], s[0:1]
	s_movk_i32 s0, 0x1f8
	v_cmp_class_f64_e64 s[0:1], v[0:1], s0
	v_mul_f64 v[9:10], v[9:10], v[11:12]
	v_mul_f64 v[11:12], v[2:3], v[9:10]
	v_add_f64 v[13:14], v[2:3], v[11:12]
	v_fma_f64 v[9:10], v[2:3], v[9:10], -v[11:12]
	v_add_f64 v[2:3], v[13:14], -v[2:3]
	v_add_f64 v[4:5], v[4:5], v[9:10]
	v_add_f64 v[2:3], v[11:12], -v[2:3]
	v_add_f64 v[2:3], v[4:5], v[2:3]
	v_add_f64 v[4:5], v[13:14], v[2:3]
	v_rcp_f64_e32 v[9:10], v[4:5]
	v_fma_f64 v[11:12], -v[4:5], v[9:10], 1.0
	v_fma_f64 v[9:10], v[11:12], v[9:10], v[9:10]
	v_fma_f64 v[11:12], -v[4:5], v[9:10], 1.0
	v_fma_f64 v[9:10], v[11:12], v[9:10], v[9:10]
	v_add_f64 v[11:12], v[4:5], -v[13:14]
	v_mul_f64 v[13:14], v[4:5], v[9:10]
	v_add_f64 v[2:3], v[2:3], -v[11:12]
	v_fma_f64 v[11:12], v[9:10], v[4:5], -v[13:14]
	v_fma_f64 v[2:3], v[9:10], v[2:3], v[11:12]
	v_add_f64 v[11:12], v[13:14], v[2:3]
	v_add_f64 v[15:16], -v[11:12], 1.0
	v_add_f64 v[13:14], v[11:12], -v[13:14]
	v_add_f64 v[17:18], -v[15:16], 1.0
	v_add_f64 v[2:3], v[13:14], -v[2:3]
	v_add_f64 v[11:12], v[17:18], -v[11:12]
	v_add_f64 v[2:3], v[2:3], v[11:12]
	v_add_f64 v[2:3], v[15:16], v[2:3]
	v_mul_f64 v[2:3], v[9:10], v[2:3]
	v_add_f64 v[2:3], v[9:10], v[2:3]
	v_and_b32_e32 v9, 0x80000000, v1
	v_mov_b32_e32 v1, 0x7ff80000
	v_xor_b32_e32 v0, 0x80000000, v3
	v_cndmask_b32_e32 v2, v2, v4, vcc
	v_cndmask_b32_e32 v3, v0, v5, vcc
	v_cndmask_b32_e64 v0, 0, v2, s[0:1]
	v_xor_b32_e32 v2, v3, v9
	v_cndmask_b32_e64 v1, v1, v2, s[0:1]
	v_div_scale_f64 v[2:3], s[0:1], v[0:1], v[0:1], s[38:39]
	v_div_scale_f64 v[10:11], vcc, s[38:39], v[0:1], s[38:39]
	v_rcp_f64_e32 v[4:5], v[2:3]
	v_fma_f64 v[8:9], -v[2:3], v[4:5], 1.0
	v_fma_f64 v[4:5], v[4:5], v[8:9], v[4:5]
	v_fma_f64 v[8:9], -v[2:3], v[4:5], 1.0
	v_fma_f64 v[4:5], v[4:5], v[8:9], v[4:5]
	v_mul_f64 v[8:9], v[10:11], v[4:5]
	v_fma_f64 v[2:3], -v[2:3], v[8:9], v[10:11]
	v_div_fmas_f64 v[2:3], v[2:3], v[4:5], v[8:9]
	v_div_fixup_f64 v[0:1], v[2:3], v[0:1], s[38:39]
	v_cvt_f32_f64_e32 v0, v[0:1]
.LBB38_703:
	s_or_b64 exec, exec, s[34:35]
	s_orn2_b64 s[34:35], s[36:37], exec
.LBB38_704:
	s_or_b64 exec, exec, s[30:31]
	v_mov_b32_e32 v2, 0x7fc0
	s_and_saveexec_b64 s[0:1], s[34:35]
	s_cbranch_execz .LBB38_716
; %bb.705:
	s_mov_b32 s36, 0x41200000
	v_cmp_gt_f32_e32 vcc, s36, v7
	s_and_saveexec_b64 s[30:31], vcc
	s_cbranch_execz .LBB38_709
; %bb.706:
	s_mov_b64 s[34:35], 0
.LBB38_707:                             ; =>This Inner Loop Header: Depth=1
	v_div_scale_f32 v1, s[38:39], v7, v7, 1.0
	v_div_scale_f32 v2, vcc, 1.0, v7, 1.0
	v_rcp_f32_e32 v3, v1
	v_fma_f32 v4, -v1, v3, 1.0
	v_fmac_f32_e32 v3, v4, v3
	v_mul_f32_e32 v4, v2, v3
	v_fma_f32 v5, -v1, v4, v2
	v_fmac_f32_e32 v4, v5, v3
	v_fma_f32 v1, -v1, v4, v2
	v_div_fmas_f32 v1, v1, v3, v4
	v_div_fixup_f32 v1, v1, v7, 1.0
	v_add_f32_e32 v7, 1.0, v7
	v_cmp_ngt_f32_e32 vcc, s36, v7
	s_or_b64 s[34:35], vcc, s[34:35]
	v_sub_f32_e32 v0, v0, v1
	s_andn2_b64 exec, exec, s[34:35]
	s_cbranch_execnz .LBB38_707
; %bb.708:
	s_or_b64 exec, exec, s[34:35]
.LBB38_709:
	s_or_b64 exec, exec, s[30:31]
	s_mov_b32 s30, 0x41200000
	v_cmp_neq_f32_e32 vcc, s30, v7
                                        ; implicit-def: $vgpr2
	s_and_saveexec_b64 s[30:31], vcc
	s_xor_b64 s[30:31], exec, s[30:31]
	s_cbranch_execz .LBB38_713
; %bb.710:
	v_cvt_f64_f32_e32 v[1:2], v7
	s_mov_b32 s34, 0x85d8a000
	s_mov_b32 s35, 0x43763457
	v_cmp_gt_f64_e32 vcc, s[34:35], v[1:2]
	v_mov_b32_e32 v1, 0
	s_and_saveexec_b64 s[34:35], vcc
	s_cbranch_execz .LBB38_712
; %bb.711:
	v_mul_f32_e32 v1, v7, v7
	v_div_scale_f32 v2, s[36:37], v1, v1, 1.0
	v_div_scale_f32 v3, vcc, 1.0, v1, 1.0
	v_mov_b32_e32 v9, 0x3b820821
	v_rcp_f32_e32 v4, v2
	v_fma_f32 v5, -v2, v4, 1.0
	v_fmac_f32_e32 v4, v5, v4
	v_mul_f32_e32 v5, v3, v4
	v_fma_f32 v8, -v2, v5, v3
	v_fmac_f32_e32 v5, v8, v4
	v_fma_f32 v2, -v2, v5, v3
	v_div_fmas_f32 v2, v2, v4, v5
	v_mov_b32_e32 v3, 0x3daaaaab
	v_mov_b32_e32 v4, 0xbcaccacd
	;; [unrolled: 1-line block ×4, first 2 shown]
	v_div_fixup_f32 v1, v2, v1, 1.0
	v_fma_f32 v2, 0, v1, v3
	v_fmac_f32_e32 v4, v1, v2
	v_fmac_f32_e32 v5, v1, v4
	;; [unrolled: 1-line block ×4, first 2 shown]
	v_mov_b32_e32 v2, 0xbc088889
	v_fmac_f32_e32 v2, v1, v9
	v_fmac_f32_e32 v3, v1, v2
	v_mul_f32_e32 v1, v1, v3
.LBB38_712:
	s_or_b64 exec, exec, s[34:35]
	v_div_scale_f32 v2, s[34:35], v7, v7, -0.5
	v_div_scale_f32 v3, vcc, -0.5, v7, -0.5
	s_mov_b32 s34, 0x800000
	s_mov_b32 s35, 0x3f317217
	s_mov_b32 s36, 0x7f800000
	v_rcp_f32_e32 v4, v2
	v_fma_f32 v5, -v2, v4, 1.0
	v_fmac_f32_e32 v4, v5, v4
	v_mul_f32_e32 v5, v3, v4
	v_fma_f32 v8, -v2, v5, v3
	v_fmac_f32_e32 v5, v8, v4
	v_fma_f32 v2, -v2, v5, v3
	v_div_fmas_f32 v2, v2, v4, v5
	v_cmp_gt_f32_e32 vcc, s34, v7
	v_cndmask_b32_e64 v4, 0, 32, vcc
	v_ldexp_f32 v4, v7, v4
	v_log_f32_e32 v4, v4
	v_mov_b32_e32 v3, 0x41b17218
	v_cndmask_b32_e32 v3, 0, v3, vcc
	s_movk_i32 s34, 0x7fff
	v_mul_f32_e32 v8, 0x3f317217, v4
	v_fma_f32 v8, v4, s35, -v8
	v_fmac_f32_e32 v8, 0x3377d1cf, v4
	v_fmac_f32_e32 v8, 0x3f317217, v4
	v_cmp_lt_f32_e64 vcc, |v4|, s36
	v_cndmask_b32_e32 v4, v4, v8, vcc
	v_sub_f32_e32 v3, v4, v3
	v_mov_b32_e32 v5, 0x7fc0
	v_div_fixup_f32 v2, v2, v7, -0.5
	v_add_f32_e32 v2, v3, v2
	v_sub_f32_e32 v1, v2, v1
	v_add_f32_e32 v0, v0, v1
	v_bfe_u32 v1, v0, 16, 1
	v_cmp_o_f32_e32 vcc, v0, v0
	v_add3_u32 v0, v0, v1, s34
	v_cndmask_b32_sdwa v2, v5, v0, vcc dst_sel:DWORD dst_unused:UNUSED_PAD src0_sel:DWORD src1_sel:WORD_1
                                        ; implicit-def: $vgpr0
.LBB38_713:
	s_andn2_saveexec_b64 s[30:31], s[30:31]
; %bb.714:
	v_add_f32_e32 v0, 0x40101cb7, v0
	v_bfe_u32 v1, v0, 16, 1
	s_movk_i32 s34, 0x7fff
	v_add3_u32 v1, v0, v1, s34
	v_cmp_o_f32_e32 vcc, v0, v0
	v_mov_b32_e32 v0, 0x7fc0
	v_cndmask_b32_sdwa v2, v0, v1, vcc dst_sel:DWORD dst_unused:UNUSED_PAD src0_sel:DWORD src1_sel:WORD_1
; %bb.715:
	s_or_b64 exec, exec, s[30:31]
.LBB38_716:
	s_or_b64 exec, exec, s[0:1]
                                        ; implicit-def: $vgpr7
.LBB38_717:
	s_andn2_saveexec_b64 s[0:1], s[28:29]
; %bb.718:
	v_xor_b32_e32 v0, 0x80000000, v7
	v_and_b32_e32 v0, 0x80000000, v0
	v_or_b32_e32 v0, 0x7f800000, v0
	v_lshrrev_b32_e32 v2, 16, v0
; %bb.719:
	s_or_b64 exec, exec, s[0:1]
	v_mul_lo_u32 v0, v6, s2
	v_mov_b32_e32 v1, s9
	s_and_b32 s36, s33, 0xff
	s_cmp_lt_i32 s36, 11
	v_ashrrev_i32_e32 v3, 31, v0
	v_add_co_u32_e32 v0, vcc, s8, v0
	v_addc_co_u32_e32 v1, vcc, v1, v3, vcc
	s_cbranch_scc1 .LBB38_727
; %bb.720:
	s_and_b32 s37, 0xffff, s36
	s_cmp_gt_i32 s37, 25
	s_cbranch_scc0 .LBB38_728
; %bb.721:
	s_cmp_gt_i32 s37, 28
	s_cbranch_scc0 .LBB38_729
; %bb.722:
	s_cmp_gt_i32 s37, 43
	s_cbranch_scc0 .LBB38_730
; %bb.723:
	s_cmp_gt_i32 s37, 45
	s_cbranch_scc0 .LBB38_731
; %bb.724:
	s_mov_b64 s[30:31], 0
	s_mov_b64 s[0:1], -1
	s_cmp_eq_u32 s37, 46
	s_mov_b64 s[28:29], 0
	s_cbranch_scc0 .LBB38_732
; %bb.725:
	v_and_b32_e32 v3, 0xffff, v2
	global_store_dword v[0:1], v3, off
	s_mov_b64 s[28:29], -1
	s_mov_b64 s[0:1], 0
	s_branch .LBB38_732
.LBB38_726:
	s_mov_b64 s[30:31], 0
                                        ; implicit-def: $vgpr6
	s_mov_b64 s[0:1], s[20:21]
	s_branch .LBB38_843
.LBB38_727:
	s_mov_b64 s[30:31], -1
	s_mov_b64 s[28:29], 0
	s_mov_b64 s[0:1], s[20:21]
	s_branch .LBB38_801
.LBB38_728:
	s_mov_b64 s[30:31], -1
	s_mov_b64 s[28:29], 0
	s_mov_b64 s[0:1], s[20:21]
	s_branch .LBB38_759
.LBB38_729:
	s_mov_b64 s[30:31], -1
	s_mov_b64 s[28:29], 0
	s_mov_b64 s[0:1], s[20:21]
	s_branch .LBB38_742
.LBB38_730:
	s_mov_b64 s[30:31], -1
	s_mov_b64 s[28:29], 0
	s_mov_b64 s[0:1], s[20:21]
	s_branch .LBB38_738
.LBB38_731:
	s_mov_b64 s[30:31], -1
	s_mov_b64 s[28:29], 0
	s_mov_b64 s[0:1], s[20:21]
.LBB38_732:
	s_and_b64 vcc, exec, s[30:31]
	s_cbranch_vccz .LBB38_737
; %bb.733:
	s_cmp_eq_u32 s37, 44
	s_mov_b64 s[0:1], -1
	s_cbranch_scc0 .LBB38_737
; %bb.734:
	v_and_b32_e32 v4, 0xffff, v2
	v_bfe_u32 v3, v4, 7, 8
	s_movk_i32 s0, 0xff
	v_cmp_ne_u32_e32 vcc, s0, v3
	v_mov_b32_e32 v5, 0xff
	s_and_saveexec_b64 s[28:29], vcc
	s_cbranch_execz .LBB38_736
; %bb.735:
	v_lshlrev_b32_e32 v7, 16, v4
	s_mov_b32 s0, 0x3f0000
	v_lshrrev_b32_e32 v5, 7, v4
	v_and_b32_e32 v4, 64, v4
	v_and_or_b32 v3, v7, s0, v3
	v_cmp_ne_u32_e32 vcc, 0, v4
	v_cmp_ne_u32_e64 s[0:1], 0, v3
	s_and_b64 s[0:1], vcc, s[0:1]
	v_cndmask_b32_e64 v3, 0, 1, s[0:1]
	v_add_u32_e32 v5, v5, v3
.LBB38_736:
	s_or_b64 exec, exec, s[28:29]
	s_mov_b64 s[28:29], -1
	s_mov_b64 s[0:1], 0
	global_store_byte v[0:1], v5, off
.LBB38_737:
	s_mov_b64 s[30:31], 0
.LBB38_738:
	s_and_b64 vcc, exec, s[30:31]
	s_cbranch_vccz .LBB38_741
; %bb.739:
	s_cmp_eq_u32 s37, 29
	s_mov_b64 s[0:1], -1
	s_cbranch_scc0 .LBB38_741
; %bb.740:
	v_lshlrev_b32_e32 v3, 16, v2
	v_trunc_f32_e32 v3, v3
	v_mul_f32_e32 v4, 0x2f800000, v3
	v_floor_f32_e32 v5, v4
	v_fmac_f32_e32 v3, 0xcf800000, v5
	v_cvt_u32_f32_e32 v4, v5
	v_cvt_u32_f32_e32 v3, v3
	s_mov_b64 s[28:29], -1
	s_mov_b64 s[0:1], 0
	s_mov_b64 s[30:31], 0
	global_store_dwordx2 v[0:1], v[3:4], off
	s_branch .LBB38_742
.LBB38_741:
	s_mov_b64 s[30:31], 0
.LBB38_742:
	s_and_b64 vcc, exec, s[30:31]
	s_cbranch_vccz .LBB38_758
; %bb.743:
	s_cmp_lt_i32 s37, 27
	s_mov_b64 s[28:29], -1
	s_cbranch_scc1 .LBB38_749
; %bb.744:
	s_cmp_gt_i32 s37, 27
	s_cbranch_scc0 .LBB38_746
; %bb.745:
	v_lshlrev_b32_e32 v3, 16, v2
	v_cvt_u32_f32_e32 v3, v3
	s_mov_b64 s[28:29], 0
	global_store_dword v[0:1], v3, off
.LBB38_746:
	s_andn2_b64 vcc, exec, s[28:29]
	s_cbranch_vccnz .LBB38_748
; %bb.747:
	v_lshlrev_b32_e32 v3, 16, v2
	v_cvt_u32_f32_e32 v3, v3
	global_store_short v[0:1], v3, off
.LBB38_748:
	s_mov_b64 s[28:29], 0
.LBB38_749:
	s_andn2_b64 vcc, exec, s[28:29]
	s_cbranch_vccnz .LBB38_757
; %bb.750:
	v_lshlrev_b32_e32 v5, 16, v2
	v_and_b32_e32 v4, 0x7fffffff, v5
	s_mov_b32 s28, 0x43800000
	v_cmp_gt_u32_e32 vcc, s28, v4
	v_mov_b32_e32 v7, 0x80
	s_and_saveexec_b64 s[28:29], vcc
	s_cbranch_execz .LBB38_756
; %bb.751:
	s_mov_b32 s30, 0x3bffffff
	v_and_b32_e32 v3, 0xffff, v2
	v_cmp_lt_u32_e32 vcc, s30, v4
	s_mov_b64 s[30:31], 0
                                        ; implicit-def: $vgpr4
	s_and_saveexec_b64 s[34:35], vcc
	s_xor_b64 s[34:35], exec, s[34:35]
	s_cbranch_execz .LBB38_857
; %bb.752:
	v_bfe_u32 v4, v3, 4, 1
	s_mov_b32 s38, 0x487ffff
	v_add3_u32 v4, v5, v4, s38
	s_mov_b64 s[30:31], exec
	v_lshrrev_b32_e32 v4, 20, v4
                                        ; implicit-def: $vgpr5
	s_andn2_saveexec_b64 s[34:35], s[34:35]
	s_cbranch_execnz .LBB38_858
.LBB38_753:
	s_or_b64 exec, exec, s[34:35]
	v_mov_b32_e32 v7, 0
	s_and_saveexec_b64 s[34:35], s[30:31]
.LBB38_754:
	v_lshrrev_b32_e32 v3, 8, v3
	s_movk_i32 s30, 0x80
	v_and_or_b32 v7, v3, s30, v4
.LBB38_755:
	s_or_b64 exec, exec, s[34:35]
.LBB38_756:
	s_or_b64 exec, exec, s[28:29]
	global_store_byte v[0:1], v7, off
.LBB38_757:
	s_mov_b64 s[28:29], -1
.LBB38_758:
	s_mov_b64 s[30:31], 0
.LBB38_759:
	s_and_b64 vcc, exec, s[30:31]
	s_cbranch_vccz .LBB38_800
; %bb.760:
	s_cmp_gt_i32 s37, 22
	s_mov_b64 s[30:31], -1
	s_cbranch_scc0 .LBB38_792
; %bb.761:
	s_cmp_lt_i32 s37, 24
	s_mov_b64 s[28:29], -1
	s_cbranch_scc1 .LBB38_781
; %bb.762:
	s_cmp_gt_i32 s37, 24
	s_cbranch_scc0 .LBB38_770
; %bb.763:
	v_lshlrev_b32_e32 v5, 16, v2
	v_and_b32_e32 v4, 0x7fffffff, v5
	s_mov_b32 s28, 0x47800000
	v_cmp_gt_u32_e32 vcc, s28, v4
	v_mov_b32_e32 v7, 0x80
	s_and_saveexec_b64 s[28:29], vcc
	s_cbranch_execz .LBB38_769
; %bb.764:
	s_mov_b32 s30, 0x37ffffff
	v_and_b32_e32 v3, 0xffff, v2
	v_cmp_lt_u32_e32 vcc, s30, v4
	s_mov_b64 s[30:31], 0
                                        ; implicit-def: $vgpr4
	s_and_saveexec_b64 s[34:35], vcc
	s_xor_b64 s[34:35], exec, s[34:35]
	s_cbranch_execz .LBB38_860
; %bb.765:
	v_bfe_u32 v4, v3, 5, 1
	s_mov_b32 s38, 0x88fffff
	v_add3_u32 v4, v5, v4, s38
	s_mov_b64 s[30:31], exec
	v_lshrrev_b32_e32 v4, 21, v4
                                        ; implicit-def: $vgpr5
	s_andn2_saveexec_b64 s[34:35], s[34:35]
	s_cbranch_execnz .LBB38_861
.LBB38_766:
	s_or_b64 exec, exec, s[34:35]
	v_mov_b32_e32 v7, 0
	s_and_saveexec_b64 s[34:35], s[30:31]
.LBB38_767:
	v_lshrrev_b32_e32 v3, 8, v3
	s_movk_i32 s30, 0x80
	v_and_or_b32 v7, v3, s30, v4
.LBB38_768:
	s_or_b64 exec, exec, s[34:35]
.LBB38_769:
	s_or_b64 exec, exec, s[28:29]
	s_mov_b64 s[28:29], 0
	global_store_byte v[0:1], v7, off
.LBB38_770:
	s_and_b64 vcc, exec, s[28:29]
	s_cbranch_vccz .LBB38_780
; %bb.771:
	v_lshlrev_b32_e32 v5, 16, v2
	v_and_b32_e32 v7, 0x7fffffff, v5
	s_mov_b32 s28, 0x43f00000
	v_and_b32_e32 v3, 0xffff, v2
	v_cmp_gt_u32_e32 vcc, s28, v7
                                        ; implicit-def: $vgpr4
	s_and_saveexec_b64 s[28:29], vcc
	s_xor_b64 s[28:29], exec, s[28:29]
	s_cbranch_execz .LBB38_777
; %bb.772:
	s_mov_b32 s30, 0x3c7fffff
	v_cmp_lt_u32_e32 vcc, s30, v7
                                        ; implicit-def: $vgpr4
	s_and_saveexec_b64 s[30:31], vcc
	s_xor_b64 s[30:31], exec, s[30:31]
; %bb.773:
	v_bfe_u32 v4, v3, 4, 1
	s_mov_b32 s34, 0x407ffff
	v_add3_u32 v4, v5, v4, s34
	v_lshrrev_b32_e32 v5, 20, v4
	v_and_b32_e32 v4, 0xff00000, v4
	s_mov_b32 s34, 0x7f00000
	v_mov_b32_e32 v7, 0x7e
	v_cmp_ne_u32_e32 vcc, s34, v4
	v_cndmask_b32_e32 v4, v7, v5, vcc
                                        ; implicit-def: $vgpr5
; %bb.774:
	s_andn2_saveexec_b64 s[30:31], s[30:31]
; %bb.775:
	s_mov_b32 s34, 0x46800000
	v_add_f32_e64 v4, |v5|, s34
; %bb.776:
	s_or_b64 exec, exec, s[30:31]
                                        ; implicit-def: $vgpr7
.LBB38_777:
	s_andn2_saveexec_b64 s[28:29], s[28:29]
; %bb.778:
	s_mov_b32 s30, 0x7f800000
	v_mov_b32_e32 v4, 0x7e
	v_mov_b32_e32 v5, 0x7f
	v_cmp_lt_u32_e32 vcc, s30, v7
	v_cndmask_b32_e32 v4, v4, v5, vcc
; %bb.779:
	s_or_b64 exec, exec, s[28:29]
	v_lshrrev_b32_e32 v3, 8, v3
	s_movk_i32 s28, 0x80
	v_and_or_b32 v3, v3, s28, v4
	global_store_byte v[0:1], v3, off
.LBB38_780:
	s_mov_b64 s[28:29], 0
.LBB38_781:
	s_andn2_b64 vcc, exec, s[28:29]
	s_cbranch_vccnz .LBB38_791
; %bb.782:
	v_lshlrev_b32_e32 v5, 16, v2
	v_and_b32_e32 v7, 0x7fffffff, v5
	s_mov_b32 s28, 0x47800000
	v_and_b32_e32 v3, 0xffff, v2
	v_cmp_gt_u32_e32 vcc, s28, v7
                                        ; implicit-def: $vgpr4
	s_and_saveexec_b64 s[28:29], vcc
	s_xor_b64 s[28:29], exec, s[28:29]
	s_cbranch_execz .LBB38_788
; %bb.783:
	s_mov_b32 s30, 0x387fffff
	v_cmp_lt_u32_e32 vcc, s30, v7
                                        ; implicit-def: $vgpr4
	s_and_saveexec_b64 s[30:31], vcc
	s_xor_b64 s[30:31], exec, s[30:31]
; %bb.784:
	v_bfe_u32 v4, v3, 5, 1
	s_mov_b32 s34, 0x80fffff
	v_add3_u32 v4, v5, v4, s34
	v_lshrrev_b32_e32 v4, 21, v4
                                        ; implicit-def: $vgpr5
; %bb.785:
	s_andn2_saveexec_b64 s[30:31], s[30:31]
; %bb.786:
	s_mov_b32 s34, 0x43000000
	v_add_f32_e64 v4, |v5|, s34
; %bb.787:
	s_or_b64 exec, exec, s[30:31]
                                        ; implicit-def: $vgpr7
.LBB38_788:
	s_andn2_saveexec_b64 s[28:29], s[28:29]
; %bb.789:
	s_mov_b32 s30, 0x7f800000
	v_mov_b32_e32 v4, 0x7c
	v_mov_b32_e32 v5, 0x7f
	v_cmp_lt_u32_e32 vcc, s30, v7
	v_cndmask_b32_e32 v4, v4, v5, vcc
; %bb.790:
	s_or_b64 exec, exec, s[28:29]
	v_lshrrev_b32_e32 v3, 8, v3
	s_movk_i32 s28, 0x80
	v_and_or_b32 v3, v3, s28, v4
	global_store_byte v[0:1], v3, off
.LBB38_791:
	s_mov_b64 s[30:31], 0
	s_mov_b64 s[28:29], -1
.LBB38_792:
	s_andn2_b64 vcc, exec, s[30:31]
	s_cbranch_vccnz .LBB38_800
; %bb.793:
	s_cmp_gt_i32 s37, 14
	s_mov_b64 s[30:31], -1
	s_cbranch_scc0 .LBB38_797
; %bb.794:
	s_cmp_eq_u32 s37, 15
	s_mov_b64 s[0:1], -1
	s_cbranch_scc0 .LBB38_796
; %bb.795:
	global_store_short v[0:1], v2, off
	s_mov_b64 s[28:29], -1
	s_mov_b64 s[0:1], 0
.LBB38_796:
	s_mov_b64 s[30:31], 0
.LBB38_797:
	s_and_b64 vcc, exec, s[30:31]
	s_cbranch_vccz .LBB38_800
; %bb.798:
	s_cmp_eq_u32 s37, 11
	s_mov_b64 s[0:1], -1
	s_cbranch_scc0 .LBB38_800
; %bb.799:
	v_and_b32_e32 v3, 0x7fff, v2
	v_cmp_ne_u16_e32 vcc, 0, v3
	v_cndmask_b32_e64 v3, 0, 1, vcc
	s_mov_b64 s[28:29], -1
	s_mov_b64 s[0:1], 0
	global_store_byte v[0:1], v3, off
.LBB38_800:
	s_mov_b64 s[30:31], 0
.LBB38_801:
	s_and_b64 vcc, exec, s[30:31]
	s_cbranch_vccz .LBB38_840
; %bb.802:
	s_and_b32 s30, 0xffff, s36
	s_cmp_lt_i32 s30, 5
	s_mov_b64 s[28:29], -1
	s_cbranch_scc1 .LBB38_823
; %bb.803:
	s_cmp_lt_i32 s30, 8
	s_cbranch_scc1 .LBB38_813
; %bb.804:
	s_cmp_lt_i32 s30, 9
	s_cbranch_scc1 .LBB38_810
; %bb.805:
	s_cmp_gt_i32 s30, 9
	s_cbranch_scc0 .LBB38_807
; %bb.806:
	v_lshlrev_b32_e32 v3, 16, v2
	v_cvt_f64_f32_e32 v[7:8], v3
	v_mov_b32_e32 v9, 0
	v_mov_b32_e32 v10, v9
	s_mov_b64 s[28:29], 0
	global_store_dwordx4 v[0:1], v[7:10], off
.LBB38_807:
	s_andn2_b64 vcc, exec, s[28:29]
	s_cbranch_vccnz .LBB38_809
; %bb.808:
	v_lshlrev_b32_e32 v3, 16, v2
	v_mov_b32_e32 v4, 0
	global_store_dwordx2 v[0:1], v[3:4], off
.LBB38_809:
	s_mov_b64 s[28:29], 0
.LBB38_810:
	s_andn2_b64 vcc, exec, s[28:29]
	s_cbranch_vccnz .LBB38_812
; %bb.811:
	v_lshlrev_b32_e32 v3, 16, v2
	v_cvt_f16_f32_e32 v3, v3
	global_store_dword v[0:1], v3, off
.LBB38_812:
	s_mov_b64 s[28:29], 0
.LBB38_813:
	s_andn2_b64 vcc, exec, s[28:29]
	s_cbranch_vccnz .LBB38_822
; %bb.814:
	s_cmp_lt_i32 s30, 6
	s_mov_b64 s[28:29], -1
	s_cbranch_scc1 .LBB38_820
; %bb.815:
	s_cmp_gt_i32 s30, 6
	s_cbranch_scc0 .LBB38_817
; %bb.816:
	v_lshlrev_b32_e32 v3, 16, v2
	v_cvt_f64_f32_e32 v[3:4], v3
	s_mov_b64 s[28:29], 0
	global_store_dwordx2 v[0:1], v[3:4], off
.LBB38_817:
	s_andn2_b64 vcc, exec, s[28:29]
	s_cbranch_vccnz .LBB38_819
; %bb.818:
	v_lshlrev_b32_e32 v3, 16, v2
	global_store_dword v[0:1], v3, off
.LBB38_819:
	s_mov_b64 s[28:29], 0
.LBB38_820:
	s_andn2_b64 vcc, exec, s[28:29]
	s_cbranch_vccnz .LBB38_822
; %bb.821:
	v_lshlrev_b32_e32 v3, 16, v2
	v_cvt_f16_f32_e32 v3, v3
	global_store_short v[0:1], v3, off
.LBB38_822:
	s_mov_b64 s[28:29], 0
.LBB38_823:
	s_andn2_b64 vcc, exec, s[28:29]
	s_cbranch_vccnz .LBB38_839
; %bb.824:
	s_cmp_lt_i32 s30, 2
	s_mov_b64 s[28:29], -1
	s_cbranch_scc1 .LBB38_834
; %bb.825:
	s_cmp_lt_i32 s30, 3
	s_cbranch_scc1 .LBB38_831
; %bb.826:
	s_cmp_gt_i32 s30, 3
	s_cbranch_scc0 .LBB38_828
; %bb.827:
	v_lshlrev_b32_e32 v3, 16, v2
	v_trunc_f32_e32 v3, v3
	s_mov_b32 s28, 0x2f800000
	v_mul_f32_e64 v4, |v3|, s28
	v_floor_f32_e32 v4, v4
	s_mov_b32 s28, 0xcf800000
	v_cvt_u32_f32_e32 v5, v4
	v_fma_f32 v4, v4, s28, |v3|
	v_cvt_u32_f32_e32 v4, v4
	v_ashrrev_i32_e32 v7, 31, v3
	v_xor_b32_e32 v5, v5, v7
	s_mov_b64 s[28:29], 0
	v_xor_b32_e32 v3, v4, v7
	v_sub_co_u32_e32 v3, vcc, v3, v7
	v_subb_co_u32_e32 v4, vcc, v5, v7, vcc
	global_store_dwordx2 v[0:1], v[3:4], off
.LBB38_828:
	s_andn2_b64 vcc, exec, s[28:29]
	s_cbranch_vccnz .LBB38_830
; %bb.829:
	v_lshlrev_b32_e32 v3, 16, v2
	v_cvt_i32_f32_e32 v3, v3
	global_store_dword v[0:1], v3, off
.LBB38_830:
	s_mov_b64 s[28:29], 0
.LBB38_831:
	s_andn2_b64 vcc, exec, s[28:29]
	s_cbranch_vccnz .LBB38_833
; %bb.832:
	v_lshlrev_b32_e32 v3, 16, v2
	v_cvt_i32_f32_e32 v3, v3
	global_store_short v[0:1], v3, off
.LBB38_833:
	s_mov_b64 s[28:29], 0
.LBB38_834:
	s_andn2_b64 vcc, exec, s[28:29]
	s_cbranch_vccnz .LBB38_839
; %bb.835:
	s_mov_b64 s[28:29], -1
	s_cmp_gt_i32 s30, 0
	v_lshlrev_b32_e32 v2, 16, v2
	s_cbranch_scc0 .LBB38_837
; %bb.836:
	v_cvt_i32_f32_e32 v3, v2
	s_mov_b64 s[28:29], 0
	global_store_byte v[0:1], v3, off
.LBB38_837:
	s_andn2_b64 vcc, exec, s[28:29]
	s_cbranch_vccnz .LBB38_839
; %bb.838:
	v_trunc_f32_e32 v2, v2
	s_mov_b32 s28, 0x2f800000
	v_mul_f32_e64 v3, |v2|, s28
	v_floor_f32_e32 v3, v3
	s_mov_b32 s28, 0xcf800000
	v_fma_f32 v3, v3, s28, |v2|
	v_cvt_u32_f32_e32 v3, v3
	v_ashrrev_i32_e32 v2, 31, v2
	v_xor_b32_e32 v3, v3, v2
	v_sub_u32_e32 v2, v3, v2
	global_store_byte v[0:1], v2, off
.LBB38_839:
	s_mov_b64 s[28:29], -1
.LBB38_840:
	s_andn2_b64 vcc, exec, s[28:29]
	s_cbranch_vccnz .LBB38_842
; %bb.841:
	v_add_u32_e32 v6, 0x80, v6
	s_mov_b64 s[30:31], -1
	s_branch .LBB38_843
.LBB38_842:
	s_mov_b64 s[30:31], 0
                                        ; implicit-def: $vgpr6
.LBB38_843:
	s_andn2_b64 s[28:29], s[20:21], exec
	s_and_b64 s[0:1], s[0:1], exec
	s_or_b64 s[28:29], s[28:29], s[0:1]
	s_andn2_b64 s[0:1], s[18:19], exec
	s_and_b64 s[26:27], s[26:27], exec
	s_or_b64 s[0:1], s[0:1], s[26:27]
	s_orn2_b64 s[34:35], s[30:31], exec
.LBB38_844:
	s_or_b64 exec, exec, s[24:25]
	s_mov_b64 s[30:31], 0
	s_mov_b64 s[26:27], 0
	;; [unrolled: 1-line block ×3, first 2 shown]
                                        ; implicit-def: $vgpr0_vgpr1
                                        ; implicit-def: $vgpr3
	s_and_saveexec_b64 s[24:25], s[34:35]
	s_cbranch_execz .LBB38_929
; %bb.845:
	v_cmp_gt_i32_e32 vcc, s40, v6
	s_mov_b64 s[34:35], 0
	s_mov_b64 s[38:39], s[0:1]
	;; [unrolled: 1-line block ×3, first 2 shown]
                                        ; implicit-def: $vgpr0_vgpr1
                                        ; implicit-def: $vgpr3
	s_and_saveexec_b64 s[26:27], vcc
	s_cbranch_execz .LBB38_928
; %bb.846:
	v_mul_lo_u32 v0, v6, s3
	v_mov_b32_e32 v1, s11
	s_and_b32 s43, 0xffff, s42
	s_cmp_lt_i32 s43, 11
	s_waitcnt vmcnt(0)
	v_ashrrev_i32_e32 v2, 31, v0
	v_add_co_u32_e32 v0, vcc, s10, v0
	v_addc_co_u32_e32 v1, vcc, v1, v2, vcc
	s_cbranch_scc1 .LBB38_853
; %bb.847:
	s_cmp_gt_i32 s43, 25
	s_cbranch_scc0 .LBB38_854
; %bb.848:
	s_cmp_gt_i32 s43, 28
	s_cbranch_scc0 .LBB38_855
	;; [unrolled: 3-line block ×4, first 2 shown]
; %bb.851:
	s_cmp_eq_u32 s43, 46
	s_mov_b64 s[38:39], 0
	s_cbranch_scc0 .LBB38_862
; %bb.852:
	global_load_dword v3, v[0:1], off
	s_mov_b64 s[36:37], -1
	s_branch .LBB38_864
.LBB38_853:
	s_mov_b64 s[38:39], -1
                                        ; implicit-def: $vgpr3
	s_mov_b64 s[30:31], s[0:1]
	s_branch .LBB38_927
.LBB38_854:
	s_mov_b64 s[38:39], -1
	s_mov_b64 s[30:31], s[0:1]
                                        ; implicit-def: $vgpr3
	s_branch .LBB38_893
.LBB38_855:
	s_mov_b64 s[38:39], -1
	s_mov_b64 s[30:31], s[0:1]
                                        ; implicit-def: $vgpr3
	s_branch .LBB38_874
.LBB38_856:
	s_mov_b64 s[38:39], -1
	s_mov_b64 s[30:31], s[0:1]
                                        ; implicit-def: $vgpr3
	s_branch .LBB38_869
.LBB38_857:
	s_andn2_saveexec_b64 s[34:35], s[34:35]
	s_cbranch_execz .LBB38_753
.LBB38_858:
	s_mov_b32 s38, 0x46000000
	v_add_f32_e64 v4, |v5|, s38
	v_and_b32_e32 v4, 0xff, v4
	v_cmp_ne_u32_e32 vcc, 0, v4
	s_andn2_b64 s[30:31], s[30:31], exec
	s_and_b64 s[38:39], vcc, exec
	s_or_b64 s[30:31], s[30:31], s[38:39]
	s_or_b64 exec, exec, s[34:35]
	v_mov_b32_e32 v7, 0
	s_and_saveexec_b64 s[34:35], s[30:31]
	s_cbranch_execnz .LBB38_754
	s_branch .LBB38_755
.LBB38_859:
	s_mov_b64 s[38:39], -1
	s_mov_b64 s[30:31], s[0:1]
	s_branch .LBB38_863
.LBB38_860:
	s_andn2_saveexec_b64 s[34:35], s[34:35]
	s_cbranch_execz .LBB38_766
.LBB38_861:
	s_mov_b32 s38, 0x42800000
	v_add_f32_e64 v4, |v5|, s38
	v_and_b32_e32 v4, 0xff, v4
	v_cmp_ne_u32_e32 vcc, 0, v4
	s_andn2_b64 s[30:31], s[30:31], exec
	s_and_b64 s[38:39], vcc, exec
	s_or_b64 s[30:31], s[30:31], s[38:39]
	s_or_b64 exec, exec, s[34:35]
	v_mov_b32_e32 v7, 0
	s_and_saveexec_b64 s[34:35], s[30:31]
	s_cbranch_execnz .LBB38_767
	s_branch .LBB38_768
.LBB38_862:
	s_mov_b64 s[30:31], -1
.LBB38_863:
                                        ; implicit-def: $vgpr3
.LBB38_864:
	s_and_b64 vcc, exec, s[38:39]
	s_cbranch_vccz .LBB38_868
; %bb.865:
	s_cmp_eq_u32 s43, 44
	s_cbranch_scc0 .LBB38_867
; %bb.866:
	global_load_ubyte v2, v[0:1], off
	s_movk_i32 s36, 0xff
	s_waitcnt vmcnt(1)
	v_mov_b32_e32 v3, 0x7f800001
	v_mov_b32_e32 v4, 0x400000
	;; [unrolled: 1-line block ×3, first 2 shown]
	s_mov_b64 s[30:31], 0
	s_waitcnt vmcnt(0)
	v_lshlrev_b32_e32 v7, 23, v2
	v_cmp_ne_u32_e32 vcc, s36, v2
	v_cndmask_b32_e32 v3, v3, v7, vcc
	v_cmp_ne_u32_e32 vcc, 0, v2
	v_cndmask_b32_e32 v2, v4, v3, vcc
	v_add_u32_e32 v3, 0x7fff, v2
	v_cmp_o_f32_e32 vcc, v2, v2
	v_cndmask_b32_sdwa v3, v5, v3, vcc dst_sel:DWORD dst_unused:UNUSED_PAD src0_sel:DWORD src1_sel:WORD_1
	s_mov_b64 s[36:37], -1
	s_branch .LBB38_868
.LBB38_867:
	s_mov_b64 s[30:31], -1
                                        ; implicit-def: $vgpr3
.LBB38_868:
	s_mov_b64 s[38:39], 0
.LBB38_869:
	s_and_b64 vcc, exec, s[38:39]
	s_cbranch_vccz .LBB38_873
; %bb.870:
	s_cmp_eq_u32 s43, 29
	s_cbranch_scc0 .LBB38_872
; %bb.871:
	global_load_dwordx2 v[2:3], v[0:1], off
	s_movk_i32 s36, 0x7fff
	s_mov_b64 s[30:31], 0
	s_mov_b64 s[38:39], 0
	s_waitcnt vmcnt(0)
	v_ffbh_u32_e32 v4, v3
	v_min_u32_e32 v4, 32, v4
	v_lshlrev_b64 v[2:3], v4, v[2:3]
	v_min_u32_e32 v2, 1, v2
	v_or_b32_e32 v2, v3, v2
	v_cvt_f32_u32_e32 v2, v2
	v_sub_u32_e32 v3, 32, v4
	v_ldexp_f32 v2, v2, v3
	v_bfe_u32 v3, v2, 16, 1
	v_add3_u32 v2, v2, v3, s36
	v_lshrrev_b32_e32 v3, 16, v2
	s_mov_b64 s[36:37], -1
	s_branch .LBB38_874
.LBB38_872:
	s_mov_b64 s[30:31], -1
                                        ; implicit-def: $vgpr3
.LBB38_873:
	s_mov_b64 s[38:39], 0
.LBB38_874:
	s_and_b64 vcc, exec, s[38:39]
	s_cbranch_vccz .LBB38_892
; %bb.875:
	s_cmp_lt_i32 s43, 27
	s_cbranch_scc1 .LBB38_878
; %bb.876:
	s_cmp_gt_i32 s43, 27
	s_cbranch_scc0 .LBB38_879
; %bb.877:
	global_load_dword v2, v[0:1], off
	s_movk_i32 s36, 0x7fff
	s_waitcnt vmcnt(0)
	v_cvt_f32_u32_e32 v2, v2
	v_bfe_u32 v3, v2, 16, 1
	v_add3_u32 v2, v2, v3, s36
	v_lshrrev_b32_e32 v3, 16, v2
	s_mov_b64 s[36:37], 0
	s_branch .LBB38_880
.LBB38_878:
	s_mov_b64 s[36:37], -1
                                        ; implicit-def: $vgpr3
	s_branch .LBB38_883
.LBB38_879:
	s_mov_b64 s[36:37], -1
                                        ; implicit-def: $vgpr3
.LBB38_880:
	s_andn2_b64 vcc, exec, s[36:37]
	s_cbranch_vccnz .LBB38_882
; %bb.881:
	global_load_ushort v2, v[0:1], off
	s_movk_i32 s36, 0x7fff
	s_waitcnt vmcnt(0)
	v_cvt_f32_u32_e32 v2, v2
	v_bfe_u32 v3, v2, 16, 1
	v_add3_u32 v2, v2, v3, s36
	v_lshrrev_b32_e32 v3, 16, v2
.LBB38_882:
	s_mov_b64 s[36:37], 0
.LBB38_883:
	s_andn2_b64 vcc, exec, s[36:37]
	s_cbranch_vccnz .LBB38_891
; %bb.884:
	global_load_ubyte v2, v[0:1], off
	s_movk_i32 s36, 0x7f
	s_waitcnt vmcnt(0)
	v_cmp_lt_i16_e32 vcc, s36, v2
	s_mov_b64 s[36:37], 0
	s_and_saveexec_b64 s[38:39], vcc
	s_xor_b64 s[38:39], exec, s[38:39]
	s_cbranch_execz .LBB38_905
; %bb.885:
	s_movk_i32 s36, 0x80
	v_cmp_eq_u16_e32 vcc, s36, v2
	s_mov_b64 s[36:37], -1
	s_and_saveexec_b64 s[40:41], vcc
; %bb.886:
	s_xor_b64 s[36:37], exec, -1
; %bb.887:
	s_or_b64 exec, exec, s[40:41]
	s_and_b64 s[36:37], s[36:37], exec
	s_or_saveexec_b64 s[38:39], s[38:39]
	v_mov_b32_e32 v3, 0x7f800001
	s_xor_b64 exec, exec, s[38:39]
	s_cbranch_execnz .LBB38_906
.LBB38_888:
	s_or_b64 exec, exec, s[38:39]
	s_and_saveexec_b64 s[38:39], s[36:37]
	s_cbranch_execz .LBB38_890
.LBB38_889:
	v_lshlrev_b32_e32 v3, 24, v2
	v_and_b32_e32 v2, 0xffff, v2
	v_and_b32_e32 v4, 7, v2
	v_ffbh_u32_e32 v7, v4
	v_min_u32_e32 v7, 32, v7
	v_subrev_u32_e32 v8, 28, v7
	v_bfe_u32 v5, v2, 3, 4
	v_lshlrev_b32_e32 v2, v8, v2
	v_sub_u32_e32 v7, 29, v7
	v_and_b32_e32 v2, 7, v2
	v_cmp_eq_u32_e32 vcc, 0, v5
	v_cndmask_b32_e32 v5, v5, v7, vcc
	v_cndmask_b32_e32 v2, v4, v2, vcc
	v_mov_b32_e32 v4, 0x3b800000
	v_lshlrev_b32_e32 v2, 20, v2
	v_and_b32_e32 v3, 0x80000000, v3
	v_lshl_add_u32 v4, v5, 23, v4
	v_or3_b32 v3, v3, v4, v2
.LBB38_890:
	s_or_b64 exec, exec, s[38:39]
	v_bfe_u32 v2, v3, 16, 1
	s_movk_i32 s36, 0x7fff
	v_add3_u32 v2, v3, v2, s36
	v_cmp_o_f32_e32 vcc, v3, v3
	v_mov_b32_e32 v3, 0x7fc0
	v_cndmask_b32_sdwa v3, v3, v2, vcc dst_sel:DWORD dst_unused:UNUSED_PAD src0_sel:DWORD src1_sel:WORD_1
.LBB38_891:
	s_mov_b64 s[36:37], -1
.LBB38_892:
	s_mov_b64 s[38:39], 0
.LBB38_893:
	s_and_b64 vcc, exec, s[38:39]
	s_cbranch_vccz .LBB38_926
; %bb.894:
	s_cmp_gt_i32 s43, 22
	s_cbranch_scc0 .LBB38_904
; %bb.895:
	s_cmp_lt_i32 s43, 24
	s_cbranch_scc1 .LBB38_907
; %bb.896:
	s_cmp_gt_i32 s43, 24
	s_cbranch_scc0 .LBB38_908
; %bb.897:
	global_load_ubyte v2, v[0:1], off
	s_movk_i32 s34, 0x7f
	s_waitcnt vmcnt(0)
	v_cmp_lt_i16_e32 vcc, s34, v2
	s_mov_b64 s[34:35], 0
	s_and_saveexec_b64 s[36:37], vcc
	s_xor_b64 s[36:37], exec, s[36:37]
	s_cbranch_execz .LBB38_920
; %bb.898:
	s_movk_i32 s34, 0x80
	v_cmp_eq_u16_e32 vcc, s34, v2
	s_mov_b64 s[34:35], -1
	s_and_saveexec_b64 s[38:39], vcc
; %bb.899:
	s_xor_b64 s[34:35], exec, -1
; %bb.900:
	s_or_b64 exec, exec, s[38:39]
	s_and_b64 s[34:35], s[34:35], exec
	s_or_saveexec_b64 s[36:37], s[36:37]
	v_mov_b32_e32 v3, 0x7f800001
	s_xor_b64 exec, exec, s[36:37]
	s_cbranch_execnz .LBB38_921
.LBB38_901:
	s_or_b64 exec, exec, s[36:37]
	s_and_saveexec_b64 s[36:37], s[34:35]
	s_cbranch_execz .LBB38_903
.LBB38_902:
	v_lshlrev_b32_e32 v3, 24, v2
	v_and_b32_e32 v2, 0xffff, v2
	v_and_b32_e32 v4, 3, v2
	v_ffbh_u32_e32 v7, v4
	v_min_u32_e32 v7, 32, v7
	v_subrev_u32_e32 v8, 29, v7
	v_bfe_u32 v5, v2, 2, 5
	v_lshlrev_b32_e32 v2, v8, v2
	v_sub_u32_e32 v7, 30, v7
	v_and_b32_e32 v2, 3, v2
	v_cmp_eq_u32_e32 vcc, 0, v5
	v_cndmask_b32_e32 v5, v5, v7, vcc
	v_cndmask_b32_e32 v2, v4, v2, vcc
	v_mov_b32_e32 v4, 0x37800000
	v_lshlrev_b32_e32 v2, 21, v2
	v_and_b32_e32 v3, 0x80000000, v3
	v_lshl_add_u32 v4, v5, 23, v4
	v_or3_b32 v3, v3, v4, v2
.LBB38_903:
	s_or_b64 exec, exec, s[36:37]
	v_bfe_u32 v2, v3, 16, 1
	s_movk_i32 s34, 0x7fff
	v_add3_u32 v2, v3, v2, s34
	v_cmp_o_f32_e32 vcc, v3, v3
	v_mov_b32_e32 v3, 0x7fc0
	v_cndmask_b32_sdwa v3, v3, v2, vcc dst_sel:DWORD dst_unused:UNUSED_PAD src0_sel:DWORD src1_sel:WORD_1
	s_mov_b64 s[34:35], 0
	s_branch .LBB38_909
.LBB38_904:
	s_mov_b64 s[34:35], -1
                                        ; implicit-def: $vgpr3
	s_branch .LBB38_915
.LBB38_905:
	s_or_saveexec_b64 s[38:39], s[38:39]
	v_mov_b32_e32 v3, 0x7f800001
	s_xor_b64 exec, exec, s[38:39]
	s_cbranch_execz .LBB38_888
.LBB38_906:
	v_cmp_ne_u16_e32 vcc, 0, v2
	s_andn2_b64 s[36:37], s[36:37], exec
	s_and_b64 s[40:41], vcc, exec
	v_mov_b32_e32 v3, 0
	s_or_b64 s[36:37], s[36:37], s[40:41]
	s_or_b64 exec, exec, s[38:39]
	s_and_saveexec_b64 s[38:39], s[36:37]
	s_cbranch_execnz .LBB38_889
	s_branch .LBB38_890
.LBB38_907:
	s_mov_b64 s[34:35], -1
                                        ; implicit-def: $vgpr3
	s_branch .LBB38_912
.LBB38_908:
	s_mov_b64 s[34:35], -1
                                        ; implicit-def: $vgpr3
.LBB38_909:
	s_and_b64 vcc, exec, s[34:35]
	s_cbranch_vccz .LBB38_911
; %bb.910:
	global_load_ubyte v2, v[0:1], off
	s_mov_b32 s34, 0x7f800000
	s_brev_b32 s35, 1
	s_movk_i32 s36, 0x7fff
	s_waitcnt vmcnt(0)
	v_lshlrev_b32_e32 v2, 24, v2
	v_and_b32_e32 v3, 0x7f000000, v2
	v_ffbh_u32_e32 v4, v3
	v_min_u32_e32 v4, 32, v4
	v_sub_u32_e64 v4, v4, 4 clamp
	v_lshlrev_b32_e32 v7, v4, v3
	v_lshlrev_b32_e32 v4, 23, v4
	v_lshrrev_b32_e32 v7, 4, v7
	v_add_u32_e32 v5, 0x1000000, v3
	v_sub_u32_e32 v4, v7, v4
	v_ashrrev_i32_e32 v5, 8, v5
	v_add_u32_e32 v4, 0x3c000000, v4
	v_and_or_b32 v4, v5, s34, v4
	v_cmp_ne_u32_e32 vcc, 0, v3
	v_cndmask_b32_e32 v3, 0, v4, vcc
	v_and_or_b32 v2, v2, s35, v3
	v_bfe_u32 v3, v3, 16, 1
	v_add3_u32 v3, v2, v3, s36
	v_cmp_o_f32_e32 vcc, v2, v2
	v_mov_b32_e32 v2, 0x7fc0
	v_cndmask_b32_sdwa v3, v2, v3, vcc dst_sel:DWORD dst_unused:UNUSED_PAD src0_sel:DWORD src1_sel:WORD_1
.LBB38_911:
	s_mov_b64 s[34:35], 0
.LBB38_912:
	s_andn2_b64 vcc, exec, s[34:35]
	s_cbranch_vccnz .LBB38_914
; %bb.913:
	global_load_ubyte v2, v[0:1], off
	s_movk_i32 s34, 0x7f00
	s_brev_b32 s35, 16
	s_brev_b32 s36, 1
	s_movk_i32 s37, 0x7fff
	s_waitcnt vmcnt(0)
	v_lshlrev_b16_e32 v3, 8, v2
	v_lshlrev_b32_e32 v2, 25, v2
	v_lshrrev_b32_e32 v4, 4, v2
	v_and_or_b32 v5, v3, s34, 0.5
	v_or_b32_e32 v4, 0x70000000, v4
	v_add_f32_e32 v5, -0.5, v5
	v_mul_f32_e32 v4, 0x7800000, v4
	v_cmp_gt_u32_e32 vcc, s35, v2
	v_bfe_i32 v3, v3, 0, 16
	v_cndmask_b32_e32 v2, v4, v5, vcc
	v_and_or_b32 v3, v3, s36, v2
	v_bfe_u32 v2, v2, 16, 1
	v_add3_u32 v2, v3, v2, s37
	v_cmp_o_f32_e32 vcc, v3, v3
	v_mov_b32_e32 v3, 0x7fc0
	v_cndmask_b32_sdwa v3, v3, v2, vcc dst_sel:DWORD dst_unused:UNUSED_PAD src0_sel:DWORD src1_sel:WORD_1
.LBB38_914:
	s_mov_b64 s[34:35], 0
	s_mov_b64 s[36:37], -1
.LBB38_915:
	s_andn2_b64 vcc, exec, s[34:35]
	s_mov_b64 s[34:35], 0
	s_cbranch_vccnz .LBB38_926
; %bb.916:
	s_cmp_gt_i32 s43, 14
	s_cbranch_scc0 .LBB38_919
; %bb.917:
	s_cmp_eq_u32 s43, 15
	s_cbranch_scc0 .LBB38_922
; %bb.918:
	global_load_ushort v3, v[0:1], off
	s_mov_b64 s[30:31], 0
	s_mov_b64 s[36:37], -1
	s_branch .LBB38_923
.LBB38_919:
	s_mov_b64 s[38:39], -1
                                        ; implicit-def: $vgpr3
	s_branch .LBB38_924
.LBB38_920:
	s_or_saveexec_b64 s[36:37], s[36:37]
	v_mov_b32_e32 v3, 0x7f800001
	s_xor_b64 exec, exec, s[36:37]
	s_cbranch_execz .LBB38_901
.LBB38_921:
	v_cmp_ne_u16_e32 vcc, 0, v2
	s_andn2_b64 s[34:35], s[34:35], exec
	s_and_b64 s[38:39], vcc, exec
	v_mov_b32_e32 v3, 0
	s_or_b64 s[34:35], s[34:35], s[38:39]
	s_or_b64 exec, exec, s[36:37]
	s_and_saveexec_b64 s[36:37], s[34:35]
	s_cbranch_execnz .LBB38_902
	s_branch .LBB38_903
.LBB38_922:
	s_mov_b64 s[30:31], -1
                                        ; implicit-def: $vgpr3
.LBB38_923:
	s_mov_b64 s[38:39], 0
.LBB38_924:
	s_and_b64 vcc, exec, s[38:39]
	s_cbranch_vccz .LBB38_926
; %bb.925:
	s_cmp_lg_u32 s43, 11
	s_cselect_b64 s[38:39], -1, 0
	s_andn2_b64 s[30:31], s[30:31], exec
	s_and_b64 s[38:39], s[38:39], exec
	s_mov_b64 s[34:35], -1
	s_or_b64 s[30:31], s[30:31], s[38:39]
.LBB38_926:
	s_mov_b64 s[38:39], 0
.LBB38_927:
	s_and_b64 s[40:41], s[38:39], exec
	s_andn2_b64 s[38:39], s[0:1], exec
	s_and_b64 s[30:31], s[30:31], exec
	s_and_b64 s[36:37], s[36:37], exec
	;; [unrolled: 1-line block ×3, first 2 shown]
	s_or_b64 s[38:39], s[38:39], s[30:31]
.LBB38_928:
	s_or_b64 exec, exec, s[26:27]
	s_and_b64 s[30:31], s[34:35], exec
	s_andn2_b64 s[0:1], s[0:1], exec
	s_and_b64 s[34:35], s[38:39], exec
	s_and_b64 s[36:37], s[36:37], exec
	;; [unrolled: 1-line block ×3, first 2 shown]
	s_or_b64 s[0:1], s[0:1], s[34:35]
.LBB38_929:
	s_or_b64 exec, exec, s[24:25]
	s_andn2_b64 s[20:21], s[20:21], exec
	s_and_b64 s[24:25], s[28:29], exec
	s_andn2_b64 s[18:19], s[18:19], exec
	s_and_b64 s[0:1], s[0:1], exec
	s_or_b64 s[20:21], s[20:21], s[24:25]
	s_and_b64 s[28:29], s[36:37], exec
	s_and_b64 s[26:27], s[26:27], exec
	;; [unrolled: 1-line block ×3, first 2 shown]
	s_or_b64 s[18:19], s[18:19], s[0:1]
.LBB38_930:
	s_or_b64 exec, exec, s[22:23]
	s_andn2_b64 s[0:1], s[6:7], exec
	s_and_b64 s[6:7], s[20:21], exec
	s_andn2_b64 s[14:15], s[14:15], exec
	s_and_b64 s[18:19], s[18:19], exec
	s_or_b64 s[6:7], s[0:1], s[6:7]
	s_and_b64 s[0:1], s[28:29], exec
	s_and_b64 s[22:23], s[26:27], exec
	;; [unrolled: 1-line block ×3, first 2 shown]
	s_or_b64 s[14:15], s[14:15], s[18:19]
	s_or_b64 exec, exec, s[16:17]
	s_mov_b64 s[16:17], 0
	s_and_saveexec_b64 s[18:19], s[14:15]
	s_cbranch_execz .LBB38_286
.LBB38_931:
	s_mov_b64 s[16:17], exec
	s_andn2_b64 s[20:21], s[20:21], exec
	s_trap 2
	s_or_b64 exec, exec, s[18:19]
	s_and_saveexec_b64 s[14:15], s[20:21]
	s_xor_b64 s[14:15], exec, s[14:15]
	s_cbranch_execnz .LBB38_287
.LBB38_932:
	s_or_b64 exec, exec, s[14:15]
	s_and_saveexec_b64 s[14:15], s[22:23]
	s_cbranch_execz .LBB38_978
.LBB38_933:
	s_sext_i32_i16 s18, s42
	s_cmp_lt_i32 s18, 5
	s_cbranch_scc1 .LBB38_938
; %bb.934:
	s_cmp_lt_i32 s18, 8
	s_cbranch_scc1 .LBB38_939
; %bb.935:
	;; [unrolled: 3-line block ×3, first 2 shown]
	s_cmp_gt_i32 s18, 9
	s_cbranch_scc0 .LBB38_941
; %bb.937:
	global_load_dwordx2 v[2:3], v[0:1], off
	s_movk_i32 s18, 0x7fff
	s_waitcnt vmcnt(0)
	v_cvt_f32_f64_e32 v2, v[2:3]
	v_mov_b32_e32 v3, 0x7fc0
	v_bfe_u32 v4, v2, 16, 1
	v_cmp_o_f32_e32 vcc, v2, v2
	v_add3_u32 v2, v2, v4, s18
	v_cndmask_b32_sdwa v3, v3, v2, vcc dst_sel:DWORD dst_unused:UNUSED_PAD src0_sel:DWORD src1_sel:WORD_1
	s_mov_b64 s[18:19], 0
	s_branch .LBB38_942
.LBB38_938:
                                        ; implicit-def: $vgpr3
	s_branch .LBB38_959
.LBB38_939:
                                        ; implicit-def: $vgpr3
	s_branch .LBB38_948
.LBB38_940:
	s_mov_b64 s[18:19], -1
                                        ; implicit-def: $vgpr3
	s_branch .LBB38_945
.LBB38_941:
	s_mov_b64 s[18:19], -1
                                        ; implicit-def: $vgpr3
.LBB38_942:
	s_andn2_b64 vcc, exec, s[18:19]
	s_cbranch_vccnz .LBB38_944
; %bb.943:
	global_load_dword v2, v[0:1], off
	s_movk_i32 s18, 0x7fff
	s_waitcnt vmcnt(1)
	v_mov_b32_e32 v3, 0x7fc0
	s_waitcnt vmcnt(0)
	v_bfe_u32 v4, v2, 16, 1
	v_cmp_o_f32_e32 vcc, v2, v2
	v_add3_u32 v2, v2, v4, s18
	v_cndmask_b32_sdwa v3, v3, v2, vcc dst_sel:DWORD dst_unused:UNUSED_PAD src0_sel:DWORD src1_sel:WORD_1
.LBB38_944:
	s_mov_b64 s[18:19], 0
.LBB38_945:
	s_andn2_b64 vcc, exec, s[18:19]
	s_cbranch_vccnz .LBB38_947
; %bb.946:
	global_load_dword v2, v[0:1], off
	s_movk_i32 s18, 0x7fff
	v_mov_b32_e32 v4, 0x7fc0
	s_waitcnt vmcnt(0)
	v_cvt_f32_f16_e32 v3, v2
	v_cmp_o_f16_e32 vcc, v2, v2
	v_bfe_u32 v2, v3, 16, 1
	v_add3_u32 v2, v3, v2, s18
	v_cndmask_b32_sdwa v3, v4, v2, vcc dst_sel:DWORD dst_unused:UNUSED_PAD src0_sel:DWORD src1_sel:WORD_1
.LBB38_947:
	s_cbranch_execnz .LBB38_958
.LBB38_948:
	s_sext_i32_i16 s18, s42
	s_cmp_lt_i32 s18, 6
	s_cbranch_scc1 .LBB38_951
; %bb.949:
	s_cmp_gt_i32 s18, 6
	s_cbranch_scc0 .LBB38_952
; %bb.950:
	global_load_dwordx2 v[2:3], v[0:1], off
	s_movk_i32 s18, 0x7fff
	s_waitcnt vmcnt(0)
	v_cvt_f32_f64_e32 v2, v[2:3]
	v_mov_b32_e32 v3, 0x7fc0
	v_bfe_u32 v4, v2, 16, 1
	v_cmp_o_f32_e32 vcc, v2, v2
	v_add3_u32 v2, v2, v4, s18
	v_cndmask_b32_sdwa v3, v3, v2, vcc dst_sel:DWORD dst_unused:UNUSED_PAD src0_sel:DWORD src1_sel:WORD_1
	s_mov_b64 s[18:19], 0
	s_branch .LBB38_953
.LBB38_951:
	s_mov_b64 s[18:19], -1
                                        ; implicit-def: $vgpr3
	s_branch .LBB38_956
.LBB38_952:
	s_mov_b64 s[18:19], -1
                                        ; implicit-def: $vgpr3
.LBB38_953:
	s_andn2_b64 vcc, exec, s[18:19]
	s_cbranch_vccnz .LBB38_955
; %bb.954:
	global_load_dword v2, v[0:1], off
	s_movk_i32 s18, 0x7fff
	s_waitcnt vmcnt(1)
	v_mov_b32_e32 v3, 0x7fc0
	s_waitcnt vmcnt(0)
	v_bfe_u32 v4, v2, 16, 1
	v_cmp_o_f32_e32 vcc, v2, v2
	v_add3_u32 v2, v2, v4, s18
	v_cndmask_b32_sdwa v3, v3, v2, vcc dst_sel:DWORD dst_unused:UNUSED_PAD src0_sel:DWORD src1_sel:WORD_1
.LBB38_955:
	s_mov_b64 s[18:19], 0
.LBB38_956:
	s_andn2_b64 vcc, exec, s[18:19]
	s_cbranch_vccnz .LBB38_958
; %bb.957:
	global_load_ushort v2, v[0:1], off
	s_movk_i32 s18, 0x7fff
	v_mov_b32_e32 v4, 0x7fc0
	s_waitcnt vmcnt(0)
	v_cvt_f32_f16_e32 v3, v2
	v_cmp_o_f16_e32 vcc, v2, v2
	v_bfe_u32 v2, v3, 16, 1
	v_add3_u32 v2, v3, v2, s18
	v_cndmask_b32_sdwa v3, v4, v2, vcc dst_sel:DWORD dst_unused:UNUSED_PAD src0_sel:DWORD src1_sel:WORD_1
.LBB38_958:
	s_cbranch_execnz .LBB38_977
.LBB38_959:
	s_sext_i32_i16 s18, s42
	s_cmp_lt_i32 s18, 2
	s_cbranch_scc1 .LBB38_963
; %bb.960:
	s_cmp_lt_i32 s18, 3
	s_cbranch_scc1 .LBB38_964
; %bb.961:
	s_cmp_gt_i32 s18, 3
	s_cbranch_scc0 .LBB38_965
; %bb.962:
	global_load_dwordx2 v[2:3], v[0:1], off
	s_movk_i32 s18, 0x7fff
	s_waitcnt vmcnt(0)
	v_xor_b32_e32 v5, v2, v3
	v_ffbh_i32_e32 v4, v3
	v_ashrrev_i32_e32 v5, 31, v5
	v_add_u32_e32 v4, -1, v4
	v_add_u32_e32 v5, 32, v5
	v_min_u32_e32 v4, v4, v5
	v_lshlrev_b64 v[2:3], v4, v[2:3]
	v_min_u32_e32 v2, 1, v2
	v_or_b32_e32 v2, v3, v2
	v_cvt_f32_i32_e32 v2, v2
	v_sub_u32_e32 v3, 32, v4
	v_ldexp_f32 v2, v2, v3
	v_bfe_u32 v3, v2, 16, 1
	v_add3_u32 v2, v2, v3, s18
	v_lshrrev_b32_e32 v3, 16, v2
	s_mov_b64 s[18:19], 0
	s_branch .LBB38_966
.LBB38_963:
                                        ; implicit-def: $vgpr3
	s_branch .LBB38_972
.LBB38_964:
	s_mov_b64 s[18:19], -1
                                        ; implicit-def: $vgpr3
	s_branch .LBB38_969
.LBB38_965:
	s_mov_b64 s[18:19], -1
                                        ; implicit-def: $vgpr3
.LBB38_966:
	s_andn2_b64 vcc, exec, s[18:19]
	s_cbranch_vccnz .LBB38_968
; %bb.967:
	global_load_dword v2, v[0:1], off
	s_movk_i32 s18, 0x7fff
	s_waitcnt vmcnt(0)
	v_cvt_f32_i32_e32 v2, v2
	v_bfe_u32 v3, v2, 16, 1
	v_add3_u32 v2, v2, v3, s18
	v_lshrrev_b32_e32 v3, 16, v2
.LBB38_968:
	s_mov_b64 s[18:19], 0
.LBB38_969:
	s_andn2_b64 vcc, exec, s[18:19]
	s_cbranch_vccnz .LBB38_971
; %bb.970:
	global_load_sshort v2, v[0:1], off
	s_movk_i32 s18, 0x7fff
	s_waitcnt vmcnt(0)
	v_cvt_f32_i32_e32 v2, v2
	v_bfe_u32 v3, v2, 16, 1
	v_add3_u32 v2, v2, v3, s18
	v_lshrrev_b32_e32 v3, 16, v2
.LBB38_971:
	s_cbranch_execnz .LBB38_977
.LBB38_972:
	s_sext_i32_i16 s18, s42
	s_cmp_gt_i32 s18, 0
	s_cbranch_scc0 .LBB38_974
; %bb.973:
	global_load_sbyte v2, v[0:1], off
	s_movk_i32 s18, 0x7fff
	s_waitcnt vmcnt(0)
	v_cvt_f32_i32_e32 v2, v2
	v_bfe_u32 v3, v2, 16, 1
	v_add3_u32 v2, v2, v3, s18
	v_lshrrev_b32_e32 v3, 16, v2
	s_mov_b64 s[18:19], 0
	s_branch .LBB38_975
.LBB38_974:
	s_mov_b64 s[18:19], -1
                                        ; implicit-def: $vgpr3
.LBB38_975:
	s_andn2_b64 vcc, exec, s[18:19]
	s_cbranch_vccnz .LBB38_977
; %bb.976:
	global_load_ubyte v0, v[0:1], off
	s_movk_i32 s18, 0x7fff
	s_waitcnt vmcnt(0)
	v_cvt_f32_ubyte0_e32 v0, v0
	v_bfe_u32 v1, v0, 16, 1
	v_add3_u32 v0, v0, v1, s18
	v_lshrrev_b32_e32 v3, 16, v0
.LBB38_977:
	s_or_b64 s[0:1], s[0:1], exec
.LBB38_978:
	s_or_b64 exec, exec, s[14:15]
	s_mov_b64 s[20:21], 0
	s_mov_b64 s[18:19], 0
                                        ; implicit-def: $sgpr26
                                        ; implicit-def: $vgpr0_vgpr1
                                        ; implicit-def: $vgpr2
	s_and_saveexec_b64 s[14:15], s[0:1]
	s_cbranch_execz .LBB38_1020
; %bb.979:
	s_waitcnt vmcnt(0)
	v_lshlrev_b32_e32 v7, 16, v3
	v_cmp_neq_f32_e32 vcc, 0, v7
                                        ; implicit-def: $vgpr2
	s_and_saveexec_b64 s[0:1], vcc
	s_xor_b64 s[18:19], exec, s[0:1]
	s_cbranch_execz .LBB38_1001
; %bb.980:
	v_mov_b32_e32 v0, 0
	v_cmp_gt_f32_e32 vcc, 0, v7
	s_mov_b64 s[22:23], -1
	s_and_saveexec_b64 s[20:21], vcc
	s_cbranch_execz .LBB38_988
; %bb.981:
	v_trunc_f32_e32 v0, v7
	v_cmp_neq_f32_e32 vcc, v0, v7
	s_mov_b64 s[24:25], 0
	v_mov_b32_e32 v0, 0
	s_and_saveexec_b64 s[22:23], vcc
	s_cbranch_execz .LBB38_987
; %bb.982:
	v_cvt_f64_f32_e32 v[0:1], v7
	s_mov_b32 s26, 0
	s_mov_b32 s1, 0xc00921fb
	;; [unrolled: 1-line block ×3, first 2 shown]
	v_trunc_f64_e32 v[2:3], v[0:1]
	s_mov_b32 s27, 0x7ff00000
	v_cmp_neq_f64_e64 vcc, |v[0:1]|, s[26:27]
	v_bfrev_b32_e32 v4, 1
	s_mov_b32 s24, 0
	s_mov_b32 s25, 0x41d00000
                                        ; implicit-def: $vgpr8
	v_add_f64 v[2:3], v[0:1], -v[2:3]
	v_mul_f64 v[2:3], |v[2:3]|, s[0:1]
	v_cndmask_b32_e32 v1, v4, v3, vcc
	v_cndmask_b32_e32 v0, 0, v2, vcc
	v_cmp_nlt_f64_e64 s[24:25], |v[0:1]|, s[24:25]
                                        ; implicit-def: $vgpr2_vgpr3
                                        ; implicit-def: $vgpr4_vgpr5
	s_and_saveexec_b64 s[28:29], s[24:25]
	s_xor_b64 s[24:25], exec, s[28:29]
	s_cbranch_execz .LBB38_984
; %bb.983:
	v_trig_preop_f64 v[4:5], |v[0:1]|, 0
	s_mov_b32 s28, 0
	s_mov_b32 s29, 0x7b000000
	s_movk_i32 s1, 0xff80
	v_ldexp_f64 v[2:3], |v[0:1]|, s1
	v_cmp_ge_f64_e64 vcc, |v[0:1]|, s[28:29]
	v_trig_preop_f64 v[8:9], |v[0:1]|, 1
	v_and_b32_e32 v10, 0x7fffffff, v1
	v_trig_preop_f64 v[16:17], |v[0:1]|, 2
	v_mov_b32_e32 v28, 0x40100000
	s_mov_b32 s1, 0x3ff921fb
	v_cndmask_b32_e32 v3, v10, v3, vcc
	v_cndmask_b32_e32 v2, v0, v2, vcc
	v_mul_f64 v[10:11], v[4:5], v[2:3]
	v_mul_f64 v[12:13], v[8:9], v[2:3]
	;; [unrolled: 1-line block ×3, first 2 shown]
	v_fma_f64 v[4:5], v[4:5], v[2:3], -v[10:11]
	v_fma_f64 v[8:9], v[8:9], v[2:3], -v[12:13]
	v_fma_f64 v[2:3], v[16:17], v[2:3], -v[22:23]
	v_add_f64 v[14:15], v[12:13], v[4:5]
	v_add_f64 v[18:19], v[14:15], -v[12:13]
	v_add_f64 v[24:25], v[10:11], v[14:15]
	v_add_f64 v[20:21], v[14:15], -v[18:19]
	v_add_f64 v[4:5], v[4:5], -v[18:19]
	v_add_f64 v[18:19], v[22:23], v[8:9]
	v_add_f64 v[10:11], v[24:25], -v[10:11]
	v_add_f64 v[12:13], v[12:13], -v[20:21]
	v_ldexp_f64 v[20:21], v[24:25], -2
	v_add_f64 v[10:11], v[14:15], -v[10:11]
	v_add_f64 v[4:5], v[4:5], v[12:13]
	v_fract_f64_e32 v[12:13], v[20:21]
	v_cmp_neq_f64_e64 vcc, |v[20:21]|, s[26:27]
	s_mov_b32 s26, 0x33145c07
	s_mov_b32 s27, 0x3c91a626
	v_add_f64 v[14:15], v[18:19], v[4:5]
	v_ldexp_f64 v[12:13], v[12:13], 2
	v_add_f64 v[20:21], v[10:11], v[14:15]
	v_cndmask_b32_e32 v13, 0, v13, vcc
	v_cndmask_b32_e32 v12, 0, v12, vcc
	v_add_f64 v[26:27], v[14:15], -v[18:19]
	v_add_f64 v[24:25], v[20:21], v[12:13]
	v_add_f64 v[10:11], v[20:21], -v[10:11]
	v_add_f64 v[4:5], v[4:5], -v[26:27]
	;; [unrolled: 1-line block ×3, first 2 shown]
	v_cmp_gt_f64_e32 vcc, 0, v[24:25]
	v_add_f64 v[24:25], v[18:19], -v[22:23]
	v_add_f64 v[10:11], v[14:15], -v[10:11]
	v_cndmask_b32_e32 v29, 0, v28, vcc
	v_mov_b32_e32 v28, 0
	v_add_f64 v[12:13], v[12:13], v[28:29]
	v_add_f64 v[8:9], v[8:9], -v[24:25]
	v_add_f64 v[24:25], v[18:19], -v[24:25]
	;; [unrolled: 1-line block ×3, first 2 shown]
	v_add_f64 v[26:27], v[20:21], v[12:13]
	v_add_f64 v[24:25], v[22:23], -v[24:25]
	v_add_f64 v[4:5], v[4:5], v[18:19]
	v_cvt_i32_f64_e32 v26, v[26:27]
	v_add_f64 v[8:9], v[8:9], v[24:25]
	v_cvt_f64_i32_e32 v[24:25], v26
	v_add_f64 v[12:13], v[12:13], -v[24:25]
	v_add_f64 v[4:5], v[8:9], v[4:5]
	v_add_f64 v[8:9], v[20:21], v[12:13]
	;; [unrolled: 1-line block ×3, first 2 shown]
	v_add_f64 v[4:5], v[8:9], -v[12:13]
	v_cmp_le_f64_e32 vcc, 0.5, v[8:9]
	v_add_f64 v[2:3], v[10:11], v[2:3]
	v_mov_b32_e32 v10, 0x3ff00000
	v_add_f64 v[4:5], v[20:21], -v[4:5]
	v_cndmask_b32_e32 v29, 0, v10, vcc
	v_add_f64 v[2:3], v[2:3], v[4:5]
	v_add_f64 v[4:5], v[8:9], -v[28:29]
	v_add_f64 v[8:9], v[4:5], v[2:3]
	v_mul_f64 v[10:11], v[8:9], s[0:1]
	v_add_f64 v[4:5], v[8:9], -v[4:5]
	v_fma_f64 v[12:13], v[8:9], s[0:1], -v[10:11]
	v_add_f64 v[2:3], v[2:3], -v[4:5]
	v_fma_f64 v[4:5], v[8:9], s[26:27], v[12:13]
	v_fma_f64 v[4:5], v[2:3], s[0:1], v[4:5]
	v_add_f64 v[2:3], v[10:11], v[4:5]
	v_add_f64 v[8:9], v[2:3], -v[10:11]
	v_add_f64 v[4:5], v[4:5], -v[8:9]
	v_addc_co_u32_e32 v8, vcc, 0, v26, vcc
.LBB38_984:
	s_andn2_saveexec_b64 s[0:1], s[24:25]
	s_cbranch_execz .LBB38_986
; %bb.985:
	s_mov_b32 s24, 0x6dc9c883
	s_mov_b32 s25, 0x3fe45f30
	v_mul_f64 v[2:3], |v[0:1]|, s[24:25]
	s_mov_b32 s24, 0x54442d18
	s_mov_b32 s25, 0xbff921fb
	s_mov_b32 s27, 0xbc91a626
	s_mov_b32 s26, 0x33145c00
	v_rndne_f64_e32 v[8:9], v[2:3]
	v_fma_f64 v[2:3], v[8:9], s[24:25], |v[0:1]|
	v_mul_f64 v[4:5], v[8:9], s[26:27]
	s_mov_b32 s24, 0x252049c0
	s_mov_b32 s25, 0xb97b839a
	v_fma_f64 v[14:15], v[8:9], s[26:27], v[2:3]
	v_add_f64 v[10:11], v[2:3], v[4:5]
	s_mov_b32 s27, 0x3c91a626
	v_add_f64 v[12:13], v[2:3], -v[10:11]
	v_add_f64 v[10:11], v[10:11], -v[14:15]
	v_add_f64 v[2:3], v[12:13], v[4:5]
	v_fma_f64 v[4:5], v[8:9], s[26:27], v[4:5]
	v_add_f64 v[2:3], v[10:11], v[2:3]
	v_add_f64 v[2:3], v[2:3], -v[4:5]
	v_fma_f64 v[4:5], v[8:9], s[24:25], v[2:3]
	v_cvt_i32_f64_e32 v8, v[8:9]
	v_add_f64 v[2:3], v[14:15], v[4:5]
	v_add_f64 v[10:11], v[2:3], -v[14:15]
	v_add_f64 v[4:5], v[4:5], -v[10:11]
.LBB38_986:
	s_or_b64 exec, exec, s[0:1]
	v_mul_f64 v[9:10], v[2:3], v[2:3]
	v_add_f64 v[11:12], v[4:5], v[4:5]
	s_mov_b32 s0, 0xc751c08c
	s_mov_b32 s1, 0x3ef5e089
	v_and_b32_e32 v8, 1, v8
	v_cmp_eq_u32_e32 vcc, 0, v8
	s_mov_b32 s26, 0x54442d18
	s_mov_b32 s27, 0xc00921fb
	v_fma_f64 v[13:14], v[2:3], v[2:3], -v[9:10]
	s_mov_b64 s[24:25], exec
	v_sub_f32_e32 v7, 1.0, v7
	v_fma_f64 v[11:12], v[2:3], v[11:12], v[13:14]
	v_add_f64 v[9:10], v[9:10], v[11:12]
	v_mov_b32_e32 v11, 0xa9a29f71
	v_mov_b32_e32 v12, 0xbf078809
	v_fma_f64 v[11:12], v[9:10], s[0:1], v[11:12]
	s_mov_b32 s0, 0x90a8aae0
	s_mov_b32 s1, 0x3f17746f
	v_fma_f64 v[11:12], v[9:10], v[11:12], s[0:1]
	s_mov_b32 s0, 0xa6fbf144
	s_mov_b32 s1, 0xbefbb44d
	;; [unrolled: 3-line block ×12, first 2 shown]
	v_fma_f64 v[11:12], v[9:10], v[11:12], s[0:1]
	s_movk_i32 s0, 0x1f8
	v_cmp_class_f64_e64 s[0:1], v[0:1], s0
	v_mul_f64 v[9:10], v[9:10], v[11:12]
	v_mul_f64 v[11:12], v[2:3], v[9:10]
	v_add_f64 v[13:14], v[2:3], v[11:12]
	v_fma_f64 v[9:10], v[2:3], v[9:10], -v[11:12]
	v_add_f64 v[2:3], v[13:14], -v[2:3]
	v_add_f64 v[4:5], v[4:5], v[9:10]
	v_add_f64 v[2:3], v[11:12], -v[2:3]
	v_add_f64 v[2:3], v[4:5], v[2:3]
	v_add_f64 v[4:5], v[13:14], v[2:3]
	v_rcp_f64_e32 v[9:10], v[4:5]
	v_fma_f64 v[11:12], -v[4:5], v[9:10], 1.0
	v_fma_f64 v[9:10], v[11:12], v[9:10], v[9:10]
	v_fma_f64 v[11:12], -v[4:5], v[9:10], 1.0
	v_fma_f64 v[9:10], v[11:12], v[9:10], v[9:10]
	v_add_f64 v[11:12], v[4:5], -v[13:14]
	v_mul_f64 v[13:14], v[4:5], v[9:10]
	v_add_f64 v[2:3], v[2:3], -v[11:12]
	v_fma_f64 v[11:12], v[9:10], v[4:5], -v[13:14]
	v_fma_f64 v[2:3], v[9:10], v[2:3], v[11:12]
	v_add_f64 v[11:12], v[13:14], v[2:3]
	v_add_f64 v[15:16], -v[11:12], 1.0
	v_add_f64 v[13:14], v[11:12], -v[13:14]
	v_add_f64 v[17:18], -v[15:16], 1.0
	v_add_f64 v[2:3], v[13:14], -v[2:3]
	v_add_f64 v[11:12], v[17:18], -v[11:12]
	v_add_f64 v[2:3], v[2:3], v[11:12]
	v_add_f64 v[2:3], v[15:16], v[2:3]
	v_mul_f64 v[2:3], v[9:10], v[2:3]
	v_add_f64 v[2:3], v[9:10], v[2:3]
	v_and_b32_e32 v9, 0x80000000, v1
	v_mov_b32_e32 v1, 0x7ff80000
	v_xor_b32_e32 v0, 0x80000000, v3
	v_cndmask_b32_e32 v2, v2, v4, vcc
	v_cndmask_b32_e32 v3, v0, v5, vcc
	v_cndmask_b32_e64 v0, 0, v2, s[0:1]
	v_xor_b32_e32 v2, v3, v9
	v_cndmask_b32_e64 v1, v1, v2, s[0:1]
	v_div_scale_f64 v[2:3], s[0:1], v[0:1], v[0:1], s[26:27]
	v_div_scale_f64 v[10:11], vcc, s[26:27], v[0:1], s[26:27]
	v_rcp_f64_e32 v[4:5], v[2:3]
	v_fma_f64 v[8:9], -v[2:3], v[4:5], 1.0
	v_fma_f64 v[4:5], v[4:5], v[8:9], v[4:5]
	v_fma_f64 v[8:9], -v[2:3], v[4:5], 1.0
	v_fma_f64 v[4:5], v[4:5], v[8:9], v[4:5]
	v_mul_f64 v[8:9], v[10:11], v[4:5]
	v_fma_f64 v[2:3], -v[2:3], v[8:9], v[10:11]
	v_div_fmas_f64 v[2:3], v[2:3], v[4:5], v[8:9]
	v_div_fixup_f64 v[0:1], v[2:3], v[0:1], s[26:27]
	v_cvt_f32_f64_e32 v0, v[0:1]
.LBB38_987:
	s_or_b64 exec, exec, s[22:23]
	s_orn2_b64 s[22:23], s[24:25], exec
.LBB38_988:
	s_or_b64 exec, exec, s[20:21]
	v_mov_b32_e32 v2, 0x7fc0
	s_and_saveexec_b64 s[0:1], s[22:23]
	s_cbranch_execz .LBB38_1000
; %bb.989:
	s_mov_b32 s24, 0x41200000
	v_cmp_gt_f32_e32 vcc, s24, v7
	s_and_saveexec_b64 s[20:21], vcc
	s_cbranch_execz .LBB38_993
; %bb.990:
	s_mov_b64 s[22:23], 0
.LBB38_991:                             ; =>This Inner Loop Header: Depth=1
	v_div_scale_f32 v1, s[26:27], v7, v7, 1.0
	v_div_scale_f32 v2, vcc, 1.0, v7, 1.0
	v_rcp_f32_e32 v3, v1
	v_fma_f32 v4, -v1, v3, 1.0
	v_fmac_f32_e32 v3, v4, v3
	v_mul_f32_e32 v4, v2, v3
	v_fma_f32 v5, -v1, v4, v2
	v_fmac_f32_e32 v4, v5, v3
	v_fma_f32 v1, -v1, v4, v2
	v_div_fmas_f32 v1, v1, v3, v4
	v_div_fixup_f32 v1, v1, v7, 1.0
	v_add_f32_e32 v7, 1.0, v7
	v_cmp_ngt_f32_e32 vcc, s24, v7
	s_or_b64 s[22:23], vcc, s[22:23]
	v_sub_f32_e32 v0, v0, v1
	s_andn2_b64 exec, exec, s[22:23]
	s_cbranch_execnz .LBB38_991
; %bb.992:
	s_or_b64 exec, exec, s[22:23]
.LBB38_993:
	s_or_b64 exec, exec, s[20:21]
	s_mov_b32 s20, 0x41200000
	v_cmp_neq_f32_e32 vcc, s20, v7
                                        ; implicit-def: $vgpr2
	s_and_saveexec_b64 s[20:21], vcc
	s_xor_b64 s[20:21], exec, s[20:21]
	s_cbranch_execz .LBB38_997
; %bb.994:
	v_cvt_f64_f32_e32 v[1:2], v7
	s_mov_b32 s22, 0x85d8a000
	s_mov_b32 s23, 0x43763457
	v_cmp_gt_f64_e32 vcc, s[22:23], v[1:2]
	v_mov_b32_e32 v1, 0
	s_and_saveexec_b64 s[22:23], vcc
	s_cbranch_execz .LBB38_996
; %bb.995:
	v_mul_f32_e32 v1, v7, v7
	v_div_scale_f32 v2, s[24:25], v1, v1, 1.0
	v_div_scale_f32 v3, vcc, 1.0, v1, 1.0
	v_mov_b32_e32 v9, 0x3b820821
	v_rcp_f32_e32 v4, v2
	v_fma_f32 v5, -v2, v4, 1.0
	v_fmac_f32_e32 v4, v5, v4
	v_mul_f32_e32 v5, v3, v4
	v_fma_f32 v8, -v2, v5, v3
	v_fmac_f32_e32 v5, v8, v4
	v_fma_f32 v2, -v2, v5, v3
	v_div_fmas_f32 v2, v2, v4, v5
	v_mov_b32_e32 v3, 0x3daaaaab
	v_mov_b32_e32 v4, 0xbcaccacd
	;; [unrolled: 1-line block ×4, first 2 shown]
	v_div_fixup_f32 v1, v2, v1, 1.0
	v_fma_f32 v2, 0, v1, v3
	v_fmac_f32_e32 v4, v1, v2
	v_fmac_f32_e32 v5, v1, v4
	;; [unrolled: 1-line block ×4, first 2 shown]
	v_mov_b32_e32 v2, 0xbc088889
	v_fmac_f32_e32 v2, v1, v9
	v_fmac_f32_e32 v3, v1, v2
	v_mul_f32_e32 v1, v1, v3
.LBB38_996:
	s_or_b64 exec, exec, s[22:23]
	v_div_scale_f32 v2, s[22:23], v7, v7, -0.5
	v_div_scale_f32 v3, vcc, -0.5, v7, -0.5
	s_mov_b32 s22, 0x800000
	s_mov_b32 s23, 0x3f317217
	;; [unrolled: 1-line block ×3, first 2 shown]
	v_rcp_f32_e32 v4, v2
	v_fma_f32 v5, -v2, v4, 1.0
	v_fmac_f32_e32 v4, v5, v4
	v_mul_f32_e32 v5, v3, v4
	v_fma_f32 v8, -v2, v5, v3
	v_fmac_f32_e32 v5, v8, v4
	v_fma_f32 v2, -v2, v5, v3
	v_div_fmas_f32 v2, v2, v4, v5
	v_cmp_gt_f32_e32 vcc, s22, v7
	v_cndmask_b32_e64 v4, 0, 32, vcc
	v_ldexp_f32 v4, v7, v4
	v_log_f32_e32 v4, v4
	v_mov_b32_e32 v3, 0x41b17218
	v_cndmask_b32_e32 v3, 0, v3, vcc
	s_movk_i32 s22, 0x7fff
	v_mul_f32_e32 v8, 0x3f317217, v4
	v_fma_f32 v8, v4, s23, -v8
	v_fmac_f32_e32 v8, 0x3377d1cf, v4
	v_fmac_f32_e32 v8, 0x3f317217, v4
	v_cmp_lt_f32_e64 vcc, |v4|, s24
	v_cndmask_b32_e32 v4, v4, v8, vcc
	v_sub_f32_e32 v3, v4, v3
	v_mov_b32_e32 v5, 0x7fc0
	v_div_fixup_f32 v2, v2, v7, -0.5
	v_add_f32_e32 v2, v3, v2
	v_sub_f32_e32 v1, v2, v1
	v_add_f32_e32 v0, v0, v1
	v_bfe_u32 v1, v0, 16, 1
	v_cmp_o_f32_e32 vcc, v0, v0
	v_add3_u32 v0, v0, v1, s22
	v_cndmask_b32_sdwa v2, v5, v0, vcc dst_sel:DWORD dst_unused:UNUSED_PAD src0_sel:DWORD src1_sel:WORD_1
                                        ; implicit-def: $vgpr0
.LBB38_997:
	s_andn2_saveexec_b64 s[20:21], s[20:21]
; %bb.998:
	v_add_f32_e32 v0, 0x40101cb7, v0
	v_bfe_u32 v1, v0, 16, 1
	s_movk_i32 s22, 0x7fff
	v_add3_u32 v1, v0, v1, s22
	v_cmp_o_f32_e32 vcc, v0, v0
	v_mov_b32_e32 v0, 0x7fc0
	v_cndmask_b32_sdwa v2, v0, v1, vcc dst_sel:DWORD dst_unused:UNUSED_PAD src0_sel:DWORD src1_sel:WORD_1
; %bb.999:
	s_or_b64 exec, exec, s[20:21]
.LBB38_1000:
	s_or_b64 exec, exec, s[0:1]
                                        ; implicit-def: $vgpr7
.LBB38_1001:
	s_andn2_saveexec_b64 s[0:1], s[18:19]
; %bb.1002:
	v_xor_b32_e32 v0, 0x80000000, v7
	v_and_b32_e32 v0, 0x80000000, v0
	v_or_b32_e32 v0, 0x7f800000, v0
	v_lshrrev_b32_e32 v2, 16, v0
; %bb.1003:
	s_or_b64 exec, exec, s[0:1]
	v_mul_lo_u32 v0, v6, s2
	v_mov_b32_e32 v1, s9
	s_and_b32 s26, s33, 0xff
	s_cmp_lt_i32 s26, 11
	v_ashrrev_i32_e32 v3, 31, v0
	v_add_co_u32_e32 v0, vcc, s8, v0
	v_addc_co_u32_e32 v1, vcc, v1, v3, vcc
	s_cbranch_scc1 .LBB38_1023
; %bb.1004:
	s_and_b32 s27, 0xffff, s26
	s_mov_b64 s[20:21], -1
	s_cmp_gt_i32 s27, 25
	s_mov_b64 s[0:1], s[6:7]
	s_cbranch_scc0 .LBB38_1041
; %bb.1005:
	s_mov_b64 s[18:19], -1
	s_cmp_gt_i32 s27, 28
	s_mov_b64 s[0:1], s[6:7]
	s_cbranch_scc0 .LBB38_1025
; %bb.1006:
	s_cmp_gt_i32 s27, 43
	s_mov_b64 s[0:1], s[6:7]
	s_cbranch_scc0 .LBB38_1017
; %bb.1007:
	s_cmp_gt_i32 s27, 45
	s_mov_b64 s[0:1], s[6:7]
	s_cbranch_scc0 .LBB38_1011
; %bb.1008:
	s_cmp_eq_u32 s27, 46
	s_mov_b64 s[0:1], -1
	s_cbranch_scc0 .LBB38_1010
; %bb.1009:
	v_and_b32_e32 v3, 0xffff, v2
	global_store_dword v[0:1], v3, off
	s_mov_b64 s[0:1], 0
.LBB38_1010:
	s_mov_b64 s[18:19], 0
.LBB38_1011:
	s_and_b64 vcc, exec, s[18:19]
	s_cbranch_vccz .LBB38_1016
; %bb.1012:
	s_cmp_eq_u32 s27, 44
	s_mov_b64 s[0:1], -1
	s_cbranch_scc0 .LBB38_1016
; %bb.1013:
	v_and_b32_e32 v4, 0xffff, v2
	v_bfe_u32 v3, v4, 7, 8
	s_movk_i32 s0, 0xff
	v_cmp_ne_u32_e32 vcc, s0, v3
	v_mov_b32_e32 v5, 0xff
	s_and_saveexec_b64 s[18:19], vcc
	s_cbranch_execz .LBB38_1015
; %bb.1014:
	v_lshlrev_b32_e32 v6, 16, v4
	s_mov_b32 s0, 0x3f0000
	v_lshrrev_b32_e32 v5, 7, v4
	v_and_b32_e32 v4, 64, v4
	v_and_or_b32 v3, v6, s0, v3
	v_cmp_ne_u32_e32 vcc, 0, v4
	v_cmp_ne_u32_e64 s[0:1], 0, v3
	s_and_b64 s[0:1], vcc, s[0:1]
	v_cndmask_b32_e64 v3, 0, 1, s[0:1]
	v_add_u32_e32 v5, v5, v3
.LBB38_1015:
	s_or_b64 exec, exec, s[18:19]
	s_mov_b64 s[0:1], 0
	global_store_byte v[0:1], v5, off
.LBB38_1016:
	s_mov_b64 s[18:19], 0
.LBB38_1017:
	s_and_b64 vcc, exec, s[18:19]
	s_cbranch_vccz .LBB38_1024
; %bb.1018:
	s_cmp_eq_u32 s27, 29
	s_mov_b64 s[0:1], -1
	s_cbranch_scc0 .LBB38_1024
; %bb.1019:
	v_lshlrev_b32_e32 v3, 16, v2
	v_trunc_f32_e32 v3, v3
	v_mul_f32_e32 v4, 0x2f800000, v3
	v_floor_f32_e32 v5, v4
	v_fmac_f32_e32 v3, 0xcf800000, v5
	v_cvt_u32_f32_e32 v4, v5
	v_cvt_u32_f32_e32 v3, v3
	s_mov_b64 s[0:1], 0
	s_mov_b64 s[18:19], 0
	global_store_dwordx2 v[0:1], v[3:4], off
	s_branch .LBB38_1025
.LBB38_1020:
	s_or_b64 exec, exec, s[14:15]
	s_and_saveexec_b64 s[0:1], s[6:7]
	s_cbranch_execnz .LBB38_1083
.LBB38_1021:
	s_or_b64 exec, exec, s[0:1]
	s_and_saveexec_b64 s[0:1], s[20:21]
	s_xor_b64 s[0:1], exec, s[0:1]
	s_cbranch_execz .LBB38_1084
.LBB38_1022:
	s_waitcnt vmcnt(0)
	v_and_b32_e32 v3, 0x7fff, v2
	v_cmp_ne_u16_e32 vcc, 0, v3
	v_cndmask_b32_e64 v3, 0, 1, vcc
	global_store_byte v[0:1], v3, off
	s_or_b64 exec, exec, s[0:1]
	s_and_saveexec_b64 s[0:1], s[18:19]
	s_xor_b64 s[0:1], exec, s[0:1]
	s_cbranch_execz .LBB38_1122
	s_branch .LBB38_1085
.LBB38_1023:
	s_mov_b64 s[20:21], 0
	s_mov_b64 s[18:19], -1
	s_mov_b64 s[0:1], s[6:7]
	s_branch .LBB38_1082
.LBB38_1024:
	s_mov_b64 s[18:19], 0
.LBB38_1025:
	s_and_b64 vcc, exec, s[18:19]
	s_cbranch_vccz .LBB38_1040
; %bb.1026:
	s_cmp_lt_i32 s27, 27
	s_mov_b64 s[18:19], -1
	s_cbranch_scc1 .LBB38_1032
; %bb.1027:
	s_cmp_gt_i32 s27, 27
	s_cbranch_scc0 .LBB38_1029
; %bb.1028:
	v_lshlrev_b32_e32 v3, 16, v2
	v_cvt_u32_f32_e32 v3, v3
	s_mov_b64 s[18:19], 0
	global_store_dword v[0:1], v3, off
.LBB38_1029:
	s_andn2_b64 vcc, exec, s[18:19]
	s_cbranch_vccnz .LBB38_1031
; %bb.1030:
	v_lshlrev_b32_e32 v3, 16, v2
	v_cvt_u32_f32_e32 v3, v3
	global_store_short v[0:1], v3, off
.LBB38_1031:
	s_mov_b64 s[18:19], 0
.LBB38_1032:
	s_andn2_b64 vcc, exec, s[18:19]
	s_cbranch_vccnz .LBB38_1040
; %bb.1033:
	v_lshlrev_b32_e32 v5, 16, v2
	v_and_b32_e32 v4, 0x7fffffff, v5
	s_mov_b32 s18, 0x43800000
	v_cmp_gt_u32_e32 vcc, s18, v4
	v_mov_b32_e32 v6, 0x80
	s_and_saveexec_b64 s[18:19], vcc
	s_cbranch_execz .LBB38_1039
; %bb.1034:
	s_mov_b32 s20, 0x3bffffff
	v_and_b32_e32 v3, 0xffff, v2
	v_cmp_lt_u32_e32 vcc, s20, v4
	s_mov_b64 s[20:21], 0
                                        ; implicit-def: $vgpr4
	s_and_saveexec_b64 s[22:23], vcc
	s_xor_b64 s[22:23], exec, s[22:23]
	s_cbranch_execz .LBB38_1137
; %bb.1035:
	v_bfe_u32 v4, v3, 4, 1
	s_mov_b32 s24, 0x487ffff
	v_add3_u32 v4, v5, v4, s24
	s_mov_b64 s[20:21], exec
	v_lshrrev_b32_e32 v4, 20, v4
                                        ; implicit-def: $vgpr5
	s_andn2_saveexec_b64 s[22:23], s[22:23]
	s_cbranch_execnz .LBB38_1138
.LBB38_1036:
	s_or_b64 exec, exec, s[22:23]
	v_mov_b32_e32 v6, 0
	s_and_saveexec_b64 s[22:23], s[20:21]
.LBB38_1037:
	v_lshrrev_b32_e32 v3, 8, v3
	s_movk_i32 s20, 0x80
	v_and_or_b32 v6, v3, s20, v4
.LBB38_1038:
	s_or_b64 exec, exec, s[22:23]
.LBB38_1039:
	s_or_b64 exec, exec, s[18:19]
	global_store_byte v[0:1], v6, off
.LBB38_1040:
	s_mov_b64 s[20:21], 0
.LBB38_1041:
	s_mov_b64 s[18:19], 0
	s_and_b64 vcc, exec, s[20:21]
	s_cbranch_vccz .LBB38_1081
; %bb.1042:
	s_cmp_gt_i32 s27, 22
	s_mov_b64 s[20:21], -1
	s_cbranch_scc0 .LBB38_1074
; %bb.1043:
	s_cmp_lt_i32 s27, 24
	s_cbranch_scc1 .LBB38_1063
; %bb.1044:
	s_cmp_gt_i32 s27, 24
	s_cbranch_scc0 .LBB38_1052
; %bb.1045:
	v_lshlrev_b32_e32 v5, 16, v2
	v_and_b32_e32 v4, 0x7fffffff, v5
	s_mov_b32 s20, 0x47800000
	v_cmp_gt_u32_e32 vcc, s20, v4
	v_mov_b32_e32 v6, 0x80
	s_and_saveexec_b64 s[20:21], vcc
	s_cbranch_execz .LBB38_1051
; %bb.1046:
	s_mov_b32 s22, 0x37ffffff
	v_and_b32_e32 v3, 0xffff, v2
	v_cmp_lt_u32_e32 vcc, s22, v4
	s_mov_b64 s[22:23], 0
                                        ; implicit-def: $vgpr4
	s_and_saveexec_b64 s[24:25], vcc
	s_xor_b64 s[24:25], exec, s[24:25]
	s_cbranch_execz .LBB38_1285
; %bb.1047:
	v_bfe_u32 v4, v3, 5, 1
	s_mov_b32 s28, 0x88fffff
	v_add3_u32 v4, v5, v4, s28
	s_mov_b64 s[22:23], exec
	v_lshrrev_b32_e32 v4, 21, v4
                                        ; implicit-def: $vgpr5
	s_andn2_saveexec_b64 s[24:25], s[24:25]
	s_cbranch_execnz .LBB38_1286
.LBB38_1048:
	s_or_b64 exec, exec, s[24:25]
	v_mov_b32_e32 v6, 0
	s_and_saveexec_b64 s[24:25], s[22:23]
.LBB38_1049:
	v_lshrrev_b32_e32 v3, 8, v3
	s_movk_i32 s22, 0x80
	v_and_or_b32 v6, v3, s22, v4
.LBB38_1050:
	s_or_b64 exec, exec, s[24:25]
.LBB38_1051:
	s_or_b64 exec, exec, s[20:21]
	s_mov_b64 s[20:21], 0
	global_store_byte v[0:1], v6, off
.LBB38_1052:
	s_and_b64 vcc, exec, s[20:21]
	s_cbranch_vccz .LBB38_1062
; %bb.1053:
	v_lshlrev_b32_e32 v5, 16, v2
	v_and_b32_e32 v6, 0x7fffffff, v5
	s_mov_b32 s20, 0x43f00000
	v_and_b32_e32 v3, 0xffff, v2
	v_cmp_gt_u32_e32 vcc, s20, v6
                                        ; implicit-def: $vgpr4
	s_and_saveexec_b64 s[20:21], vcc
	s_xor_b64 s[20:21], exec, s[20:21]
	s_cbranch_execz .LBB38_1059
; %bb.1054:
	s_mov_b32 s22, 0x3c7fffff
	v_cmp_lt_u32_e32 vcc, s22, v6
                                        ; implicit-def: $vgpr4
	s_and_saveexec_b64 s[22:23], vcc
	s_xor_b64 s[22:23], exec, s[22:23]
; %bb.1055:
	v_bfe_u32 v4, v3, 4, 1
	s_mov_b32 s24, 0x407ffff
	v_add3_u32 v4, v5, v4, s24
	v_lshrrev_b32_e32 v5, 20, v4
	v_and_b32_e32 v4, 0xff00000, v4
	s_mov_b32 s24, 0x7f00000
	v_mov_b32_e32 v6, 0x7e
	v_cmp_ne_u32_e32 vcc, s24, v4
	v_cndmask_b32_e32 v4, v6, v5, vcc
                                        ; implicit-def: $vgpr5
; %bb.1056:
	s_andn2_saveexec_b64 s[22:23], s[22:23]
; %bb.1057:
	s_mov_b32 s24, 0x46800000
	v_add_f32_e64 v4, |v5|, s24
; %bb.1058:
	s_or_b64 exec, exec, s[22:23]
                                        ; implicit-def: $vgpr6
.LBB38_1059:
	s_andn2_saveexec_b64 s[20:21], s[20:21]
; %bb.1060:
	s_mov_b32 s22, 0x7f800000
	v_mov_b32_e32 v4, 0x7e
	v_mov_b32_e32 v5, 0x7f
	v_cmp_lt_u32_e32 vcc, s22, v6
	v_cndmask_b32_e32 v4, v4, v5, vcc
; %bb.1061:
	s_or_b64 exec, exec, s[20:21]
	v_lshrrev_b32_e32 v3, 8, v3
	s_movk_i32 s20, 0x80
	v_and_or_b32 v3, v3, s20, v4
	global_store_byte v[0:1], v3, off
.LBB38_1062:
	s_mov_b64 s[20:21], 0
.LBB38_1063:
	s_andn2_b64 vcc, exec, s[20:21]
	s_cbranch_vccnz .LBB38_1073
; %bb.1064:
	v_lshlrev_b32_e32 v5, 16, v2
	v_and_b32_e32 v6, 0x7fffffff, v5
	s_mov_b32 s20, 0x47800000
	v_and_b32_e32 v3, 0xffff, v2
	v_cmp_gt_u32_e32 vcc, s20, v6
                                        ; implicit-def: $vgpr4
	s_and_saveexec_b64 s[20:21], vcc
	s_xor_b64 s[20:21], exec, s[20:21]
	s_cbranch_execz .LBB38_1070
; %bb.1065:
	s_mov_b32 s22, 0x387fffff
	v_cmp_lt_u32_e32 vcc, s22, v6
                                        ; implicit-def: $vgpr4
	s_and_saveexec_b64 s[22:23], vcc
	s_xor_b64 s[22:23], exec, s[22:23]
; %bb.1066:
	v_bfe_u32 v4, v3, 5, 1
	s_mov_b32 s24, 0x80fffff
	v_add3_u32 v4, v5, v4, s24
	v_lshrrev_b32_e32 v4, 21, v4
                                        ; implicit-def: $vgpr5
; %bb.1067:
	s_andn2_saveexec_b64 s[22:23], s[22:23]
; %bb.1068:
	s_mov_b32 s24, 0x43000000
	v_add_f32_e64 v4, |v5|, s24
; %bb.1069:
	s_or_b64 exec, exec, s[22:23]
                                        ; implicit-def: $vgpr6
.LBB38_1070:
	s_andn2_saveexec_b64 s[20:21], s[20:21]
; %bb.1071:
	s_mov_b32 s22, 0x7f800000
	v_mov_b32_e32 v4, 0x7c
	v_mov_b32_e32 v5, 0x7f
	v_cmp_lt_u32_e32 vcc, s22, v6
	v_cndmask_b32_e32 v4, v4, v5, vcc
; %bb.1072:
	s_or_b64 exec, exec, s[20:21]
	v_lshrrev_b32_e32 v3, 8, v3
	s_movk_i32 s20, 0x80
	v_and_or_b32 v3, v3, s20, v4
	global_store_byte v[0:1], v3, off
.LBB38_1073:
	s_mov_b64 s[20:21], 0
.LBB38_1074:
	s_andn2_b64 vcc, exec, s[20:21]
	s_mov_b64 s[20:21], 0
	s_cbranch_vccnz .LBB38_1082
; %bb.1075:
	s_cmp_gt_i32 s27, 14
	s_mov_b64 s[22:23], -1
	s_cbranch_scc0 .LBB38_1079
; %bb.1076:
	s_cmp_eq_u32 s27, 15
	s_mov_b64 s[0:1], -1
	s_cbranch_scc0 .LBB38_1078
; %bb.1077:
	global_store_short v[0:1], v2, off
	s_mov_b64 s[0:1], 0
.LBB38_1078:
	s_mov_b64 s[22:23], 0
.LBB38_1079:
	s_and_b64 vcc, exec, s[22:23]
	s_cbranch_vccz .LBB38_1082
; %bb.1080:
	s_cmp_lg_u32 s27, 11
	s_cselect_b64 s[22:23], -1, 0
	s_andn2_b64 s[0:1], s[0:1], exec
	s_and_b64 s[22:23], s[22:23], exec
	s_mov_b64 s[20:21], -1
	s_or_b64 s[0:1], s[0:1], s[22:23]
	s_branch .LBB38_1082
.LBB38_1081:
	s_mov_b64 s[20:21], 0
.LBB38_1082:
	s_andn2_b64 s[6:7], s[6:7], exec
	s_and_b64 s[0:1], s[0:1], exec
	s_and_b64 s[18:19], s[18:19], exec
	s_and_b64 s[20:21], s[20:21], exec
	s_or_b64 s[6:7], s[6:7], s[0:1]
	s_or_b64 exec, exec, s[14:15]
	s_and_saveexec_b64 s[0:1], s[6:7]
	s_cbranch_execz .LBB38_1021
.LBB38_1083:
	s_or_b64 s[16:17], s[16:17], exec
	s_andn2_b64 s[20:21], s[20:21], exec
	s_trap 2
	s_or_b64 exec, exec, s[0:1]
	s_and_saveexec_b64 s[0:1], s[20:21]
	s_xor_b64 s[0:1], exec, s[0:1]
	s_cbranch_execnz .LBB38_1022
.LBB38_1084:
	s_or_b64 exec, exec, s[0:1]
	s_and_saveexec_b64 s[0:1], s[18:19]
	s_xor_b64 s[0:1], exec, s[0:1]
	s_cbranch_execz .LBB38_1122
.LBB38_1085:
	s_sext_i32_i16 s14, s26
	s_cmp_lt_i32 s14, 5
	s_mov_b64 s[6:7], -1
	s_cbranch_scc1 .LBB38_1106
; %bb.1086:
	s_cmp_lt_i32 s14, 8
	s_cbranch_scc1 .LBB38_1096
; %bb.1087:
	s_cmp_lt_i32 s14, 9
	s_cbranch_scc1 .LBB38_1093
; %bb.1088:
	s_cmp_gt_i32 s14, 9
	s_cbranch_scc0 .LBB38_1090
; %bb.1089:
	s_waitcnt vmcnt(0)
	v_lshlrev_b32_e32 v3, 16, v2
	v_cvt_f64_f32_e32 v[3:4], v3
	v_mov_b32_e32 v5, 0
	v_mov_b32_e32 v6, v5
	s_mov_b64 s[6:7], 0
	global_store_dwordx4 v[0:1], v[3:6], off
.LBB38_1090:
	s_andn2_b64 vcc, exec, s[6:7]
	s_cbranch_vccnz .LBB38_1092
; %bb.1091:
	s_waitcnt vmcnt(0)
	v_lshlrev_b32_e32 v3, 16, v2
	v_mov_b32_e32 v4, 0
	global_store_dwordx2 v[0:1], v[3:4], off
.LBB38_1092:
	s_mov_b64 s[6:7], 0
.LBB38_1093:
	s_andn2_b64 vcc, exec, s[6:7]
	s_cbranch_vccnz .LBB38_1095
; %bb.1094:
	s_waitcnt vmcnt(0)
	v_lshlrev_b32_e32 v3, 16, v2
	v_cvt_f16_f32_e32 v3, v3
	global_store_dword v[0:1], v3, off
.LBB38_1095:
	s_mov_b64 s[6:7], 0
.LBB38_1096:
	s_andn2_b64 vcc, exec, s[6:7]
	s_cbranch_vccnz .LBB38_1105
; %bb.1097:
	s_sext_i32_i16 s14, s26
	s_cmp_lt_i32 s14, 6
	s_mov_b64 s[6:7], -1
	s_cbranch_scc1 .LBB38_1103
; %bb.1098:
	s_cmp_gt_i32 s14, 6
	s_cbranch_scc0 .LBB38_1100
; %bb.1099:
	s_waitcnt vmcnt(0)
	v_lshlrev_b32_e32 v3, 16, v2
	v_cvt_f64_f32_e32 v[3:4], v3
	s_mov_b64 s[6:7], 0
	global_store_dwordx2 v[0:1], v[3:4], off
.LBB38_1100:
	s_andn2_b64 vcc, exec, s[6:7]
	s_cbranch_vccnz .LBB38_1102
; %bb.1101:
	s_waitcnt vmcnt(0)
	v_lshlrev_b32_e32 v3, 16, v2
	global_store_dword v[0:1], v3, off
.LBB38_1102:
	s_mov_b64 s[6:7], 0
.LBB38_1103:
	s_andn2_b64 vcc, exec, s[6:7]
	s_cbranch_vccnz .LBB38_1105
; %bb.1104:
	s_waitcnt vmcnt(0)
	v_lshlrev_b32_e32 v3, 16, v2
	v_cvt_f16_f32_e32 v3, v3
	global_store_short v[0:1], v3, off
.LBB38_1105:
	s_mov_b64 s[6:7], 0
.LBB38_1106:
	s_andn2_b64 vcc, exec, s[6:7]
	s_cbranch_vccnz .LBB38_1122
; %bb.1107:
	s_sext_i32_i16 s14, s26
	s_cmp_lt_i32 s14, 2
	s_mov_b64 s[6:7], -1
	s_cbranch_scc1 .LBB38_1117
; %bb.1108:
	s_cmp_lt_i32 s14, 3
	s_cbranch_scc1 .LBB38_1114
; %bb.1109:
	s_cmp_gt_i32 s14, 3
	s_cbranch_scc0 .LBB38_1111
; %bb.1110:
	s_waitcnt vmcnt(0)
	v_lshlrev_b32_e32 v3, 16, v2
	v_trunc_f32_e32 v3, v3
	s_mov_b32 s6, 0x2f800000
	v_mul_f32_e64 v4, |v3|, s6
	v_floor_f32_e32 v4, v4
	s_mov_b32 s6, 0xcf800000
	v_cvt_u32_f32_e32 v5, v4
	v_fma_f32 v4, v4, s6, |v3|
	v_cvt_u32_f32_e32 v4, v4
	v_ashrrev_i32_e32 v6, 31, v3
	v_xor_b32_e32 v5, v5, v6
	s_mov_b64 s[6:7], 0
	v_xor_b32_e32 v3, v4, v6
	v_sub_co_u32_e32 v3, vcc, v3, v6
	v_subb_co_u32_e32 v4, vcc, v5, v6, vcc
	global_store_dwordx2 v[0:1], v[3:4], off
.LBB38_1111:
	s_andn2_b64 vcc, exec, s[6:7]
	s_cbranch_vccnz .LBB38_1113
; %bb.1112:
	s_waitcnt vmcnt(0)
	v_lshlrev_b32_e32 v3, 16, v2
	v_cvt_i32_f32_e32 v3, v3
	global_store_dword v[0:1], v3, off
.LBB38_1113:
	s_mov_b64 s[6:7], 0
.LBB38_1114:
	s_andn2_b64 vcc, exec, s[6:7]
	s_cbranch_vccnz .LBB38_1116
; %bb.1115:
	s_waitcnt vmcnt(0)
	v_lshlrev_b32_e32 v3, 16, v2
	v_cvt_i32_f32_e32 v3, v3
	global_store_short v[0:1], v3, off
.LBB38_1116:
	s_mov_b64 s[6:7], 0
.LBB38_1117:
	s_andn2_b64 vcc, exec, s[6:7]
	s_cbranch_vccnz .LBB38_1122
; %bb.1118:
	s_sext_i32_i16 s14, s26
	s_mov_b64 s[6:7], -1
	s_cmp_gt_i32 s14, 0
	s_waitcnt vmcnt(0)
	v_lshlrev_b32_e32 v2, 16, v2
	s_cbranch_scc0 .LBB38_1120
; %bb.1119:
	v_cvt_i32_f32_e32 v3, v2
	s_mov_b64 s[6:7], 0
	global_store_byte v[0:1], v3, off
.LBB38_1120:
	s_andn2_b64 vcc, exec, s[6:7]
	s_cbranch_vccnz .LBB38_1122
; %bb.1121:
	v_trunc_f32_e32 v2, v2
	s_mov_b32 s6, 0x2f800000
	v_mul_f32_e64 v3, |v2|, s6
	v_floor_f32_e32 v3, v3
	s_mov_b32 s6, 0xcf800000
	v_fma_f32 v3, v3, s6, |v2|
	v_cvt_u32_f32_e32 v3, v3
	v_ashrrev_i32_e32 v2, 31, v2
	v_xor_b32_e32 v3, v3, v2
	v_sub_u32_e32 v2, v3, v2
	global_store_byte v[0:1], v2, off
.LBB38_1122:
	s_or_b64 exec, exec, s[0:1]
	s_and_b64 s[6:7], s[16:17], exec
                                        ; implicit-def: $vgpr6
.LBB38_1123:
	s_or_saveexec_b64 s[4:5], s[4:5]
	s_mov_b64 s[0:1], 0
                                        ; implicit-def: $sgpr20
                                        ; implicit-def: $vgpr0_vgpr1
                                        ; implicit-def: $vgpr2
	s_xor_b64 exec, exec, s[4:5]
	s_cbranch_execz .LBB38_1812
; %bb.1124:
	v_mul_lo_u32 v8, s3, v6
	v_mov_b32_e32 v1, s11
	s_and_b32 s24, 0xffff, s42
	s_cmp_lt_i32 s24, 11
	s_waitcnt vmcnt(0)
	v_ashrrev_i32_e32 v2, 31, v8
	v_add_co_u32_e32 v0, vcc, s10, v8
	v_addc_co_u32_e32 v1, vcc, v1, v2, vcc
	s_cbranch_scc1 .LBB38_1131
; %bb.1125:
	s_cmp_gt_i32 s24, 25
	s_mov_b64 s[12:13], 0
	s_cbranch_scc0 .LBB38_1133
; %bb.1126:
	s_cmp_gt_i32 s24, 28
	s_cbranch_scc0 .LBB38_1134
; %bb.1127:
	s_cmp_gt_i32 s24, 43
	;; [unrolled: 3-line block ×3, first 2 shown]
	s_cbranch_scc0 .LBB38_1136
; %bb.1129:
	s_cmp_eq_u32 s24, 46
	s_mov_b64 s[14:15], 0
	s_cbranch_scc0 .LBB38_1139
; %bb.1130:
	global_load_dword v2, v[0:1], off
	s_mov_b64 s[16:17], -1
	s_branch .LBB38_1140
.LBB38_1131:
	s_mov_b64 s[16:17], 0
                                        ; implicit-def: $vgpr2
	s_mov_b64 s[14:15], s[6:7]
	s_cbranch_execnz .LBB38_1202
.LBB38_1132:
	s_andn2_b64 vcc, exec, s[16:17]
	s_cbranch_vccz .LBB38_1247
	s_branch .LBB38_1809
.LBB38_1133:
	s_mov_b64 s[16:17], 0
                                        ; implicit-def: $vgpr2
	s_cbranch_execnz .LBB38_1167
	s_branch .LBB38_1198
.LBB38_1134:
	s_mov_b64 s[16:17], 0
                                        ; implicit-def: $vgpr2
	s_cbranch_execz .LBB38_1166
	s_branch .LBB38_1149
.LBB38_1135:
	s_mov_b64 s[16:17], 0
                                        ; implicit-def: $vgpr2
	s_cbranch_execnz .LBB38_1145
	s_branch .LBB38_1148
.LBB38_1136:
	s_mov_b64 s[14:15], -1
	s_mov_b64 s[16:17], 0
                                        ; implicit-def: $vgpr2
	s_branch .LBB38_1140
.LBB38_1137:
	s_andn2_saveexec_b64 s[22:23], s[22:23]
	s_cbranch_execz .LBB38_1036
.LBB38_1138:
	s_mov_b32 s24, 0x46000000
	v_add_f32_e64 v4, |v5|, s24
	v_and_b32_e32 v4, 0xff, v4
	v_cmp_ne_u32_e32 vcc, 0, v4
	s_andn2_b64 s[20:21], s[20:21], exec
	s_and_b64 s[24:25], vcc, exec
	s_or_b64 s[20:21], s[20:21], s[24:25]
	s_or_b64 exec, exec, s[22:23]
	v_mov_b32_e32 v6, 0
	s_and_saveexec_b64 s[22:23], s[20:21]
	s_cbranch_execnz .LBB38_1037
	s_branch .LBB38_1038
.LBB38_1139:
	s_mov_b64 s[0:1], -1
                                        ; implicit-def: $vgpr2
	s_mov_b64 s[16:17], 0
.LBB38_1140:
	s_and_b64 vcc, exec, s[14:15]
	s_cbranch_vccz .LBB38_1143
; %bb.1141:
	s_cmp_eq_u32 s24, 44
	s_cbranch_scc0 .LBB38_1144
; %bb.1142:
	global_load_ubyte v2, v[0:1], off
	s_movk_i32 s14, 0xff
	v_mov_b32_e32 v3, 0x7f800001
	v_mov_b32_e32 v4, 0x400000
	;; [unrolled: 1-line block ×3, first 2 shown]
	s_mov_b64 s[0:1], 0
	s_mov_b64 s[16:17], -1
	s_waitcnt vmcnt(0)
	v_lshlrev_b32_e32 v7, 23, v2
	v_cmp_ne_u32_e32 vcc, s14, v2
	v_cndmask_b32_e32 v3, v3, v7, vcc
	v_cmp_ne_u32_e32 vcc, 0, v2
	v_cndmask_b32_e32 v2, v4, v3, vcc
	v_add_u32_e32 v3, 0x7fff, v2
	v_cmp_o_f32_e32 vcc, v2, v2
	v_cndmask_b32_sdwa v2, v5, v3, vcc dst_sel:DWORD dst_unused:UNUSED_PAD src0_sel:DWORD src1_sel:WORD_1
.LBB38_1143:
	s_branch .LBB38_1148
.LBB38_1144:
	s_mov_b64 s[0:1], -1
                                        ; implicit-def: $vgpr2
	s_branch .LBB38_1148
.LBB38_1145:
	s_cmp_eq_u32 s24, 29
	s_cbranch_scc0 .LBB38_1147
; %bb.1146:
	global_load_dwordx2 v[2:3], v[0:1], off
	s_movk_i32 s14, 0x7fff
	s_mov_b64 s[0:1], 0
	s_mov_b64 s[16:17], -1
	s_waitcnt vmcnt(0)
	v_ffbh_u32_e32 v4, v3
	v_min_u32_e32 v4, 32, v4
	v_lshlrev_b64 v[2:3], v4, v[2:3]
	v_min_u32_e32 v2, 1, v2
	v_or_b32_e32 v2, v3, v2
	v_cvt_f32_u32_e32 v2, v2
	v_sub_u32_e32 v3, 32, v4
	v_ldexp_f32 v2, v2, v3
	v_bfe_u32 v3, v2, 16, 1
	v_add3_u32 v2, v2, v3, s14
	v_lshrrev_b32_e32 v2, 16, v2
	s_branch .LBB38_1148
.LBB38_1147:
	s_mov_b64 s[0:1], -1
                                        ; implicit-def: $vgpr2
.LBB38_1148:
	s_branch .LBB38_1166
.LBB38_1149:
	s_cmp_lt_i32 s24, 27
	s_cbranch_scc1 .LBB38_1152
; %bb.1150:
	s_cmp_gt_i32 s24, 27
	s_cbranch_scc0 .LBB38_1153
; %bb.1151:
	global_load_dword v2, v[0:1], off
	s_movk_i32 s14, 0x7fff
	s_waitcnt vmcnt(0)
	v_cvt_f32_u32_e32 v2, v2
	v_bfe_u32 v3, v2, 16, 1
	v_add3_u32 v2, v2, v3, s14
	v_lshrrev_b32_e32 v2, 16, v2
	s_mov_b64 s[14:15], 0
	s_branch .LBB38_1154
.LBB38_1152:
	s_mov_b64 s[14:15], -1
                                        ; implicit-def: $vgpr2
	s_branch .LBB38_1157
.LBB38_1153:
	s_mov_b64 s[14:15], -1
                                        ; implicit-def: $vgpr2
.LBB38_1154:
	s_andn2_b64 vcc, exec, s[14:15]
	s_cbranch_vccnz .LBB38_1156
; %bb.1155:
	global_load_ushort v2, v[0:1], off
	s_movk_i32 s14, 0x7fff
	s_waitcnt vmcnt(0)
	v_cvt_f32_u32_e32 v2, v2
	v_bfe_u32 v3, v2, 16, 1
	v_add3_u32 v2, v2, v3, s14
	v_lshrrev_b32_e32 v2, 16, v2
.LBB38_1156:
	s_mov_b64 s[14:15], 0
.LBB38_1157:
	s_andn2_b64 vcc, exec, s[14:15]
	s_cbranch_vccnz .LBB38_1165
; %bb.1158:
	global_load_ubyte v2, v[0:1], off
	s_movk_i32 s14, 0x7f
	s_waitcnt vmcnt(0)
	v_cmp_lt_i16_e32 vcc, s14, v2
	s_mov_b64 s[14:15], 0
	s_and_saveexec_b64 s[16:17], vcc
	s_xor_b64 s[16:17], exec, s[16:17]
	s_cbranch_execz .LBB38_1178
; %bb.1159:
	s_movk_i32 s14, 0x80
	v_cmp_eq_u16_e32 vcc, s14, v2
	s_mov_b64 s[14:15], -1
	s_and_saveexec_b64 s[18:19], vcc
; %bb.1160:
	s_xor_b64 s[14:15], exec, -1
; %bb.1161:
	s_or_b64 exec, exec, s[18:19]
	s_and_b64 s[14:15], s[14:15], exec
	s_or_saveexec_b64 s[16:17], s[16:17]
	v_mov_b32_e32 v3, 0x7f800001
	s_xor_b64 exec, exec, s[16:17]
	s_cbranch_execnz .LBB38_1179
.LBB38_1162:
	s_or_b64 exec, exec, s[16:17]
	s_and_saveexec_b64 s[16:17], s[14:15]
	s_cbranch_execz .LBB38_1164
.LBB38_1163:
	v_lshlrev_b32_e32 v3, 24, v2
	v_and_b32_e32 v2, 0xffff, v2
	v_and_b32_e32 v4, 7, v2
	v_ffbh_u32_e32 v7, v4
	v_min_u32_e32 v7, 32, v7
	v_subrev_u32_e32 v9, 28, v7
	v_bfe_u32 v5, v2, 3, 4
	v_lshlrev_b32_e32 v2, v9, v2
	v_sub_u32_e32 v7, 29, v7
	v_and_b32_e32 v2, 7, v2
	v_cmp_eq_u32_e32 vcc, 0, v5
	v_cndmask_b32_e32 v5, v5, v7, vcc
	v_cndmask_b32_e32 v2, v4, v2, vcc
	v_mov_b32_e32 v4, 0x3b800000
	v_lshlrev_b32_e32 v2, 20, v2
	v_and_b32_e32 v3, 0x80000000, v3
	v_lshl_add_u32 v4, v5, 23, v4
	v_or3_b32 v3, v3, v4, v2
.LBB38_1164:
	s_or_b64 exec, exec, s[16:17]
	v_bfe_u32 v2, v3, 16, 1
	s_movk_i32 s14, 0x7fff
	v_add3_u32 v2, v3, v2, s14
	v_cmp_o_f32_e32 vcc, v3, v3
	v_mov_b32_e32 v3, 0x7fc0
	v_cndmask_b32_sdwa v2, v3, v2, vcc dst_sel:DWORD dst_unused:UNUSED_PAD src0_sel:DWORD src1_sel:WORD_1
.LBB38_1165:
	s_mov_b64 s[16:17], -1
.LBB38_1166:
	s_branch .LBB38_1198
.LBB38_1167:
	s_cmp_gt_i32 s24, 22
	s_cbranch_scc0 .LBB38_1177
; %bb.1168:
	s_cmp_lt_i32 s24, 24
	s_cbranch_scc1 .LBB38_1180
; %bb.1169:
	s_cmp_gt_i32 s24, 24
	s_cbranch_scc0 .LBB38_1181
; %bb.1170:
	global_load_ubyte v2, v[0:1], off
	s_movk_i32 s12, 0x7f
	s_waitcnt vmcnt(0)
	v_cmp_lt_i16_e32 vcc, s12, v2
	s_mov_b64 s[12:13], 0
	s_and_saveexec_b64 s[14:15], vcc
	s_xor_b64 s[14:15], exec, s[14:15]
	s_cbranch_execz .LBB38_1192
; %bb.1171:
	s_movk_i32 s12, 0x80
	v_cmp_eq_u16_e32 vcc, s12, v2
	s_mov_b64 s[12:13], -1
	s_and_saveexec_b64 s[16:17], vcc
; %bb.1172:
	s_xor_b64 s[12:13], exec, -1
; %bb.1173:
	s_or_b64 exec, exec, s[16:17]
	s_and_b64 s[12:13], s[12:13], exec
	s_or_saveexec_b64 s[14:15], s[14:15]
	v_mov_b32_e32 v3, 0x7f800001
	s_xor_b64 exec, exec, s[14:15]
	s_cbranch_execnz .LBB38_1193
.LBB38_1174:
	s_or_b64 exec, exec, s[14:15]
	s_and_saveexec_b64 s[14:15], s[12:13]
	s_cbranch_execz .LBB38_1176
.LBB38_1175:
	v_lshlrev_b32_e32 v3, 24, v2
	v_and_b32_e32 v2, 0xffff, v2
	v_and_b32_e32 v4, 3, v2
	v_ffbh_u32_e32 v7, v4
	v_min_u32_e32 v7, 32, v7
	v_subrev_u32_e32 v9, 29, v7
	v_bfe_u32 v5, v2, 2, 5
	v_lshlrev_b32_e32 v2, v9, v2
	v_sub_u32_e32 v7, 30, v7
	v_and_b32_e32 v2, 3, v2
	v_cmp_eq_u32_e32 vcc, 0, v5
	v_cndmask_b32_e32 v5, v5, v7, vcc
	v_cndmask_b32_e32 v2, v4, v2, vcc
	v_mov_b32_e32 v4, 0x37800000
	v_lshlrev_b32_e32 v2, 21, v2
	v_and_b32_e32 v3, 0x80000000, v3
	v_lshl_add_u32 v4, v5, 23, v4
	v_or3_b32 v3, v3, v4, v2
.LBB38_1176:
	s_or_b64 exec, exec, s[14:15]
	v_bfe_u32 v2, v3, 16, 1
	s_movk_i32 s12, 0x7fff
	v_add3_u32 v2, v3, v2, s12
	v_cmp_o_f32_e32 vcc, v3, v3
	v_mov_b32_e32 v3, 0x7fc0
	v_cndmask_b32_sdwa v2, v3, v2, vcc dst_sel:DWORD dst_unused:UNUSED_PAD src0_sel:DWORD src1_sel:WORD_1
	s_mov_b64 s[12:13], 0
	s_branch .LBB38_1182
.LBB38_1177:
                                        ; implicit-def: $vgpr2
	s_mov_b64 s[12:13], 0
	s_branch .LBB38_1188
.LBB38_1178:
	s_or_saveexec_b64 s[16:17], s[16:17]
	v_mov_b32_e32 v3, 0x7f800001
	s_xor_b64 exec, exec, s[16:17]
	s_cbranch_execz .LBB38_1162
.LBB38_1179:
	v_cmp_ne_u16_e32 vcc, 0, v2
	s_andn2_b64 s[14:15], s[14:15], exec
	s_and_b64 s[18:19], vcc, exec
	v_mov_b32_e32 v3, 0
	s_or_b64 s[14:15], s[14:15], s[18:19]
	s_or_b64 exec, exec, s[16:17]
	s_and_saveexec_b64 s[16:17], s[14:15]
	s_cbranch_execnz .LBB38_1163
	s_branch .LBB38_1164
.LBB38_1180:
	s_mov_b64 s[12:13], -1
                                        ; implicit-def: $vgpr2
	s_branch .LBB38_1185
.LBB38_1181:
	s_mov_b64 s[12:13], -1
                                        ; implicit-def: $vgpr2
.LBB38_1182:
	s_and_b64 vcc, exec, s[12:13]
	s_cbranch_vccz .LBB38_1184
; %bb.1183:
	global_load_ubyte v2, v[0:1], off
	s_mov_b32 s12, 0x7f800000
	s_brev_b32 s13, 1
	s_movk_i32 s14, 0x7fff
	s_waitcnt vmcnt(0)
	v_lshlrev_b32_e32 v2, 24, v2
	v_and_b32_e32 v3, 0x7f000000, v2
	v_ffbh_u32_e32 v4, v3
	v_min_u32_e32 v4, 32, v4
	v_sub_u32_e64 v4, v4, 4 clamp
	v_lshlrev_b32_e32 v7, v4, v3
	v_lshlrev_b32_e32 v4, 23, v4
	v_lshrrev_b32_e32 v7, 4, v7
	v_add_u32_e32 v5, 0x1000000, v3
	v_sub_u32_e32 v4, v7, v4
	v_ashrrev_i32_e32 v5, 8, v5
	v_add_u32_e32 v4, 0x3c000000, v4
	v_and_or_b32 v4, v5, s12, v4
	v_cmp_ne_u32_e32 vcc, 0, v3
	v_cndmask_b32_e32 v3, 0, v4, vcc
	v_and_or_b32 v2, v2, s13, v3
	v_bfe_u32 v3, v3, 16, 1
	v_add3_u32 v3, v2, v3, s14
	v_cmp_o_f32_e32 vcc, v2, v2
	v_mov_b32_e32 v2, 0x7fc0
	v_cndmask_b32_sdwa v2, v2, v3, vcc dst_sel:DWORD dst_unused:UNUSED_PAD src0_sel:DWORD src1_sel:WORD_1
.LBB38_1184:
	s_mov_b64 s[12:13], 0
.LBB38_1185:
	s_andn2_b64 vcc, exec, s[12:13]
	s_cbranch_vccnz .LBB38_1187
; %bb.1186:
	global_load_ubyte v2, v[0:1], off
	s_movk_i32 s12, 0x7f00
	s_brev_b32 s13, 16
	s_brev_b32 s14, 1
	s_movk_i32 s15, 0x7fff
	s_waitcnt vmcnt(0)
	v_lshlrev_b16_e32 v3, 8, v2
	v_lshlrev_b32_e32 v2, 25, v2
	v_lshrrev_b32_e32 v4, 4, v2
	v_and_or_b32 v5, v3, s12, 0.5
	v_or_b32_e32 v4, 0x70000000, v4
	v_add_f32_e32 v5, -0.5, v5
	v_mul_f32_e32 v4, 0x7800000, v4
	v_cmp_gt_u32_e32 vcc, s13, v2
	v_bfe_i32 v3, v3, 0, 16
	v_cndmask_b32_e32 v2, v4, v5, vcc
	v_and_or_b32 v3, v3, s14, v2
	v_bfe_u32 v2, v2, 16, 1
	v_add3_u32 v2, v3, v2, s15
	v_cmp_o_f32_e32 vcc, v3, v3
	v_mov_b32_e32 v3, 0x7fc0
	v_cndmask_b32_sdwa v2, v3, v2, vcc dst_sel:DWORD dst_unused:UNUSED_PAD src0_sel:DWORD src1_sel:WORD_1
.LBB38_1187:
	s_mov_b64 s[16:17], -1
	s_mov_b64 s[12:13], 0
	s_cbranch_execnz .LBB38_1198
.LBB38_1188:
	s_cmp_gt_i32 s24, 14
	s_cbranch_scc0 .LBB38_1191
; %bb.1189:
	s_cmp_eq_u32 s24, 15
	s_cbranch_scc0 .LBB38_1194
; %bb.1190:
	global_load_ushort v2, v[0:1], off
	s_mov_b64 s[0:1], 0
	s_mov_b64 s[16:17], -1
	s_branch .LBB38_1195
.LBB38_1191:
	s_mov_b64 s[14:15], -1
                                        ; implicit-def: $vgpr2
	s_branch .LBB38_1196
.LBB38_1192:
	s_or_saveexec_b64 s[14:15], s[14:15]
	v_mov_b32_e32 v3, 0x7f800001
	s_xor_b64 exec, exec, s[14:15]
	s_cbranch_execz .LBB38_1174
.LBB38_1193:
	v_cmp_ne_u16_e32 vcc, 0, v2
	s_andn2_b64 s[12:13], s[12:13], exec
	s_and_b64 s[16:17], vcc, exec
	v_mov_b32_e32 v3, 0
	s_or_b64 s[12:13], s[12:13], s[16:17]
	s_or_b64 exec, exec, s[14:15]
	s_and_saveexec_b64 s[14:15], s[12:13]
	s_cbranch_execnz .LBB38_1175
	s_branch .LBB38_1176
.LBB38_1194:
	s_mov_b64 s[0:1], -1
                                        ; implicit-def: $vgpr2
.LBB38_1195:
	s_mov_b64 s[14:15], 0
.LBB38_1196:
	s_and_b64 vcc, exec, s[14:15]
	s_cbranch_vccz .LBB38_1198
; %bb.1197:
	s_cmp_lg_u32 s24, 11
	s_mov_b64 s[12:13], -1
	s_cselect_b64 s[0:1], -1, 0
.LBB38_1198:
	s_and_b64 vcc, exec, s[0:1]
	s_mov_b64 s[14:15], s[6:7]
	s_cbranch_vccnz .LBB38_1283
; %bb.1199:
	s_andn2_b64 vcc, exec, s[12:13]
	s_cbranch_vccnz .LBB38_1201
.LBB38_1200:
	global_load_ubyte v2, v[0:1], off
	s_mov_b64 s[16:17], -1
	s_waitcnt vmcnt(0)
	v_cmp_ne_u16_e32 vcc, 0, v2
	v_cndmask_b32_e64 v2, 0, 1.0, vcc
	v_lshrrev_b32_e32 v2, 16, v2
.LBB38_1201:
	s_branch .LBB38_1132
.LBB38_1202:
	s_cmp_lt_i32 s24, 5
	s_cbranch_scc1 .LBB38_1207
; %bb.1203:
	s_cmp_lt_i32 s24, 8
	s_cbranch_scc1 .LBB38_1208
; %bb.1204:
	s_cmp_lt_i32 s24, 9
	s_cbranch_scc1 .LBB38_1209
; %bb.1205:
	s_cmp_gt_i32 s24, 9
	s_cbranch_scc0 .LBB38_1210
; %bb.1206:
	global_load_dwordx2 v[2:3], v[0:1], off
	s_movk_i32 s0, 0x7fff
	s_waitcnt vmcnt(0)
	v_cvt_f32_f64_e32 v2, v[2:3]
	v_mov_b32_e32 v3, 0x7fc0
	v_bfe_u32 v4, v2, 16, 1
	v_cmp_o_f32_e32 vcc, v2, v2
	v_add3_u32 v2, v2, v4, s0
	v_cndmask_b32_sdwa v2, v3, v2, vcc dst_sel:DWORD dst_unused:UNUSED_PAD src0_sel:DWORD src1_sel:WORD_1
	s_mov_b64 s[0:1], 0
	s_branch .LBB38_1211
.LBB38_1207:
                                        ; implicit-def: $vgpr2
	s_branch .LBB38_1228
.LBB38_1208:
                                        ; implicit-def: $vgpr2
	s_branch .LBB38_1217
.LBB38_1209:
	s_mov_b64 s[0:1], -1
                                        ; implicit-def: $vgpr2
	s_branch .LBB38_1214
.LBB38_1210:
	s_mov_b64 s[0:1], -1
                                        ; implicit-def: $vgpr2
.LBB38_1211:
	s_andn2_b64 vcc, exec, s[0:1]
	s_cbranch_vccnz .LBB38_1213
; %bb.1212:
	global_load_dword v2, v[0:1], off
	s_movk_i32 s0, 0x7fff
	v_mov_b32_e32 v3, 0x7fc0
	s_waitcnt vmcnt(0)
	v_bfe_u32 v4, v2, 16, 1
	v_cmp_o_f32_e32 vcc, v2, v2
	v_add3_u32 v2, v2, v4, s0
	v_cndmask_b32_sdwa v2, v3, v2, vcc dst_sel:DWORD dst_unused:UNUSED_PAD src0_sel:DWORD src1_sel:WORD_1
.LBB38_1213:
	s_mov_b64 s[0:1], 0
.LBB38_1214:
	s_andn2_b64 vcc, exec, s[0:1]
	s_cbranch_vccnz .LBB38_1216
; %bb.1215:
	global_load_dword v2, v[0:1], off
	s_movk_i32 s0, 0x7fff
	v_mov_b32_e32 v4, 0x7fc0
	s_waitcnt vmcnt(0)
	v_cvt_f32_f16_e32 v3, v2
	v_cmp_o_f16_e32 vcc, v2, v2
	v_bfe_u32 v2, v3, 16, 1
	v_add3_u32 v2, v3, v2, s0
	v_cndmask_b32_sdwa v2, v4, v2, vcc dst_sel:DWORD dst_unused:UNUSED_PAD src0_sel:DWORD src1_sel:WORD_1
.LBB38_1216:
	s_cbranch_execnz .LBB38_1227
.LBB38_1217:
	s_cmp_lt_i32 s24, 6
	s_cbranch_scc1 .LBB38_1220
; %bb.1218:
	s_cmp_gt_i32 s24, 6
	s_cbranch_scc0 .LBB38_1221
; %bb.1219:
	global_load_dwordx2 v[2:3], v[0:1], off
	s_movk_i32 s0, 0x7fff
	s_waitcnt vmcnt(0)
	v_cvt_f32_f64_e32 v2, v[2:3]
	v_mov_b32_e32 v3, 0x7fc0
	v_bfe_u32 v4, v2, 16, 1
	v_cmp_o_f32_e32 vcc, v2, v2
	v_add3_u32 v2, v2, v4, s0
	v_cndmask_b32_sdwa v2, v3, v2, vcc dst_sel:DWORD dst_unused:UNUSED_PAD src0_sel:DWORD src1_sel:WORD_1
	s_mov_b64 s[0:1], 0
	s_branch .LBB38_1222
.LBB38_1220:
	s_mov_b64 s[0:1], -1
                                        ; implicit-def: $vgpr2
	s_branch .LBB38_1225
.LBB38_1221:
	s_mov_b64 s[0:1], -1
                                        ; implicit-def: $vgpr2
.LBB38_1222:
	s_andn2_b64 vcc, exec, s[0:1]
	s_cbranch_vccnz .LBB38_1224
; %bb.1223:
	global_load_dword v2, v[0:1], off
	s_movk_i32 s0, 0x7fff
	v_mov_b32_e32 v3, 0x7fc0
	s_waitcnt vmcnt(0)
	v_bfe_u32 v4, v2, 16, 1
	v_cmp_o_f32_e32 vcc, v2, v2
	v_add3_u32 v2, v2, v4, s0
	v_cndmask_b32_sdwa v2, v3, v2, vcc dst_sel:DWORD dst_unused:UNUSED_PAD src0_sel:DWORD src1_sel:WORD_1
.LBB38_1224:
	s_mov_b64 s[0:1], 0
.LBB38_1225:
	s_andn2_b64 vcc, exec, s[0:1]
	s_cbranch_vccnz .LBB38_1227
; %bb.1226:
	global_load_ushort v2, v[0:1], off
	s_movk_i32 s0, 0x7fff
	v_mov_b32_e32 v4, 0x7fc0
	s_waitcnt vmcnt(0)
	v_cvt_f32_f16_e32 v3, v2
	v_cmp_o_f16_e32 vcc, v2, v2
	v_bfe_u32 v2, v3, 16, 1
	v_add3_u32 v2, v3, v2, s0
	v_cndmask_b32_sdwa v2, v4, v2, vcc dst_sel:DWORD dst_unused:UNUSED_PAD src0_sel:DWORD src1_sel:WORD_1
.LBB38_1227:
	s_cbranch_execnz .LBB38_1246
.LBB38_1228:
	s_cmp_lt_i32 s24, 2
	s_cbranch_scc1 .LBB38_1232
; %bb.1229:
	s_cmp_lt_i32 s24, 3
	s_cbranch_scc1 .LBB38_1233
; %bb.1230:
	s_cmp_gt_i32 s24, 3
	s_cbranch_scc0 .LBB38_1234
; %bb.1231:
	global_load_dwordx2 v[2:3], v[0:1], off
	s_movk_i32 s0, 0x7fff
	s_waitcnt vmcnt(0)
	v_xor_b32_e32 v5, v2, v3
	v_ffbh_i32_e32 v4, v3
	v_ashrrev_i32_e32 v5, 31, v5
	v_add_u32_e32 v4, -1, v4
	v_add_u32_e32 v5, 32, v5
	v_min_u32_e32 v4, v4, v5
	v_lshlrev_b64 v[2:3], v4, v[2:3]
	v_min_u32_e32 v2, 1, v2
	v_or_b32_e32 v2, v3, v2
	v_cvt_f32_i32_e32 v2, v2
	v_sub_u32_e32 v3, 32, v4
	v_ldexp_f32 v2, v2, v3
	v_bfe_u32 v3, v2, 16, 1
	v_add3_u32 v2, v2, v3, s0
	v_lshrrev_b32_e32 v2, 16, v2
	s_mov_b64 s[0:1], 0
	s_branch .LBB38_1235
.LBB38_1232:
                                        ; implicit-def: $vgpr2
	s_branch .LBB38_1241
.LBB38_1233:
	s_mov_b64 s[0:1], -1
                                        ; implicit-def: $vgpr2
	s_branch .LBB38_1238
.LBB38_1234:
	s_mov_b64 s[0:1], -1
                                        ; implicit-def: $vgpr2
.LBB38_1235:
	s_andn2_b64 vcc, exec, s[0:1]
	s_cbranch_vccnz .LBB38_1237
; %bb.1236:
	global_load_dword v2, v[0:1], off
	s_movk_i32 s0, 0x7fff
	s_waitcnt vmcnt(0)
	v_cvt_f32_i32_e32 v2, v2
	v_bfe_u32 v3, v2, 16, 1
	v_add3_u32 v2, v2, v3, s0
	v_lshrrev_b32_e32 v2, 16, v2
.LBB38_1237:
	s_mov_b64 s[0:1], 0
.LBB38_1238:
	s_andn2_b64 vcc, exec, s[0:1]
	s_cbranch_vccnz .LBB38_1240
; %bb.1239:
	global_load_sshort v2, v[0:1], off
	s_movk_i32 s0, 0x7fff
	s_waitcnt vmcnt(0)
	v_cvt_f32_i32_e32 v2, v2
	v_bfe_u32 v3, v2, 16, 1
	v_add3_u32 v2, v2, v3, s0
	v_lshrrev_b32_e32 v2, 16, v2
.LBB38_1240:
	s_cbranch_execnz .LBB38_1246
.LBB38_1241:
	s_cmp_gt_i32 s24, 0
	s_cbranch_scc0 .LBB38_1243
; %bb.1242:
	global_load_sbyte v2, v[0:1], off
	s_movk_i32 s0, 0x7fff
	s_waitcnt vmcnt(0)
	v_cvt_f32_i32_e32 v2, v2
	v_bfe_u32 v3, v2, 16, 1
	v_add3_u32 v2, v2, v3, s0
	v_lshrrev_b32_e32 v2, 16, v2
	s_mov_b64 s[0:1], 0
	s_branch .LBB38_1244
.LBB38_1243:
	s_mov_b64 s[0:1], -1
                                        ; implicit-def: $vgpr2
.LBB38_1244:
	s_andn2_b64 vcc, exec, s[0:1]
	s_cbranch_vccnz .LBB38_1246
; %bb.1245:
	global_load_ubyte v0, v[0:1], off
	s_movk_i32 s0, 0x7fff
	s_waitcnt vmcnt(0)
	v_cvt_f32_ubyte0_e32 v0, v0
	v_bfe_u32 v1, v0, 16, 1
	v_add3_u32 v0, v0, v1, s0
	v_lshrrev_b32_e32 v2, 16, v0
.LBB38_1246:
.LBB38_1247:
	s_waitcnt vmcnt(0)
	v_lshlrev_b32_e32 v9, 16, v2
	v_cmp_neq_f32_e32 vcc, 0, v9
                                        ; implicit-def: $vgpr7
	s_and_saveexec_b64 s[0:1], vcc
	s_xor_b64 s[12:13], exec, s[0:1]
	s_cbranch_execz .LBB38_1269
; %bb.1248:
	v_mov_b32_e32 v0, 0
	v_cmp_gt_f32_e32 vcc, 0, v9
	s_mov_b64 s[18:19], -1
	s_and_saveexec_b64 s[16:17], vcc
	s_cbranch_execz .LBB38_1256
; %bb.1249:
	v_trunc_f32_e32 v0, v9
	v_cmp_neq_f32_e32 vcc, v0, v9
	s_mov_b64 s[20:21], 0
	v_mov_b32_e32 v0, 0
	s_and_saveexec_b64 s[18:19], vcc
	s_cbranch_execz .LBB38_1255
; %bb.1250:
	v_cvt_f64_f32_e32 v[0:1], v9
	s_mov_b32 s0, 0
	s_mov_b32 s21, 0xc00921fb
	;; [unrolled: 1-line block ×3, first 2 shown]
	v_trunc_f64_e32 v[2:3], v[0:1]
	s_mov_b32 s1, 0x7ff00000
	v_cmp_neq_f64_e64 vcc, |v[0:1]|, s[0:1]
	v_bfrev_b32_e32 v4, 1
	s_mov_b32 s22, 0
	s_mov_b32 s23, 0x41d00000
                                        ; implicit-def: $vgpr7
	v_add_f64 v[2:3], v[0:1], -v[2:3]
	v_mul_f64 v[2:3], |v[2:3]|, s[20:21]
	v_cndmask_b32_e32 v1, v4, v3, vcc
	v_cndmask_b32_e32 v0, 0, v2, vcc
	v_cmp_nlt_f64_e64 s[22:23], |v[0:1]|, s[22:23]
                                        ; implicit-def: $vgpr2_vgpr3
                                        ; implicit-def: $vgpr4_vgpr5
	s_and_saveexec_b64 s[26:27], s[22:23]
	s_xor_b64 s[22:23], exec, s[26:27]
	s_cbranch_execz .LBB38_1252
; %bb.1251:
	v_trig_preop_f64 v[2:3], |v[0:1]|, 0
	s_mov_b32 s26, 0
	s_mov_b32 s27, 0x7b000000
	s_movk_i32 s21, 0xff80
	v_ldexp_f64 v[10:11], |v[0:1]|, s21
	v_cmp_ge_f64_e64 vcc, |v[0:1]|, s[26:27]
	v_trig_preop_f64 v[4:5], |v[0:1]|, 1
	v_and_b32_e32 v7, 0x7fffffff, v1
	v_trig_preop_f64 v[16:17], |v[0:1]|, 2
	s_mov_b32 s21, 0x3ff921fb
	v_cndmask_b32_e32 v11, v7, v11, vcc
	v_cndmask_b32_e32 v10, v0, v10, vcc
	v_mov_b32_e32 v7, 0x40100000
	v_mul_f64 v[12:13], v[2:3], v[10:11]
	v_mul_f64 v[14:15], v[4:5], v[10:11]
	;; [unrolled: 1-line block ×3, first 2 shown]
	v_fma_f64 v[2:3], v[2:3], v[10:11], -v[12:13]
	v_fma_f64 v[4:5], v[4:5], v[10:11], -v[14:15]
	;; [unrolled: 1-line block ×3, first 2 shown]
	v_add_f64 v[18:19], v[14:15], v[2:3]
	v_add_f64 v[20:21], v[18:19], -v[14:15]
	v_add_f64 v[16:17], v[12:13], v[18:19]
	v_add_f64 v[2:3], v[2:3], -v[20:21]
	v_add_f64 v[20:21], v[18:19], -v[20:21]
	;; [unrolled: 1-line block ×3, first 2 shown]
	v_ldexp_f64 v[16:17], v[16:17], -2
	v_add_f64 v[14:15], v[14:15], -v[20:21]
	v_add_f64 v[20:21], v[22:23], v[4:5]
	v_add_f64 v[12:13], v[18:19], -v[12:13]
	v_fract_f64_e32 v[18:19], v[16:17]
	v_cmp_neq_f64_e64 vcc, |v[16:17]|, s[0:1]
	v_add_f64 v[2:3], v[2:3], v[14:15]
	v_add_f64 v[14:15], v[20:21], -v[22:23]
	v_ldexp_f64 v[18:19], v[18:19], 2
	v_add_f64 v[4:5], v[4:5], -v[14:15]
	v_add_f64 v[14:15], v[20:21], -v[14:15]
	;; [unrolled: 1-line block ×3, first 2 shown]
	v_add_f64 v[22:23], v[20:21], v[2:3]
	v_add_f64 v[4:5], v[4:5], v[14:15]
	v_add_f64 v[16:17], v[22:23], -v[20:21]
	v_cndmask_b32_e32 v15, 0, v19, vcc
	v_cndmask_b32_e32 v14, 0, v18, vcc
	v_add_f64 v[18:19], v[12:13], v[22:23]
	v_add_f64 v[2:3], v[2:3], -v[16:17]
	v_add_f64 v[16:17], v[22:23], -v[16:17]
	;; [unrolled: 1-line block ×4, first 2 shown]
	v_add_f64 v[20:21], v[18:19], v[14:15]
	v_add_f64 v[12:13], v[22:23], -v[12:13]
	v_add_f64 v[2:3], v[2:3], v[16:17]
	v_cmp_gt_f64_e32 vcc, 0, v[20:21]
	v_mov_b32_e32 v20, 0
	v_add_f64 v[2:3], v[4:5], v[2:3]
	v_cndmask_b32_e32 v21, 0, v7, vcc
	v_add_f64 v[14:15], v[14:15], v[20:21]
	v_add_f64 v[2:3], v[10:11], v[2:3]
	;; [unrolled: 1-line block ×4, first 2 shown]
	v_mov_b32_e32 v12, 0x3ff00000
	v_cvt_i32_f64_e32 v7, v[16:17]
	v_cvt_f64_i32_e32 v[16:17], v7
	v_add_f64 v[14:15], v[14:15], -v[16:17]
	v_add_f64 v[4:5], v[18:19], v[14:15]
	v_add_f64 v[10:11], v[4:5], -v[14:15]
	v_cmp_le_f64_e32 vcc, 0.5, v[4:5]
	v_add_f64 v[10:11], v[18:19], -v[10:11]
	v_cndmask_b32_e32 v21, 0, v12, vcc
	v_add_f64 v[4:5], v[4:5], -v[20:21]
	v_addc_co_u32_e64 v7, s[0:1], 0, v7, vcc
	s_mov_b32 s0, 0x33145c07
	s_mov_b32 s1, 0x3c91a626
	v_add_f64 v[2:3], v[2:3], v[10:11]
	v_add_f64 v[10:11], v[4:5], v[2:3]
	v_mul_f64 v[12:13], v[10:11], s[20:21]
	v_add_f64 v[4:5], v[10:11], -v[4:5]
	v_fma_f64 v[14:15], v[10:11], s[20:21], -v[12:13]
	v_add_f64 v[2:3], v[2:3], -v[4:5]
	v_fma_f64 v[4:5], v[10:11], s[0:1], v[14:15]
	v_fma_f64 v[4:5], v[2:3], s[20:21], v[4:5]
	v_add_f64 v[2:3], v[12:13], v[4:5]
	v_add_f64 v[10:11], v[2:3], -v[12:13]
	v_add_f64 v[4:5], v[4:5], -v[10:11]
.LBB38_1252:
	s_andn2_saveexec_b64 s[0:1], s[22:23]
	s_cbranch_execz .LBB38_1254
; %bb.1253:
	s_mov_b32 s20, 0x6dc9c883
	s_mov_b32 s21, 0x3fe45f30
	v_mul_f64 v[2:3], |v[0:1]|, s[20:21]
	s_mov_b32 s20, 0x54442d18
	s_mov_b32 s21, 0xbff921fb
	;; [unrolled: 1-line block ×4, first 2 shown]
	v_rndne_f64_e32 v[10:11], v[2:3]
	v_fma_f64 v[2:3], v[10:11], s[20:21], |v[0:1]|
	v_mul_f64 v[4:5], v[10:11], s[22:23]
	s_mov_b32 s20, 0x252049c0
	s_mov_b32 s21, 0xb97b839a
	v_cvt_i32_f64_e32 v7, v[10:11]
	v_fma_f64 v[16:17], v[10:11], s[22:23], v[2:3]
	v_add_f64 v[12:13], v[2:3], v[4:5]
	s_mov_b32 s23, 0x3c91a626
	v_add_f64 v[14:15], v[2:3], -v[12:13]
	v_add_f64 v[12:13], v[12:13], -v[16:17]
	v_add_f64 v[2:3], v[14:15], v[4:5]
	v_fma_f64 v[4:5], v[10:11], s[22:23], v[4:5]
	v_add_f64 v[2:3], v[12:13], v[2:3]
	v_add_f64 v[2:3], v[2:3], -v[4:5]
	v_fma_f64 v[4:5], v[10:11], s[20:21], v[2:3]
	v_add_f64 v[2:3], v[16:17], v[4:5]
	v_add_f64 v[12:13], v[2:3], -v[16:17]
	v_add_f64 v[4:5], v[4:5], -v[12:13]
.LBB38_1254:
	s_or_b64 exec, exec, s[0:1]
	v_mul_f64 v[10:11], v[2:3], v[2:3]
	v_add_f64 v[12:13], v[4:5], v[4:5]
	s_mov_b32 s0, 0xc751c08c
	s_mov_b32 s1, 0x3ef5e089
	v_and_b32_e32 v7, 1, v7
	v_cmp_eq_u32_e32 vcc, 0, v7
	s_mov_b32 s22, 0x54442d18
	s_mov_b32 s23, 0xc00921fb
	v_fma_f64 v[14:15], v[2:3], v[2:3], -v[10:11]
	s_mov_b64 s[20:21], exec
	v_sub_f32_e32 v9, 1.0, v9
	v_fma_f64 v[12:13], v[2:3], v[12:13], v[14:15]
	v_add_f64 v[10:11], v[10:11], v[12:13]
	v_mov_b32_e32 v12, 0xa9a29f71
	v_mov_b32_e32 v13, 0xbf078809
	v_fma_f64 v[12:13], v[10:11], s[0:1], v[12:13]
	s_mov_b32 s0, 0x90a8aae0
	s_mov_b32 s1, 0x3f17746f
	v_fma_f64 v[12:13], v[10:11], v[12:13], s[0:1]
	s_mov_b32 s0, 0xa6fbf144
	s_mov_b32 s1, 0xbefbb44d
	v_fma_f64 v[12:13], v[10:11], v[12:13], s[0:1]
	s_mov_b32 s0, 0xa7943acf
	s_mov_b32 s1, 0x3f21e634
	v_fma_f64 v[12:13], v[10:11], v[12:13], s[0:1]
	s_mov_b32 s0, 0xdeb68feb
	s_mov_b32 s1, 0x3f2d250f
	v_fma_f64 v[12:13], v[10:11], v[12:13], s[0:1]
	s_mov_b32 s0, 0xb58c4d95
	s_mov_b32 s1, 0x3f437fd9
	v_fma_f64 v[12:13], v[10:11], v[12:13], s[0:1]
	s_mov_b32 s0, 0x15120e2c
	s_mov_b32 s1, 0x3f57d5af
	v_fma_f64 v[12:13], v[10:11], v[12:13], s[0:1]
	s_mov_b32 s0, 0xe09491df
	s_mov_b32 s1, 0x3f6d6d93
	v_fma_f64 v[12:13], v[10:11], v[12:13], s[0:1]
	s_mov_b32 s0, 0x2033784d
	s_mov_b32 s1, 0x3f8226e1
	v_fma_f64 v[12:13], v[10:11], v[12:13], s[0:1]
	s_mov_b32 s0, 0x9ac36ae2
	s_mov_b32 s1, 0x3f9664f4
	v_fma_f64 v[12:13], v[10:11], v[12:13], s[0:1]
	s_mov_b32 s0, 0x1b451c21
	s_mov_b32 s1, 0x3faba1ba
	v_fma_f64 v[12:13], v[10:11], v[12:13], s[0:1]
	s_mov_b32 s0, 0x111185b7
	s_mov_b32 s1, 0x3fc11111
	v_fma_f64 v[12:13], v[10:11], v[12:13], s[0:1]
	s_mov_b32 s0, 0x555554ee
	s_mov_b32 s1, 0x3fd55555
	v_fma_f64 v[12:13], v[10:11], v[12:13], s[0:1]
	s_movk_i32 s0, 0x1f8
	v_cmp_class_f64_e64 s[0:1], v[0:1], s0
	v_mul_f64 v[10:11], v[10:11], v[12:13]
	v_mul_f64 v[12:13], v[2:3], v[10:11]
	v_add_f64 v[14:15], v[2:3], v[12:13]
	v_fma_f64 v[10:11], v[2:3], v[10:11], -v[12:13]
	v_add_f64 v[2:3], v[14:15], -v[2:3]
	v_add_f64 v[4:5], v[4:5], v[10:11]
	v_add_f64 v[2:3], v[12:13], -v[2:3]
	v_add_f64 v[2:3], v[4:5], v[2:3]
	v_add_f64 v[4:5], v[14:15], v[2:3]
	v_rcp_f64_e32 v[10:11], v[4:5]
	v_fma_f64 v[12:13], -v[4:5], v[10:11], 1.0
	v_fma_f64 v[10:11], v[12:13], v[10:11], v[10:11]
	v_fma_f64 v[12:13], -v[4:5], v[10:11], 1.0
	v_fma_f64 v[10:11], v[12:13], v[10:11], v[10:11]
	v_add_f64 v[12:13], v[4:5], -v[14:15]
	v_mul_f64 v[14:15], v[4:5], v[10:11]
	v_add_f64 v[2:3], v[2:3], -v[12:13]
	v_fma_f64 v[12:13], v[10:11], v[4:5], -v[14:15]
	v_fma_f64 v[2:3], v[10:11], v[2:3], v[12:13]
	v_add_f64 v[12:13], v[14:15], v[2:3]
	v_add_f64 v[16:17], -v[12:13], 1.0
	v_add_f64 v[14:15], v[12:13], -v[14:15]
	v_add_f64 v[18:19], -v[16:17], 1.0
	v_add_f64 v[2:3], v[14:15], -v[2:3]
	v_add_f64 v[12:13], v[18:19], -v[12:13]
	v_add_f64 v[2:3], v[2:3], v[12:13]
	v_add_f64 v[2:3], v[16:17], v[2:3]
	v_mul_f64 v[2:3], v[10:11], v[2:3]
	v_add_f64 v[2:3], v[10:11], v[2:3]
	v_and_b32_e32 v10, 0x80000000, v1
	v_mov_b32_e32 v1, 0x7ff80000
	v_xor_b32_e32 v0, 0x80000000, v3
	v_cndmask_b32_e32 v2, v2, v4, vcc
	v_cndmask_b32_e32 v3, v0, v5, vcc
	v_cndmask_b32_e64 v0, 0, v2, s[0:1]
	v_xor_b32_e32 v2, v3, v10
	v_cndmask_b32_e64 v1, v1, v2, s[0:1]
	v_div_scale_f64 v[2:3], s[0:1], v[0:1], v[0:1], s[22:23]
	v_div_scale_f64 v[12:13], vcc, s[22:23], v[0:1], s[22:23]
	v_rcp_f64_e32 v[4:5], v[2:3]
	v_fma_f64 v[10:11], -v[2:3], v[4:5], 1.0
	v_fma_f64 v[4:5], v[4:5], v[10:11], v[4:5]
	v_fma_f64 v[10:11], -v[2:3], v[4:5], 1.0
	v_fma_f64 v[4:5], v[4:5], v[10:11], v[4:5]
	v_mul_f64 v[10:11], v[12:13], v[4:5]
	v_fma_f64 v[2:3], -v[2:3], v[10:11], v[12:13]
	v_div_fmas_f64 v[2:3], v[2:3], v[4:5], v[10:11]
	v_div_fixup_f64 v[0:1], v[2:3], v[0:1], s[22:23]
	v_cvt_f32_f64_e32 v0, v[0:1]
.LBB38_1255:
	s_or_b64 exec, exec, s[18:19]
	s_orn2_b64 s[18:19], s[20:21], exec
.LBB38_1256:
	s_or_b64 exec, exec, s[16:17]
	v_mov_b32_e32 v7, 0x7fc0
	s_and_saveexec_b64 s[0:1], s[18:19]
	s_cbranch_execz .LBB38_1268
; %bb.1257:
	s_mov_b32 s20, 0x41200000
	v_cmp_gt_f32_e32 vcc, s20, v9
	s_and_saveexec_b64 s[16:17], vcc
	s_cbranch_execz .LBB38_1261
; %bb.1258:
	s_mov_b64 s[18:19], 0
.LBB38_1259:                            ; =>This Inner Loop Header: Depth=1
	v_div_scale_f32 v1, s[22:23], v9, v9, 1.0
	v_div_scale_f32 v2, vcc, 1.0, v9, 1.0
	v_rcp_f32_e32 v3, v1
	v_fma_f32 v4, -v1, v3, 1.0
	v_fmac_f32_e32 v3, v4, v3
	v_mul_f32_e32 v4, v2, v3
	v_fma_f32 v5, -v1, v4, v2
	v_fmac_f32_e32 v4, v5, v3
	v_fma_f32 v1, -v1, v4, v2
	v_div_fmas_f32 v1, v1, v3, v4
	v_div_fixup_f32 v1, v1, v9, 1.0
	v_add_f32_e32 v9, 1.0, v9
	v_cmp_ngt_f32_e32 vcc, s20, v9
	s_or_b64 s[18:19], vcc, s[18:19]
	v_sub_f32_e32 v0, v0, v1
	s_andn2_b64 exec, exec, s[18:19]
	s_cbranch_execnz .LBB38_1259
; %bb.1260:
	s_or_b64 exec, exec, s[18:19]
.LBB38_1261:
	s_or_b64 exec, exec, s[16:17]
	s_mov_b32 s16, 0x41200000
	v_cmp_neq_f32_e32 vcc, s16, v9
                                        ; implicit-def: $vgpr7
	s_and_saveexec_b64 s[16:17], vcc
	s_xor_b64 s[16:17], exec, s[16:17]
	s_cbranch_execz .LBB38_1265
; %bb.1262:
	v_cvt_f64_f32_e32 v[1:2], v9
	s_mov_b32 s18, 0x85d8a000
	s_mov_b32 s19, 0x43763457
	v_cmp_gt_f64_e32 vcc, s[18:19], v[1:2]
	v_mov_b32_e32 v1, 0
	s_and_saveexec_b64 s[18:19], vcc
	s_cbranch_execz .LBB38_1264
; %bb.1263:
	v_mul_f32_e32 v1, v9, v9
	v_div_scale_f32 v2, s[20:21], v1, v1, 1.0
	v_div_scale_f32 v3, vcc, 1.0, v1, 1.0
	v_mov_b32_e32 v10, 0x3b820821
	v_rcp_f32_e32 v4, v2
	v_fma_f32 v5, -v2, v4, 1.0
	v_fmac_f32_e32 v4, v5, v4
	v_mul_f32_e32 v5, v3, v4
	v_fma_f32 v7, -v2, v5, v3
	v_fmac_f32_e32 v5, v7, v4
	v_fma_f32 v2, -v2, v5, v3
	v_div_fmas_f32 v2, v2, v4, v5
	v_mov_b32_e32 v3, 0x3daaaaab
	v_mov_b32_e32 v4, 0xbcaccacd
	;; [unrolled: 1-line block ×4, first 2 shown]
	v_div_fixup_f32 v1, v2, v1, 1.0
	v_fma_f32 v2, 0, v1, v3
	v_fmac_f32_e32 v4, v1, v2
	v_fmac_f32_e32 v5, v1, v4
	;; [unrolled: 1-line block ×4, first 2 shown]
	v_mov_b32_e32 v2, 0xbc088889
	v_fmac_f32_e32 v2, v1, v10
	v_fmac_f32_e32 v3, v1, v2
	v_mul_f32_e32 v1, v1, v3
.LBB38_1264:
	s_or_b64 exec, exec, s[18:19]
	v_div_scale_f32 v2, s[18:19], v9, v9, -0.5
	v_div_scale_f32 v3, vcc, -0.5, v9, -0.5
	s_mov_b32 s18, 0x800000
	s_mov_b32 s19, 0x3f317217
	;; [unrolled: 1-line block ×3, first 2 shown]
	v_rcp_f32_e32 v4, v2
	v_fma_f32 v5, -v2, v4, 1.0
	v_fmac_f32_e32 v4, v5, v4
	v_mul_f32_e32 v5, v3, v4
	v_fma_f32 v7, -v2, v5, v3
	v_fmac_f32_e32 v5, v7, v4
	v_fma_f32 v2, -v2, v5, v3
	v_div_fmas_f32 v2, v2, v4, v5
	v_cmp_gt_f32_e32 vcc, s18, v9
	v_cndmask_b32_e64 v4, 0, 32, vcc
	v_ldexp_f32 v4, v9, v4
	v_log_f32_e32 v4, v4
	v_mov_b32_e32 v3, 0x41b17218
	v_cndmask_b32_e32 v3, 0, v3, vcc
	s_movk_i32 s18, 0x7fff
	v_mul_f32_e32 v7, 0x3f317217, v4
	v_fma_f32 v7, v4, s19, -v7
	v_fmac_f32_e32 v7, 0x3377d1cf, v4
	v_fmac_f32_e32 v7, 0x3f317217, v4
	v_cmp_lt_f32_e64 vcc, |v4|, s20
	v_cndmask_b32_e32 v4, v4, v7, vcc
	v_sub_f32_e32 v3, v4, v3
	v_mov_b32_e32 v5, 0x7fc0
	v_div_fixup_f32 v2, v2, v9, -0.5
	v_add_f32_e32 v2, v3, v2
	v_sub_f32_e32 v1, v2, v1
	v_add_f32_e32 v0, v0, v1
	v_bfe_u32 v1, v0, 16, 1
	v_cmp_o_f32_e32 vcc, v0, v0
	v_add3_u32 v0, v0, v1, s18
	v_cndmask_b32_sdwa v7, v5, v0, vcc dst_sel:DWORD dst_unused:UNUSED_PAD src0_sel:DWORD src1_sel:WORD_1
                                        ; implicit-def: $vgpr0
.LBB38_1265:
	s_andn2_saveexec_b64 s[16:17], s[16:17]
; %bb.1266:
	v_add_f32_e32 v0, 0x40101cb7, v0
	v_bfe_u32 v1, v0, 16, 1
	s_movk_i32 s18, 0x7fff
	v_add3_u32 v1, v0, v1, s18
	v_cmp_o_f32_e32 vcc, v0, v0
	v_mov_b32_e32 v0, 0x7fc0
	v_cndmask_b32_sdwa v7, v0, v1, vcc dst_sel:DWORD dst_unused:UNUSED_PAD src0_sel:DWORD src1_sel:WORD_1
; %bb.1267:
	s_or_b64 exec, exec, s[16:17]
.LBB38_1268:
	s_or_b64 exec, exec, s[0:1]
                                        ; implicit-def: $vgpr9
.LBB38_1269:
	s_andn2_saveexec_b64 s[0:1], s[12:13]
; %bb.1270:
	v_xor_b32_e32 v0, 0x80000000, v9
	v_and_b32_e32 v0, 0x80000000, v0
	v_or_b32_e32 v0, 0x7f800000, v0
	v_lshrrev_b32_e32 v7, 16, v0
; %bb.1271:
	s_or_b64 exec, exec, s[0:1]
	s_lshl_b32 s3, s3, 7
	v_add_u32_e32 v9, s3, v8
	v_ashrrev_i32_e32 v1, 31, v9
	v_mov_b32_e32 v2, s11
	v_add_co_u32_e32 v0, vcc, s10, v9
	s_cmp_lt_i32 s24, 11
	v_addc_co_u32_e32 v1, vcc, v2, v1, vcc
	s_cbranch_scc1 .LBB38_1278
; %bb.1272:
	s_cmp_gt_i32 s24, 25
	s_mov_b64 s[12:13], 0
	s_cbranch_scc0 .LBB38_1280
; %bb.1273:
	s_cmp_gt_i32 s24, 28
	s_cbranch_scc0 .LBB38_1281
; %bb.1274:
	s_cmp_gt_i32 s24, 43
	;; [unrolled: 3-line block ×3, first 2 shown]
	s_cbranch_scc0 .LBB38_1284
; %bb.1276:
	s_cmp_eq_u32 s24, 46
	s_mov_b64 s[18:19], 0
	s_cbranch_scc0 .LBB38_1287
; %bb.1277:
	global_load_dword v2, v[0:1], off
	s_mov_b64 s[0:1], 0
	s_mov_b64 s[16:17], -1
	s_branch .LBB38_1288
.LBB38_1278:
	s_mov_b64 s[16:17], 0
                                        ; implicit-def: $vgpr2
	s_cbranch_execnz .LBB38_1353
.LBB38_1279:
	s_andn2_b64 vcc, exec, s[16:17]
	s_cbranch_vccnz .LBB38_1809
	s_branch .LBB38_1400
.LBB38_1280:
	s_mov_b64 s[16:17], 0
	s_mov_b64 s[0:1], 0
                                        ; implicit-def: $vgpr2
	s_cbranch_execnz .LBB38_1317
	s_branch .LBB38_1349
.LBB38_1281:
	s_mov_b64 s[18:19], -1
	s_mov_b64 s[16:17], 0
	s_mov_b64 s[0:1], 0
                                        ; implicit-def: $vgpr2
	s_branch .LBB38_1298
.LBB38_1282:
	s_mov_b64 s[18:19], -1
	s_mov_b64 s[16:17], 0
	s_mov_b64 s[0:1], 0
                                        ; implicit-def: $vgpr2
	s_branch .LBB38_1293
.LBB38_1283:
	s_or_b64 s[14:15], s[6:7], exec
	s_trap 2
	s_cbranch_execz .LBB38_1200
	s_branch .LBB38_1201
.LBB38_1284:
	s_mov_b64 s[18:19], -1
	s_mov_b64 s[16:17], 0
	s_mov_b64 s[0:1], 0
                                        ; implicit-def: $vgpr2
	s_branch .LBB38_1288
.LBB38_1285:
	s_andn2_saveexec_b64 s[24:25], s[24:25]
	s_cbranch_execz .LBB38_1048
.LBB38_1286:
	s_mov_b32 s28, 0x42800000
	v_add_f32_e64 v4, |v5|, s28
	v_and_b32_e32 v4, 0xff, v4
	v_cmp_ne_u32_e32 vcc, 0, v4
	s_andn2_b64 s[22:23], s[22:23], exec
	s_and_b64 s[28:29], vcc, exec
	s_or_b64 s[22:23], s[22:23], s[28:29]
	s_or_b64 exec, exec, s[24:25]
	v_mov_b32_e32 v6, 0
	s_and_saveexec_b64 s[24:25], s[22:23]
	s_cbranch_execnz .LBB38_1049
	s_branch .LBB38_1050
.LBB38_1287:
	s_mov_b64 s[0:1], -1
                                        ; implicit-def: $vgpr2
	s_mov_b64 s[16:17], 0
.LBB38_1288:
	s_and_b64 vcc, exec, s[18:19]
	s_cbranch_vccz .LBB38_1292
; %bb.1289:
	s_cmp_eq_u32 s24, 44
	s_cbranch_scc0 .LBB38_1291
; %bb.1290:
	global_load_ubyte v2, v[0:1], off
	s_movk_i32 s16, 0xff
	v_mov_b32_e32 v3, 0x7f800001
	v_mov_b32_e32 v4, 0x400000
	;; [unrolled: 1-line block ×3, first 2 shown]
	s_mov_b64 s[0:1], 0
	s_waitcnt vmcnt(0)
	v_lshlrev_b32_e32 v8, 23, v2
	v_cmp_ne_u32_e32 vcc, s16, v2
	v_cndmask_b32_e32 v3, v3, v8, vcc
	v_cmp_ne_u32_e32 vcc, 0, v2
	v_cndmask_b32_e32 v2, v4, v3, vcc
	v_add_u32_e32 v3, 0x7fff, v2
	v_cmp_o_f32_e32 vcc, v2, v2
	v_cndmask_b32_sdwa v2, v5, v3, vcc dst_sel:DWORD dst_unused:UNUSED_PAD src0_sel:DWORD src1_sel:WORD_1
	s_mov_b64 s[16:17], -1
	s_branch .LBB38_1292
.LBB38_1291:
	s_mov_b64 s[0:1], -1
                                        ; implicit-def: $vgpr2
.LBB38_1292:
	s_mov_b64 s[18:19], 0
.LBB38_1293:
	s_and_b64 vcc, exec, s[18:19]
	s_cbranch_vccz .LBB38_1297
; %bb.1294:
	s_cmp_eq_u32 s24, 29
	s_cbranch_scc0 .LBB38_1296
; %bb.1295:
	global_load_dwordx2 v[2:3], v[0:1], off
	s_movk_i32 s16, 0x7fff
	s_mov_b64 s[0:1], 0
	s_mov_b64 s[18:19], 0
	s_waitcnt vmcnt(0)
	v_ffbh_u32_e32 v4, v3
	v_min_u32_e32 v4, 32, v4
	v_lshlrev_b64 v[2:3], v4, v[2:3]
	v_min_u32_e32 v2, 1, v2
	v_or_b32_e32 v2, v3, v2
	v_cvt_f32_u32_e32 v2, v2
	v_sub_u32_e32 v3, 32, v4
	v_ldexp_f32 v2, v2, v3
	v_bfe_u32 v3, v2, 16, 1
	v_add3_u32 v2, v2, v3, s16
	v_lshrrev_b32_e32 v2, 16, v2
	s_mov_b64 s[16:17], -1
	s_branch .LBB38_1298
.LBB38_1296:
	s_mov_b64 s[0:1], -1
                                        ; implicit-def: $vgpr2
.LBB38_1297:
	s_mov_b64 s[18:19], 0
.LBB38_1298:
	s_and_b64 vcc, exec, s[18:19]
	s_cbranch_vccz .LBB38_1316
; %bb.1299:
	s_cmp_lt_i32 s24, 27
	s_cbranch_scc1 .LBB38_1302
; %bb.1300:
	s_cmp_gt_i32 s24, 27
	s_cbranch_scc0 .LBB38_1303
; %bb.1301:
	global_load_dword v2, v[0:1], off
	s_movk_i32 s16, 0x7fff
	s_waitcnt vmcnt(0)
	v_cvt_f32_u32_e32 v2, v2
	v_bfe_u32 v3, v2, 16, 1
	v_add3_u32 v2, v2, v3, s16
	v_lshrrev_b32_e32 v2, 16, v2
	s_mov_b64 s[16:17], 0
	s_branch .LBB38_1304
.LBB38_1302:
	s_mov_b64 s[16:17], -1
                                        ; implicit-def: $vgpr2
	s_branch .LBB38_1307
.LBB38_1303:
	s_mov_b64 s[16:17], -1
                                        ; implicit-def: $vgpr2
.LBB38_1304:
	s_andn2_b64 vcc, exec, s[16:17]
	s_cbranch_vccnz .LBB38_1306
; %bb.1305:
	global_load_ushort v2, v[0:1], off
	s_movk_i32 s16, 0x7fff
	s_waitcnt vmcnt(0)
	v_cvt_f32_u32_e32 v2, v2
	v_bfe_u32 v3, v2, 16, 1
	v_add3_u32 v2, v2, v3, s16
	v_lshrrev_b32_e32 v2, 16, v2
.LBB38_1306:
	s_mov_b64 s[16:17], 0
.LBB38_1307:
	s_andn2_b64 vcc, exec, s[16:17]
	s_cbranch_vccnz .LBB38_1315
; %bb.1308:
	global_load_ubyte v2, v[0:1], off
	s_movk_i32 s16, 0x7f
	s_waitcnt vmcnt(0)
	v_cmp_lt_i16_e32 vcc, s16, v2
	s_mov_b64 s[16:17], 0
	s_and_saveexec_b64 s[18:19], vcc
	s_xor_b64 s[18:19], exec, s[18:19]
	s_cbranch_execz .LBB38_1328
; %bb.1309:
	s_movk_i32 s16, 0x80
	v_cmp_eq_u16_e32 vcc, s16, v2
	s_mov_b64 s[16:17], -1
	s_and_saveexec_b64 s[20:21], vcc
; %bb.1310:
	s_xor_b64 s[16:17], exec, -1
; %bb.1311:
	s_or_b64 exec, exec, s[20:21]
	s_and_b64 s[16:17], s[16:17], exec
	s_or_saveexec_b64 s[18:19], s[18:19]
	v_mov_b32_e32 v3, 0x7f800001
	s_xor_b64 exec, exec, s[18:19]
	s_cbranch_execnz .LBB38_1329
.LBB38_1312:
	s_or_b64 exec, exec, s[18:19]
	s_and_saveexec_b64 s[18:19], s[16:17]
	s_cbranch_execz .LBB38_1314
.LBB38_1313:
	v_lshlrev_b32_e32 v3, 24, v2
	v_and_b32_e32 v2, 0xffff, v2
	v_and_b32_e32 v4, 7, v2
	v_ffbh_u32_e32 v8, v4
	v_min_u32_e32 v8, 32, v8
	v_subrev_u32_e32 v10, 28, v8
	v_bfe_u32 v5, v2, 3, 4
	v_lshlrev_b32_e32 v2, v10, v2
	v_sub_u32_e32 v8, 29, v8
	v_and_b32_e32 v2, 7, v2
	v_cmp_eq_u32_e32 vcc, 0, v5
	v_cndmask_b32_e32 v5, v5, v8, vcc
	v_cndmask_b32_e32 v2, v4, v2, vcc
	v_mov_b32_e32 v4, 0x3b800000
	v_lshlrev_b32_e32 v2, 20, v2
	v_and_b32_e32 v3, 0x80000000, v3
	v_lshl_add_u32 v4, v5, 23, v4
	v_or3_b32 v3, v3, v4, v2
.LBB38_1314:
	s_or_b64 exec, exec, s[18:19]
	v_bfe_u32 v2, v3, 16, 1
	s_movk_i32 s16, 0x7fff
	v_add3_u32 v2, v3, v2, s16
	v_cmp_o_f32_e32 vcc, v3, v3
	v_mov_b32_e32 v3, 0x7fc0
	v_cndmask_b32_sdwa v2, v3, v2, vcc dst_sel:DWORD dst_unused:UNUSED_PAD src0_sel:DWORD src1_sel:WORD_1
.LBB38_1315:
	s_mov_b64 s[16:17], -1
.LBB38_1316:
	s_branch .LBB38_1349
.LBB38_1317:
	s_cmp_gt_i32 s24, 22
	s_cbranch_scc0 .LBB38_1327
; %bb.1318:
	s_cmp_lt_i32 s24, 24
	s_cbranch_scc1 .LBB38_1330
; %bb.1319:
	s_cmp_gt_i32 s24, 24
	s_cbranch_scc0 .LBB38_1331
; %bb.1320:
	global_load_ubyte v2, v[0:1], off
	s_movk_i32 s12, 0x7f
	s_waitcnt vmcnt(0)
	v_cmp_lt_i16_e32 vcc, s12, v2
	s_mov_b64 s[12:13], 0
	s_and_saveexec_b64 s[16:17], vcc
	s_xor_b64 s[16:17], exec, s[16:17]
	s_cbranch_execz .LBB38_1343
; %bb.1321:
	s_movk_i32 s12, 0x80
	v_cmp_eq_u16_e32 vcc, s12, v2
	s_mov_b64 s[12:13], -1
	s_and_saveexec_b64 s[18:19], vcc
; %bb.1322:
	s_xor_b64 s[12:13], exec, -1
; %bb.1323:
	s_or_b64 exec, exec, s[18:19]
	s_and_b64 s[12:13], s[12:13], exec
	s_or_saveexec_b64 s[16:17], s[16:17]
	v_mov_b32_e32 v3, 0x7f800001
	s_xor_b64 exec, exec, s[16:17]
	s_cbranch_execnz .LBB38_1344
.LBB38_1324:
	s_or_b64 exec, exec, s[16:17]
	s_and_saveexec_b64 s[16:17], s[12:13]
	s_cbranch_execz .LBB38_1326
.LBB38_1325:
	v_lshlrev_b32_e32 v3, 24, v2
	v_and_b32_e32 v2, 0xffff, v2
	v_and_b32_e32 v4, 3, v2
	v_ffbh_u32_e32 v8, v4
	v_min_u32_e32 v8, 32, v8
	v_subrev_u32_e32 v10, 29, v8
	v_bfe_u32 v5, v2, 2, 5
	v_lshlrev_b32_e32 v2, v10, v2
	v_sub_u32_e32 v8, 30, v8
	v_and_b32_e32 v2, 3, v2
	v_cmp_eq_u32_e32 vcc, 0, v5
	v_cndmask_b32_e32 v5, v5, v8, vcc
	v_cndmask_b32_e32 v2, v4, v2, vcc
	v_mov_b32_e32 v4, 0x37800000
	v_lshlrev_b32_e32 v2, 21, v2
	v_and_b32_e32 v3, 0x80000000, v3
	v_lshl_add_u32 v4, v5, 23, v4
	v_or3_b32 v3, v3, v4, v2
.LBB38_1326:
	s_or_b64 exec, exec, s[16:17]
	v_bfe_u32 v2, v3, 16, 1
	s_movk_i32 s12, 0x7fff
	v_add3_u32 v2, v3, v2, s12
	v_cmp_o_f32_e32 vcc, v3, v3
	v_mov_b32_e32 v3, 0x7fc0
	v_cndmask_b32_sdwa v2, v3, v2, vcc dst_sel:DWORD dst_unused:UNUSED_PAD src0_sel:DWORD src1_sel:WORD_1
	s_mov_b64 s[12:13], 0
	s_branch .LBB38_1332
.LBB38_1327:
	s_mov_b64 s[12:13], -1
                                        ; implicit-def: $vgpr2
	s_branch .LBB38_1338
.LBB38_1328:
	s_or_saveexec_b64 s[18:19], s[18:19]
	v_mov_b32_e32 v3, 0x7f800001
	s_xor_b64 exec, exec, s[18:19]
	s_cbranch_execz .LBB38_1312
.LBB38_1329:
	v_cmp_ne_u16_e32 vcc, 0, v2
	s_andn2_b64 s[16:17], s[16:17], exec
	s_and_b64 s[20:21], vcc, exec
	v_mov_b32_e32 v3, 0
	s_or_b64 s[16:17], s[16:17], s[20:21]
	s_or_b64 exec, exec, s[18:19]
	s_and_saveexec_b64 s[18:19], s[16:17]
	s_cbranch_execnz .LBB38_1313
	s_branch .LBB38_1314
.LBB38_1330:
	s_mov_b64 s[12:13], -1
                                        ; implicit-def: $vgpr2
	s_branch .LBB38_1335
.LBB38_1331:
	s_mov_b64 s[12:13], -1
                                        ; implicit-def: $vgpr2
.LBB38_1332:
	s_and_b64 vcc, exec, s[12:13]
	s_cbranch_vccz .LBB38_1334
; %bb.1333:
	global_load_ubyte v2, v[0:1], off
	s_mov_b32 s12, 0x7f800000
	s_brev_b32 s13, 1
	s_movk_i32 s16, 0x7fff
	s_waitcnt vmcnt(0)
	v_lshlrev_b32_e32 v2, 24, v2
	v_and_b32_e32 v3, 0x7f000000, v2
	v_ffbh_u32_e32 v4, v3
	v_min_u32_e32 v4, 32, v4
	v_sub_u32_e64 v4, v4, 4 clamp
	v_lshlrev_b32_e32 v8, v4, v3
	v_lshlrev_b32_e32 v4, 23, v4
	v_lshrrev_b32_e32 v8, 4, v8
	v_add_u32_e32 v5, 0x1000000, v3
	v_sub_u32_e32 v4, v8, v4
	v_ashrrev_i32_e32 v5, 8, v5
	v_add_u32_e32 v4, 0x3c000000, v4
	v_and_or_b32 v4, v5, s12, v4
	v_cmp_ne_u32_e32 vcc, 0, v3
	v_cndmask_b32_e32 v3, 0, v4, vcc
	v_and_or_b32 v2, v2, s13, v3
	v_bfe_u32 v3, v3, 16, 1
	v_add3_u32 v3, v2, v3, s16
	v_cmp_o_f32_e32 vcc, v2, v2
	v_mov_b32_e32 v2, 0x7fc0
	v_cndmask_b32_sdwa v2, v2, v3, vcc dst_sel:DWORD dst_unused:UNUSED_PAD src0_sel:DWORD src1_sel:WORD_1
.LBB38_1334:
	s_mov_b64 s[12:13], 0
.LBB38_1335:
	s_andn2_b64 vcc, exec, s[12:13]
	s_cbranch_vccnz .LBB38_1337
; %bb.1336:
	global_load_ubyte v2, v[0:1], off
	s_movk_i32 s12, 0x7f00
	s_brev_b32 s13, 16
	s_brev_b32 s16, 1
	s_movk_i32 s17, 0x7fff
	s_waitcnt vmcnt(0)
	v_lshlrev_b16_e32 v3, 8, v2
	v_lshlrev_b32_e32 v2, 25, v2
	v_lshrrev_b32_e32 v4, 4, v2
	v_and_or_b32 v5, v3, s12, 0.5
	v_or_b32_e32 v4, 0x70000000, v4
	v_add_f32_e32 v5, -0.5, v5
	v_mul_f32_e32 v4, 0x7800000, v4
	v_cmp_gt_u32_e32 vcc, s13, v2
	v_bfe_i32 v3, v3, 0, 16
	v_cndmask_b32_e32 v2, v4, v5, vcc
	v_and_or_b32 v3, v3, s16, v2
	v_bfe_u32 v2, v2, 16, 1
	v_add3_u32 v2, v3, v2, s17
	v_cmp_o_f32_e32 vcc, v3, v3
	v_mov_b32_e32 v3, 0x7fc0
	v_cndmask_b32_sdwa v2, v3, v2, vcc dst_sel:DWORD dst_unused:UNUSED_PAD src0_sel:DWORD src1_sel:WORD_1
.LBB38_1337:
	s_mov_b64 s[12:13], 0
	s_mov_b64 s[16:17], -1
.LBB38_1338:
	s_andn2_b64 vcc, exec, s[12:13]
	s_mov_b64 s[12:13], 0
	s_cbranch_vccnz .LBB38_1349
; %bb.1339:
	s_cmp_gt_i32 s24, 14
	s_cbranch_scc0 .LBB38_1342
; %bb.1340:
	s_cmp_eq_u32 s24, 15
	s_cbranch_scc0 .LBB38_1345
; %bb.1341:
	global_load_ushort v2, v[0:1], off
	s_mov_b64 s[0:1], 0
	s_mov_b64 s[16:17], -1
	s_branch .LBB38_1346
.LBB38_1342:
	s_mov_b64 s[18:19], -1
                                        ; implicit-def: $vgpr2
	s_branch .LBB38_1347
.LBB38_1343:
	s_or_saveexec_b64 s[16:17], s[16:17]
	v_mov_b32_e32 v3, 0x7f800001
	s_xor_b64 exec, exec, s[16:17]
	s_cbranch_execz .LBB38_1324
.LBB38_1344:
	v_cmp_ne_u16_e32 vcc, 0, v2
	s_andn2_b64 s[12:13], s[12:13], exec
	s_and_b64 s[18:19], vcc, exec
	v_mov_b32_e32 v3, 0
	s_or_b64 s[12:13], s[12:13], s[18:19]
	s_or_b64 exec, exec, s[16:17]
	s_and_saveexec_b64 s[16:17], s[12:13]
	s_cbranch_execnz .LBB38_1325
	s_branch .LBB38_1326
.LBB38_1345:
	s_mov_b64 s[0:1], -1
                                        ; implicit-def: $vgpr2
.LBB38_1346:
	s_mov_b64 s[18:19], 0
.LBB38_1347:
	s_and_b64 vcc, exec, s[18:19]
	s_cbranch_vccz .LBB38_1349
; %bb.1348:
	s_cmp_lg_u32 s24, 11
	s_mov_b64 s[12:13], -1
	s_cselect_b64 s[0:1], -1, 0
.LBB38_1349:
	s_and_b64 vcc, exec, s[0:1]
	s_cbranch_vccnz .LBB38_1436
; %bb.1350:
	s_andn2_b64 vcc, exec, s[12:13]
	s_cbranch_vccnz .LBB38_1352
.LBB38_1351:
	global_load_ubyte v2, v[0:1], off
	s_mov_b64 s[16:17], -1
	s_waitcnt vmcnt(0)
	v_cmp_ne_u16_e32 vcc, 0, v2
	v_cndmask_b32_e64 v2, 0, 1.0, vcc
	v_lshrrev_b32_e32 v2, 16, v2
.LBB38_1352:
	s_branch .LBB38_1279
.LBB38_1353:
	s_cmp_lt_i32 s24, 5
	s_cbranch_scc1 .LBB38_1358
; %bb.1354:
	s_cmp_lt_i32 s24, 8
	s_cbranch_scc1 .LBB38_1359
; %bb.1355:
	;; [unrolled: 3-line block ×3, first 2 shown]
	s_cmp_gt_i32 s24, 9
	s_cbranch_scc0 .LBB38_1361
; %bb.1357:
	global_load_dwordx2 v[2:3], v[0:1], off
	s_movk_i32 s0, 0x7fff
	s_waitcnt vmcnt(0)
	v_cvt_f32_f64_e32 v2, v[2:3]
	v_mov_b32_e32 v3, 0x7fc0
	v_bfe_u32 v4, v2, 16, 1
	v_cmp_o_f32_e32 vcc, v2, v2
	v_add3_u32 v2, v2, v4, s0
	v_cndmask_b32_sdwa v2, v3, v2, vcc dst_sel:DWORD dst_unused:UNUSED_PAD src0_sel:DWORD src1_sel:WORD_1
	s_mov_b64 s[0:1], 0
	s_branch .LBB38_1362
.LBB38_1358:
                                        ; implicit-def: $vgpr2
	s_branch .LBB38_1380
.LBB38_1359:
	s_mov_b64 s[0:1], -1
                                        ; implicit-def: $vgpr2
	s_branch .LBB38_1368
.LBB38_1360:
	s_mov_b64 s[0:1], -1
                                        ; implicit-def: $vgpr2
	s_branch .LBB38_1365
.LBB38_1361:
	s_mov_b64 s[0:1], -1
                                        ; implicit-def: $vgpr2
.LBB38_1362:
	s_andn2_b64 vcc, exec, s[0:1]
	s_cbranch_vccnz .LBB38_1364
; %bb.1363:
	global_load_dword v2, v[0:1], off
	s_movk_i32 s0, 0x7fff
	v_mov_b32_e32 v3, 0x7fc0
	s_waitcnt vmcnt(0)
	v_bfe_u32 v4, v2, 16, 1
	v_cmp_o_f32_e32 vcc, v2, v2
	v_add3_u32 v2, v2, v4, s0
	v_cndmask_b32_sdwa v2, v3, v2, vcc dst_sel:DWORD dst_unused:UNUSED_PAD src0_sel:DWORD src1_sel:WORD_1
.LBB38_1364:
	s_mov_b64 s[0:1], 0
.LBB38_1365:
	s_andn2_b64 vcc, exec, s[0:1]
	s_cbranch_vccnz .LBB38_1367
; %bb.1366:
	global_load_dword v2, v[0:1], off
	s_movk_i32 s0, 0x7fff
	v_mov_b32_e32 v4, 0x7fc0
	s_waitcnt vmcnt(0)
	v_cvt_f32_f16_e32 v3, v2
	v_cmp_o_f16_e32 vcc, v2, v2
	v_bfe_u32 v2, v3, 16, 1
	v_add3_u32 v2, v3, v2, s0
	v_cndmask_b32_sdwa v2, v4, v2, vcc dst_sel:DWORD dst_unused:UNUSED_PAD src0_sel:DWORD src1_sel:WORD_1
.LBB38_1367:
	s_mov_b64 s[0:1], 0
.LBB38_1368:
	s_andn2_b64 vcc, exec, s[0:1]
	s_cbranch_vccnz .LBB38_1379
; %bb.1369:
	s_cmp_lt_i32 s24, 6
	s_cbranch_scc1 .LBB38_1372
; %bb.1370:
	s_cmp_gt_i32 s24, 6
	s_cbranch_scc0 .LBB38_1373
; %bb.1371:
	global_load_dwordx2 v[2:3], v[0:1], off
	s_movk_i32 s0, 0x7fff
	s_waitcnt vmcnt(0)
	v_cvt_f32_f64_e32 v2, v[2:3]
	v_mov_b32_e32 v3, 0x7fc0
	v_bfe_u32 v4, v2, 16, 1
	v_cmp_o_f32_e32 vcc, v2, v2
	v_add3_u32 v2, v2, v4, s0
	v_cndmask_b32_sdwa v2, v3, v2, vcc dst_sel:DWORD dst_unused:UNUSED_PAD src0_sel:DWORD src1_sel:WORD_1
	s_mov_b64 s[0:1], 0
	s_branch .LBB38_1374
.LBB38_1372:
	s_mov_b64 s[0:1], -1
                                        ; implicit-def: $vgpr2
	s_branch .LBB38_1377
.LBB38_1373:
	s_mov_b64 s[0:1], -1
                                        ; implicit-def: $vgpr2
.LBB38_1374:
	s_andn2_b64 vcc, exec, s[0:1]
	s_cbranch_vccnz .LBB38_1376
; %bb.1375:
	global_load_dword v2, v[0:1], off
	s_movk_i32 s0, 0x7fff
	v_mov_b32_e32 v3, 0x7fc0
	s_waitcnt vmcnt(0)
	v_bfe_u32 v4, v2, 16, 1
	v_cmp_o_f32_e32 vcc, v2, v2
	v_add3_u32 v2, v2, v4, s0
	v_cndmask_b32_sdwa v2, v3, v2, vcc dst_sel:DWORD dst_unused:UNUSED_PAD src0_sel:DWORD src1_sel:WORD_1
.LBB38_1376:
	s_mov_b64 s[0:1], 0
.LBB38_1377:
	s_andn2_b64 vcc, exec, s[0:1]
	s_cbranch_vccnz .LBB38_1379
; %bb.1378:
	global_load_ushort v2, v[0:1], off
	s_movk_i32 s0, 0x7fff
	v_mov_b32_e32 v4, 0x7fc0
	s_waitcnt vmcnt(0)
	v_cvt_f32_f16_e32 v3, v2
	v_cmp_o_f16_e32 vcc, v2, v2
	v_bfe_u32 v2, v3, 16, 1
	v_add3_u32 v2, v3, v2, s0
	v_cndmask_b32_sdwa v2, v4, v2, vcc dst_sel:DWORD dst_unused:UNUSED_PAD src0_sel:DWORD src1_sel:WORD_1
.LBB38_1379:
	s_cbranch_execnz .LBB38_1399
.LBB38_1380:
	s_cmp_lt_i32 s24, 2
	s_cbranch_scc1 .LBB38_1384
; %bb.1381:
	s_cmp_lt_i32 s24, 3
	s_cbranch_scc1 .LBB38_1385
; %bb.1382:
	s_cmp_gt_i32 s24, 3
	s_cbranch_scc0 .LBB38_1386
; %bb.1383:
	global_load_dwordx2 v[2:3], v[0:1], off
	s_movk_i32 s0, 0x7fff
	s_waitcnt vmcnt(0)
	v_xor_b32_e32 v5, v2, v3
	v_ffbh_i32_e32 v4, v3
	v_ashrrev_i32_e32 v5, 31, v5
	v_add_u32_e32 v4, -1, v4
	v_add_u32_e32 v5, 32, v5
	v_min_u32_e32 v4, v4, v5
	v_lshlrev_b64 v[2:3], v4, v[2:3]
	v_min_u32_e32 v2, 1, v2
	v_or_b32_e32 v2, v3, v2
	v_cvt_f32_i32_e32 v2, v2
	v_sub_u32_e32 v3, 32, v4
	v_ldexp_f32 v2, v2, v3
	v_bfe_u32 v3, v2, 16, 1
	v_add3_u32 v2, v2, v3, s0
	v_lshrrev_b32_e32 v2, 16, v2
	s_mov_b64 s[0:1], 0
	s_branch .LBB38_1387
.LBB38_1384:
	s_mov_b64 s[0:1], -1
                                        ; implicit-def: $vgpr2
	s_branch .LBB38_1393
.LBB38_1385:
	s_mov_b64 s[0:1], -1
                                        ; implicit-def: $vgpr2
	s_branch .LBB38_1390
.LBB38_1386:
	s_mov_b64 s[0:1], -1
                                        ; implicit-def: $vgpr2
.LBB38_1387:
	s_andn2_b64 vcc, exec, s[0:1]
	s_cbranch_vccnz .LBB38_1389
; %bb.1388:
	global_load_dword v2, v[0:1], off
	s_movk_i32 s0, 0x7fff
	s_waitcnt vmcnt(0)
	v_cvt_f32_i32_e32 v2, v2
	v_bfe_u32 v3, v2, 16, 1
	v_add3_u32 v2, v2, v3, s0
	v_lshrrev_b32_e32 v2, 16, v2
.LBB38_1389:
	s_mov_b64 s[0:1], 0
.LBB38_1390:
	s_andn2_b64 vcc, exec, s[0:1]
	s_cbranch_vccnz .LBB38_1392
; %bb.1391:
	global_load_sshort v2, v[0:1], off
	s_movk_i32 s0, 0x7fff
	s_waitcnt vmcnt(0)
	v_cvt_f32_i32_e32 v2, v2
	v_bfe_u32 v3, v2, 16, 1
	v_add3_u32 v2, v2, v3, s0
	v_lshrrev_b32_e32 v2, 16, v2
.LBB38_1392:
	s_mov_b64 s[0:1], 0
.LBB38_1393:
	s_andn2_b64 vcc, exec, s[0:1]
	s_cbranch_vccnz .LBB38_1399
; %bb.1394:
	s_cmp_gt_i32 s24, 0
	s_cbranch_scc0 .LBB38_1396
; %bb.1395:
	global_load_sbyte v2, v[0:1], off
	s_movk_i32 s0, 0x7fff
	s_waitcnt vmcnt(0)
	v_cvt_f32_i32_e32 v2, v2
	v_bfe_u32 v3, v2, 16, 1
	v_add3_u32 v2, v2, v3, s0
	v_lshrrev_b32_e32 v2, 16, v2
	s_mov_b64 s[0:1], 0
	s_branch .LBB38_1397
.LBB38_1396:
	s_mov_b64 s[0:1], -1
                                        ; implicit-def: $vgpr2
.LBB38_1397:
	s_andn2_b64 vcc, exec, s[0:1]
	s_cbranch_vccnz .LBB38_1399
; %bb.1398:
	global_load_ubyte v0, v[0:1], off
	s_movk_i32 s0, 0x7fff
	s_waitcnt vmcnt(0)
	v_cvt_f32_ubyte0_e32 v0, v0
	v_bfe_u32 v1, v0, 16, 1
	v_add3_u32 v0, v0, v1, s0
	v_lshrrev_b32_e32 v2, 16, v0
.LBB38_1399:
.LBB38_1400:
	s_waitcnt vmcnt(0)
	v_lshlrev_b32_e32 v10, 16, v2
	v_cmp_neq_f32_e32 vcc, 0, v10
                                        ; implicit-def: $vgpr8
	s_and_saveexec_b64 s[0:1], vcc
	s_xor_b64 s[12:13], exec, s[0:1]
	s_cbranch_execz .LBB38_1422
; %bb.1401:
	v_mov_b32_e32 v0, 0
	v_cmp_gt_f32_e32 vcc, 0, v10
	s_mov_b64 s[18:19], -1
	s_and_saveexec_b64 s[16:17], vcc
	s_cbranch_execz .LBB38_1409
; %bb.1402:
	v_trunc_f32_e32 v0, v10
	v_cmp_neq_f32_e32 vcc, v0, v10
	s_mov_b64 s[20:21], 0
	v_mov_b32_e32 v0, 0
	s_and_saveexec_b64 s[18:19], vcc
	s_cbranch_execz .LBB38_1408
; %bb.1403:
	v_cvt_f64_f32_e32 v[0:1], v10
	s_mov_b32 s0, 0
	s_mov_b32 s21, 0xc00921fb
	;; [unrolled: 1-line block ×3, first 2 shown]
	v_trunc_f64_e32 v[2:3], v[0:1]
	s_mov_b32 s1, 0x7ff00000
	v_cmp_neq_f64_e64 vcc, |v[0:1]|, s[0:1]
	v_bfrev_b32_e32 v4, 1
	s_mov_b32 s22, 0
	s_mov_b32 s23, 0x41d00000
                                        ; implicit-def: $vgpr8
	v_add_f64 v[2:3], v[0:1], -v[2:3]
	v_mul_f64 v[2:3], |v[2:3]|, s[20:21]
	v_cndmask_b32_e32 v1, v4, v3, vcc
	v_cndmask_b32_e32 v0, 0, v2, vcc
	v_cmp_nlt_f64_e64 s[22:23], |v[0:1]|, s[22:23]
                                        ; implicit-def: $vgpr2_vgpr3
                                        ; implicit-def: $vgpr4_vgpr5
	s_and_saveexec_b64 s[26:27], s[22:23]
	s_xor_b64 s[22:23], exec, s[26:27]
	s_cbranch_execz .LBB38_1405
; %bb.1404:
	v_trig_preop_f64 v[2:3], |v[0:1]|, 0
	s_mov_b32 s26, 0
	s_mov_b32 s27, 0x7b000000
	s_movk_i32 s21, 0xff80
	v_ldexp_f64 v[11:12], |v[0:1]|, s21
	v_cmp_ge_f64_e64 vcc, |v[0:1]|, s[26:27]
	v_trig_preop_f64 v[4:5], |v[0:1]|, 1
	v_and_b32_e32 v8, 0x7fffffff, v1
	v_trig_preop_f64 v[17:18], |v[0:1]|, 2
	s_mov_b32 s21, 0x3ff921fb
	v_cndmask_b32_e32 v12, v8, v12, vcc
	v_cndmask_b32_e32 v11, v0, v11, vcc
	v_mov_b32_e32 v8, 0x40100000
	v_mul_f64 v[13:14], v[2:3], v[11:12]
	v_mul_f64 v[15:16], v[4:5], v[11:12]
	;; [unrolled: 1-line block ×3, first 2 shown]
	v_fma_f64 v[2:3], v[2:3], v[11:12], -v[13:14]
	v_fma_f64 v[4:5], v[4:5], v[11:12], -v[15:16]
	;; [unrolled: 1-line block ×3, first 2 shown]
	v_add_f64 v[19:20], v[15:16], v[2:3]
	v_add_f64 v[27:28], v[23:24], v[4:5]
	v_add_f64 v[21:22], v[19:20], -v[15:16]
	v_add_f64 v[25:26], v[19:20], -v[21:22]
	;; [unrolled: 1-line block ×3, first 2 shown]
	v_add_f64 v[21:22], v[13:14], v[19:20]
	v_add_f64 v[15:16], v[15:16], -v[25:26]
	v_add_f64 v[25:26], v[27:28], -v[23:24]
	;; [unrolled: 1-line block ×3, first 2 shown]
	v_ldexp_f64 v[21:22], v[21:22], -2
	v_add_f64 v[2:3], v[2:3], v[15:16]
	v_add_f64 v[4:5], v[4:5], -v[25:26]
	v_add_f64 v[15:16], v[27:28], -v[25:26]
	v_fract_f64_e32 v[25:26], v[21:22]
	v_add_f64 v[13:14], v[19:20], -v[13:14]
	v_cmp_neq_f64_e64 vcc, |v[21:22]|, s[0:1]
	v_add_f64 v[19:20], v[27:28], v[2:3]
	v_add_f64 v[15:16], v[23:24], -v[15:16]
	v_ldexp_f64 v[25:26], v[25:26], 2
	v_add_f64 v[21:22], v[19:20], -v[27:28]
	v_add_f64 v[4:5], v[4:5], v[15:16]
	v_cndmask_b32_e32 v16, 0, v26, vcc
	v_cndmask_b32_e32 v15, 0, v25, vcc
	v_add_f64 v[25:26], v[13:14], v[19:20]
	v_add_f64 v[2:3], v[2:3], -v[21:22]
	v_add_f64 v[21:22], v[19:20], -v[21:22]
	;; [unrolled: 1-line block ×4, first 2 shown]
	v_add_f64 v[27:28], v[25:26], v[15:16]
	v_add_f64 v[13:14], v[19:20], -v[13:14]
	v_add_f64 v[2:3], v[2:3], v[21:22]
	v_cmp_gt_f64_e32 vcc, 0, v[27:28]
	v_mov_b32_e32 v27, 0
	v_add_f64 v[2:3], v[4:5], v[2:3]
	v_cndmask_b32_e32 v28, 0, v8, vcc
	v_add_f64 v[15:16], v[15:16], v[27:28]
	v_add_f64 v[2:3], v[11:12], v[2:3]
	;; [unrolled: 1-line block ×4, first 2 shown]
	v_mov_b32_e32 v13, 0x3ff00000
	v_cvt_i32_f64_e32 v8, v[21:22]
	v_cvt_f64_i32_e32 v[21:22], v8
	v_add_f64 v[15:16], v[15:16], -v[21:22]
	v_add_f64 v[4:5], v[25:26], v[15:16]
	v_add_f64 v[11:12], v[4:5], -v[15:16]
	v_cmp_le_f64_e32 vcc, 0.5, v[4:5]
	v_add_f64 v[11:12], v[25:26], -v[11:12]
	v_cndmask_b32_e32 v28, 0, v13, vcc
	v_add_f64 v[4:5], v[4:5], -v[27:28]
	v_addc_co_u32_e64 v8, s[0:1], 0, v8, vcc
	s_mov_b32 s0, 0x33145c07
	s_mov_b32 s1, 0x3c91a626
	v_add_f64 v[2:3], v[2:3], v[11:12]
	v_add_f64 v[11:12], v[4:5], v[2:3]
	v_mul_f64 v[13:14], v[11:12], s[20:21]
	v_add_f64 v[4:5], v[11:12], -v[4:5]
	v_fma_f64 v[15:16], v[11:12], s[20:21], -v[13:14]
	v_add_f64 v[2:3], v[2:3], -v[4:5]
	v_fma_f64 v[4:5], v[11:12], s[0:1], v[15:16]
	v_fma_f64 v[4:5], v[2:3], s[20:21], v[4:5]
	v_add_f64 v[2:3], v[13:14], v[4:5]
	v_add_f64 v[11:12], v[2:3], -v[13:14]
	v_add_f64 v[4:5], v[4:5], -v[11:12]
.LBB38_1405:
	s_andn2_saveexec_b64 s[0:1], s[22:23]
	s_cbranch_execz .LBB38_1407
; %bb.1406:
	s_mov_b32 s20, 0x6dc9c883
	s_mov_b32 s21, 0x3fe45f30
	v_mul_f64 v[2:3], |v[0:1]|, s[20:21]
	s_mov_b32 s20, 0x54442d18
	s_mov_b32 s21, 0xbff921fb
	;; [unrolled: 1-line block ×4, first 2 shown]
	v_rndne_f64_e32 v[11:12], v[2:3]
	v_fma_f64 v[2:3], v[11:12], s[20:21], |v[0:1]|
	v_mul_f64 v[4:5], v[11:12], s[22:23]
	s_mov_b32 s20, 0x252049c0
	s_mov_b32 s21, 0xb97b839a
	v_cvt_i32_f64_e32 v8, v[11:12]
	v_fma_f64 v[17:18], v[11:12], s[22:23], v[2:3]
	v_add_f64 v[13:14], v[2:3], v[4:5]
	s_mov_b32 s23, 0x3c91a626
	v_add_f64 v[15:16], v[2:3], -v[13:14]
	v_add_f64 v[13:14], v[13:14], -v[17:18]
	v_add_f64 v[2:3], v[15:16], v[4:5]
	v_fma_f64 v[4:5], v[11:12], s[22:23], v[4:5]
	v_add_f64 v[2:3], v[13:14], v[2:3]
	v_add_f64 v[2:3], v[2:3], -v[4:5]
	v_fma_f64 v[4:5], v[11:12], s[20:21], v[2:3]
	v_add_f64 v[2:3], v[17:18], v[4:5]
	v_add_f64 v[13:14], v[2:3], -v[17:18]
	v_add_f64 v[4:5], v[4:5], -v[13:14]
.LBB38_1407:
	s_or_b64 exec, exec, s[0:1]
	v_mul_f64 v[11:12], v[2:3], v[2:3]
	v_add_f64 v[13:14], v[4:5], v[4:5]
	s_mov_b32 s0, 0xc751c08c
	s_mov_b32 s1, 0x3ef5e089
	v_and_b32_e32 v8, 1, v8
	v_cmp_eq_u32_e32 vcc, 0, v8
	s_mov_b32 s22, 0x54442d18
	s_mov_b32 s23, 0xc00921fb
	v_fma_f64 v[15:16], v[2:3], v[2:3], -v[11:12]
	s_mov_b64 s[20:21], exec
	v_sub_f32_e32 v10, 1.0, v10
	v_fma_f64 v[13:14], v[2:3], v[13:14], v[15:16]
	v_add_f64 v[11:12], v[11:12], v[13:14]
	v_mov_b32_e32 v13, 0xa9a29f71
	v_mov_b32_e32 v14, 0xbf078809
	v_fma_f64 v[13:14], v[11:12], s[0:1], v[13:14]
	s_mov_b32 s0, 0x90a8aae0
	s_mov_b32 s1, 0x3f17746f
	v_fma_f64 v[13:14], v[11:12], v[13:14], s[0:1]
	s_mov_b32 s0, 0xa6fbf144
	s_mov_b32 s1, 0xbefbb44d
	;; [unrolled: 3-line block ×12, first 2 shown]
	v_fma_f64 v[13:14], v[11:12], v[13:14], s[0:1]
	s_movk_i32 s0, 0x1f8
	v_cmp_class_f64_e64 s[0:1], v[0:1], s0
	v_mul_f64 v[11:12], v[11:12], v[13:14]
	v_mul_f64 v[13:14], v[2:3], v[11:12]
	v_add_f64 v[15:16], v[2:3], v[13:14]
	v_fma_f64 v[11:12], v[2:3], v[11:12], -v[13:14]
	v_add_f64 v[2:3], v[15:16], -v[2:3]
	v_add_f64 v[4:5], v[4:5], v[11:12]
	v_add_f64 v[2:3], v[13:14], -v[2:3]
	v_add_f64 v[2:3], v[4:5], v[2:3]
	v_add_f64 v[4:5], v[15:16], v[2:3]
	v_rcp_f64_e32 v[11:12], v[4:5]
	v_fma_f64 v[13:14], -v[4:5], v[11:12], 1.0
	v_fma_f64 v[11:12], v[13:14], v[11:12], v[11:12]
	v_fma_f64 v[13:14], -v[4:5], v[11:12], 1.0
	v_fma_f64 v[11:12], v[13:14], v[11:12], v[11:12]
	v_add_f64 v[13:14], v[4:5], -v[15:16]
	v_mul_f64 v[15:16], v[4:5], v[11:12]
	v_add_f64 v[2:3], v[2:3], -v[13:14]
	v_fma_f64 v[13:14], v[11:12], v[4:5], -v[15:16]
	v_fma_f64 v[2:3], v[11:12], v[2:3], v[13:14]
	v_add_f64 v[13:14], v[15:16], v[2:3]
	v_add_f64 v[17:18], -v[13:14], 1.0
	v_add_f64 v[15:16], v[13:14], -v[15:16]
	v_add_f64 v[19:20], -v[17:18], 1.0
	v_add_f64 v[2:3], v[15:16], -v[2:3]
	v_add_f64 v[13:14], v[19:20], -v[13:14]
	v_add_f64 v[2:3], v[2:3], v[13:14]
	v_add_f64 v[2:3], v[17:18], v[2:3]
	v_mul_f64 v[2:3], v[11:12], v[2:3]
	v_add_f64 v[2:3], v[11:12], v[2:3]
	v_and_b32_e32 v11, 0x80000000, v1
	v_mov_b32_e32 v1, 0x7ff80000
	v_xor_b32_e32 v0, 0x80000000, v3
	v_cndmask_b32_e32 v2, v2, v4, vcc
	v_cndmask_b32_e32 v3, v0, v5, vcc
	v_cndmask_b32_e64 v0, 0, v2, s[0:1]
	v_xor_b32_e32 v2, v3, v11
	v_cndmask_b32_e64 v1, v1, v2, s[0:1]
	v_div_scale_f64 v[2:3], s[0:1], v[0:1], v[0:1], s[22:23]
	v_div_scale_f64 v[13:14], vcc, s[22:23], v[0:1], s[22:23]
	v_rcp_f64_e32 v[4:5], v[2:3]
	v_fma_f64 v[11:12], -v[2:3], v[4:5], 1.0
	v_fma_f64 v[4:5], v[4:5], v[11:12], v[4:5]
	v_fma_f64 v[11:12], -v[2:3], v[4:5], 1.0
	v_fma_f64 v[4:5], v[4:5], v[11:12], v[4:5]
	v_mul_f64 v[11:12], v[13:14], v[4:5]
	v_fma_f64 v[2:3], -v[2:3], v[11:12], v[13:14]
	v_div_fmas_f64 v[2:3], v[2:3], v[4:5], v[11:12]
	v_div_fixup_f64 v[0:1], v[2:3], v[0:1], s[22:23]
	v_cvt_f32_f64_e32 v0, v[0:1]
.LBB38_1408:
	s_or_b64 exec, exec, s[18:19]
	s_orn2_b64 s[18:19], s[20:21], exec
.LBB38_1409:
	s_or_b64 exec, exec, s[16:17]
	v_mov_b32_e32 v8, 0x7fc0
	s_and_saveexec_b64 s[0:1], s[18:19]
	s_cbranch_execz .LBB38_1421
; %bb.1410:
	s_mov_b32 s20, 0x41200000
	v_cmp_gt_f32_e32 vcc, s20, v10
	s_and_saveexec_b64 s[16:17], vcc
	s_cbranch_execz .LBB38_1414
; %bb.1411:
	s_mov_b64 s[18:19], 0
.LBB38_1412:                            ; =>This Inner Loop Header: Depth=1
	v_div_scale_f32 v1, s[22:23], v10, v10, 1.0
	v_div_scale_f32 v2, vcc, 1.0, v10, 1.0
	v_rcp_f32_e32 v3, v1
	v_fma_f32 v4, -v1, v3, 1.0
	v_fmac_f32_e32 v3, v4, v3
	v_mul_f32_e32 v4, v2, v3
	v_fma_f32 v5, -v1, v4, v2
	v_fmac_f32_e32 v4, v5, v3
	v_fma_f32 v1, -v1, v4, v2
	v_div_fmas_f32 v1, v1, v3, v4
	v_div_fixup_f32 v1, v1, v10, 1.0
	v_add_f32_e32 v10, 1.0, v10
	v_cmp_ngt_f32_e32 vcc, s20, v10
	s_or_b64 s[18:19], vcc, s[18:19]
	v_sub_f32_e32 v0, v0, v1
	s_andn2_b64 exec, exec, s[18:19]
	s_cbranch_execnz .LBB38_1412
; %bb.1413:
	s_or_b64 exec, exec, s[18:19]
.LBB38_1414:
	s_or_b64 exec, exec, s[16:17]
	s_mov_b32 s16, 0x41200000
	v_cmp_neq_f32_e32 vcc, s16, v10
                                        ; implicit-def: $vgpr8
	s_and_saveexec_b64 s[16:17], vcc
	s_xor_b64 s[16:17], exec, s[16:17]
	s_cbranch_execz .LBB38_1418
; %bb.1415:
	v_cvt_f64_f32_e32 v[1:2], v10
	s_mov_b32 s18, 0x85d8a000
	s_mov_b32 s19, 0x43763457
	v_cmp_gt_f64_e32 vcc, s[18:19], v[1:2]
	v_mov_b32_e32 v1, 0
	s_and_saveexec_b64 s[18:19], vcc
	s_cbranch_execz .LBB38_1417
; %bb.1416:
	v_mul_f32_e32 v1, v10, v10
	v_div_scale_f32 v2, s[20:21], v1, v1, 1.0
	v_div_scale_f32 v3, vcc, 1.0, v1, 1.0
	v_mov_b32_e32 v11, 0x3b820821
	v_rcp_f32_e32 v4, v2
	v_fma_f32 v5, -v2, v4, 1.0
	v_fmac_f32_e32 v4, v5, v4
	v_mul_f32_e32 v5, v3, v4
	v_fma_f32 v8, -v2, v5, v3
	v_fmac_f32_e32 v5, v8, v4
	v_fma_f32 v2, -v2, v5, v3
	v_div_fmas_f32 v2, v2, v4, v5
	v_mov_b32_e32 v3, 0x3daaaaab
	v_mov_b32_e32 v4, 0xbcaccacd
	;; [unrolled: 1-line block ×4, first 2 shown]
	v_div_fixup_f32 v1, v2, v1, 1.0
	v_fma_f32 v2, 0, v1, v3
	v_fmac_f32_e32 v4, v1, v2
	v_fmac_f32_e32 v5, v1, v4
	;; [unrolled: 1-line block ×4, first 2 shown]
	v_mov_b32_e32 v2, 0xbc088889
	v_fmac_f32_e32 v2, v1, v11
	v_fmac_f32_e32 v3, v1, v2
	v_mul_f32_e32 v1, v1, v3
.LBB38_1417:
	s_or_b64 exec, exec, s[18:19]
	v_div_scale_f32 v2, s[18:19], v10, v10, -0.5
	v_div_scale_f32 v3, vcc, -0.5, v10, -0.5
	s_mov_b32 s18, 0x800000
	s_mov_b32 s19, 0x3f317217
	;; [unrolled: 1-line block ×3, first 2 shown]
	v_rcp_f32_e32 v4, v2
	v_fma_f32 v5, -v2, v4, 1.0
	v_fmac_f32_e32 v4, v5, v4
	v_mul_f32_e32 v5, v3, v4
	v_fma_f32 v8, -v2, v5, v3
	v_fmac_f32_e32 v5, v8, v4
	v_fma_f32 v2, -v2, v5, v3
	v_div_fmas_f32 v2, v2, v4, v5
	v_cmp_gt_f32_e32 vcc, s18, v10
	v_cndmask_b32_e64 v4, 0, 32, vcc
	v_ldexp_f32 v4, v10, v4
	v_log_f32_e32 v4, v4
	v_mov_b32_e32 v3, 0x41b17218
	v_cndmask_b32_e32 v3, 0, v3, vcc
	s_movk_i32 s18, 0x7fff
	v_mul_f32_e32 v8, 0x3f317217, v4
	v_fma_f32 v8, v4, s19, -v8
	v_fmac_f32_e32 v8, 0x3377d1cf, v4
	v_fmac_f32_e32 v8, 0x3f317217, v4
	v_cmp_lt_f32_e64 vcc, |v4|, s20
	v_cndmask_b32_e32 v4, v4, v8, vcc
	v_sub_f32_e32 v3, v4, v3
	v_mov_b32_e32 v5, 0x7fc0
	v_div_fixup_f32 v2, v2, v10, -0.5
	v_add_f32_e32 v2, v3, v2
	v_sub_f32_e32 v1, v2, v1
	v_add_f32_e32 v0, v0, v1
	v_bfe_u32 v1, v0, 16, 1
	v_cmp_o_f32_e32 vcc, v0, v0
	v_add3_u32 v0, v0, v1, s18
	v_cndmask_b32_sdwa v8, v5, v0, vcc dst_sel:DWORD dst_unused:UNUSED_PAD src0_sel:DWORD src1_sel:WORD_1
                                        ; implicit-def: $vgpr0
.LBB38_1418:
	s_andn2_saveexec_b64 s[16:17], s[16:17]
; %bb.1419:
	v_add_f32_e32 v0, 0x40101cb7, v0
	v_bfe_u32 v1, v0, 16, 1
	s_movk_i32 s18, 0x7fff
	v_add3_u32 v1, v0, v1, s18
	v_cmp_o_f32_e32 vcc, v0, v0
	v_mov_b32_e32 v0, 0x7fc0
	v_cndmask_b32_sdwa v8, v0, v1, vcc dst_sel:DWORD dst_unused:UNUSED_PAD src0_sel:DWORD src1_sel:WORD_1
; %bb.1420:
	s_or_b64 exec, exec, s[16:17]
.LBB38_1421:
	s_or_b64 exec, exec, s[0:1]
                                        ; implicit-def: $vgpr10
.LBB38_1422:
	s_andn2_saveexec_b64 s[0:1], s[12:13]
; %bb.1423:
	v_xor_b32_e32 v0, 0x80000000, v10
	v_and_b32_e32 v0, 0x80000000, v0
	v_or_b32_e32 v0, 0x7f800000, v0
	v_lshrrev_b32_e32 v8, 16, v0
; %bb.1424:
	s_or_b64 exec, exec, s[0:1]
	v_add_u32_e32 v10, s3, v9
	v_ashrrev_i32_e32 v1, 31, v10
	v_mov_b32_e32 v2, s11
	v_add_co_u32_e32 v0, vcc, s10, v10
	s_cmp_lt_i32 s24, 11
	v_addc_co_u32_e32 v1, vcc, v2, v1, vcc
	s_cbranch_scc1 .LBB38_1431
; %bb.1425:
	s_cmp_gt_i32 s24, 25
	s_mov_b64 s[12:13], 0
	s_cbranch_scc0 .LBB38_1433
; %bb.1426:
	s_cmp_gt_i32 s24, 28
	s_cbranch_scc0 .LBB38_1434
; %bb.1427:
	s_cmp_gt_i32 s24, 43
	;; [unrolled: 3-line block ×3, first 2 shown]
	s_cbranch_scc0 .LBB38_1437
; %bb.1429:
	s_cmp_eq_u32 s24, 46
	s_mov_b64 s[18:19], 0
	s_cbranch_scc0 .LBB38_1438
; %bb.1430:
	global_load_dword v2, v[0:1], off
	s_mov_b64 s[0:1], 0
	s_mov_b64 s[16:17], -1
	s_branch .LBB38_1439
.LBB38_1431:
	s_mov_b64 s[16:17], 0
                                        ; implicit-def: $vgpr2
	s_cbranch_execnz .LBB38_1505
.LBB38_1432:
	s_andn2_b64 vcc, exec, s[16:17]
	s_cbranch_vccnz .LBB38_1809
	s_branch .LBB38_1553
.LBB38_1433:
	s_mov_b64 s[18:19], -1
	s_mov_b64 s[16:17], 0
	s_mov_b64 s[0:1], 0
                                        ; implicit-def: $vgpr2
	s_branch .LBB38_1468
.LBB38_1434:
	s_mov_b64 s[18:19], -1
	s_mov_b64 s[16:17], 0
	s_mov_b64 s[0:1], 0
                                        ; implicit-def: $vgpr2
	s_branch .LBB38_1449
.LBB38_1435:
	s_mov_b64 s[18:19], -1
	s_mov_b64 s[16:17], 0
	s_mov_b64 s[0:1], 0
                                        ; implicit-def: $vgpr2
	s_branch .LBB38_1444
.LBB38_1436:
	s_trap 2
	s_or_b64 s[14:15], s[14:15], exec
	s_cbranch_execz .LBB38_1351
	s_branch .LBB38_1352
.LBB38_1437:
	s_mov_b64 s[18:19], -1
	s_mov_b64 s[16:17], 0
	s_mov_b64 s[0:1], 0
                                        ; implicit-def: $vgpr2
	s_branch .LBB38_1439
.LBB38_1438:
	s_mov_b64 s[0:1], -1
                                        ; implicit-def: $vgpr2
	s_mov_b64 s[16:17], 0
.LBB38_1439:
	s_and_b64 vcc, exec, s[18:19]
	s_cbranch_vccz .LBB38_1443
; %bb.1440:
	s_cmp_eq_u32 s24, 44
	s_cbranch_scc0 .LBB38_1442
; %bb.1441:
	global_load_ubyte v2, v[0:1], off
	s_movk_i32 s16, 0xff
	v_mov_b32_e32 v3, 0x7f800001
	v_mov_b32_e32 v4, 0x400000
	;; [unrolled: 1-line block ×3, first 2 shown]
	s_mov_b64 s[0:1], 0
	s_waitcnt vmcnt(0)
	v_lshlrev_b32_e32 v9, 23, v2
	v_cmp_ne_u32_e32 vcc, s16, v2
	v_cndmask_b32_e32 v3, v3, v9, vcc
	v_cmp_ne_u32_e32 vcc, 0, v2
	v_cndmask_b32_e32 v2, v4, v3, vcc
	v_add_u32_e32 v3, 0x7fff, v2
	v_cmp_o_f32_e32 vcc, v2, v2
	v_cndmask_b32_sdwa v2, v5, v3, vcc dst_sel:DWORD dst_unused:UNUSED_PAD src0_sel:DWORD src1_sel:WORD_1
	s_mov_b64 s[16:17], -1
	s_branch .LBB38_1443
.LBB38_1442:
	s_mov_b64 s[0:1], -1
                                        ; implicit-def: $vgpr2
.LBB38_1443:
	s_mov_b64 s[18:19], 0
.LBB38_1444:
	s_and_b64 vcc, exec, s[18:19]
	s_cbranch_vccz .LBB38_1448
; %bb.1445:
	s_cmp_eq_u32 s24, 29
	s_cbranch_scc0 .LBB38_1447
; %bb.1446:
	global_load_dwordx2 v[2:3], v[0:1], off
	s_movk_i32 s16, 0x7fff
	s_mov_b64 s[0:1], 0
	s_mov_b64 s[18:19], 0
	s_waitcnt vmcnt(0)
	v_ffbh_u32_e32 v4, v3
	v_min_u32_e32 v4, 32, v4
	v_lshlrev_b64 v[2:3], v4, v[2:3]
	v_min_u32_e32 v2, 1, v2
	v_or_b32_e32 v2, v3, v2
	v_cvt_f32_u32_e32 v2, v2
	v_sub_u32_e32 v3, 32, v4
	v_ldexp_f32 v2, v2, v3
	v_bfe_u32 v3, v2, 16, 1
	v_add3_u32 v2, v2, v3, s16
	v_lshrrev_b32_e32 v2, 16, v2
	s_mov_b64 s[16:17], -1
	s_branch .LBB38_1449
.LBB38_1447:
	s_mov_b64 s[0:1], -1
                                        ; implicit-def: $vgpr2
.LBB38_1448:
	s_mov_b64 s[18:19], 0
.LBB38_1449:
	s_and_b64 vcc, exec, s[18:19]
	s_cbranch_vccz .LBB38_1467
; %bb.1450:
	s_cmp_lt_i32 s24, 27
	s_cbranch_scc1 .LBB38_1453
; %bb.1451:
	s_cmp_gt_i32 s24, 27
	s_cbranch_scc0 .LBB38_1454
; %bb.1452:
	global_load_dword v2, v[0:1], off
	s_movk_i32 s16, 0x7fff
	s_waitcnt vmcnt(0)
	v_cvt_f32_u32_e32 v2, v2
	v_bfe_u32 v3, v2, 16, 1
	v_add3_u32 v2, v2, v3, s16
	v_lshrrev_b32_e32 v2, 16, v2
	s_mov_b64 s[16:17], 0
	s_branch .LBB38_1455
.LBB38_1453:
	s_mov_b64 s[16:17], -1
                                        ; implicit-def: $vgpr2
	s_branch .LBB38_1458
.LBB38_1454:
	s_mov_b64 s[16:17], -1
                                        ; implicit-def: $vgpr2
.LBB38_1455:
	s_andn2_b64 vcc, exec, s[16:17]
	s_cbranch_vccnz .LBB38_1457
; %bb.1456:
	global_load_ushort v2, v[0:1], off
	s_movk_i32 s16, 0x7fff
	s_waitcnt vmcnt(0)
	v_cvt_f32_u32_e32 v2, v2
	v_bfe_u32 v3, v2, 16, 1
	v_add3_u32 v2, v2, v3, s16
	v_lshrrev_b32_e32 v2, 16, v2
.LBB38_1457:
	s_mov_b64 s[16:17], 0
.LBB38_1458:
	s_andn2_b64 vcc, exec, s[16:17]
	s_cbranch_vccnz .LBB38_1466
; %bb.1459:
	global_load_ubyte v2, v[0:1], off
	s_movk_i32 s16, 0x7f
	s_waitcnt vmcnt(0)
	v_cmp_lt_i16_e32 vcc, s16, v2
	s_mov_b64 s[16:17], 0
	s_and_saveexec_b64 s[18:19], vcc
	s_xor_b64 s[18:19], exec, s[18:19]
	s_cbranch_execz .LBB38_1480
; %bb.1460:
	s_movk_i32 s16, 0x80
	v_cmp_eq_u16_e32 vcc, s16, v2
	s_mov_b64 s[16:17], -1
	s_and_saveexec_b64 s[20:21], vcc
; %bb.1461:
	s_xor_b64 s[16:17], exec, -1
; %bb.1462:
	s_or_b64 exec, exec, s[20:21]
	s_and_b64 s[16:17], s[16:17], exec
	s_or_saveexec_b64 s[18:19], s[18:19]
	v_mov_b32_e32 v3, 0x7f800001
	s_xor_b64 exec, exec, s[18:19]
	s_cbranch_execnz .LBB38_1481
.LBB38_1463:
	s_or_b64 exec, exec, s[18:19]
	s_and_saveexec_b64 s[18:19], s[16:17]
	s_cbranch_execz .LBB38_1465
.LBB38_1464:
	v_lshlrev_b32_e32 v3, 24, v2
	v_and_b32_e32 v2, 0xffff, v2
	v_and_b32_e32 v4, 7, v2
	v_ffbh_u32_e32 v9, v4
	v_min_u32_e32 v9, 32, v9
	v_subrev_u32_e32 v11, 28, v9
	v_bfe_u32 v5, v2, 3, 4
	v_lshlrev_b32_e32 v2, v11, v2
	v_sub_u32_e32 v9, 29, v9
	v_and_b32_e32 v2, 7, v2
	v_cmp_eq_u32_e32 vcc, 0, v5
	v_cndmask_b32_e32 v5, v5, v9, vcc
	v_cndmask_b32_e32 v2, v4, v2, vcc
	v_mov_b32_e32 v4, 0x3b800000
	v_lshlrev_b32_e32 v2, 20, v2
	v_and_b32_e32 v3, 0x80000000, v3
	v_lshl_add_u32 v4, v5, 23, v4
	v_or3_b32 v3, v3, v4, v2
.LBB38_1465:
	s_or_b64 exec, exec, s[18:19]
	v_bfe_u32 v2, v3, 16, 1
	s_movk_i32 s16, 0x7fff
	v_add3_u32 v2, v3, v2, s16
	v_cmp_o_f32_e32 vcc, v3, v3
	v_mov_b32_e32 v3, 0x7fc0
	v_cndmask_b32_sdwa v2, v3, v2, vcc dst_sel:DWORD dst_unused:UNUSED_PAD src0_sel:DWORD src1_sel:WORD_1
.LBB38_1466:
	s_mov_b64 s[16:17], -1
.LBB38_1467:
	s_mov_b64 s[18:19], 0
.LBB38_1468:
	s_and_b64 vcc, exec, s[18:19]
	s_cbranch_vccz .LBB38_1501
; %bb.1469:
	s_cmp_gt_i32 s24, 22
	s_cbranch_scc0 .LBB38_1479
; %bb.1470:
	s_cmp_lt_i32 s24, 24
	s_cbranch_scc1 .LBB38_1482
; %bb.1471:
	s_cmp_gt_i32 s24, 24
	s_cbranch_scc0 .LBB38_1483
; %bb.1472:
	global_load_ubyte v2, v[0:1], off
	s_movk_i32 s12, 0x7f
	s_waitcnt vmcnt(0)
	v_cmp_lt_i16_e32 vcc, s12, v2
	s_mov_b64 s[12:13], 0
	s_and_saveexec_b64 s[16:17], vcc
	s_xor_b64 s[16:17], exec, s[16:17]
	s_cbranch_execz .LBB38_1495
; %bb.1473:
	s_movk_i32 s12, 0x80
	v_cmp_eq_u16_e32 vcc, s12, v2
	s_mov_b64 s[12:13], -1
	s_and_saveexec_b64 s[18:19], vcc
; %bb.1474:
	s_xor_b64 s[12:13], exec, -1
; %bb.1475:
	s_or_b64 exec, exec, s[18:19]
	s_and_b64 s[12:13], s[12:13], exec
	s_or_saveexec_b64 s[16:17], s[16:17]
	v_mov_b32_e32 v3, 0x7f800001
	s_xor_b64 exec, exec, s[16:17]
	s_cbranch_execnz .LBB38_1496
.LBB38_1476:
	s_or_b64 exec, exec, s[16:17]
	s_and_saveexec_b64 s[16:17], s[12:13]
	s_cbranch_execz .LBB38_1478
.LBB38_1477:
	v_lshlrev_b32_e32 v3, 24, v2
	v_and_b32_e32 v2, 0xffff, v2
	v_and_b32_e32 v4, 3, v2
	v_ffbh_u32_e32 v9, v4
	v_min_u32_e32 v9, 32, v9
	v_subrev_u32_e32 v11, 29, v9
	v_bfe_u32 v5, v2, 2, 5
	v_lshlrev_b32_e32 v2, v11, v2
	v_sub_u32_e32 v9, 30, v9
	v_and_b32_e32 v2, 3, v2
	v_cmp_eq_u32_e32 vcc, 0, v5
	v_cndmask_b32_e32 v5, v5, v9, vcc
	v_cndmask_b32_e32 v2, v4, v2, vcc
	v_mov_b32_e32 v4, 0x37800000
	v_lshlrev_b32_e32 v2, 21, v2
	v_and_b32_e32 v3, 0x80000000, v3
	v_lshl_add_u32 v4, v5, 23, v4
	v_or3_b32 v3, v3, v4, v2
.LBB38_1478:
	s_or_b64 exec, exec, s[16:17]
	v_bfe_u32 v2, v3, 16, 1
	s_movk_i32 s12, 0x7fff
	v_add3_u32 v2, v3, v2, s12
	v_cmp_o_f32_e32 vcc, v3, v3
	v_mov_b32_e32 v3, 0x7fc0
	v_cndmask_b32_sdwa v2, v3, v2, vcc dst_sel:DWORD dst_unused:UNUSED_PAD src0_sel:DWORD src1_sel:WORD_1
	s_mov_b64 s[12:13], 0
	s_branch .LBB38_1484
.LBB38_1479:
	s_mov_b64 s[12:13], -1
                                        ; implicit-def: $vgpr2
	s_branch .LBB38_1490
.LBB38_1480:
	s_or_saveexec_b64 s[18:19], s[18:19]
	v_mov_b32_e32 v3, 0x7f800001
	s_xor_b64 exec, exec, s[18:19]
	s_cbranch_execz .LBB38_1463
.LBB38_1481:
	v_cmp_ne_u16_e32 vcc, 0, v2
	s_andn2_b64 s[16:17], s[16:17], exec
	s_and_b64 s[20:21], vcc, exec
	v_mov_b32_e32 v3, 0
	s_or_b64 s[16:17], s[16:17], s[20:21]
	s_or_b64 exec, exec, s[18:19]
	s_and_saveexec_b64 s[18:19], s[16:17]
	s_cbranch_execnz .LBB38_1464
	s_branch .LBB38_1465
.LBB38_1482:
	s_mov_b64 s[12:13], -1
                                        ; implicit-def: $vgpr2
	s_branch .LBB38_1487
.LBB38_1483:
	s_mov_b64 s[12:13], -1
                                        ; implicit-def: $vgpr2
.LBB38_1484:
	s_and_b64 vcc, exec, s[12:13]
	s_cbranch_vccz .LBB38_1486
; %bb.1485:
	global_load_ubyte v2, v[0:1], off
	s_mov_b32 s12, 0x7f800000
	s_brev_b32 s13, 1
	s_movk_i32 s16, 0x7fff
	s_waitcnt vmcnt(0)
	v_lshlrev_b32_e32 v2, 24, v2
	v_and_b32_e32 v3, 0x7f000000, v2
	v_ffbh_u32_e32 v4, v3
	v_min_u32_e32 v4, 32, v4
	v_sub_u32_e64 v4, v4, 4 clamp
	v_lshlrev_b32_e32 v9, v4, v3
	v_lshlrev_b32_e32 v4, 23, v4
	v_lshrrev_b32_e32 v9, 4, v9
	v_add_u32_e32 v5, 0x1000000, v3
	v_sub_u32_e32 v4, v9, v4
	v_ashrrev_i32_e32 v5, 8, v5
	v_add_u32_e32 v4, 0x3c000000, v4
	v_and_or_b32 v4, v5, s12, v4
	v_cmp_ne_u32_e32 vcc, 0, v3
	v_cndmask_b32_e32 v3, 0, v4, vcc
	v_and_or_b32 v2, v2, s13, v3
	v_bfe_u32 v3, v3, 16, 1
	v_add3_u32 v3, v2, v3, s16
	v_cmp_o_f32_e32 vcc, v2, v2
	v_mov_b32_e32 v2, 0x7fc0
	v_cndmask_b32_sdwa v2, v2, v3, vcc dst_sel:DWORD dst_unused:UNUSED_PAD src0_sel:DWORD src1_sel:WORD_1
.LBB38_1486:
	s_mov_b64 s[12:13], 0
.LBB38_1487:
	s_andn2_b64 vcc, exec, s[12:13]
	s_cbranch_vccnz .LBB38_1489
; %bb.1488:
	global_load_ubyte v2, v[0:1], off
	s_movk_i32 s12, 0x7f00
	s_brev_b32 s13, 16
	s_brev_b32 s16, 1
	s_movk_i32 s17, 0x7fff
	s_waitcnt vmcnt(0)
	v_lshlrev_b16_e32 v3, 8, v2
	v_lshlrev_b32_e32 v2, 25, v2
	v_lshrrev_b32_e32 v4, 4, v2
	v_and_or_b32 v5, v3, s12, 0.5
	v_or_b32_e32 v4, 0x70000000, v4
	v_add_f32_e32 v5, -0.5, v5
	v_mul_f32_e32 v4, 0x7800000, v4
	v_cmp_gt_u32_e32 vcc, s13, v2
	v_bfe_i32 v3, v3, 0, 16
	v_cndmask_b32_e32 v2, v4, v5, vcc
	v_and_or_b32 v3, v3, s16, v2
	v_bfe_u32 v2, v2, 16, 1
	v_add3_u32 v2, v3, v2, s17
	v_cmp_o_f32_e32 vcc, v3, v3
	v_mov_b32_e32 v3, 0x7fc0
	v_cndmask_b32_sdwa v2, v3, v2, vcc dst_sel:DWORD dst_unused:UNUSED_PAD src0_sel:DWORD src1_sel:WORD_1
.LBB38_1489:
	s_mov_b64 s[12:13], 0
	s_mov_b64 s[16:17], -1
.LBB38_1490:
	s_andn2_b64 vcc, exec, s[12:13]
	s_mov_b64 s[12:13], 0
	s_cbranch_vccnz .LBB38_1501
; %bb.1491:
	s_cmp_gt_i32 s24, 14
	s_cbranch_scc0 .LBB38_1494
; %bb.1492:
	s_cmp_eq_u32 s24, 15
	s_cbranch_scc0 .LBB38_1497
; %bb.1493:
	global_load_ushort v2, v[0:1], off
	s_mov_b64 s[0:1], 0
	s_mov_b64 s[16:17], -1
	s_branch .LBB38_1498
.LBB38_1494:
	s_mov_b64 s[18:19], -1
                                        ; implicit-def: $vgpr2
	s_branch .LBB38_1499
.LBB38_1495:
	s_or_saveexec_b64 s[16:17], s[16:17]
	v_mov_b32_e32 v3, 0x7f800001
	s_xor_b64 exec, exec, s[16:17]
	s_cbranch_execz .LBB38_1476
.LBB38_1496:
	v_cmp_ne_u16_e32 vcc, 0, v2
	s_andn2_b64 s[12:13], s[12:13], exec
	s_and_b64 s[18:19], vcc, exec
	v_mov_b32_e32 v3, 0
	s_or_b64 s[12:13], s[12:13], s[18:19]
	s_or_b64 exec, exec, s[16:17]
	s_and_saveexec_b64 s[16:17], s[12:13]
	s_cbranch_execnz .LBB38_1477
	s_branch .LBB38_1478
.LBB38_1497:
	s_mov_b64 s[0:1], -1
                                        ; implicit-def: $vgpr2
.LBB38_1498:
	s_mov_b64 s[18:19], 0
.LBB38_1499:
	s_and_b64 vcc, exec, s[18:19]
	s_cbranch_vccz .LBB38_1501
; %bb.1500:
	s_cmp_lg_u32 s24, 11
	s_mov_b64 s[12:13], -1
	s_cselect_b64 s[0:1], -1, 0
.LBB38_1501:
	s_and_b64 vcc, exec, s[0:1]
	s_cbranch_vccnz .LBB38_1588
; %bb.1502:
	s_andn2_b64 vcc, exec, s[12:13]
	s_cbranch_vccnz .LBB38_1504
.LBB38_1503:
	global_load_ubyte v2, v[0:1], off
	s_mov_b64 s[16:17], -1
	s_waitcnt vmcnt(0)
	v_cmp_ne_u16_e32 vcc, 0, v2
	v_cndmask_b32_e64 v2, 0, 1.0, vcc
	v_lshrrev_b32_e32 v2, 16, v2
.LBB38_1504:
	s_branch .LBB38_1432
.LBB38_1505:
	s_cmp_lt_i32 s24, 5
	s_cbranch_scc1 .LBB38_1510
; %bb.1506:
	s_cmp_lt_i32 s24, 8
	s_cbranch_scc1 .LBB38_1511
; %bb.1507:
	;; [unrolled: 3-line block ×3, first 2 shown]
	s_cmp_gt_i32 s24, 9
	s_cbranch_scc0 .LBB38_1513
; %bb.1509:
	global_load_dwordx2 v[2:3], v[0:1], off
	s_movk_i32 s0, 0x7fff
	s_waitcnt vmcnt(0)
	v_cvt_f32_f64_e32 v2, v[2:3]
	v_mov_b32_e32 v3, 0x7fc0
	v_bfe_u32 v4, v2, 16, 1
	v_cmp_o_f32_e32 vcc, v2, v2
	v_add3_u32 v2, v2, v4, s0
	v_cndmask_b32_sdwa v2, v3, v2, vcc dst_sel:DWORD dst_unused:UNUSED_PAD src0_sel:DWORD src1_sel:WORD_1
	s_mov_b64 s[0:1], 0
	s_branch .LBB38_1514
.LBB38_1510:
	s_mov_b64 s[0:1], -1
                                        ; implicit-def: $vgpr2
	s_branch .LBB38_1532
.LBB38_1511:
	s_mov_b64 s[0:1], -1
                                        ; implicit-def: $vgpr2
	s_branch .LBB38_1520
.LBB38_1512:
	s_mov_b64 s[0:1], -1
                                        ; implicit-def: $vgpr2
	s_branch .LBB38_1517
.LBB38_1513:
	s_mov_b64 s[0:1], -1
                                        ; implicit-def: $vgpr2
.LBB38_1514:
	s_andn2_b64 vcc, exec, s[0:1]
	s_cbranch_vccnz .LBB38_1516
; %bb.1515:
	global_load_dword v2, v[0:1], off
	s_movk_i32 s0, 0x7fff
	v_mov_b32_e32 v3, 0x7fc0
	s_waitcnt vmcnt(0)
	v_bfe_u32 v4, v2, 16, 1
	v_cmp_o_f32_e32 vcc, v2, v2
	v_add3_u32 v2, v2, v4, s0
	v_cndmask_b32_sdwa v2, v3, v2, vcc dst_sel:DWORD dst_unused:UNUSED_PAD src0_sel:DWORD src1_sel:WORD_1
.LBB38_1516:
	s_mov_b64 s[0:1], 0
.LBB38_1517:
	s_andn2_b64 vcc, exec, s[0:1]
	s_cbranch_vccnz .LBB38_1519
; %bb.1518:
	global_load_dword v2, v[0:1], off
	s_movk_i32 s0, 0x7fff
	v_mov_b32_e32 v4, 0x7fc0
	s_waitcnt vmcnt(0)
	v_cvt_f32_f16_e32 v3, v2
	v_cmp_o_f16_e32 vcc, v2, v2
	v_bfe_u32 v2, v3, 16, 1
	v_add3_u32 v2, v3, v2, s0
	v_cndmask_b32_sdwa v2, v4, v2, vcc dst_sel:DWORD dst_unused:UNUSED_PAD src0_sel:DWORD src1_sel:WORD_1
.LBB38_1519:
	s_mov_b64 s[0:1], 0
.LBB38_1520:
	s_andn2_b64 vcc, exec, s[0:1]
	s_cbranch_vccnz .LBB38_1531
; %bb.1521:
	s_cmp_lt_i32 s24, 6
	s_cbranch_scc1 .LBB38_1524
; %bb.1522:
	s_cmp_gt_i32 s24, 6
	s_cbranch_scc0 .LBB38_1525
; %bb.1523:
	global_load_dwordx2 v[2:3], v[0:1], off
	s_movk_i32 s0, 0x7fff
	s_waitcnt vmcnt(0)
	v_cvt_f32_f64_e32 v2, v[2:3]
	v_mov_b32_e32 v3, 0x7fc0
	v_bfe_u32 v4, v2, 16, 1
	v_cmp_o_f32_e32 vcc, v2, v2
	v_add3_u32 v2, v2, v4, s0
	v_cndmask_b32_sdwa v2, v3, v2, vcc dst_sel:DWORD dst_unused:UNUSED_PAD src0_sel:DWORD src1_sel:WORD_1
	s_mov_b64 s[0:1], 0
	s_branch .LBB38_1526
.LBB38_1524:
	s_mov_b64 s[0:1], -1
                                        ; implicit-def: $vgpr2
	s_branch .LBB38_1529
.LBB38_1525:
	s_mov_b64 s[0:1], -1
                                        ; implicit-def: $vgpr2
.LBB38_1526:
	s_andn2_b64 vcc, exec, s[0:1]
	s_cbranch_vccnz .LBB38_1528
; %bb.1527:
	global_load_dword v2, v[0:1], off
	s_movk_i32 s0, 0x7fff
	v_mov_b32_e32 v3, 0x7fc0
	s_waitcnt vmcnt(0)
	v_bfe_u32 v4, v2, 16, 1
	v_cmp_o_f32_e32 vcc, v2, v2
	v_add3_u32 v2, v2, v4, s0
	v_cndmask_b32_sdwa v2, v3, v2, vcc dst_sel:DWORD dst_unused:UNUSED_PAD src0_sel:DWORD src1_sel:WORD_1
.LBB38_1528:
	s_mov_b64 s[0:1], 0
.LBB38_1529:
	s_andn2_b64 vcc, exec, s[0:1]
	s_cbranch_vccnz .LBB38_1531
; %bb.1530:
	global_load_ushort v2, v[0:1], off
	s_movk_i32 s0, 0x7fff
	v_mov_b32_e32 v4, 0x7fc0
	s_waitcnt vmcnt(0)
	v_cvt_f32_f16_e32 v3, v2
	v_cmp_o_f16_e32 vcc, v2, v2
	v_bfe_u32 v2, v3, 16, 1
	v_add3_u32 v2, v3, v2, s0
	v_cndmask_b32_sdwa v2, v4, v2, vcc dst_sel:DWORD dst_unused:UNUSED_PAD src0_sel:DWORD src1_sel:WORD_1
.LBB38_1531:
	s_mov_b64 s[0:1], 0
.LBB38_1532:
	s_andn2_b64 vcc, exec, s[0:1]
	s_cbranch_vccnz .LBB38_1552
; %bb.1533:
	s_cmp_lt_i32 s24, 2
	s_cbranch_scc1 .LBB38_1537
; %bb.1534:
	s_cmp_lt_i32 s24, 3
	s_cbranch_scc1 .LBB38_1538
; %bb.1535:
	s_cmp_gt_i32 s24, 3
	s_cbranch_scc0 .LBB38_1539
; %bb.1536:
	global_load_dwordx2 v[2:3], v[0:1], off
	s_movk_i32 s0, 0x7fff
	s_waitcnt vmcnt(0)
	v_xor_b32_e32 v5, v2, v3
	v_ffbh_i32_e32 v4, v3
	v_ashrrev_i32_e32 v5, 31, v5
	v_add_u32_e32 v4, -1, v4
	v_add_u32_e32 v5, 32, v5
	v_min_u32_e32 v4, v4, v5
	v_lshlrev_b64 v[2:3], v4, v[2:3]
	v_min_u32_e32 v2, 1, v2
	v_or_b32_e32 v2, v3, v2
	v_cvt_f32_i32_e32 v2, v2
	v_sub_u32_e32 v3, 32, v4
	v_ldexp_f32 v2, v2, v3
	v_bfe_u32 v3, v2, 16, 1
	v_add3_u32 v2, v2, v3, s0
	v_lshrrev_b32_e32 v2, 16, v2
	s_mov_b64 s[0:1], 0
	s_branch .LBB38_1540
.LBB38_1537:
	s_mov_b64 s[0:1], -1
                                        ; implicit-def: $vgpr2
	s_branch .LBB38_1546
.LBB38_1538:
	s_mov_b64 s[0:1], -1
                                        ; implicit-def: $vgpr2
	s_branch .LBB38_1543
.LBB38_1539:
	s_mov_b64 s[0:1], -1
                                        ; implicit-def: $vgpr2
.LBB38_1540:
	s_andn2_b64 vcc, exec, s[0:1]
	s_cbranch_vccnz .LBB38_1542
; %bb.1541:
	global_load_dword v2, v[0:1], off
	s_movk_i32 s0, 0x7fff
	s_waitcnt vmcnt(0)
	v_cvt_f32_i32_e32 v2, v2
	v_bfe_u32 v3, v2, 16, 1
	v_add3_u32 v2, v2, v3, s0
	v_lshrrev_b32_e32 v2, 16, v2
.LBB38_1542:
	s_mov_b64 s[0:1], 0
.LBB38_1543:
	s_andn2_b64 vcc, exec, s[0:1]
	s_cbranch_vccnz .LBB38_1545
; %bb.1544:
	global_load_sshort v2, v[0:1], off
	s_movk_i32 s0, 0x7fff
	s_waitcnt vmcnt(0)
	v_cvt_f32_i32_e32 v2, v2
	v_bfe_u32 v3, v2, 16, 1
	v_add3_u32 v2, v2, v3, s0
	v_lshrrev_b32_e32 v2, 16, v2
.LBB38_1545:
	s_mov_b64 s[0:1], 0
.LBB38_1546:
	s_andn2_b64 vcc, exec, s[0:1]
	s_cbranch_vccnz .LBB38_1552
; %bb.1547:
	s_cmp_gt_i32 s24, 0
	s_cbranch_scc0 .LBB38_1549
; %bb.1548:
	global_load_sbyte v2, v[0:1], off
	s_movk_i32 s0, 0x7fff
	s_waitcnt vmcnt(0)
	v_cvt_f32_i32_e32 v2, v2
	v_bfe_u32 v3, v2, 16, 1
	v_add3_u32 v2, v2, v3, s0
	v_lshrrev_b32_e32 v2, 16, v2
	s_mov_b64 s[0:1], 0
	s_branch .LBB38_1550
.LBB38_1549:
	s_mov_b64 s[0:1], -1
                                        ; implicit-def: $vgpr2
.LBB38_1550:
	s_andn2_b64 vcc, exec, s[0:1]
	s_cbranch_vccnz .LBB38_1552
; %bb.1551:
	global_load_ubyte v0, v[0:1], off
	s_movk_i32 s0, 0x7fff
	s_waitcnt vmcnt(0)
	v_cvt_f32_ubyte0_e32 v0, v0
	v_bfe_u32 v1, v0, 16, 1
	v_add3_u32 v0, v0, v1, s0
	v_lshrrev_b32_e32 v2, 16, v0
.LBB38_1552:
.LBB38_1553:
	s_waitcnt vmcnt(0)
	v_lshlrev_b32_e32 v11, 16, v2
	v_cmp_neq_f32_e32 vcc, 0, v11
                                        ; implicit-def: $vgpr9
	s_and_saveexec_b64 s[0:1], vcc
	s_xor_b64 s[12:13], exec, s[0:1]
	s_cbranch_execz .LBB38_1575
; %bb.1554:
	v_mov_b32_e32 v0, 0
	v_cmp_gt_f32_e32 vcc, 0, v11
	s_mov_b64 s[18:19], -1
	s_and_saveexec_b64 s[16:17], vcc
	s_cbranch_execz .LBB38_1562
; %bb.1555:
	v_trunc_f32_e32 v0, v11
	v_cmp_neq_f32_e32 vcc, v0, v11
	s_mov_b64 s[20:21], 0
	v_mov_b32_e32 v0, 0
	s_and_saveexec_b64 s[18:19], vcc
	s_cbranch_execz .LBB38_1561
; %bb.1556:
	v_cvt_f64_f32_e32 v[0:1], v11
	s_mov_b32 s22, 0
	s_mov_b32 s1, 0xc00921fb
	s_mov_b32 s0, 0x54442d18
	v_trunc_f64_e32 v[2:3], v[0:1]
	s_mov_b32 s23, 0x7ff00000
	v_cmp_neq_f64_e64 vcc, |v[0:1]|, s[22:23]
	v_bfrev_b32_e32 v4, 1
	s_mov_b32 s20, 0
	s_mov_b32 s21, 0x41d00000
                                        ; implicit-def: $vgpr9
	v_add_f64 v[2:3], v[0:1], -v[2:3]
	v_mul_f64 v[2:3], |v[2:3]|, s[0:1]
	v_cndmask_b32_e32 v1, v4, v3, vcc
	v_cndmask_b32_e32 v0, 0, v2, vcc
	v_cmp_nlt_f64_e64 s[20:21], |v[0:1]|, s[20:21]
                                        ; implicit-def: $vgpr2_vgpr3
                                        ; implicit-def: $vgpr4_vgpr5
	s_and_saveexec_b64 s[26:27], s[20:21]
	s_xor_b64 s[20:21], exec, s[26:27]
	s_cbranch_execz .LBB38_1558
; %bb.1557:
	v_trig_preop_f64 v[2:3], |v[0:1]|, 0
	s_mov_b32 s26, 0
	s_mov_b32 s27, 0x7b000000
	s_movk_i32 s1, 0xff80
	v_ldexp_f64 v[4:5], |v[0:1]|, s1
	v_cmp_ge_f64_e64 vcc, |v[0:1]|, s[26:27]
	v_trig_preop_f64 v[12:13], |v[0:1]|, 1
	v_and_b32_e32 v9, 0x7fffffff, v1
	v_trig_preop_f64 v[18:19], |v[0:1]|, 2
	s_mov_b32 s1, 0x3ff921fb
	v_cndmask_b32_e32 v5, v9, v5, vcc
	v_cndmask_b32_e32 v4, v0, v4, vcc
	v_mov_b32_e32 v9, 0x40100000
	v_mul_f64 v[14:15], v[2:3], v[4:5]
	v_mul_f64 v[16:17], v[12:13], v[4:5]
	;; [unrolled: 1-line block ×3, first 2 shown]
	v_fma_f64 v[2:3], v[2:3], v[4:5], -v[14:15]
	v_fma_f64 v[12:13], v[12:13], v[4:5], -v[16:17]
	v_add_f64 v[20:21], v[16:17], v[2:3]
	v_add_f64 v[22:23], v[20:21], -v[16:17]
	v_add_f64 v[26:27], v[2:3], -v[22:23]
	;; [unrolled: 1-line block ×3, first 2 shown]
	v_add_f64 v[22:23], v[24:25], v[12:13]
	v_add_f64 v[16:17], v[16:17], -v[2:3]
	v_fma_f64 v[2:3], v[18:19], v[4:5], -v[24:25]
	v_add_f64 v[4:5], v[14:15], v[20:21]
	v_add_f64 v[18:19], v[22:23], -v[24:25]
	v_add_f64 v[16:17], v[26:27], v[16:17]
	v_add_f64 v[14:15], v[4:5], -v[14:15]
	v_ldexp_f64 v[4:5], v[4:5], -2
	v_add_f64 v[12:13], v[12:13], -v[18:19]
	v_add_f64 v[18:19], v[22:23], -v[18:19]
	;; [unrolled: 1-line block ×3, first 2 shown]
	v_fract_f64_e32 v[20:21], v[4:5]
	v_cmp_neq_f64_e64 vcc, |v[4:5]|, s[22:23]
	v_add_f64 v[4:5], v[22:23], v[16:17]
	v_add_f64 v[18:19], v[24:25], -v[18:19]
	s_mov_b32 s22, 0x33145c07
	s_mov_b32 s23, 0x3c91a626
	v_ldexp_f64 v[20:21], v[20:21], 2
	v_add_f64 v[24:25], v[14:15], v[4:5]
	v_add_f64 v[12:13], v[12:13], v[18:19]
	v_cndmask_b32_e32 v19, 0, v21, vcc
	v_cndmask_b32_e32 v18, 0, v20, vcc
	v_add_f64 v[20:21], v[24:25], v[18:19]
	v_add_f64 v[14:15], v[24:25], -v[14:15]
	v_cmp_gt_f64_e32 vcc, 0, v[20:21]
	v_add_f64 v[20:21], v[4:5], -v[22:23]
	v_add_f64 v[16:17], v[16:17], -v[20:21]
	;; [unrolled: 1-line block ×5, first 2 shown]
	v_mov_b32_e32 v22, 0
	v_cndmask_b32_e32 v23, 0, v9, vcc
	v_add_f64 v[18:19], v[18:19], v[22:23]
	v_add_f64 v[16:17], v[16:17], v[20:21]
	;; [unrolled: 1-line block ×4, first 2 shown]
	v_cvt_i32_f64_e32 v9, v[26:27]
	v_cvt_f64_i32_e32 v[20:21], v9
	v_add_f64 v[2:3], v[2:3], v[12:13]
	v_add_f64 v[18:19], v[18:19], -v[20:21]
	v_add_f64 v[2:3], v[4:5], v[2:3]
	v_add_f64 v[16:17], v[24:25], v[18:19]
	v_add_f64 v[12:13], v[16:17], -v[18:19]
	v_cmp_le_f64_e32 vcc, 0.5, v[16:17]
	v_add_f64 v[4:5], v[24:25], -v[12:13]
	v_mov_b32_e32 v12, 0x3ff00000
	v_cndmask_b32_e32 v23, 0, v12, vcc
	v_addc_co_u32_e32 v9, vcc, 0, v9, vcc
	v_add_f64 v[2:3], v[2:3], v[4:5]
	v_add_f64 v[4:5], v[16:17], -v[22:23]
	v_add_f64 v[12:13], v[4:5], v[2:3]
	v_mul_f64 v[14:15], v[12:13], s[0:1]
	v_add_f64 v[4:5], v[12:13], -v[4:5]
	v_fma_f64 v[16:17], v[12:13], s[0:1], -v[14:15]
	v_add_f64 v[2:3], v[2:3], -v[4:5]
	v_fma_f64 v[4:5], v[12:13], s[22:23], v[16:17]
	v_fma_f64 v[4:5], v[2:3], s[0:1], v[4:5]
	v_add_f64 v[2:3], v[14:15], v[4:5]
	v_add_f64 v[12:13], v[2:3], -v[14:15]
	v_add_f64 v[4:5], v[4:5], -v[12:13]
.LBB38_1558:
	s_andn2_saveexec_b64 s[0:1], s[20:21]
	s_cbranch_execz .LBB38_1560
; %bb.1559:
	s_mov_b32 s20, 0x6dc9c883
	s_mov_b32 s21, 0x3fe45f30
	v_mul_f64 v[2:3], |v[0:1]|, s[20:21]
	s_mov_b32 s20, 0x54442d18
	s_mov_b32 s21, 0xbff921fb
	s_mov_b32 s23, 0xbc91a626
	s_mov_b32 s22, 0x33145c00
	v_rndne_f64_e32 v[12:13], v[2:3]
	v_fma_f64 v[2:3], v[12:13], s[20:21], |v[0:1]|
	v_mul_f64 v[4:5], v[12:13], s[22:23]
	s_mov_b32 s20, 0x252049c0
	s_mov_b32 s21, 0xb97b839a
	v_cvt_i32_f64_e32 v9, v[12:13]
	v_fma_f64 v[18:19], v[12:13], s[22:23], v[2:3]
	v_add_f64 v[14:15], v[2:3], v[4:5]
	s_mov_b32 s23, 0x3c91a626
	v_add_f64 v[16:17], v[2:3], -v[14:15]
	v_add_f64 v[14:15], v[14:15], -v[18:19]
	v_add_f64 v[2:3], v[16:17], v[4:5]
	v_fma_f64 v[4:5], v[12:13], s[22:23], v[4:5]
	v_add_f64 v[2:3], v[14:15], v[2:3]
	v_add_f64 v[2:3], v[2:3], -v[4:5]
	v_fma_f64 v[4:5], v[12:13], s[20:21], v[2:3]
	v_add_f64 v[2:3], v[18:19], v[4:5]
	v_add_f64 v[14:15], v[2:3], -v[18:19]
	v_add_f64 v[4:5], v[4:5], -v[14:15]
.LBB38_1560:
	s_or_b64 exec, exec, s[0:1]
	v_mul_f64 v[12:13], v[2:3], v[2:3]
	v_add_f64 v[14:15], v[4:5], v[4:5]
	s_mov_b32 s0, 0xc751c08c
	s_mov_b32 s1, 0x3ef5e089
	v_and_b32_e32 v9, 1, v9
	v_cmp_eq_u32_e32 vcc, 0, v9
	s_mov_b32 s22, 0x54442d18
	s_mov_b32 s23, 0xc00921fb
	v_fma_f64 v[16:17], v[2:3], v[2:3], -v[12:13]
	s_mov_b64 s[20:21], exec
	v_sub_f32_e32 v11, 1.0, v11
	v_fma_f64 v[14:15], v[2:3], v[14:15], v[16:17]
	v_add_f64 v[12:13], v[12:13], v[14:15]
	v_mov_b32_e32 v14, 0xa9a29f71
	v_mov_b32_e32 v15, 0xbf078809
	v_fma_f64 v[14:15], v[12:13], s[0:1], v[14:15]
	s_mov_b32 s0, 0x90a8aae0
	s_mov_b32 s1, 0x3f17746f
	v_fma_f64 v[14:15], v[12:13], v[14:15], s[0:1]
	s_mov_b32 s0, 0xa6fbf144
	s_mov_b32 s1, 0xbefbb44d
	;; [unrolled: 3-line block ×12, first 2 shown]
	v_fma_f64 v[14:15], v[12:13], v[14:15], s[0:1]
	s_movk_i32 s0, 0x1f8
	v_cmp_class_f64_e64 s[0:1], v[0:1], s0
	v_mul_f64 v[12:13], v[12:13], v[14:15]
	v_mul_f64 v[14:15], v[2:3], v[12:13]
	v_add_f64 v[16:17], v[2:3], v[14:15]
	v_fma_f64 v[12:13], v[2:3], v[12:13], -v[14:15]
	v_add_f64 v[2:3], v[16:17], -v[2:3]
	v_add_f64 v[4:5], v[4:5], v[12:13]
	v_add_f64 v[2:3], v[14:15], -v[2:3]
	v_add_f64 v[2:3], v[4:5], v[2:3]
	v_add_f64 v[4:5], v[16:17], v[2:3]
	v_rcp_f64_e32 v[12:13], v[4:5]
	v_fma_f64 v[14:15], -v[4:5], v[12:13], 1.0
	v_fma_f64 v[12:13], v[14:15], v[12:13], v[12:13]
	v_fma_f64 v[14:15], -v[4:5], v[12:13], 1.0
	v_fma_f64 v[12:13], v[14:15], v[12:13], v[12:13]
	v_add_f64 v[14:15], v[4:5], -v[16:17]
	v_mul_f64 v[16:17], v[4:5], v[12:13]
	v_add_f64 v[2:3], v[2:3], -v[14:15]
	v_fma_f64 v[14:15], v[12:13], v[4:5], -v[16:17]
	v_fma_f64 v[2:3], v[12:13], v[2:3], v[14:15]
	v_add_f64 v[14:15], v[16:17], v[2:3]
	v_add_f64 v[18:19], -v[14:15], 1.0
	v_add_f64 v[16:17], v[14:15], -v[16:17]
	v_add_f64 v[20:21], -v[18:19], 1.0
	v_add_f64 v[2:3], v[16:17], -v[2:3]
	v_add_f64 v[14:15], v[20:21], -v[14:15]
	v_add_f64 v[2:3], v[2:3], v[14:15]
	v_add_f64 v[2:3], v[18:19], v[2:3]
	v_mul_f64 v[2:3], v[12:13], v[2:3]
	v_add_f64 v[2:3], v[12:13], v[2:3]
	v_and_b32_e32 v12, 0x80000000, v1
	v_mov_b32_e32 v1, 0x7ff80000
	v_xor_b32_e32 v0, 0x80000000, v3
	v_cndmask_b32_e32 v2, v2, v4, vcc
	v_cndmask_b32_e32 v3, v0, v5, vcc
	v_cndmask_b32_e64 v0, 0, v2, s[0:1]
	v_xor_b32_e32 v2, v3, v12
	v_cndmask_b32_e64 v1, v1, v2, s[0:1]
	v_div_scale_f64 v[2:3], s[0:1], v[0:1], v[0:1], s[22:23]
	v_div_scale_f64 v[14:15], vcc, s[22:23], v[0:1], s[22:23]
	v_rcp_f64_e32 v[4:5], v[2:3]
	v_fma_f64 v[12:13], -v[2:3], v[4:5], 1.0
	v_fma_f64 v[4:5], v[4:5], v[12:13], v[4:5]
	v_fma_f64 v[12:13], -v[2:3], v[4:5], 1.0
	v_fma_f64 v[4:5], v[4:5], v[12:13], v[4:5]
	v_mul_f64 v[12:13], v[14:15], v[4:5]
	v_fma_f64 v[2:3], -v[2:3], v[12:13], v[14:15]
	v_div_fmas_f64 v[2:3], v[2:3], v[4:5], v[12:13]
	v_div_fixup_f64 v[0:1], v[2:3], v[0:1], s[22:23]
	v_cvt_f32_f64_e32 v0, v[0:1]
.LBB38_1561:
	s_or_b64 exec, exec, s[18:19]
	s_orn2_b64 s[18:19], s[20:21], exec
.LBB38_1562:
	s_or_b64 exec, exec, s[16:17]
	v_mov_b32_e32 v9, 0x7fc0
	s_and_saveexec_b64 s[0:1], s[18:19]
	s_cbranch_execz .LBB38_1574
; %bb.1563:
	s_mov_b32 s20, 0x41200000
	v_cmp_gt_f32_e32 vcc, s20, v11
	s_and_saveexec_b64 s[16:17], vcc
	s_cbranch_execz .LBB38_1567
; %bb.1564:
	s_mov_b64 s[18:19], 0
.LBB38_1565:                            ; =>This Inner Loop Header: Depth=1
	v_div_scale_f32 v1, s[22:23], v11, v11, 1.0
	v_div_scale_f32 v2, vcc, 1.0, v11, 1.0
	v_rcp_f32_e32 v3, v1
	v_fma_f32 v4, -v1, v3, 1.0
	v_fmac_f32_e32 v3, v4, v3
	v_mul_f32_e32 v4, v2, v3
	v_fma_f32 v5, -v1, v4, v2
	v_fmac_f32_e32 v4, v5, v3
	v_fma_f32 v1, -v1, v4, v2
	v_div_fmas_f32 v1, v1, v3, v4
	v_div_fixup_f32 v1, v1, v11, 1.0
	v_add_f32_e32 v11, 1.0, v11
	v_cmp_ngt_f32_e32 vcc, s20, v11
	s_or_b64 s[18:19], vcc, s[18:19]
	v_sub_f32_e32 v0, v0, v1
	s_andn2_b64 exec, exec, s[18:19]
	s_cbranch_execnz .LBB38_1565
; %bb.1566:
	s_or_b64 exec, exec, s[18:19]
.LBB38_1567:
	s_or_b64 exec, exec, s[16:17]
	s_mov_b32 s16, 0x41200000
	v_cmp_neq_f32_e32 vcc, s16, v11
                                        ; implicit-def: $vgpr9
	s_and_saveexec_b64 s[16:17], vcc
	s_xor_b64 s[16:17], exec, s[16:17]
	s_cbranch_execz .LBB38_1571
; %bb.1568:
	v_cvt_f64_f32_e32 v[1:2], v11
	s_mov_b32 s18, 0x85d8a000
	s_mov_b32 s19, 0x43763457
	v_cmp_gt_f64_e32 vcc, s[18:19], v[1:2]
	v_mov_b32_e32 v1, 0
	s_and_saveexec_b64 s[18:19], vcc
	s_cbranch_execz .LBB38_1570
; %bb.1569:
	v_mul_f32_e32 v1, v11, v11
	v_div_scale_f32 v2, s[20:21], v1, v1, 1.0
	v_div_scale_f32 v3, vcc, 1.0, v1, 1.0
	v_mov_b32_e32 v12, 0x3b820821
	v_rcp_f32_e32 v4, v2
	v_fma_f32 v5, -v2, v4, 1.0
	v_fmac_f32_e32 v4, v5, v4
	v_mul_f32_e32 v5, v3, v4
	v_fma_f32 v9, -v2, v5, v3
	v_fmac_f32_e32 v5, v9, v4
	v_fma_f32 v2, -v2, v5, v3
	v_div_fmas_f32 v2, v2, v4, v5
	v_mov_b32_e32 v3, 0x3daaaaab
	v_mov_b32_e32 v4, 0xbcaccacd
	;; [unrolled: 1-line block ×4, first 2 shown]
	v_div_fixup_f32 v1, v2, v1, 1.0
	v_fma_f32 v2, 0, v1, v3
	v_fmac_f32_e32 v4, v1, v2
	v_fmac_f32_e32 v5, v1, v4
	;; [unrolled: 1-line block ×4, first 2 shown]
	v_mov_b32_e32 v2, 0xbc088889
	v_fmac_f32_e32 v2, v1, v12
	v_fmac_f32_e32 v3, v1, v2
	v_mul_f32_e32 v1, v1, v3
.LBB38_1570:
	s_or_b64 exec, exec, s[18:19]
	v_div_scale_f32 v2, s[18:19], v11, v11, -0.5
	v_div_scale_f32 v3, vcc, -0.5, v11, -0.5
	s_mov_b32 s18, 0x800000
	s_mov_b32 s19, 0x3f317217
	s_mov_b32 s20, 0x7f800000
	v_rcp_f32_e32 v4, v2
	v_fma_f32 v5, -v2, v4, 1.0
	v_fmac_f32_e32 v4, v5, v4
	v_mul_f32_e32 v5, v3, v4
	v_fma_f32 v9, -v2, v5, v3
	v_fmac_f32_e32 v5, v9, v4
	v_fma_f32 v2, -v2, v5, v3
	v_div_fmas_f32 v2, v2, v4, v5
	v_cmp_gt_f32_e32 vcc, s18, v11
	v_cndmask_b32_e64 v4, 0, 32, vcc
	v_ldexp_f32 v4, v11, v4
	v_log_f32_e32 v4, v4
	v_mov_b32_e32 v3, 0x41b17218
	v_cndmask_b32_e32 v3, 0, v3, vcc
	s_movk_i32 s18, 0x7fff
	v_mul_f32_e32 v9, 0x3f317217, v4
	v_fma_f32 v9, v4, s19, -v9
	v_fmac_f32_e32 v9, 0x3377d1cf, v4
	v_fmac_f32_e32 v9, 0x3f317217, v4
	v_cmp_lt_f32_e64 vcc, |v4|, s20
	v_cndmask_b32_e32 v4, v4, v9, vcc
	v_sub_f32_e32 v3, v4, v3
	v_mov_b32_e32 v5, 0x7fc0
	v_div_fixup_f32 v2, v2, v11, -0.5
	v_add_f32_e32 v2, v3, v2
	v_sub_f32_e32 v1, v2, v1
	v_add_f32_e32 v0, v0, v1
	v_bfe_u32 v1, v0, 16, 1
	v_cmp_o_f32_e32 vcc, v0, v0
	v_add3_u32 v0, v0, v1, s18
	v_cndmask_b32_sdwa v9, v5, v0, vcc dst_sel:DWORD dst_unused:UNUSED_PAD src0_sel:DWORD src1_sel:WORD_1
                                        ; implicit-def: $vgpr0
.LBB38_1571:
	s_andn2_saveexec_b64 s[16:17], s[16:17]
; %bb.1572:
	v_add_f32_e32 v0, 0x40101cb7, v0
	v_bfe_u32 v1, v0, 16, 1
	s_movk_i32 s18, 0x7fff
	v_add3_u32 v1, v0, v1, s18
	v_cmp_o_f32_e32 vcc, v0, v0
	v_mov_b32_e32 v0, 0x7fc0
	v_cndmask_b32_sdwa v9, v0, v1, vcc dst_sel:DWORD dst_unused:UNUSED_PAD src0_sel:DWORD src1_sel:WORD_1
; %bb.1573:
	s_or_b64 exec, exec, s[16:17]
.LBB38_1574:
	s_or_b64 exec, exec, s[0:1]
                                        ; implicit-def: $vgpr11
.LBB38_1575:
	s_andn2_saveexec_b64 s[0:1], s[12:13]
; %bb.1576:
	v_xor_b32_e32 v0, 0x80000000, v11
	v_and_b32_e32 v0, 0x80000000, v0
	v_or_b32_e32 v0, 0x7f800000, v0
	v_lshrrev_b32_e32 v9, 16, v0
; %bb.1577:
	s_or_b64 exec, exec, s[0:1]
	v_add_u32_e32 v0, s3, v10
	v_ashrrev_i32_e32 v1, 31, v0
	v_mov_b32_e32 v2, s11
	v_add_co_u32_e32 v0, vcc, s10, v0
	s_cmp_lt_i32 s24, 11
	v_addc_co_u32_e32 v1, vcc, v2, v1, vcc
	s_cbranch_scc1 .LBB38_1584
; %bb.1578:
	s_cmp_gt_i32 s24, 25
	s_mov_b64 s[10:11], 0
	s_cbranch_scc0 .LBB38_1585
; %bb.1579:
	s_cmp_gt_i32 s24, 28
	s_cbranch_scc0 .LBB38_1586
; %bb.1580:
	s_cmp_gt_i32 s24, 43
	;; [unrolled: 3-line block ×3, first 2 shown]
	s_cbranch_scc0 .LBB38_1589
; %bb.1582:
	s_cmp_eq_u32 s24, 46
	s_mov_b64 s[16:17], 0
	s_cbranch_scc0 .LBB38_1590
; %bb.1583:
	global_load_dword v2, v[0:1], off
	s_mov_b64 s[0:1], 0
	s_mov_b64 s[12:13], -1
	s_branch .LBB38_1591
.LBB38_1584:
	s_mov_b64 s[0:1], -1
	s_mov_b64 s[12:13], 0
                                        ; implicit-def: $vgpr2
	s_branch .LBB38_1657
.LBB38_1585:
	s_mov_b64 s[16:17], -1
	s_mov_b64 s[12:13], 0
	s_mov_b64 s[0:1], 0
                                        ; implicit-def: $vgpr2
	s_branch .LBB38_1620
.LBB38_1586:
	s_mov_b64 s[16:17], -1
	s_mov_b64 s[12:13], 0
	s_mov_b64 s[0:1], 0
                                        ; implicit-def: $vgpr2
	s_branch .LBB38_1601
.LBB38_1587:
	s_mov_b64 s[16:17], -1
	s_mov_b64 s[12:13], 0
	s_mov_b64 s[0:1], 0
                                        ; implicit-def: $vgpr2
	s_branch .LBB38_1596
.LBB38_1588:
	s_trap 2
	s_or_b64 s[14:15], s[14:15], exec
	s_cbranch_execz .LBB38_1503
	s_branch .LBB38_1504
.LBB38_1589:
	s_mov_b64 s[16:17], -1
	s_mov_b64 s[12:13], 0
	s_mov_b64 s[0:1], 0
                                        ; implicit-def: $vgpr2
	s_branch .LBB38_1591
.LBB38_1590:
	s_mov_b64 s[0:1], -1
                                        ; implicit-def: $vgpr2
	s_mov_b64 s[12:13], 0
.LBB38_1591:
	s_and_b64 vcc, exec, s[16:17]
	s_cbranch_vccz .LBB38_1595
; %bb.1592:
	s_cmp_eq_u32 s24, 44
	s_cbranch_scc0 .LBB38_1594
; %bb.1593:
	global_load_ubyte v2, v[0:1], off
	s_movk_i32 s3, 0xff
	v_mov_b32_e32 v3, 0x7f800001
	v_mov_b32_e32 v4, 0x400000
	;; [unrolled: 1-line block ×3, first 2 shown]
	s_mov_b64 s[0:1], 0
	s_mov_b64 s[12:13], -1
	s_waitcnt vmcnt(0)
	v_lshlrev_b32_e32 v10, 23, v2
	v_cmp_ne_u32_e32 vcc, s3, v2
	v_cndmask_b32_e32 v3, v3, v10, vcc
	v_cmp_ne_u32_e32 vcc, 0, v2
	v_cndmask_b32_e32 v2, v4, v3, vcc
	v_add_u32_e32 v3, 0x7fff, v2
	v_cmp_o_f32_e32 vcc, v2, v2
	v_cndmask_b32_sdwa v2, v5, v3, vcc dst_sel:DWORD dst_unused:UNUSED_PAD src0_sel:DWORD src1_sel:WORD_1
	s_branch .LBB38_1595
.LBB38_1594:
	s_mov_b64 s[0:1], -1
                                        ; implicit-def: $vgpr2
.LBB38_1595:
	s_mov_b64 s[16:17], 0
.LBB38_1596:
	s_and_b64 vcc, exec, s[16:17]
	s_cbranch_vccz .LBB38_1600
; %bb.1597:
	s_cmp_eq_u32 s24, 29
	s_cbranch_scc0 .LBB38_1599
; %bb.1598:
	global_load_dwordx2 v[2:3], v[0:1], off
	s_movk_i32 s3, 0x7fff
	s_mov_b64 s[0:1], 0
	s_mov_b64 s[12:13], -1
	s_mov_b64 s[16:17], 0
	s_waitcnt vmcnt(0)
	v_ffbh_u32_e32 v4, v3
	v_min_u32_e32 v4, 32, v4
	v_lshlrev_b64 v[2:3], v4, v[2:3]
	v_min_u32_e32 v2, 1, v2
	v_or_b32_e32 v2, v3, v2
	v_cvt_f32_u32_e32 v2, v2
	v_sub_u32_e32 v3, 32, v4
	v_ldexp_f32 v2, v2, v3
	v_bfe_u32 v3, v2, 16, 1
	v_add3_u32 v2, v2, v3, s3
	v_lshrrev_b32_e32 v2, 16, v2
	s_branch .LBB38_1601
.LBB38_1599:
	s_mov_b64 s[0:1], -1
                                        ; implicit-def: $vgpr2
.LBB38_1600:
	s_mov_b64 s[16:17], 0
.LBB38_1601:
	s_and_b64 vcc, exec, s[16:17]
	s_cbranch_vccz .LBB38_1619
; %bb.1602:
	s_cmp_lt_i32 s24, 27
	s_cbranch_scc1 .LBB38_1605
; %bb.1603:
	s_cmp_gt_i32 s24, 27
	s_cbranch_scc0 .LBB38_1606
; %bb.1604:
	global_load_dword v2, v[0:1], off
	s_movk_i32 s3, 0x7fff
	s_mov_b64 s[12:13], 0
	s_waitcnt vmcnt(0)
	v_cvt_f32_u32_e32 v2, v2
	v_bfe_u32 v3, v2, 16, 1
	v_add3_u32 v2, v2, v3, s3
	v_lshrrev_b32_e32 v2, 16, v2
	s_branch .LBB38_1607
.LBB38_1605:
	s_mov_b64 s[12:13], -1
                                        ; implicit-def: $vgpr2
	s_branch .LBB38_1610
.LBB38_1606:
	s_mov_b64 s[12:13], -1
                                        ; implicit-def: $vgpr2
.LBB38_1607:
	s_andn2_b64 vcc, exec, s[12:13]
	s_cbranch_vccnz .LBB38_1609
; %bb.1608:
	global_load_ushort v2, v[0:1], off
	s_movk_i32 s3, 0x7fff
	s_waitcnt vmcnt(0)
	v_cvt_f32_u32_e32 v2, v2
	v_bfe_u32 v3, v2, 16, 1
	v_add3_u32 v2, v2, v3, s3
	v_lshrrev_b32_e32 v2, 16, v2
.LBB38_1609:
	s_mov_b64 s[12:13], 0
.LBB38_1610:
	s_andn2_b64 vcc, exec, s[12:13]
	s_cbranch_vccnz .LBB38_1618
; %bb.1611:
	global_load_ubyte v2, v[0:1], off
	s_movk_i32 s3, 0x7f
	s_mov_b64 s[12:13], 0
	s_waitcnt vmcnt(0)
	v_cmp_lt_i16_e32 vcc, s3, v2
	s_and_saveexec_b64 s[16:17], vcc
	s_xor_b64 s[16:17], exec, s[16:17]
	s_cbranch_execz .LBB38_1632
; %bb.1612:
	s_movk_i32 s3, 0x80
	v_cmp_eq_u16_e32 vcc, s3, v2
	s_mov_b64 s[12:13], -1
	s_and_saveexec_b64 s[18:19], vcc
; %bb.1613:
	s_xor_b64 s[12:13], exec, -1
; %bb.1614:
	s_or_b64 exec, exec, s[18:19]
	s_and_b64 s[12:13], s[12:13], exec
	s_or_saveexec_b64 s[16:17], s[16:17]
	v_mov_b32_e32 v3, 0x7f800001
	s_xor_b64 exec, exec, s[16:17]
	s_cbranch_execnz .LBB38_1633
.LBB38_1615:
	s_or_b64 exec, exec, s[16:17]
	s_and_saveexec_b64 s[16:17], s[12:13]
	s_cbranch_execz .LBB38_1617
.LBB38_1616:
	v_lshlrev_b32_e32 v3, 24, v2
	v_and_b32_e32 v2, 0xffff, v2
	v_and_b32_e32 v4, 7, v2
	v_ffbh_u32_e32 v10, v4
	v_min_u32_e32 v10, 32, v10
	v_subrev_u32_e32 v11, 28, v10
	v_bfe_u32 v5, v2, 3, 4
	v_lshlrev_b32_e32 v2, v11, v2
	v_sub_u32_e32 v10, 29, v10
	v_and_b32_e32 v2, 7, v2
	v_cmp_eq_u32_e32 vcc, 0, v5
	v_cndmask_b32_e32 v5, v5, v10, vcc
	v_cndmask_b32_e32 v2, v4, v2, vcc
	v_mov_b32_e32 v4, 0x3b800000
	v_lshlrev_b32_e32 v2, 20, v2
	v_and_b32_e32 v3, 0x80000000, v3
	v_lshl_add_u32 v4, v5, 23, v4
	v_or3_b32 v3, v3, v4, v2
.LBB38_1617:
	s_or_b64 exec, exec, s[16:17]
	v_bfe_u32 v2, v3, 16, 1
	s_movk_i32 s3, 0x7fff
	v_add3_u32 v2, v3, v2, s3
	v_cmp_o_f32_e32 vcc, v3, v3
	v_mov_b32_e32 v3, 0x7fc0
	v_cndmask_b32_sdwa v2, v3, v2, vcc dst_sel:DWORD dst_unused:UNUSED_PAD src0_sel:DWORD src1_sel:WORD_1
.LBB38_1618:
	s_mov_b64 s[12:13], -1
.LBB38_1619:
	s_mov_b64 s[16:17], 0
.LBB38_1620:
	s_and_b64 vcc, exec, s[16:17]
	s_cbranch_vccz .LBB38_1653
; %bb.1621:
	s_cmp_gt_i32 s24, 22
	s_cbranch_scc0 .LBB38_1631
; %bb.1622:
	s_cmp_lt_i32 s24, 24
	s_cbranch_scc1 .LBB38_1634
; %bb.1623:
	s_cmp_gt_i32 s24, 24
	s_cbranch_scc0 .LBB38_1635
; %bb.1624:
	global_load_ubyte v2, v[0:1], off
	s_movk_i32 s3, 0x7f
	s_waitcnt vmcnt(0)
	v_cmp_lt_i16_e32 vcc, s3, v2
	s_and_saveexec_b64 s[12:13], vcc
	s_xor_b64 s[12:13], exec, s[12:13]
	s_cbranch_execz .LBB38_1647
; %bb.1625:
	s_movk_i32 s3, 0x80
	v_cmp_eq_u16_e32 vcc, s3, v2
	s_mov_b64 s[10:11], -1
	s_and_saveexec_b64 s[16:17], vcc
; %bb.1626:
	s_xor_b64 s[10:11], exec, -1
; %bb.1627:
	s_or_b64 exec, exec, s[16:17]
	s_and_b64 s[10:11], s[10:11], exec
	s_or_saveexec_b64 s[12:13], s[12:13]
	v_mov_b32_e32 v3, 0x7f800001
	s_xor_b64 exec, exec, s[12:13]
	s_cbranch_execnz .LBB38_1648
.LBB38_1628:
	s_or_b64 exec, exec, s[12:13]
	s_and_saveexec_b64 s[12:13], s[10:11]
	s_cbranch_execz .LBB38_1630
.LBB38_1629:
	v_lshlrev_b32_e32 v3, 24, v2
	v_and_b32_e32 v2, 0xffff, v2
	v_and_b32_e32 v4, 3, v2
	v_ffbh_u32_e32 v10, v4
	v_min_u32_e32 v10, 32, v10
	v_subrev_u32_e32 v11, 29, v10
	v_bfe_u32 v5, v2, 2, 5
	v_lshlrev_b32_e32 v2, v11, v2
	v_sub_u32_e32 v10, 30, v10
	v_and_b32_e32 v2, 3, v2
	v_cmp_eq_u32_e32 vcc, 0, v5
	v_cndmask_b32_e32 v5, v5, v10, vcc
	v_cndmask_b32_e32 v2, v4, v2, vcc
	v_mov_b32_e32 v4, 0x37800000
	v_lshlrev_b32_e32 v2, 21, v2
	v_and_b32_e32 v3, 0x80000000, v3
	v_lshl_add_u32 v4, v5, 23, v4
	v_or3_b32 v3, v3, v4, v2
.LBB38_1630:
	s_or_b64 exec, exec, s[12:13]
	v_bfe_u32 v2, v3, 16, 1
	s_movk_i32 s3, 0x7fff
	v_add3_u32 v2, v3, v2, s3
	v_cmp_o_f32_e32 vcc, v3, v3
	v_mov_b32_e32 v3, 0x7fc0
	v_cndmask_b32_sdwa v2, v3, v2, vcc dst_sel:DWORD dst_unused:UNUSED_PAD src0_sel:DWORD src1_sel:WORD_1
	s_mov_b64 s[10:11], 0
	s_branch .LBB38_1636
.LBB38_1631:
	s_mov_b64 s[10:11], -1
                                        ; implicit-def: $vgpr2
	s_branch .LBB38_1642
.LBB38_1632:
	s_or_saveexec_b64 s[16:17], s[16:17]
	v_mov_b32_e32 v3, 0x7f800001
	s_xor_b64 exec, exec, s[16:17]
	s_cbranch_execz .LBB38_1615
.LBB38_1633:
	v_cmp_ne_u16_e32 vcc, 0, v2
	s_andn2_b64 s[12:13], s[12:13], exec
	s_and_b64 s[18:19], vcc, exec
	v_mov_b32_e32 v3, 0
	s_or_b64 s[12:13], s[12:13], s[18:19]
	s_or_b64 exec, exec, s[16:17]
	s_and_saveexec_b64 s[16:17], s[12:13]
	s_cbranch_execnz .LBB38_1616
	s_branch .LBB38_1617
.LBB38_1634:
	s_mov_b64 s[10:11], -1
                                        ; implicit-def: $vgpr2
	s_branch .LBB38_1639
.LBB38_1635:
	s_mov_b64 s[10:11], -1
                                        ; implicit-def: $vgpr2
.LBB38_1636:
	s_and_b64 vcc, exec, s[10:11]
	s_cbranch_vccz .LBB38_1638
; %bb.1637:
	global_load_ubyte v2, v[0:1], off
	s_mov_b32 s3, 0x7f800000
	s_brev_b32 s10, 1
	s_movk_i32 s11, 0x7fff
	s_waitcnt vmcnt(0)
	v_lshlrev_b32_e32 v2, 24, v2
	v_and_b32_e32 v3, 0x7f000000, v2
	v_ffbh_u32_e32 v4, v3
	v_min_u32_e32 v4, 32, v4
	v_sub_u32_e64 v4, v4, 4 clamp
	v_lshlrev_b32_e32 v10, v4, v3
	v_lshlrev_b32_e32 v4, 23, v4
	v_lshrrev_b32_e32 v10, 4, v10
	v_add_u32_e32 v5, 0x1000000, v3
	v_sub_u32_e32 v4, v10, v4
	v_ashrrev_i32_e32 v5, 8, v5
	v_add_u32_e32 v4, 0x3c000000, v4
	v_and_or_b32 v4, v5, s3, v4
	v_cmp_ne_u32_e32 vcc, 0, v3
	v_cndmask_b32_e32 v3, 0, v4, vcc
	v_and_or_b32 v2, v2, s10, v3
	v_bfe_u32 v3, v3, 16, 1
	v_add3_u32 v3, v2, v3, s11
	v_cmp_o_f32_e32 vcc, v2, v2
	v_mov_b32_e32 v2, 0x7fc0
	v_cndmask_b32_sdwa v2, v2, v3, vcc dst_sel:DWORD dst_unused:UNUSED_PAD src0_sel:DWORD src1_sel:WORD_1
.LBB38_1638:
	s_mov_b64 s[10:11], 0
.LBB38_1639:
	s_andn2_b64 vcc, exec, s[10:11]
	s_cbranch_vccnz .LBB38_1641
; %bb.1640:
	global_load_ubyte v2, v[0:1], off
	s_movk_i32 s3, 0x7f00
	s_brev_b32 s10, 16
	s_brev_b32 s11, 1
	s_movk_i32 s12, 0x7fff
	s_waitcnt vmcnt(0)
	v_lshlrev_b16_e32 v3, 8, v2
	v_lshlrev_b32_e32 v2, 25, v2
	v_lshrrev_b32_e32 v4, 4, v2
	v_and_or_b32 v5, v3, s3, 0.5
	v_or_b32_e32 v4, 0x70000000, v4
	v_add_f32_e32 v5, -0.5, v5
	v_mul_f32_e32 v4, 0x7800000, v4
	v_cmp_gt_u32_e32 vcc, s10, v2
	v_bfe_i32 v3, v3, 0, 16
	v_cndmask_b32_e32 v2, v4, v5, vcc
	v_and_or_b32 v3, v3, s11, v2
	v_bfe_u32 v2, v2, 16, 1
	v_add3_u32 v2, v3, v2, s12
	v_cmp_o_f32_e32 vcc, v3, v3
	v_mov_b32_e32 v3, 0x7fc0
	v_cndmask_b32_sdwa v2, v3, v2, vcc dst_sel:DWORD dst_unused:UNUSED_PAD src0_sel:DWORD src1_sel:WORD_1
.LBB38_1641:
	s_mov_b64 s[10:11], 0
	s_mov_b64 s[12:13], -1
.LBB38_1642:
	s_andn2_b64 vcc, exec, s[10:11]
	s_mov_b64 s[10:11], 0
	s_cbranch_vccnz .LBB38_1653
; %bb.1643:
	s_cmp_gt_i32 s24, 14
	s_cbranch_scc0 .LBB38_1646
; %bb.1644:
	s_cmp_eq_u32 s24, 15
	s_cbranch_scc0 .LBB38_1649
; %bb.1645:
	global_load_ushort v2, v[0:1], off
	s_mov_b64 s[0:1], 0
	s_mov_b64 s[12:13], -1
	s_branch .LBB38_1650
.LBB38_1646:
	s_mov_b64 s[16:17], -1
                                        ; implicit-def: $vgpr2
	s_branch .LBB38_1651
.LBB38_1647:
	s_or_saveexec_b64 s[12:13], s[12:13]
	v_mov_b32_e32 v3, 0x7f800001
	s_xor_b64 exec, exec, s[12:13]
	s_cbranch_execz .LBB38_1628
.LBB38_1648:
	v_cmp_ne_u16_e32 vcc, 0, v2
	s_andn2_b64 s[10:11], s[10:11], exec
	s_and_b64 s[16:17], vcc, exec
	v_mov_b32_e32 v3, 0
	s_or_b64 s[10:11], s[10:11], s[16:17]
	s_or_b64 exec, exec, s[12:13]
	s_and_saveexec_b64 s[12:13], s[10:11]
	s_cbranch_execnz .LBB38_1629
	s_branch .LBB38_1630
.LBB38_1649:
	s_mov_b64 s[0:1], -1
                                        ; implicit-def: $vgpr2
.LBB38_1650:
	s_mov_b64 s[16:17], 0
.LBB38_1651:
	s_and_b64 vcc, exec, s[16:17]
	s_cbranch_vccz .LBB38_1653
; %bb.1652:
	s_cmp_lg_u32 s24, 11
	s_mov_b64 s[10:11], -1
	s_cselect_b64 s[0:1], -1, 0
.LBB38_1653:
	s_and_b64 vcc, exec, s[0:1]
	s_cbranch_vccnz .LBB38_2212
; %bb.1654:
	s_andn2_b64 vcc, exec, s[10:11]
	s_cbranch_vccnz .LBB38_1656
.LBB38_1655:
	global_load_ubyte v2, v[0:1], off
	s_mov_b64 s[12:13], -1
	s_waitcnt vmcnt(0)
	v_cmp_ne_u16_e32 vcc, 0, v2
	v_cndmask_b32_e64 v2, 0, 1.0, vcc
	v_lshrrev_b32_e32 v2, 16, v2
.LBB38_1656:
	s_mov_b64 s[0:1], 0
.LBB38_1657:
	s_and_b64 vcc, exec, s[0:1]
	s_cbranch_vccz .LBB38_1706
; %bb.1658:
	s_cmp_lt_i32 s24, 5
	s_cbranch_scc1 .LBB38_1663
; %bb.1659:
	s_cmp_lt_i32 s24, 8
	s_cbranch_scc1 .LBB38_1664
	;; [unrolled: 3-line block ×3, first 2 shown]
; %bb.1661:
	s_cmp_gt_i32 s24, 9
	s_cbranch_scc0 .LBB38_1666
; %bb.1662:
	global_load_dwordx2 v[2:3], v[0:1], off
	s_movk_i32 s0, 0x7fff
	s_waitcnt vmcnt(0)
	v_cvt_f32_f64_e32 v2, v[2:3]
	v_mov_b32_e32 v3, 0x7fc0
	v_bfe_u32 v4, v2, 16, 1
	v_cmp_o_f32_e32 vcc, v2, v2
	v_add3_u32 v2, v2, v4, s0
	v_cndmask_b32_sdwa v2, v3, v2, vcc dst_sel:DWORD dst_unused:UNUSED_PAD src0_sel:DWORD src1_sel:WORD_1
	s_mov_b64 s[0:1], 0
	s_branch .LBB38_1667
.LBB38_1663:
	s_mov_b64 s[0:1], -1
                                        ; implicit-def: $vgpr2
	s_branch .LBB38_1685
.LBB38_1664:
	s_mov_b64 s[0:1], -1
                                        ; implicit-def: $vgpr2
	s_branch .LBB38_1673
.LBB38_1665:
	s_mov_b64 s[0:1], -1
                                        ; implicit-def: $vgpr2
	s_branch .LBB38_1670
.LBB38_1666:
	s_mov_b64 s[0:1], -1
                                        ; implicit-def: $vgpr2
.LBB38_1667:
	s_andn2_b64 vcc, exec, s[0:1]
	s_cbranch_vccnz .LBB38_1669
; %bb.1668:
	global_load_dword v2, v[0:1], off
	s_movk_i32 s0, 0x7fff
	v_mov_b32_e32 v3, 0x7fc0
	s_waitcnt vmcnt(0)
	v_bfe_u32 v4, v2, 16, 1
	v_cmp_o_f32_e32 vcc, v2, v2
	v_add3_u32 v2, v2, v4, s0
	v_cndmask_b32_sdwa v2, v3, v2, vcc dst_sel:DWORD dst_unused:UNUSED_PAD src0_sel:DWORD src1_sel:WORD_1
.LBB38_1669:
	s_mov_b64 s[0:1], 0
.LBB38_1670:
	s_andn2_b64 vcc, exec, s[0:1]
	s_cbranch_vccnz .LBB38_1672
; %bb.1671:
	global_load_dword v2, v[0:1], off
	s_movk_i32 s0, 0x7fff
	v_mov_b32_e32 v4, 0x7fc0
	s_waitcnt vmcnt(0)
	v_cvt_f32_f16_e32 v3, v2
	v_cmp_o_f16_e32 vcc, v2, v2
	v_bfe_u32 v2, v3, 16, 1
	v_add3_u32 v2, v3, v2, s0
	v_cndmask_b32_sdwa v2, v4, v2, vcc dst_sel:DWORD dst_unused:UNUSED_PAD src0_sel:DWORD src1_sel:WORD_1
.LBB38_1672:
	s_mov_b64 s[0:1], 0
.LBB38_1673:
	s_andn2_b64 vcc, exec, s[0:1]
	s_cbranch_vccnz .LBB38_1684
; %bb.1674:
	s_cmp_lt_i32 s24, 6
	s_cbranch_scc1 .LBB38_1677
; %bb.1675:
	s_cmp_gt_i32 s24, 6
	s_cbranch_scc0 .LBB38_1678
; %bb.1676:
	global_load_dwordx2 v[2:3], v[0:1], off
	s_movk_i32 s0, 0x7fff
	s_waitcnt vmcnt(0)
	v_cvt_f32_f64_e32 v2, v[2:3]
	v_mov_b32_e32 v3, 0x7fc0
	v_bfe_u32 v4, v2, 16, 1
	v_cmp_o_f32_e32 vcc, v2, v2
	v_add3_u32 v2, v2, v4, s0
	v_cndmask_b32_sdwa v2, v3, v2, vcc dst_sel:DWORD dst_unused:UNUSED_PAD src0_sel:DWORD src1_sel:WORD_1
	s_mov_b64 s[0:1], 0
	s_branch .LBB38_1679
.LBB38_1677:
	s_mov_b64 s[0:1], -1
                                        ; implicit-def: $vgpr2
	s_branch .LBB38_1682
.LBB38_1678:
	s_mov_b64 s[0:1], -1
                                        ; implicit-def: $vgpr2
.LBB38_1679:
	s_andn2_b64 vcc, exec, s[0:1]
	s_cbranch_vccnz .LBB38_1681
; %bb.1680:
	global_load_dword v2, v[0:1], off
	s_movk_i32 s0, 0x7fff
	v_mov_b32_e32 v3, 0x7fc0
	s_waitcnt vmcnt(0)
	v_bfe_u32 v4, v2, 16, 1
	v_cmp_o_f32_e32 vcc, v2, v2
	v_add3_u32 v2, v2, v4, s0
	v_cndmask_b32_sdwa v2, v3, v2, vcc dst_sel:DWORD dst_unused:UNUSED_PAD src0_sel:DWORD src1_sel:WORD_1
.LBB38_1681:
	s_mov_b64 s[0:1], 0
.LBB38_1682:
	s_andn2_b64 vcc, exec, s[0:1]
	s_cbranch_vccnz .LBB38_1684
; %bb.1683:
	global_load_ushort v2, v[0:1], off
	s_movk_i32 s0, 0x7fff
	v_mov_b32_e32 v4, 0x7fc0
	s_waitcnt vmcnt(0)
	v_cvt_f32_f16_e32 v3, v2
	v_cmp_o_f16_e32 vcc, v2, v2
	v_bfe_u32 v2, v3, 16, 1
	v_add3_u32 v2, v3, v2, s0
	v_cndmask_b32_sdwa v2, v4, v2, vcc dst_sel:DWORD dst_unused:UNUSED_PAD src0_sel:DWORD src1_sel:WORD_1
.LBB38_1684:
	s_mov_b64 s[0:1], 0
.LBB38_1685:
	s_andn2_b64 vcc, exec, s[0:1]
	s_cbranch_vccnz .LBB38_1705
; %bb.1686:
	s_cmp_lt_i32 s24, 2
	s_cbranch_scc1 .LBB38_1690
; %bb.1687:
	s_cmp_lt_i32 s24, 3
	s_cbranch_scc1 .LBB38_1691
; %bb.1688:
	s_cmp_gt_i32 s24, 3
	s_cbranch_scc0 .LBB38_1692
; %bb.1689:
	global_load_dwordx2 v[2:3], v[0:1], off
	s_movk_i32 s0, 0x7fff
	s_waitcnt vmcnt(0)
	v_xor_b32_e32 v5, v2, v3
	v_ffbh_i32_e32 v4, v3
	v_ashrrev_i32_e32 v5, 31, v5
	v_add_u32_e32 v4, -1, v4
	v_add_u32_e32 v5, 32, v5
	v_min_u32_e32 v4, v4, v5
	v_lshlrev_b64 v[2:3], v4, v[2:3]
	v_min_u32_e32 v2, 1, v2
	v_or_b32_e32 v2, v3, v2
	v_cvt_f32_i32_e32 v2, v2
	v_sub_u32_e32 v3, 32, v4
	v_ldexp_f32 v2, v2, v3
	v_bfe_u32 v3, v2, 16, 1
	v_add3_u32 v2, v2, v3, s0
	v_lshrrev_b32_e32 v2, 16, v2
	s_mov_b64 s[0:1], 0
	s_branch .LBB38_1693
.LBB38_1690:
	s_mov_b64 s[0:1], -1
                                        ; implicit-def: $vgpr2
	s_branch .LBB38_1699
.LBB38_1691:
	s_mov_b64 s[0:1], -1
                                        ; implicit-def: $vgpr2
	s_branch .LBB38_1696
.LBB38_1692:
	s_mov_b64 s[0:1], -1
                                        ; implicit-def: $vgpr2
.LBB38_1693:
	s_andn2_b64 vcc, exec, s[0:1]
	s_cbranch_vccnz .LBB38_1695
; %bb.1694:
	global_load_dword v2, v[0:1], off
	s_movk_i32 s0, 0x7fff
	s_waitcnt vmcnt(0)
	v_cvt_f32_i32_e32 v2, v2
	v_bfe_u32 v3, v2, 16, 1
	v_add3_u32 v2, v2, v3, s0
	v_lshrrev_b32_e32 v2, 16, v2
.LBB38_1695:
	s_mov_b64 s[0:1], 0
.LBB38_1696:
	s_andn2_b64 vcc, exec, s[0:1]
	s_cbranch_vccnz .LBB38_1698
; %bb.1697:
	global_load_sshort v2, v[0:1], off
	s_movk_i32 s0, 0x7fff
	s_waitcnt vmcnt(0)
	v_cvt_f32_i32_e32 v2, v2
	v_bfe_u32 v3, v2, 16, 1
	v_add3_u32 v2, v2, v3, s0
	v_lshrrev_b32_e32 v2, 16, v2
.LBB38_1698:
	s_mov_b64 s[0:1], 0
.LBB38_1699:
	s_andn2_b64 vcc, exec, s[0:1]
	s_cbranch_vccnz .LBB38_1705
; %bb.1700:
	s_cmp_gt_i32 s24, 0
	s_cbranch_scc0 .LBB38_1702
; %bb.1701:
	global_load_sbyte v2, v[0:1], off
	s_movk_i32 s0, 0x7fff
	s_waitcnt vmcnt(0)
	v_cvt_f32_i32_e32 v2, v2
	v_bfe_u32 v3, v2, 16, 1
	v_add3_u32 v2, v2, v3, s0
	v_lshrrev_b32_e32 v2, 16, v2
	s_mov_b64 s[0:1], 0
	s_branch .LBB38_1703
.LBB38_1702:
	s_mov_b64 s[0:1], -1
                                        ; implicit-def: $vgpr2
.LBB38_1703:
	s_andn2_b64 vcc, exec, s[0:1]
	s_cbranch_vccnz .LBB38_1705
; %bb.1704:
	global_load_ubyte v0, v[0:1], off
	s_movk_i32 s0, 0x7fff
	s_waitcnt vmcnt(0)
	v_cvt_f32_ubyte0_e32 v0, v0
	v_bfe_u32 v1, v0, 16, 1
	v_add3_u32 v0, v0, v1, s0
	v_lshrrev_b32_e32 v2, 16, v0
.LBB38_1705:
	s_mov_b64 s[12:13], -1
.LBB38_1706:
	s_andn2_b64 vcc, exec, s[12:13]
	s_cbranch_vccnz .LBB38_1809
; %bb.1707:
	s_waitcnt vmcnt(0)
	v_lshlrev_b32_e32 v10, 16, v2
	v_cmp_neq_f32_e32 vcc, 0, v10
                                        ; implicit-def: $vgpr2
	s_and_saveexec_b64 s[0:1], vcc
	s_xor_b64 s[10:11], exec, s[0:1]
	s_cbranch_execz .LBB38_1729
; %bb.1708:
	v_mov_b32_e32 v0, 0
	v_cmp_gt_f32_e32 vcc, 0, v10
	s_mov_b64 s[16:17], -1
	s_and_saveexec_b64 s[12:13], vcc
	s_cbranch_execz .LBB38_1716
; %bb.1709:
	v_trunc_f32_e32 v0, v10
	v_cmp_neq_f32_e32 vcc, v0, v10
	s_mov_b64 s[18:19], 0
	v_mov_b32_e32 v0, 0
	s_and_saveexec_b64 s[16:17], vcc
	s_cbranch_execz .LBB38_1715
; %bb.1710:
	v_cvt_f64_f32_e32 v[0:1], v10
	s_mov_b32 s20, 0
	s_mov_b32 s1, 0xc00921fb
	;; [unrolled: 1-line block ×3, first 2 shown]
	v_trunc_f64_e32 v[2:3], v[0:1]
	s_mov_b32 s21, 0x7ff00000
	v_cmp_neq_f64_e64 vcc, |v[0:1]|, s[20:21]
	v_bfrev_b32_e32 v4, 1
	s_mov_b32 s18, 0
	s_mov_b32 s19, 0x41d00000
                                        ; implicit-def: $vgpr11
	v_add_f64 v[2:3], v[0:1], -v[2:3]
	v_mul_f64 v[2:3], |v[2:3]|, s[0:1]
	v_cndmask_b32_e32 v1, v4, v3, vcc
	v_cndmask_b32_e32 v0, 0, v2, vcc
	v_cmp_nlt_f64_e64 s[18:19], |v[0:1]|, s[18:19]
                                        ; implicit-def: $vgpr2_vgpr3
                                        ; implicit-def: $vgpr4_vgpr5
	s_and_saveexec_b64 s[22:23], s[18:19]
	s_xor_b64 s[18:19], exec, s[22:23]
	s_cbranch_execz .LBB38_1712
; %bb.1711:
	v_trig_preop_f64 v[2:3], |v[0:1]|, 0
	s_mov_b32 s22, 0
	s_mov_b32 s23, 0x7b000000
	s_movk_i32 s1, 0xff80
	v_cmp_ge_f64_e64 vcc, |v[0:1]|, s[22:23]
	v_ldexp_f64 v[4:5], |v[0:1]|, s1
	v_trig_preop_f64 v[11:12], |v[0:1]|, 1
	v_and_b32_e32 v13, 0x7fffffff, v1
	v_trig_preop_f64 v[17:18], |v[0:1]|, 2
	s_mov_b32 s1, 0x3ff921fb
	v_cndmask_b32_e32 v5, v13, v5, vcc
	v_cndmask_b32_e32 v4, v0, v4, vcc
	v_mul_f64 v[13:14], v[2:3], v[4:5]
	v_mul_f64 v[15:16], v[11:12], v[4:5]
	;; [unrolled: 1-line block ×3, first 2 shown]
	v_fma_f64 v[2:3], v[2:3], v[4:5], -v[13:14]
	v_fma_f64 v[11:12], v[11:12], v[4:5], -v[15:16]
	v_add_f64 v[19:20], v[15:16], v[2:3]
	v_add_f64 v[21:22], v[19:20], -v[15:16]
	v_add_f64 v[25:26], v[2:3], -v[21:22]
	;; [unrolled: 1-line block ×3, first 2 shown]
	v_add_f64 v[21:22], v[23:24], v[11:12]
	v_add_f64 v[15:16], v[15:16], -v[2:3]
	v_fma_f64 v[2:3], v[17:18], v[4:5], -v[23:24]
	v_add_f64 v[4:5], v[13:14], v[19:20]
	v_add_f64 v[17:18], v[21:22], -v[23:24]
	v_add_f64 v[15:16], v[25:26], v[15:16]
	v_mov_b32_e32 v25, 0x40100000
	v_add_f64 v[13:14], v[4:5], -v[13:14]
	v_ldexp_f64 v[4:5], v[4:5], -2
	v_add_f64 v[11:12], v[11:12], -v[17:18]
	v_add_f64 v[17:18], v[21:22], -v[17:18]
	;; [unrolled: 1-line block ×3, first 2 shown]
	v_fract_f64_e32 v[19:20], v[4:5]
	v_cmp_neq_f64_e64 vcc, |v[4:5]|, s[20:21]
	v_add_f64 v[17:18], v[23:24], -v[17:18]
	v_add_f64 v[23:24], v[21:22], v[15:16]
	s_mov_b32 s20, 0x33145c07
	s_mov_b32 s21, 0x3c91a626
	v_ldexp_f64 v[4:5], v[19:20], 2
	v_add_f64 v[11:12], v[11:12], v[17:18]
	v_add_f64 v[19:20], v[13:14], v[23:24]
	v_cndmask_b32_e32 v5, 0, v5, vcc
	v_cndmask_b32_e32 v4, 0, v4, vcc
	v_add_f64 v[17:18], v[19:20], v[4:5]
	v_add_f64 v[13:14], v[19:20], -v[13:14]
	v_cmp_gt_f64_e32 vcc, 0, v[17:18]
	v_add_f64 v[17:18], v[23:24], -v[21:22]
	v_add_f64 v[13:14], v[23:24], -v[13:14]
	v_add_f64 v[15:16], v[15:16], -v[17:18]
	v_add_f64 v[17:18], v[23:24], -v[17:18]
	v_add_f64 v[17:18], v[21:22], -v[17:18]
	v_mov_b32_e32 v21, 0
	v_cndmask_b32_e32 v22, 0, v25, vcc
	v_add_f64 v[4:5], v[4:5], v[21:22]
	v_add_f64 v[15:16], v[15:16], v[17:18]
	;; [unrolled: 1-line block ×4, first 2 shown]
	v_cvt_i32_f64_e32 v25, v[25:26]
	v_cvt_f64_i32_e32 v[17:18], v25
	v_add_f64 v[2:3], v[2:3], v[11:12]
	v_mov_b32_e32 v11, 0x3ff00000
	v_add_f64 v[4:5], v[4:5], -v[17:18]
	v_add_f64 v[2:3], v[13:14], v[2:3]
	v_add_f64 v[15:16], v[19:20], v[4:5]
	v_add_f64 v[4:5], v[15:16], -v[4:5]
	v_cmp_le_f64_e32 vcc, 0.5, v[15:16]
	v_add_f64 v[4:5], v[19:20], -v[4:5]
	v_cndmask_b32_e32 v22, 0, v11, vcc
	v_add_f64 v[2:3], v[2:3], v[4:5]
	v_add_f64 v[4:5], v[15:16], -v[21:22]
	v_add_f64 v[11:12], v[4:5], v[2:3]
	v_mul_f64 v[13:14], v[11:12], s[0:1]
	v_add_f64 v[4:5], v[11:12], -v[4:5]
	v_fma_f64 v[15:16], v[11:12], s[0:1], -v[13:14]
	v_add_f64 v[2:3], v[2:3], -v[4:5]
	v_fma_f64 v[4:5], v[11:12], s[20:21], v[15:16]
	v_fma_f64 v[4:5], v[2:3], s[0:1], v[4:5]
	v_add_f64 v[2:3], v[13:14], v[4:5]
	v_add_f64 v[11:12], v[2:3], -v[13:14]
	v_add_f64 v[4:5], v[4:5], -v[11:12]
	v_addc_co_u32_e32 v11, vcc, 0, v25, vcc
.LBB38_1712:
	s_andn2_saveexec_b64 s[0:1], s[18:19]
	s_cbranch_execz .LBB38_1714
; %bb.1713:
	s_mov_b32 s18, 0x6dc9c883
	s_mov_b32 s19, 0x3fe45f30
	v_mul_f64 v[2:3], |v[0:1]|, s[18:19]
	s_mov_b32 s18, 0x54442d18
	s_mov_b32 s19, 0xbff921fb
	;; [unrolled: 1-line block ×4, first 2 shown]
	v_rndne_f64_e32 v[11:12], v[2:3]
	v_fma_f64 v[2:3], v[11:12], s[18:19], |v[0:1]|
	v_mul_f64 v[4:5], v[11:12], s[20:21]
	s_mov_b32 s18, 0x252049c0
	s_mov_b32 s19, 0xb97b839a
	v_fma_f64 v[17:18], v[11:12], s[20:21], v[2:3]
	v_add_f64 v[13:14], v[2:3], v[4:5]
	s_mov_b32 s21, 0x3c91a626
	v_add_f64 v[15:16], v[2:3], -v[13:14]
	v_add_f64 v[13:14], v[13:14], -v[17:18]
	v_add_f64 v[2:3], v[15:16], v[4:5]
	v_fma_f64 v[4:5], v[11:12], s[20:21], v[4:5]
	v_add_f64 v[2:3], v[13:14], v[2:3]
	v_add_f64 v[2:3], v[2:3], -v[4:5]
	v_fma_f64 v[4:5], v[11:12], s[18:19], v[2:3]
	v_cvt_i32_f64_e32 v11, v[11:12]
	v_add_f64 v[2:3], v[17:18], v[4:5]
	v_add_f64 v[13:14], v[2:3], -v[17:18]
	v_add_f64 v[4:5], v[4:5], -v[13:14]
.LBB38_1714:
	s_or_b64 exec, exec, s[0:1]
	v_mul_f64 v[12:13], v[2:3], v[2:3]
	v_add_f64 v[14:15], v[4:5], v[4:5]
	s_mov_b32 s0, 0xc751c08c
	s_mov_b32 s1, 0x3ef5e089
	v_and_b32_e32 v11, 1, v11
	v_cmp_eq_u32_e32 vcc, 0, v11
	s_mov_b32 s20, 0x54442d18
	s_mov_b32 s21, 0xc00921fb
	v_fma_f64 v[16:17], v[2:3], v[2:3], -v[12:13]
	s_mov_b64 s[18:19], exec
	v_sub_f32_e32 v10, 1.0, v10
	v_fma_f64 v[14:15], v[2:3], v[14:15], v[16:17]
	v_add_f64 v[12:13], v[12:13], v[14:15]
	v_mov_b32_e32 v14, 0xa9a29f71
	v_mov_b32_e32 v15, 0xbf078809
	v_fma_f64 v[14:15], v[12:13], s[0:1], v[14:15]
	s_mov_b32 s0, 0x90a8aae0
	s_mov_b32 s1, 0x3f17746f
	v_fma_f64 v[14:15], v[12:13], v[14:15], s[0:1]
	s_mov_b32 s0, 0xa6fbf144
	s_mov_b32 s1, 0xbefbb44d
	;; [unrolled: 3-line block ×12, first 2 shown]
	v_fma_f64 v[14:15], v[12:13], v[14:15], s[0:1]
	s_movk_i32 s0, 0x1f8
	v_cmp_class_f64_e64 s[0:1], v[0:1], s0
	v_mul_f64 v[12:13], v[12:13], v[14:15]
	v_mul_f64 v[14:15], v[2:3], v[12:13]
	v_add_f64 v[16:17], v[2:3], v[14:15]
	v_fma_f64 v[12:13], v[2:3], v[12:13], -v[14:15]
	v_add_f64 v[2:3], v[16:17], -v[2:3]
	v_add_f64 v[4:5], v[4:5], v[12:13]
	v_add_f64 v[2:3], v[14:15], -v[2:3]
	v_add_f64 v[2:3], v[4:5], v[2:3]
	v_add_f64 v[4:5], v[16:17], v[2:3]
	v_rcp_f64_e32 v[12:13], v[4:5]
	v_fma_f64 v[14:15], -v[4:5], v[12:13], 1.0
	v_fma_f64 v[12:13], v[14:15], v[12:13], v[12:13]
	v_fma_f64 v[14:15], -v[4:5], v[12:13], 1.0
	v_fma_f64 v[12:13], v[14:15], v[12:13], v[12:13]
	v_add_f64 v[14:15], v[4:5], -v[16:17]
	v_mul_f64 v[16:17], v[4:5], v[12:13]
	v_add_f64 v[2:3], v[2:3], -v[14:15]
	v_fma_f64 v[14:15], v[12:13], v[4:5], -v[16:17]
	v_fma_f64 v[2:3], v[12:13], v[2:3], v[14:15]
	v_add_f64 v[14:15], v[16:17], v[2:3]
	v_add_f64 v[18:19], -v[14:15], 1.0
	v_add_f64 v[16:17], v[14:15], -v[16:17]
	v_add_f64 v[20:21], -v[18:19], 1.0
	v_add_f64 v[2:3], v[16:17], -v[2:3]
	v_add_f64 v[14:15], v[20:21], -v[14:15]
	v_add_f64 v[2:3], v[2:3], v[14:15]
	v_add_f64 v[2:3], v[18:19], v[2:3]
	v_mul_f64 v[2:3], v[12:13], v[2:3]
	v_add_f64 v[2:3], v[12:13], v[2:3]
	v_and_b32_e32 v12, 0x80000000, v1
	v_mov_b32_e32 v1, 0x7ff80000
	v_xor_b32_e32 v0, 0x80000000, v3
	v_cndmask_b32_e32 v2, v2, v4, vcc
	v_cndmask_b32_e32 v3, v0, v5, vcc
	v_cndmask_b32_e64 v0, 0, v2, s[0:1]
	v_xor_b32_e32 v2, v3, v12
	v_cndmask_b32_e64 v1, v1, v2, s[0:1]
	v_div_scale_f64 v[2:3], s[0:1], v[0:1], v[0:1], s[20:21]
	v_div_scale_f64 v[13:14], vcc, s[20:21], v[0:1], s[20:21]
	v_rcp_f64_e32 v[4:5], v[2:3]
	v_fma_f64 v[11:12], -v[2:3], v[4:5], 1.0
	v_fma_f64 v[4:5], v[4:5], v[11:12], v[4:5]
	v_fma_f64 v[11:12], -v[2:3], v[4:5], 1.0
	v_fma_f64 v[4:5], v[4:5], v[11:12], v[4:5]
	v_mul_f64 v[11:12], v[13:14], v[4:5]
	v_fma_f64 v[2:3], -v[2:3], v[11:12], v[13:14]
	v_div_fmas_f64 v[2:3], v[2:3], v[4:5], v[11:12]
	v_div_fixup_f64 v[0:1], v[2:3], v[0:1], s[20:21]
	v_cvt_f32_f64_e32 v0, v[0:1]
.LBB38_1715:
	s_or_b64 exec, exec, s[16:17]
	s_orn2_b64 s[16:17], s[18:19], exec
.LBB38_1716:
	s_or_b64 exec, exec, s[12:13]
	v_mov_b32_e32 v2, 0x7fc0
	s_and_saveexec_b64 s[0:1], s[16:17]
	s_cbranch_execz .LBB38_1728
; %bb.1717:
	s_mov_b32 s3, 0x41200000
	v_cmp_gt_f32_e32 vcc, s3, v10
	s_and_saveexec_b64 s[12:13], vcc
	s_cbranch_execz .LBB38_1721
; %bb.1718:
	s_mov_b64 s[16:17], 0
.LBB38_1719:                            ; =>This Inner Loop Header: Depth=1
	v_div_scale_f32 v1, s[18:19], v10, v10, 1.0
	v_div_scale_f32 v2, vcc, 1.0, v10, 1.0
	v_rcp_f32_e32 v3, v1
	v_fma_f32 v4, -v1, v3, 1.0
	v_fmac_f32_e32 v3, v4, v3
	v_mul_f32_e32 v4, v2, v3
	v_fma_f32 v5, -v1, v4, v2
	v_fmac_f32_e32 v4, v5, v3
	v_fma_f32 v1, -v1, v4, v2
	v_div_fmas_f32 v1, v1, v3, v4
	v_div_fixup_f32 v1, v1, v10, 1.0
	v_add_f32_e32 v10, 1.0, v10
	v_cmp_ngt_f32_e32 vcc, s3, v10
	s_or_b64 s[16:17], vcc, s[16:17]
	v_sub_f32_e32 v0, v0, v1
	s_andn2_b64 exec, exec, s[16:17]
	s_cbranch_execnz .LBB38_1719
; %bb.1720:
	s_or_b64 exec, exec, s[16:17]
.LBB38_1721:
	s_or_b64 exec, exec, s[12:13]
	s_mov_b32 s3, 0x41200000
	v_cmp_neq_f32_e32 vcc, s3, v10
                                        ; implicit-def: $vgpr2
	s_and_saveexec_b64 s[12:13], vcc
	s_xor_b64 s[12:13], exec, s[12:13]
	s_cbranch_execz .LBB38_1725
; %bb.1722:
	v_cvt_f64_f32_e32 v[1:2], v10
	s_mov_b32 s16, 0x85d8a000
	s_mov_b32 s17, 0x43763457
	v_cmp_gt_f64_e32 vcc, s[16:17], v[1:2]
	v_mov_b32_e32 v1, 0
	s_and_saveexec_b64 s[16:17], vcc
	s_cbranch_execz .LBB38_1724
; %bb.1723:
	v_mul_f32_e32 v1, v10, v10
	v_div_scale_f32 v2, s[18:19], v1, v1, 1.0
	v_div_scale_f32 v3, vcc, 1.0, v1, 1.0
	v_mov_b32_e32 v12, 0x3b820821
	v_rcp_f32_e32 v4, v2
	v_fma_f32 v5, -v2, v4, 1.0
	v_fmac_f32_e32 v4, v5, v4
	v_mul_f32_e32 v5, v3, v4
	v_fma_f32 v11, -v2, v5, v3
	v_fmac_f32_e32 v5, v11, v4
	v_fma_f32 v2, -v2, v5, v3
	v_div_fmas_f32 v2, v2, v4, v5
	v_mov_b32_e32 v3, 0x3daaaaab
	v_mov_b32_e32 v4, 0xbcaccacd
	;; [unrolled: 1-line block ×4, first 2 shown]
	v_div_fixup_f32 v1, v2, v1, 1.0
	v_fma_f32 v2, 0, v1, v3
	v_fmac_f32_e32 v4, v1, v2
	v_fmac_f32_e32 v5, v1, v4
	;; [unrolled: 1-line block ×4, first 2 shown]
	v_mov_b32_e32 v2, 0xbc088889
	v_fmac_f32_e32 v2, v1, v12
	v_fmac_f32_e32 v3, v1, v2
	v_mul_f32_e32 v1, v1, v3
.LBB38_1724:
	s_or_b64 exec, exec, s[16:17]
	v_div_scale_f32 v2, s[16:17], v10, v10, -0.5
	v_div_scale_f32 v3, vcc, -0.5, v10, -0.5
	s_mov_b32 s3, 0x800000
	s_mov_b32 s16, 0x3f317217
	;; [unrolled: 1-line block ×3, first 2 shown]
	v_rcp_f32_e32 v4, v2
	v_fma_f32 v5, -v2, v4, 1.0
	v_fmac_f32_e32 v4, v5, v4
	v_mul_f32_e32 v5, v3, v4
	v_fma_f32 v11, -v2, v5, v3
	v_fmac_f32_e32 v5, v11, v4
	v_fma_f32 v2, -v2, v5, v3
	v_div_fmas_f32 v2, v2, v4, v5
	v_cmp_gt_f32_e32 vcc, s3, v10
	v_cndmask_b32_e64 v4, 0, 32, vcc
	v_ldexp_f32 v4, v10, v4
	v_log_f32_e32 v4, v4
	v_mov_b32_e32 v3, 0x41b17218
	v_cndmask_b32_e32 v3, 0, v3, vcc
	s_movk_i32 s3, 0x7fff
	v_mul_f32_e32 v11, 0x3f317217, v4
	v_fma_f32 v11, v4, s16, -v11
	v_fmac_f32_e32 v11, 0x3377d1cf, v4
	v_fmac_f32_e32 v11, 0x3f317217, v4
	v_cmp_lt_f32_e64 vcc, |v4|, s17
	v_cndmask_b32_e32 v4, v4, v11, vcc
	v_sub_f32_e32 v3, v4, v3
	v_mov_b32_e32 v5, 0x7fc0
	v_div_fixup_f32 v2, v2, v10, -0.5
	v_add_f32_e32 v2, v3, v2
	v_sub_f32_e32 v1, v2, v1
	v_add_f32_e32 v0, v0, v1
	v_bfe_u32 v1, v0, 16, 1
	v_cmp_o_f32_e32 vcc, v0, v0
	v_add3_u32 v0, v0, v1, s3
	v_cndmask_b32_sdwa v2, v5, v0, vcc dst_sel:DWORD dst_unused:UNUSED_PAD src0_sel:DWORD src1_sel:WORD_1
                                        ; implicit-def: $vgpr0
.LBB38_1725:
	s_andn2_saveexec_b64 s[12:13], s[12:13]
; %bb.1726:
	v_add_f32_e32 v0, 0x40101cb7, v0
	v_bfe_u32 v1, v0, 16, 1
	s_movk_i32 s3, 0x7fff
	v_add3_u32 v1, v0, v1, s3
	v_cmp_o_f32_e32 vcc, v0, v0
	v_mov_b32_e32 v0, 0x7fc0
	v_cndmask_b32_sdwa v2, v0, v1, vcc dst_sel:DWORD dst_unused:UNUSED_PAD src0_sel:DWORD src1_sel:WORD_1
; %bb.1727:
	s_or_b64 exec, exec, s[12:13]
.LBB38_1728:
	s_or_b64 exec, exec, s[0:1]
                                        ; implicit-def: $vgpr10
.LBB38_1729:
	s_andn2_saveexec_b64 s[0:1], s[10:11]
; %bb.1730:
	v_xor_b32_e32 v0, 0x80000000, v10
	v_and_b32_e32 v0, 0x80000000, v0
	v_or_b32_e32 v0, 0x7f800000, v0
	v_lshrrev_b32_e32 v2, 16, v0
; %bb.1731:
	s_or_b64 exec, exec, s[0:1]
	v_mul_lo_u32 v3, s2, v6
	v_mov_b32_e32 v1, s9
	s_and_b32 s20, s33, 0xff
	s_cmp_lt_i32 s20, 11
	v_ashrrev_i32_e32 v4, 31, v3
	v_add_co_u32_e32 v0, vcc, s8, v3
	v_addc_co_u32_e32 v1, vcc, v1, v4, vcc
	s_cbranch_scc1 .LBB38_1855
; %bb.1732:
	s_and_b32 s3, 0xffff, s20
	s_mov_b64 s[16:17], -1
	s_mov_b64 s[10:11], 0
	s_cmp_gt_i32 s3, 25
	s_mov_b64 s[12:13], 0
	s_mov_b64 s[0:1], 0
	s_cbranch_scc0 .LBB38_1765
; %bb.1733:
	s_cmp_gt_i32 s3, 28
	s_cbranch_scc0 .LBB38_1748
; %bb.1734:
	s_cmp_gt_i32 s3, 43
	;; [unrolled: 3-line block ×3, first 2 shown]
	s_cbranch_scc0 .LBB38_1738
; %bb.1736:
	s_mov_b64 s[0:1], -1
	s_mov_b64 s[16:17], 0
	s_cmp_eq_u32 s3, 46
	s_cbranch_scc0 .LBB38_1738
; %bb.1737:
	v_and_b32_e32 v4, 0xffff, v7
	global_store_dword v[0:1], v4, off
	s_mov_b64 s[0:1], 0
	s_mov_b64 s[12:13], -1
.LBB38_1738:
	s_and_b64 vcc, exec, s[16:17]
	s_cbranch_vccz .LBB38_1743
; %bb.1739:
	s_cmp_eq_u32 s3, 44
	s_mov_b64 s[0:1], -1
	s_cbranch_scc0 .LBB38_1743
; %bb.1740:
	v_and_b32_e32 v5, 0xffff, v7
	v_bfe_u32 v4, v5, 7, 8
	s_movk_i32 s0, 0xff
	v_cmp_ne_u32_e32 vcc, s0, v4
	v_mov_b32_e32 v6, 0xff
	s_and_saveexec_b64 s[12:13], vcc
	s_cbranch_execz .LBB38_1742
; %bb.1741:
	v_lshlrev_b32_e32 v10, 16, v5
	s_mov_b32 s0, 0x3f0000
	v_lshrrev_b32_e32 v6, 7, v5
	v_and_b32_e32 v5, 64, v5
	v_and_or_b32 v4, v10, s0, v4
	v_cmp_ne_u32_e32 vcc, 0, v5
	v_cmp_ne_u32_e64 s[0:1], 0, v4
	s_and_b64 s[0:1], vcc, s[0:1]
	v_cndmask_b32_e64 v4, 0, 1, s[0:1]
	v_add_u32_e32 v6, v6, v4
.LBB38_1742:
	s_or_b64 exec, exec, s[12:13]
	s_mov_b64 s[0:1], 0
	s_mov_b64 s[12:13], -1
	global_store_byte v[0:1], v6, off
.LBB38_1743:
	s_mov_b64 s[16:17], 0
.LBB38_1744:
	s_and_b64 vcc, exec, s[16:17]
	s_cbranch_vccz .LBB38_1747
; %bb.1745:
	s_cmp_eq_u32 s3, 29
	s_mov_b64 s[0:1], -1
	s_cbranch_scc0 .LBB38_1747
; %bb.1746:
	v_lshlrev_b32_e32 v4, 16, v7
	v_trunc_f32_e32 v4, v4
	v_mul_f32_e32 v5, 0x2f800000, v4
	v_floor_f32_e32 v6, v5
	v_fmac_f32_e32 v4, 0xcf800000, v6
	v_cvt_u32_f32_e32 v5, v6
	v_cvt_u32_f32_e32 v4, v4
	s_mov_b64 s[0:1], 0
	s_mov_b64 s[12:13], -1
	global_store_dwordx2 v[0:1], v[4:5], off
.LBB38_1747:
	s_mov_b64 s[16:17], 0
.LBB38_1748:
	s_and_b64 vcc, exec, s[16:17]
	s_cbranch_vccz .LBB38_1764
; %bb.1749:
	s_cmp_lt_i32 s3, 27
	s_mov_b64 s[12:13], -1
	s_cbranch_scc1 .LBB38_1755
; %bb.1750:
	s_cmp_gt_i32 s3, 27
	s_cbranch_scc0 .LBB38_1752
; %bb.1751:
	v_lshlrev_b32_e32 v4, 16, v7
	v_cvt_u32_f32_e32 v4, v4
	s_mov_b64 s[12:13], 0
	global_store_dword v[0:1], v4, off
.LBB38_1752:
	s_andn2_b64 vcc, exec, s[12:13]
	s_cbranch_vccnz .LBB38_1754
; %bb.1753:
	v_lshlrev_b32_e32 v4, 16, v7
	v_cvt_u32_f32_e32 v4, v4
	global_store_short v[0:1], v4, off
.LBB38_1754:
	s_mov_b64 s[12:13], 0
.LBB38_1755:
	s_andn2_b64 vcc, exec, s[12:13]
	s_cbranch_vccnz .LBB38_1763
; %bb.1756:
	v_lshlrev_b32_e32 v6, 16, v7
	v_and_b32_e32 v5, 0x7fffffff, v6
	s_mov_b32 s12, 0x43800000
	v_cmp_gt_u32_e32 vcc, s12, v5
	v_mov_b32_e32 v10, 0x80
	s_and_saveexec_b64 s[12:13], vcc
	s_cbranch_execz .LBB38_1762
; %bb.1757:
	s_mov_b32 s16, 0x3bffffff
	v_and_b32_e32 v4, 0xffff, v7
	v_cmp_lt_u32_e32 vcc, s16, v5
	s_mov_b64 s[16:17], 0
                                        ; implicit-def: $vgpr5
	s_and_saveexec_b64 s[18:19], vcc
	s_xor_b64 s[18:19], exec, s[18:19]
	s_cbranch_execz .LBB38_2213
; %bb.1758:
	v_bfe_u32 v5, v4, 4, 1
	s_mov_b32 s21, 0x487ffff
	v_add3_u32 v5, v6, v5, s21
	s_mov_b64 s[16:17], exec
	v_lshrrev_b32_e32 v5, 20, v5
                                        ; implicit-def: $vgpr6
	s_andn2_saveexec_b64 s[18:19], s[18:19]
	s_cbranch_execnz .LBB38_2214
.LBB38_1759:
	s_or_b64 exec, exec, s[18:19]
	v_mov_b32_e32 v10, 0
	s_and_saveexec_b64 s[18:19], s[16:17]
.LBB38_1760:
	v_lshrrev_b32_e32 v4, 8, v4
	s_movk_i32 s16, 0x80
	v_and_or_b32 v10, v4, s16, v5
.LBB38_1761:
	s_or_b64 exec, exec, s[18:19]
.LBB38_1762:
	s_or_b64 exec, exec, s[12:13]
	global_store_byte v[0:1], v10, off
.LBB38_1763:
	s_mov_b64 s[12:13], -1
.LBB38_1764:
	s_mov_b64 s[16:17], 0
.LBB38_1765:
	s_and_b64 vcc, exec, s[16:17]
	s_cbranch_vccz .LBB38_1805
; %bb.1766:
	s_cmp_gt_i32 s3, 22
	s_mov_b64 s[10:11], -1
	s_cbranch_scc0 .LBB38_1798
; %bb.1767:
	s_cmp_lt_i32 s3, 24
	s_cbranch_scc1 .LBB38_1787
; %bb.1768:
	s_cmp_gt_i32 s3, 24
	s_cbranch_scc0 .LBB38_1776
; %bb.1769:
	v_lshlrev_b32_e32 v6, 16, v7
	v_and_b32_e32 v5, 0x7fffffff, v6
	s_mov_b32 s10, 0x47800000
	v_cmp_gt_u32_e32 vcc, s10, v5
	v_mov_b32_e32 v10, 0x80
	s_and_saveexec_b64 s[10:11], vcc
	s_cbranch_execz .LBB38_1775
; %bb.1770:
	s_mov_b32 s12, 0x37ffffff
	v_and_b32_e32 v4, 0xffff, v7
	v_cmp_lt_u32_e32 vcc, s12, v5
	s_mov_b64 s[12:13], 0
                                        ; implicit-def: $vgpr5
	s_and_saveexec_b64 s[16:17], vcc
	s_xor_b64 s[16:17], exec, s[16:17]
	s_cbranch_execz .LBB38_2216
; %bb.1771:
	v_bfe_u32 v5, v4, 5, 1
	s_mov_b32 s18, 0x88fffff
	v_add3_u32 v5, v6, v5, s18
	s_mov_b64 s[12:13], exec
	v_lshrrev_b32_e32 v5, 21, v5
                                        ; implicit-def: $vgpr6
	s_andn2_saveexec_b64 s[16:17], s[16:17]
	s_cbranch_execnz .LBB38_2217
.LBB38_1772:
	s_or_b64 exec, exec, s[16:17]
	v_mov_b32_e32 v10, 0
	s_and_saveexec_b64 s[16:17], s[12:13]
.LBB38_1773:
	v_lshrrev_b32_e32 v4, 8, v4
	s_movk_i32 s12, 0x80
	v_and_or_b32 v10, v4, s12, v5
.LBB38_1774:
	s_or_b64 exec, exec, s[16:17]
.LBB38_1775:
	s_or_b64 exec, exec, s[10:11]
	s_mov_b64 s[10:11], 0
	global_store_byte v[0:1], v10, off
.LBB38_1776:
	s_and_b64 vcc, exec, s[10:11]
	s_cbranch_vccz .LBB38_1786
; %bb.1777:
	v_lshlrev_b32_e32 v6, 16, v7
	v_and_b32_e32 v10, 0x7fffffff, v6
	s_mov_b32 s10, 0x43f00000
	v_and_b32_e32 v4, 0xffff, v7
	v_cmp_gt_u32_e32 vcc, s10, v10
                                        ; implicit-def: $vgpr5
	s_and_saveexec_b64 s[10:11], vcc
	s_xor_b64 s[10:11], exec, s[10:11]
	s_cbranch_execz .LBB38_1783
; %bb.1778:
	s_mov_b32 s12, 0x3c7fffff
	v_cmp_lt_u32_e32 vcc, s12, v10
                                        ; implicit-def: $vgpr5
	s_and_saveexec_b64 s[12:13], vcc
	s_xor_b64 s[12:13], exec, s[12:13]
; %bb.1779:
	v_bfe_u32 v5, v4, 4, 1
	s_mov_b32 s16, 0x407ffff
	v_add3_u32 v5, v6, v5, s16
	v_lshrrev_b32_e32 v6, 20, v5
	v_and_b32_e32 v5, 0xff00000, v5
	s_mov_b32 s16, 0x7f00000
	v_mov_b32_e32 v10, 0x7e
	v_cmp_ne_u32_e32 vcc, s16, v5
	v_cndmask_b32_e32 v5, v10, v6, vcc
                                        ; implicit-def: $vgpr6
; %bb.1780:
	s_andn2_saveexec_b64 s[12:13], s[12:13]
; %bb.1781:
	s_mov_b32 s16, 0x46800000
	v_add_f32_e64 v5, |v6|, s16
; %bb.1782:
	s_or_b64 exec, exec, s[12:13]
                                        ; implicit-def: $vgpr10
.LBB38_1783:
	s_andn2_saveexec_b64 s[10:11], s[10:11]
; %bb.1784:
	s_mov_b32 s12, 0x7f800000
	v_mov_b32_e32 v5, 0x7e
	v_mov_b32_e32 v6, 0x7f
	v_cmp_lt_u32_e32 vcc, s12, v10
	v_cndmask_b32_e32 v5, v5, v6, vcc
; %bb.1785:
	s_or_b64 exec, exec, s[10:11]
	v_lshrrev_b32_e32 v4, 8, v4
	s_movk_i32 s10, 0x80
	v_and_or_b32 v4, v4, s10, v5
	global_store_byte v[0:1], v4, off
.LBB38_1786:
	s_mov_b64 s[10:11], 0
.LBB38_1787:
	s_andn2_b64 vcc, exec, s[10:11]
	s_cbranch_vccnz .LBB38_1797
; %bb.1788:
	v_lshlrev_b32_e32 v6, 16, v7
	v_and_b32_e32 v10, 0x7fffffff, v6
	s_mov_b32 s10, 0x47800000
	v_and_b32_e32 v4, 0xffff, v7
	v_cmp_gt_u32_e32 vcc, s10, v10
                                        ; implicit-def: $vgpr5
	s_and_saveexec_b64 s[10:11], vcc
	s_xor_b64 s[10:11], exec, s[10:11]
	s_cbranch_execz .LBB38_1794
; %bb.1789:
	s_mov_b32 s12, 0x387fffff
	v_cmp_lt_u32_e32 vcc, s12, v10
                                        ; implicit-def: $vgpr5
	s_and_saveexec_b64 s[12:13], vcc
	s_xor_b64 s[12:13], exec, s[12:13]
; %bb.1790:
	v_bfe_u32 v5, v4, 5, 1
	s_mov_b32 s16, 0x80fffff
	v_add3_u32 v5, v6, v5, s16
	v_lshrrev_b32_e32 v5, 21, v5
                                        ; implicit-def: $vgpr6
; %bb.1791:
	s_andn2_saveexec_b64 s[12:13], s[12:13]
; %bb.1792:
	s_mov_b32 s16, 0x43000000
	v_add_f32_e64 v5, |v6|, s16
; %bb.1793:
	s_or_b64 exec, exec, s[12:13]
                                        ; implicit-def: $vgpr10
.LBB38_1794:
	s_andn2_saveexec_b64 s[10:11], s[10:11]
; %bb.1795:
	s_mov_b32 s12, 0x7f800000
	v_mov_b32_e32 v5, 0x7c
	v_mov_b32_e32 v6, 0x7f
	v_cmp_lt_u32_e32 vcc, s12, v10
	v_cndmask_b32_e32 v5, v5, v6, vcc
; %bb.1796:
	s_or_b64 exec, exec, s[10:11]
	v_lshrrev_b32_e32 v4, 8, v4
	s_movk_i32 s10, 0x80
	v_and_or_b32 v4, v4, s10, v5
	global_store_byte v[0:1], v4, off
.LBB38_1797:
	s_mov_b64 s[10:11], 0
	s_mov_b64 s[12:13], -1
.LBB38_1798:
	s_andn2_b64 vcc, exec, s[10:11]
	s_mov_b64 s[10:11], 0
	s_cbranch_vccnz .LBB38_1805
; %bb.1799:
	s_cmp_gt_i32 s3, 14
	s_mov_b64 s[16:17], -1
	s_cbranch_scc0 .LBB38_1803
; %bb.1800:
	s_cmp_eq_u32 s3, 15
	s_mov_b64 s[0:1], -1
	s_cbranch_scc0 .LBB38_1802
; %bb.1801:
	global_store_short v[0:1], v7, off
	s_mov_b64 s[0:1], 0
	s_mov_b64 s[12:13], -1
.LBB38_1802:
	s_mov_b64 s[16:17], 0
.LBB38_1803:
	s_and_b64 vcc, exec, s[16:17]
	s_cbranch_vccz .LBB38_1805
; %bb.1804:
	s_cmp_lg_u32 s3, 11
	s_mov_b64 s[10:11], -1
	s_cselect_b64 s[0:1], -1, 0
.LBB38_1805:
	s_and_b64 vcc, exec, s[0:1]
	s_cbranch_vccnz .LBB38_2215
; %bb.1806:
	s_andn2_b64 vcc, exec, s[10:11]
	s_cbranch_vccnz .LBB38_1808
.LBB38_1807:
	v_and_b32_e32 v4, 0x7fff, v7
	v_cmp_ne_u16_e32 vcc, 0, v4
	v_cndmask_b32_e64 v4, 0, 1, vcc
	s_mov_b64 s[12:13], -1
	global_store_byte v[0:1], v4, off
.LBB38_1808:
	s_mov_b64 s[0:1], 0
	s_branch .LBB38_1856
.LBB38_1809:
	s_mov_b64 s[0:1], 0
                                        ; implicit-def: $sgpr20
                                        ; implicit-def: $vgpr0_vgpr1
                                        ; implicit-def: $vgpr2
.LBB38_1810:
	s_mov_b64 s[2:3], 0
.LBB38_1811:
	s_and_b64 s[12:13], s[2:3], exec
	s_andn2_b64 s[2:3], s[6:7], exec
	s_and_b64 s[6:7], s[14:15], exec
	s_and_b64 s[0:1], s[0:1], exec
	s_or_b64 s[6:7], s[2:3], s[6:7]
.LBB38_1812:
	s_or_b64 exec, exec, s[4:5]
	s_and_saveexec_b64 s[2:3], s[6:7]
	s_cbranch_execz .LBB38_1815
; %bb.1813:
	; divergent unreachable
	s_or_b64 exec, exec, s[2:3]
	s_and_saveexec_b64 s[2:3], s[12:13]
	s_xor_b64 s[2:3], exec, s[2:3]
	s_cbranch_execnz .LBB38_1816
.LBB38_1814:
	s_or_b64 exec, exec, s[2:3]
	s_and_saveexec_b64 s[2:3], s[0:1]
	s_cbranch_execnz .LBB38_1817
	s_branch .LBB38_1854
.LBB38_1815:
	s_or_b64 exec, exec, s[2:3]
	s_and_saveexec_b64 s[2:3], s[12:13]
	s_xor_b64 s[2:3], exec, s[2:3]
	s_cbranch_execz .LBB38_1814
.LBB38_1816:
	s_waitcnt vmcnt(0)
	v_and_b32_e32 v3, 0x7fff, v2
	v_cmp_ne_u16_e32 vcc, 0, v3
	v_cndmask_b32_e64 v3, 0, 1, vcc
	global_store_byte v[0:1], v3, off
	s_or_b64 exec, exec, s[2:3]
	s_and_saveexec_b64 s[2:3], s[0:1]
	s_cbranch_execz .LBB38_1854
.LBB38_1817:
	s_sext_i32_i16 s2, s20
	s_cmp_lt_i32 s2, 5
	s_mov_b64 s[0:1], -1
	s_cbranch_scc1 .LBB38_1838
; %bb.1818:
	s_cmp_lt_i32 s2, 8
	s_cbranch_scc1 .LBB38_1828
; %bb.1819:
	s_cmp_lt_i32 s2, 9
	s_cbranch_scc1 .LBB38_1825
; %bb.1820:
	s_cmp_gt_i32 s2, 9
	s_cbranch_scc0 .LBB38_1822
; %bb.1821:
	s_waitcnt vmcnt(0)
	v_lshlrev_b32_e32 v3, 16, v2
	v_cvt_f64_f32_e32 v[3:4], v3
	v_mov_b32_e32 v5, 0
	v_mov_b32_e32 v6, v5
	s_mov_b64 s[0:1], 0
	global_store_dwordx4 v[0:1], v[3:6], off
.LBB38_1822:
	s_andn2_b64 vcc, exec, s[0:1]
	s_cbranch_vccnz .LBB38_1824
; %bb.1823:
	s_waitcnt vmcnt(0)
	v_lshlrev_b32_e32 v3, 16, v2
	v_mov_b32_e32 v4, 0
	global_store_dwordx2 v[0:1], v[3:4], off
.LBB38_1824:
	s_mov_b64 s[0:1], 0
.LBB38_1825:
	s_andn2_b64 vcc, exec, s[0:1]
	s_cbranch_vccnz .LBB38_1827
; %bb.1826:
	s_waitcnt vmcnt(0)
	v_lshlrev_b32_e32 v3, 16, v2
	v_cvt_f16_f32_e32 v3, v3
	global_store_dword v[0:1], v3, off
.LBB38_1827:
	s_mov_b64 s[0:1], 0
.LBB38_1828:
	s_andn2_b64 vcc, exec, s[0:1]
	s_cbranch_vccnz .LBB38_1837
; %bb.1829:
	s_sext_i32_i16 s2, s20
	s_cmp_lt_i32 s2, 6
	s_mov_b64 s[0:1], -1
	s_cbranch_scc1 .LBB38_1835
; %bb.1830:
	s_cmp_gt_i32 s2, 6
	s_cbranch_scc0 .LBB38_1832
; %bb.1831:
	s_waitcnt vmcnt(0)
	v_lshlrev_b32_e32 v3, 16, v2
	v_cvt_f64_f32_e32 v[3:4], v3
	s_mov_b64 s[0:1], 0
	global_store_dwordx2 v[0:1], v[3:4], off
.LBB38_1832:
	s_andn2_b64 vcc, exec, s[0:1]
	s_cbranch_vccnz .LBB38_1834
; %bb.1833:
	s_waitcnt vmcnt(0)
	v_lshlrev_b32_e32 v3, 16, v2
	global_store_dword v[0:1], v3, off
.LBB38_1834:
	s_mov_b64 s[0:1], 0
.LBB38_1835:
	s_andn2_b64 vcc, exec, s[0:1]
	s_cbranch_vccnz .LBB38_1837
; %bb.1836:
	s_waitcnt vmcnt(0)
	v_lshlrev_b32_e32 v3, 16, v2
	v_cvt_f16_f32_e32 v3, v3
	global_store_short v[0:1], v3, off
.LBB38_1837:
	s_mov_b64 s[0:1], 0
.LBB38_1838:
	s_andn2_b64 vcc, exec, s[0:1]
	s_cbranch_vccnz .LBB38_1854
; %bb.1839:
	s_sext_i32_i16 s2, s20
	s_cmp_lt_i32 s2, 2
	s_mov_b64 s[0:1], -1
	s_cbranch_scc1 .LBB38_1849
; %bb.1840:
	s_cmp_lt_i32 s2, 3
	s_cbranch_scc1 .LBB38_1846
; %bb.1841:
	s_cmp_gt_i32 s2, 3
	s_cbranch_scc0 .LBB38_1843
; %bb.1842:
	s_waitcnt vmcnt(0)
	v_lshlrev_b32_e32 v3, 16, v2
	v_trunc_f32_e32 v3, v3
	s_mov_b32 s0, 0x2f800000
	v_mul_f32_e64 v4, |v3|, s0
	v_floor_f32_e32 v4, v4
	s_mov_b32 s0, 0xcf800000
	v_cvt_u32_f32_e32 v5, v4
	v_fma_f32 v4, v4, s0, |v3|
	v_cvt_u32_f32_e32 v4, v4
	v_ashrrev_i32_e32 v6, 31, v3
	v_xor_b32_e32 v5, v5, v6
	s_mov_b64 s[0:1], 0
	v_xor_b32_e32 v3, v4, v6
	v_sub_co_u32_e32 v3, vcc, v3, v6
	v_subb_co_u32_e32 v4, vcc, v5, v6, vcc
	global_store_dwordx2 v[0:1], v[3:4], off
.LBB38_1843:
	s_andn2_b64 vcc, exec, s[0:1]
	s_cbranch_vccnz .LBB38_1845
; %bb.1844:
	s_waitcnt vmcnt(0)
	v_lshlrev_b32_e32 v3, 16, v2
	v_cvt_i32_f32_e32 v3, v3
	global_store_dword v[0:1], v3, off
.LBB38_1845:
	s_mov_b64 s[0:1], 0
.LBB38_1846:
	s_andn2_b64 vcc, exec, s[0:1]
	s_cbranch_vccnz .LBB38_1848
; %bb.1847:
	s_waitcnt vmcnt(0)
	v_lshlrev_b32_e32 v3, 16, v2
	v_cvt_i32_f32_e32 v3, v3
	global_store_short v[0:1], v3, off
.LBB38_1848:
	s_mov_b64 s[0:1], 0
.LBB38_1849:
	s_andn2_b64 vcc, exec, s[0:1]
	s_cbranch_vccnz .LBB38_1854
; %bb.1850:
	s_sext_i32_i16 s2, s20
	s_mov_b64 s[0:1], -1
	s_cmp_gt_i32 s2, 0
	s_waitcnt vmcnt(0)
	v_lshlrev_b32_e32 v2, 16, v2
	s_cbranch_scc0 .LBB38_1852
; %bb.1851:
	v_cvt_i32_f32_e32 v3, v2
	s_mov_b64 s[0:1], 0
	global_store_byte v[0:1], v3, off
.LBB38_1852:
	s_andn2_b64 vcc, exec, s[0:1]
	s_cbranch_vccnz .LBB38_1854
; %bb.1853:
	v_trunc_f32_e32 v2, v2
	s_mov_b32 s0, 0x2f800000
	v_mul_f32_e64 v3, |v2|, s0
	v_floor_f32_e32 v3, v3
	s_mov_b32 s0, 0xcf800000
	v_fma_f32 v3, v3, s0, |v2|
	v_cvt_u32_f32_e32 v3, v3
	v_ashrrev_i32_e32 v2, 31, v2
	v_xor_b32_e32 v3, v3, v2
	v_sub_u32_e32 v2, v3, v2
	global_store_byte v[0:1], v2, off
	s_endpgm
.LBB38_1854:
	s_endpgm
.LBB38_1855:
	s_mov_b64 s[0:1], -1
	s_mov_b64 s[12:13], 0
.LBB38_1856:
	s_and_b64 vcc, exec, s[0:1]
	s_cbranch_vccz .LBB38_1895
; %bb.1857:
	s_and_b32 s3, 0xffff, s20
	s_cmp_lt_i32 s3, 5
	s_mov_b64 s[0:1], -1
	s_cbranch_scc1 .LBB38_1878
; %bb.1858:
	s_cmp_lt_i32 s3, 8
	s_cbranch_scc1 .LBB38_1868
; %bb.1859:
	s_cmp_lt_i32 s3, 9
	s_cbranch_scc1 .LBB38_1865
; %bb.1860:
	s_cmp_gt_i32 s3, 9
	s_cbranch_scc0 .LBB38_1862
; %bb.1861:
	v_lshlrev_b32_e32 v4, 16, v7
	v_cvt_f64_f32_e32 v[10:11], v4
	v_mov_b32_e32 v12, 0
	v_mov_b32_e32 v13, v12
	s_mov_b64 s[0:1], 0
	global_store_dwordx4 v[0:1], v[10:13], off
.LBB38_1862:
	s_andn2_b64 vcc, exec, s[0:1]
	s_cbranch_vccnz .LBB38_1864
; %bb.1863:
	v_lshlrev_b32_e32 v4, 16, v7
	v_mov_b32_e32 v5, 0
	global_store_dwordx2 v[0:1], v[4:5], off
.LBB38_1864:
	s_mov_b64 s[0:1], 0
.LBB38_1865:
	s_andn2_b64 vcc, exec, s[0:1]
	s_cbranch_vccnz .LBB38_1867
; %bb.1866:
	v_lshlrev_b32_e32 v4, 16, v7
	v_cvt_f16_f32_e32 v4, v4
	global_store_dword v[0:1], v4, off
.LBB38_1867:
	s_mov_b64 s[0:1], 0
.LBB38_1868:
	s_andn2_b64 vcc, exec, s[0:1]
	s_cbranch_vccnz .LBB38_1877
; %bb.1869:
	s_cmp_lt_i32 s3, 6
	s_mov_b64 s[0:1], -1
	s_cbranch_scc1 .LBB38_1875
; %bb.1870:
	s_cmp_gt_i32 s3, 6
	s_cbranch_scc0 .LBB38_1872
; %bb.1871:
	v_lshlrev_b32_e32 v4, 16, v7
	v_cvt_f64_f32_e32 v[4:5], v4
	s_mov_b64 s[0:1], 0
	global_store_dwordx2 v[0:1], v[4:5], off
.LBB38_1872:
	s_andn2_b64 vcc, exec, s[0:1]
	s_cbranch_vccnz .LBB38_1874
; %bb.1873:
	v_lshlrev_b32_e32 v4, 16, v7
	global_store_dword v[0:1], v4, off
.LBB38_1874:
	s_mov_b64 s[0:1], 0
.LBB38_1875:
	s_andn2_b64 vcc, exec, s[0:1]
	s_cbranch_vccnz .LBB38_1877
; %bb.1876:
	v_lshlrev_b32_e32 v4, 16, v7
	v_cvt_f16_f32_e32 v4, v4
	global_store_short v[0:1], v4, off
.LBB38_1877:
	s_mov_b64 s[0:1], 0
.LBB38_1878:
	s_andn2_b64 vcc, exec, s[0:1]
	s_cbranch_vccnz .LBB38_1894
; %bb.1879:
	s_cmp_lt_i32 s3, 2
	s_mov_b64 s[0:1], -1
	s_cbranch_scc1 .LBB38_1889
; %bb.1880:
	s_cmp_lt_i32 s3, 3
	s_cbranch_scc1 .LBB38_1886
; %bb.1881:
	s_cmp_gt_i32 s3, 3
	s_cbranch_scc0 .LBB38_1883
; %bb.1882:
	v_lshlrev_b32_e32 v4, 16, v7
	v_trunc_f32_e32 v4, v4
	s_mov_b32 s0, 0x2f800000
	v_mul_f32_e64 v5, |v4|, s0
	v_floor_f32_e32 v5, v5
	s_mov_b32 s0, 0xcf800000
	v_cvt_u32_f32_e32 v6, v5
	v_fma_f32 v5, v5, s0, |v4|
	v_cvt_u32_f32_e32 v5, v5
	v_ashrrev_i32_e32 v10, 31, v4
	v_xor_b32_e32 v6, v6, v10
	s_mov_b64 s[0:1], 0
	v_xor_b32_e32 v4, v5, v10
	v_sub_co_u32_e32 v4, vcc, v4, v10
	v_subb_co_u32_e32 v5, vcc, v6, v10, vcc
	global_store_dwordx2 v[0:1], v[4:5], off
.LBB38_1883:
	s_andn2_b64 vcc, exec, s[0:1]
	s_cbranch_vccnz .LBB38_1885
; %bb.1884:
	v_lshlrev_b32_e32 v4, 16, v7
	v_cvt_i32_f32_e32 v4, v4
	global_store_dword v[0:1], v4, off
.LBB38_1885:
	s_mov_b64 s[0:1], 0
.LBB38_1886:
	s_andn2_b64 vcc, exec, s[0:1]
	s_cbranch_vccnz .LBB38_1888
; %bb.1887:
	v_lshlrev_b32_e32 v4, 16, v7
	v_cvt_i32_f32_e32 v4, v4
	global_store_short v[0:1], v4, off
.LBB38_1888:
	s_mov_b64 s[0:1], 0
.LBB38_1889:
	s_andn2_b64 vcc, exec, s[0:1]
	s_cbranch_vccnz .LBB38_1894
; %bb.1890:
	s_mov_b64 s[0:1], -1
	s_cmp_gt_i32 s3, 0
	v_lshlrev_b32_e32 v4, 16, v7
	s_cbranch_scc0 .LBB38_1892
; %bb.1891:
	v_cvt_i32_f32_e32 v5, v4
	s_mov_b64 s[0:1], 0
	global_store_byte v[0:1], v5, off
.LBB38_1892:
	s_andn2_b64 vcc, exec, s[0:1]
	s_cbranch_vccnz .LBB38_1894
; %bb.1893:
	v_trunc_f32_e32 v4, v4
	s_mov_b32 s0, 0x2f800000
	v_mul_f32_e64 v5, |v4|, s0
	v_floor_f32_e32 v5, v5
	s_mov_b32 s0, 0xcf800000
	v_fma_f32 v5, v5, s0, |v4|
	v_cvt_u32_f32_e32 v5, v5
	v_ashrrev_i32_e32 v4, 31, v4
	v_xor_b32_e32 v5, v5, v4
	v_sub_u32_e32 v4, v5, v4
	global_store_byte v[0:1], v4, off
.LBB38_1894:
	s_mov_b64 s[12:13], -1
.LBB38_1895:
	s_andn2_b64 vcc, exec, s[12:13]
	s_cbranch_vccnz .LBB38_2210
; %bb.1896:
	s_lshl_b32 s18, s2, 7
	v_add_u32_e32 v3, s18, v3
	v_ashrrev_i32_e32 v1, 31, v3
	v_mov_b32_e32 v4, s9
	v_add_co_u32_e32 v0, vcc, s8, v3
	s_cmp_lt_i32 s20, 11
	v_addc_co_u32_e32 v1, vcc, v4, v1, vcc
	s_cbranch_scc1 .LBB38_1974
; %bb.1897:
	s_and_b32 s19, 0xffff, s20
	s_mov_b64 s[12:13], -1
	s_mov_b64 s[2:3], 0
	s_cmp_gt_i32 s19, 25
	s_mov_b64 s[10:11], 0
	s_mov_b64 s[0:1], 0
	s_cbranch_scc0 .LBB38_1930
; %bb.1898:
	s_cmp_gt_i32 s19, 28
	s_cbranch_scc0 .LBB38_1913
; %bb.1899:
	s_cmp_gt_i32 s19, 43
	;; [unrolled: 3-line block ×3, first 2 shown]
	s_cbranch_scc0 .LBB38_1903
; %bb.1901:
	s_mov_b64 s[0:1], -1
	s_mov_b64 s[12:13], 0
	s_cmp_eq_u32 s19, 46
	s_cbranch_scc0 .LBB38_1903
; %bb.1902:
	v_and_b32_e32 v4, 0xffff, v8
	global_store_dword v[0:1], v4, off
	s_mov_b64 s[0:1], 0
	s_mov_b64 s[10:11], -1
.LBB38_1903:
	s_and_b64 vcc, exec, s[12:13]
	s_cbranch_vccz .LBB38_1908
; %bb.1904:
	s_cmp_eq_u32 s19, 44
	s_mov_b64 s[0:1], -1
	s_cbranch_scc0 .LBB38_1908
; %bb.1905:
	v_and_b32_e32 v5, 0xffff, v8
	v_bfe_u32 v4, v5, 7, 8
	s_movk_i32 s0, 0xff
	v_cmp_ne_u32_e32 vcc, s0, v4
	v_mov_b32_e32 v6, 0xff
	s_and_saveexec_b64 s[10:11], vcc
	s_cbranch_execz .LBB38_1907
; %bb.1906:
	v_lshlrev_b32_e32 v7, 16, v5
	s_mov_b32 s0, 0x3f0000
	v_lshrrev_b32_e32 v6, 7, v5
	v_and_b32_e32 v5, 64, v5
	v_and_or_b32 v4, v7, s0, v4
	v_cmp_ne_u32_e32 vcc, 0, v5
	v_cmp_ne_u32_e64 s[0:1], 0, v4
	s_and_b64 s[0:1], vcc, s[0:1]
	v_cndmask_b32_e64 v4, 0, 1, s[0:1]
	v_add_u32_e32 v6, v6, v4
.LBB38_1907:
	s_or_b64 exec, exec, s[10:11]
	s_mov_b64 s[0:1], 0
	s_mov_b64 s[10:11], -1
	global_store_byte v[0:1], v6, off
.LBB38_1908:
	s_mov_b64 s[12:13], 0
.LBB38_1909:
	s_and_b64 vcc, exec, s[12:13]
	s_cbranch_vccz .LBB38_1912
; %bb.1910:
	s_cmp_eq_u32 s19, 29
	s_mov_b64 s[0:1], -1
	s_cbranch_scc0 .LBB38_1912
; %bb.1911:
	v_lshlrev_b32_e32 v4, 16, v8
	v_trunc_f32_e32 v4, v4
	v_mul_f32_e32 v5, 0x2f800000, v4
	v_floor_f32_e32 v6, v5
	v_fmac_f32_e32 v4, 0xcf800000, v6
	v_cvt_u32_f32_e32 v5, v6
	v_cvt_u32_f32_e32 v4, v4
	s_mov_b64 s[0:1], 0
	s_mov_b64 s[10:11], -1
	global_store_dwordx2 v[0:1], v[4:5], off
.LBB38_1912:
	s_mov_b64 s[12:13], 0
.LBB38_1913:
	s_and_b64 vcc, exec, s[12:13]
	s_cbranch_vccz .LBB38_1929
; %bb.1914:
	s_cmp_lt_i32 s19, 27
	s_mov_b64 s[10:11], -1
	s_cbranch_scc1 .LBB38_1920
; %bb.1915:
	s_cmp_gt_i32 s19, 27
	s_cbranch_scc0 .LBB38_1917
; %bb.1916:
	v_lshlrev_b32_e32 v4, 16, v8
	v_cvt_u32_f32_e32 v4, v4
	s_mov_b64 s[10:11], 0
	global_store_dword v[0:1], v4, off
.LBB38_1917:
	s_andn2_b64 vcc, exec, s[10:11]
	s_cbranch_vccnz .LBB38_1919
; %bb.1918:
	v_lshlrev_b32_e32 v4, 16, v8
	v_cvt_u32_f32_e32 v4, v4
	global_store_short v[0:1], v4, off
.LBB38_1919:
	s_mov_b64 s[10:11], 0
.LBB38_1920:
	s_andn2_b64 vcc, exec, s[10:11]
	s_cbranch_vccnz .LBB38_1928
; %bb.1921:
	v_lshlrev_b32_e32 v6, 16, v8
	v_and_b32_e32 v5, 0x7fffffff, v6
	s_mov_b32 s10, 0x43800000
	v_cmp_gt_u32_e32 vcc, s10, v5
	v_mov_b32_e32 v7, 0x80
	s_and_saveexec_b64 s[10:11], vcc
	s_cbranch_execz .LBB38_1927
; %bb.1922:
	s_mov_b32 s12, 0x3bffffff
	v_and_b32_e32 v4, 0xffff, v8
	v_cmp_lt_u32_e32 vcc, s12, v5
	s_mov_b64 s[12:13], 0
                                        ; implicit-def: $vgpr5
	s_and_saveexec_b64 s[16:17], vcc
	s_xor_b64 s[16:17], exec, s[16:17]
	s_cbranch_execz .LBB38_2218
; %bb.1923:
	v_bfe_u32 v5, v4, 4, 1
	s_mov_b32 s21, 0x487ffff
	v_add3_u32 v5, v6, v5, s21
	s_mov_b64 s[12:13], exec
	v_lshrrev_b32_e32 v5, 20, v5
                                        ; implicit-def: $vgpr6
	s_andn2_saveexec_b64 s[16:17], s[16:17]
	s_cbranch_execnz .LBB38_2219
.LBB38_1924:
	s_or_b64 exec, exec, s[16:17]
	v_mov_b32_e32 v7, 0
	s_and_saveexec_b64 s[16:17], s[12:13]
.LBB38_1925:
	v_lshrrev_b32_e32 v4, 8, v4
	s_movk_i32 s12, 0x80
	v_and_or_b32 v7, v4, s12, v5
.LBB38_1926:
	s_or_b64 exec, exec, s[16:17]
.LBB38_1927:
	s_or_b64 exec, exec, s[10:11]
	global_store_byte v[0:1], v7, off
.LBB38_1928:
	s_mov_b64 s[10:11], -1
.LBB38_1929:
	s_mov_b64 s[12:13], 0
.LBB38_1930:
	s_and_b64 vcc, exec, s[12:13]
	s_cbranch_vccz .LBB38_1970
; %bb.1931:
	s_cmp_gt_i32 s19, 22
	s_mov_b64 s[2:3], -1
	s_cbranch_scc0 .LBB38_1963
; %bb.1932:
	s_cmp_lt_i32 s19, 24
	s_cbranch_scc1 .LBB38_1952
; %bb.1933:
	s_cmp_gt_i32 s19, 24
	s_cbranch_scc0 .LBB38_1941
; %bb.1934:
	v_lshlrev_b32_e32 v6, 16, v8
	v_and_b32_e32 v5, 0x7fffffff, v6
	s_mov_b32 s2, 0x47800000
	v_cmp_gt_u32_e32 vcc, s2, v5
	v_mov_b32_e32 v7, 0x80
	s_and_saveexec_b64 s[2:3], vcc
	s_cbranch_execz .LBB38_1940
; %bb.1935:
	s_mov_b32 s10, 0x37ffffff
	v_and_b32_e32 v4, 0xffff, v8
	v_cmp_lt_u32_e32 vcc, s10, v5
	s_mov_b64 s[10:11], 0
                                        ; implicit-def: $vgpr5
	s_and_saveexec_b64 s[12:13], vcc
	s_xor_b64 s[12:13], exec, s[12:13]
	s_cbranch_execz .LBB38_2221
; %bb.1936:
	v_bfe_u32 v5, v4, 5, 1
	s_mov_b32 s16, 0x88fffff
	v_add3_u32 v5, v6, v5, s16
	s_mov_b64 s[10:11], exec
	v_lshrrev_b32_e32 v5, 21, v5
                                        ; implicit-def: $vgpr6
	s_andn2_saveexec_b64 s[12:13], s[12:13]
	s_cbranch_execnz .LBB38_2222
.LBB38_1937:
	s_or_b64 exec, exec, s[12:13]
	v_mov_b32_e32 v7, 0
	s_and_saveexec_b64 s[12:13], s[10:11]
.LBB38_1938:
	v_lshrrev_b32_e32 v4, 8, v4
	s_movk_i32 s10, 0x80
	v_and_or_b32 v7, v4, s10, v5
.LBB38_1939:
	s_or_b64 exec, exec, s[12:13]
.LBB38_1940:
	s_or_b64 exec, exec, s[2:3]
	s_mov_b64 s[2:3], 0
	global_store_byte v[0:1], v7, off
.LBB38_1941:
	s_and_b64 vcc, exec, s[2:3]
	s_cbranch_vccz .LBB38_1951
; %bb.1942:
	v_lshlrev_b32_e32 v6, 16, v8
	v_and_b32_e32 v7, 0x7fffffff, v6
	s_mov_b32 s2, 0x43f00000
	v_and_b32_e32 v4, 0xffff, v8
	v_cmp_gt_u32_e32 vcc, s2, v7
                                        ; implicit-def: $vgpr5
	s_and_saveexec_b64 s[2:3], vcc
	s_xor_b64 s[2:3], exec, s[2:3]
	s_cbranch_execz .LBB38_1948
; %bb.1943:
	s_mov_b32 s10, 0x3c7fffff
	v_cmp_lt_u32_e32 vcc, s10, v7
                                        ; implicit-def: $vgpr5
	s_and_saveexec_b64 s[10:11], vcc
	s_xor_b64 s[10:11], exec, s[10:11]
; %bb.1944:
	v_bfe_u32 v5, v4, 4, 1
	s_mov_b32 s12, 0x407ffff
	v_add3_u32 v5, v6, v5, s12
	v_lshrrev_b32_e32 v6, 20, v5
	v_and_b32_e32 v5, 0xff00000, v5
	s_mov_b32 s12, 0x7f00000
	v_mov_b32_e32 v7, 0x7e
	v_cmp_ne_u32_e32 vcc, s12, v5
	v_cndmask_b32_e32 v5, v7, v6, vcc
                                        ; implicit-def: $vgpr6
; %bb.1945:
	s_andn2_saveexec_b64 s[10:11], s[10:11]
; %bb.1946:
	s_mov_b32 s12, 0x46800000
	v_add_f32_e64 v5, |v6|, s12
; %bb.1947:
	s_or_b64 exec, exec, s[10:11]
                                        ; implicit-def: $vgpr7
.LBB38_1948:
	s_andn2_saveexec_b64 s[2:3], s[2:3]
; %bb.1949:
	s_mov_b32 s10, 0x7f800000
	v_mov_b32_e32 v5, 0x7e
	v_mov_b32_e32 v6, 0x7f
	v_cmp_lt_u32_e32 vcc, s10, v7
	v_cndmask_b32_e32 v5, v5, v6, vcc
; %bb.1950:
	s_or_b64 exec, exec, s[2:3]
	v_lshrrev_b32_e32 v4, 8, v4
	s_movk_i32 s2, 0x80
	v_and_or_b32 v4, v4, s2, v5
	global_store_byte v[0:1], v4, off
.LBB38_1951:
	s_mov_b64 s[2:3], 0
.LBB38_1952:
	s_andn2_b64 vcc, exec, s[2:3]
	s_cbranch_vccnz .LBB38_1962
; %bb.1953:
	v_lshlrev_b32_e32 v6, 16, v8
	v_and_b32_e32 v7, 0x7fffffff, v6
	s_mov_b32 s2, 0x47800000
	v_and_b32_e32 v4, 0xffff, v8
	v_cmp_gt_u32_e32 vcc, s2, v7
                                        ; implicit-def: $vgpr5
	s_and_saveexec_b64 s[2:3], vcc
	s_xor_b64 s[2:3], exec, s[2:3]
	s_cbranch_execz .LBB38_1959
; %bb.1954:
	s_mov_b32 s10, 0x387fffff
	v_cmp_lt_u32_e32 vcc, s10, v7
                                        ; implicit-def: $vgpr5
	s_and_saveexec_b64 s[10:11], vcc
	s_xor_b64 s[10:11], exec, s[10:11]
; %bb.1955:
	v_bfe_u32 v5, v4, 5, 1
	s_mov_b32 s12, 0x80fffff
	v_add3_u32 v5, v6, v5, s12
	v_lshrrev_b32_e32 v5, 21, v5
                                        ; implicit-def: $vgpr6
; %bb.1956:
	s_andn2_saveexec_b64 s[10:11], s[10:11]
; %bb.1957:
	s_mov_b32 s12, 0x43000000
	v_add_f32_e64 v5, |v6|, s12
; %bb.1958:
	s_or_b64 exec, exec, s[10:11]
                                        ; implicit-def: $vgpr7
.LBB38_1959:
	s_andn2_saveexec_b64 s[2:3], s[2:3]
; %bb.1960:
	s_mov_b32 s10, 0x7f800000
	v_mov_b32_e32 v5, 0x7c
	v_mov_b32_e32 v6, 0x7f
	v_cmp_lt_u32_e32 vcc, s10, v7
	v_cndmask_b32_e32 v5, v5, v6, vcc
; %bb.1961:
	s_or_b64 exec, exec, s[2:3]
	v_lshrrev_b32_e32 v4, 8, v4
	s_movk_i32 s2, 0x80
	v_and_or_b32 v4, v4, s2, v5
	global_store_byte v[0:1], v4, off
.LBB38_1962:
	s_mov_b64 s[2:3], 0
	s_mov_b64 s[10:11], -1
.LBB38_1963:
	s_andn2_b64 vcc, exec, s[2:3]
	s_mov_b64 s[2:3], 0
	s_cbranch_vccnz .LBB38_1970
; %bb.1964:
	s_cmp_gt_i32 s19, 14
	s_mov_b64 s[12:13], -1
	s_cbranch_scc0 .LBB38_1968
; %bb.1965:
	s_cmp_eq_u32 s19, 15
	s_mov_b64 s[0:1], -1
	s_cbranch_scc0 .LBB38_1967
; %bb.1966:
	global_store_short v[0:1], v8, off
	s_mov_b64 s[0:1], 0
	s_mov_b64 s[10:11], -1
.LBB38_1967:
	s_mov_b64 s[12:13], 0
.LBB38_1968:
	s_and_b64 vcc, exec, s[12:13]
	s_cbranch_vccz .LBB38_1970
; %bb.1969:
	s_cmp_lg_u32 s19, 11
	s_mov_b64 s[2:3], -1
	s_cselect_b64 s[0:1], -1, 0
.LBB38_1970:
	s_and_b64 vcc, exec, s[0:1]
	s_cbranch_vccnz .LBB38_2220
; %bb.1971:
	s_andn2_b64 vcc, exec, s[2:3]
	s_cbranch_vccnz .LBB38_1973
.LBB38_1972:
	v_and_b32_e32 v4, 0x7fff, v8
	v_cmp_ne_u16_e32 vcc, 0, v4
	v_cndmask_b32_e64 v4, 0, 1, vcc
	s_mov_b64 s[10:11], -1
	global_store_byte v[0:1], v4, off
.LBB38_1973:
	s_mov_b64 s[0:1], 0
	s_branch .LBB38_1975
.LBB38_1974:
	s_mov_b64 s[0:1], -1
	s_mov_b64 s[10:11], 0
.LBB38_1975:
	s_and_b64 vcc, exec, s[0:1]
	s_cbranch_vccz .LBB38_2014
; %bb.1976:
	s_and_b32 s2, 0xffff, s20
	s_cmp_lt_i32 s2, 5
	s_mov_b64 s[0:1], -1
	s_cbranch_scc1 .LBB38_1997
; %bb.1977:
	s_cmp_lt_i32 s2, 8
	s_cbranch_scc1 .LBB38_1987
; %bb.1978:
	s_cmp_lt_i32 s2, 9
	s_cbranch_scc1 .LBB38_1984
; %bb.1979:
	s_cmp_gt_i32 s2, 9
	s_cbranch_scc0 .LBB38_1981
; %bb.1980:
	v_lshlrev_b32_e32 v4, 16, v8
	v_cvt_f64_f32_e32 v[4:5], v4
	v_mov_b32_e32 v6, 0
	v_mov_b32_e32 v7, v6
	s_mov_b64 s[0:1], 0
	global_store_dwordx4 v[0:1], v[4:7], off
.LBB38_1981:
	s_andn2_b64 vcc, exec, s[0:1]
	s_cbranch_vccnz .LBB38_1983
; %bb.1982:
	v_lshlrev_b32_e32 v4, 16, v8
	v_mov_b32_e32 v5, 0
	global_store_dwordx2 v[0:1], v[4:5], off
.LBB38_1983:
	s_mov_b64 s[0:1], 0
.LBB38_1984:
	s_andn2_b64 vcc, exec, s[0:1]
	s_cbranch_vccnz .LBB38_1986
; %bb.1985:
	v_lshlrev_b32_e32 v4, 16, v8
	v_cvt_f16_f32_e32 v4, v4
	global_store_dword v[0:1], v4, off
.LBB38_1986:
	s_mov_b64 s[0:1], 0
.LBB38_1987:
	s_andn2_b64 vcc, exec, s[0:1]
	s_cbranch_vccnz .LBB38_1996
; %bb.1988:
	s_cmp_lt_i32 s2, 6
	s_mov_b64 s[0:1], -1
	s_cbranch_scc1 .LBB38_1994
; %bb.1989:
	s_cmp_gt_i32 s2, 6
	s_cbranch_scc0 .LBB38_1991
; %bb.1990:
	v_lshlrev_b32_e32 v4, 16, v8
	v_cvt_f64_f32_e32 v[4:5], v4
	s_mov_b64 s[0:1], 0
	global_store_dwordx2 v[0:1], v[4:5], off
.LBB38_1991:
	s_andn2_b64 vcc, exec, s[0:1]
	s_cbranch_vccnz .LBB38_1993
; %bb.1992:
	v_lshlrev_b32_e32 v4, 16, v8
	global_store_dword v[0:1], v4, off
.LBB38_1993:
	s_mov_b64 s[0:1], 0
.LBB38_1994:
	s_andn2_b64 vcc, exec, s[0:1]
	s_cbranch_vccnz .LBB38_1996
; %bb.1995:
	v_lshlrev_b32_e32 v4, 16, v8
	v_cvt_f16_f32_e32 v4, v4
	global_store_short v[0:1], v4, off
.LBB38_1996:
	s_mov_b64 s[0:1], 0
.LBB38_1997:
	s_andn2_b64 vcc, exec, s[0:1]
	s_cbranch_vccnz .LBB38_2013
; %bb.1998:
	s_cmp_lt_i32 s2, 2
	s_mov_b64 s[0:1], -1
	s_cbranch_scc1 .LBB38_2008
; %bb.1999:
	s_cmp_lt_i32 s2, 3
	s_cbranch_scc1 .LBB38_2005
; %bb.2000:
	s_cmp_gt_i32 s2, 3
	s_cbranch_scc0 .LBB38_2002
; %bb.2001:
	v_lshlrev_b32_e32 v4, 16, v8
	v_trunc_f32_e32 v4, v4
	s_mov_b32 s0, 0x2f800000
	v_mul_f32_e64 v5, |v4|, s0
	v_floor_f32_e32 v5, v5
	s_mov_b32 s0, 0xcf800000
	v_cvt_u32_f32_e32 v6, v5
	v_fma_f32 v5, v5, s0, |v4|
	v_cvt_u32_f32_e32 v5, v5
	v_ashrrev_i32_e32 v7, 31, v4
	v_xor_b32_e32 v6, v6, v7
	s_mov_b64 s[0:1], 0
	v_xor_b32_e32 v4, v5, v7
	v_sub_co_u32_e32 v4, vcc, v4, v7
	v_subb_co_u32_e32 v5, vcc, v6, v7, vcc
	global_store_dwordx2 v[0:1], v[4:5], off
.LBB38_2002:
	s_andn2_b64 vcc, exec, s[0:1]
	s_cbranch_vccnz .LBB38_2004
; %bb.2003:
	v_lshlrev_b32_e32 v4, 16, v8
	v_cvt_i32_f32_e32 v4, v4
	global_store_dword v[0:1], v4, off
.LBB38_2004:
	s_mov_b64 s[0:1], 0
.LBB38_2005:
	s_andn2_b64 vcc, exec, s[0:1]
	s_cbranch_vccnz .LBB38_2007
; %bb.2006:
	v_lshlrev_b32_e32 v4, 16, v8
	v_cvt_i32_f32_e32 v4, v4
	global_store_short v[0:1], v4, off
.LBB38_2007:
	s_mov_b64 s[0:1], 0
.LBB38_2008:
	s_andn2_b64 vcc, exec, s[0:1]
	s_cbranch_vccnz .LBB38_2013
; %bb.2009:
	s_mov_b64 s[0:1], -1
	s_cmp_gt_i32 s2, 0
	v_lshlrev_b32_e32 v4, 16, v8
	s_cbranch_scc0 .LBB38_2011
; %bb.2010:
	v_cvt_i32_f32_e32 v5, v4
	s_mov_b64 s[0:1], 0
	global_store_byte v[0:1], v5, off
.LBB38_2011:
	s_andn2_b64 vcc, exec, s[0:1]
	s_cbranch_vccnz .LBB38_2013
; %bb.2012:
	v_trunc_f32_e32 v4, v4
	s_mov_b32 s0, 0x2f800000
	v_mul_f32_e64 v5, |v4|, s0
	v_floor_f32_e32 v5, v5
	s_mov_b32 s0, 0xcf800000
	v_fma_f32 v5, v5, s0, |v4|
	v_cvt_u32_f32_e32 v5, v5
	v_ashrrev_i32_e32 v4, 31, v4
	v_xor_b32_e32 v5, v5, v4
	v_sub_u32_e32 v4, v5, v4
	global_store_byte v[0:1], v4, off
.LBB38_2013:
	s_mov_b64 s[10:11], -1
.LBB38_2014:
	s_andn2_b64 vcc, exec, s[10:11]
	s_cbranch_vccnz .LBB38_2210
; %bb.2015:
	v_add_u32_e32 v3, s18, v3
	v_ashrrev_i32_e32 v1, 31, v3
	v_mov_b32_e32 v4, s9
	v_add_co_u32_e32 v0, vcc, s8, v3
	s_cmp_lt_i32 s20, 11
	v_addc_co_u32_e32 v1, vcc, v4, v1, vcc
	s_cbranch_scc1 .LBB38_2093
; %bb.2016:
	s_and_b32 s19, 0xffff, s20
	s_mov_b64 s[12:13], -1
	s_mov_b64 s[2:3], 0
	s_cmp_gt_i32 s19, 25
	s_mov_b64 s[10:11], 0
	s_mov_b64 s[0:1], 0
	s_cbranch_scc0 .LBB38_2049
; %bb.2017:
	s_cmp_gt_i32 s19, 28
	s_cbranch_scc0 .LBB38_2032
; %bb.2018:
	s_cmp_gt_i32 s19, 43
	s_cbranch_scc0 .LBB38_2028
; %bb.2019:
	s_cmp_gt_i32 s19, 45
	s_cbranch_scc0 .LBB38_2022
; %bb.2020:
	s_mov_b64 s[0:1], -1
	s_mov_b64 s[12:13], 0
	s_cmp_eq_u32 s19, 46
	s_cbranch_scc0 .LBB38_2022
; %bb.2021:
	v_and_b32_e32 v4, 0xffff, v9
	global_store_dword v[0:1], v4, off
	s_mov_b64 s[0:1], 0
	s_mov_b64 s[10:11], -1
.LBB38_2022:
	s_and_b64 vcc, exec, s[12:13]
	s_cbranch_vccz .LBB38_2027
; %bb.2023:
	s_cmp_eq_u32 s19, 44
	s_mov_b64 s[0:1], -1
	s_cbranch_scc0 .LBB38_2027
; %bb.2024:
	v_and_b32_e32 v5, 0xffff, v9
	v_bfe_u32 v4, v5, 7, 8
	s_movk_i32 s0, 0xff
	v_cmp_ne_u32_e32 vcc, s0, v4
	v_mov_b32_e32 v6, 0xff
	s_and_saveexec_b64 s[10:11], vcc
	s_cbranch_execz .LBB38_2026
; %bb.2025:
	v_lshlrev_b32_e32 v7, 16, v5
	s_mov_b32 s0, 0x3f0000
	v_lshrrev_b32_e32 v6, 7, v5
	v_and_b32_e32 v5, 64, v5
	v_and_or_b32 v4, v7, s0, v4
	v_cmp_ne_u32_e32 vcc, 0, v5
	v_cmp_ne_u32_e64 s[0:1], 0, v4
	s_and_b64 s[0:1], vcc, s[0:1]
	v_cndmask_b32_e64 v4, 0, 1, s[0:1]
	v_add_u32_e32 v6, v6, v4
.LBB38_2026:
	s_or_b64 exec, exec, s[10:11]
	s_mov_b64 s[0:1], 0
	s_mov_b64 s[10:11], -1
	global_store_byte v[0:1], v6, off
.LBB38_2027:
	s_mov_b64 s[12:13], 0
.LBB38_2028:
	s_and_b64 vcc, exec, s[12:13]
	s_cbranch_vccz .LBB38_2031
; %bb.2029:
	s_cmp_eq_u32 s19, 29
	s_mov_b64 s[0:1], -1
	s_cbranch_scc0 .LBB38_2031
; %bb.2030:
	v_lshlrev_b32_e32 v4, 16, v9
	v_trunc_f32_e32 v4, v4
	v_mul_f32_e32 v5, 0x2f800000, v4
	v_floor_f32_e32 v6, v5
	v_fmac_f32_e32 v4, 0xcf800000, v6
	v_cvt_u32_f32_e32 v5, v6
	v_cvt_u32_f32_e32 v4, v4
	s_mov_b64 s[0:1], 0
	s_mov_b64 s[10:11], -1
	global_store_dwordx2 v[0:1], v[4:5], off
.LBB38_2031:
	s_mov_b64 s[12:13], 0
.LBB38_2032:
	s_and_b64 vcc, exec, s[12:13]
	s_cbranch_vccz .LBB38_2048
; %bb.2033:
	s_cmp_lt_i32 s19, 27
	s_mov_b64 s[10:11], -1
	s_cbranch_scc1 .LBB38_2039
; %bb.2034:
	s_cmp_gt_i32 s19, 27
	s_cbranch_scc0 .LBB38_2036
; %bb.2035:
	v_lshlrev_b32_e32 v4, 16, v9
	v_cvt_u32_f32_e32 v4, v4
	s_mov_b64 s[10:11], 0
	global_store_dword v[0:1], v4, off
.LBB38_2036:
	s_andn2_b64 vcc, exec, s[10:11]
	s_cbranch_vccnz .LBB38_2038
; %bb.2037:
	v_lshlrev_b32_e32 v4, 16, v9
	v_cvt_u32_f32_e32 v4, v4
	global_store_short v[0:1], v4, off
.LBB38_2038:
	s_mov_b64 s[10:11], 0
.LBB38_2039:
	s_andn2_b64 vcc, exec, s[10:11]
	s_cbranch_vccnz .LBB38_2047
; %bb.2040:
	v_lshlrev_b32_e32 v6, 16, v9
	v_and_b32_e32 v5, 0x7fffffff, v6
	s_mov_b32 s10, 0x43800000
	v_cmp_gt_u32_e32 vcc, s10, v5
	v_mov_b32_e32 v7, 0x80
	s_and_saveexec_b64 s[10:11], vcc
	s_cbranch_execz .LBB38_2046
; %bb.2041:
	s_mov_b32 s12, 0x3bffffff
	v_and_b32_e32 v4, 0xffff, v9
	v_cmp_lt_u32_e32 vcc, s12, v5
	s_mov_b64 s[12:13], 0
                                        ; implicit-def: $vgpr5
	s_and_saveexec_b64 s[16:17], vcc
	s_xor_b64 s[16:17], exec, s[16:17]
	s_cbranch_execz .LBB38_2223
; %bb.2042:
	v_bfe_u32 v5, v4, 4, 1
	s_mov_b32 s21, 0x487ffff
	v_add3_u32 v5, v6, v5, s21
	s_mov_b64 s[12:13], exec
	v_lshrrev_b32_e32 v5, 20, v5
                                        ; implicit-def: $vgpr6
	s_andn2_saveexec_b64 s[16:17], s[16:17]
	s_cbranch_execnz .LBB38_2224
.LBB38_2043:
	s_or_b64 exec, exec, s[16:17]
	v_mov_b32_e32 v7, 0
	s_and_saveexec_b64 s[16:17], s[12:13]
.LBB38_2044:
	v_lshrrev_b32_e32 v4, 8, v4
	s_movk_i32 s12, 0x80
	v_and_or_b32 v7, v4, s12, v5
.LBB38_2045:
	s_or_b64 exec, exec, s[16:17]
.LBB38_2046:
	s_or_b64 exec, exec, s[10:11]
	global_store_byte v[0:1], v7, off
.LBB38_2047:
	s_mov_b64 s[10:11], -1
.LBB38_2048:
	s_mov_b64 s[12:13], 0
.LBB38_2049:
	s_and_b64 vcc, exec, s[12:13]
	s_cbranch_vccz .LBB38_2089
; %bb.2050:
	s_cmp_gt_i32 s19, 22
	s_mov_b64 s[2:3], -1
	s_cbranch_scc0 .LBB38_2082
; %bb.2051:
	s_cmp_lt_i32 s19, 24
	s_cbranch_scc1 .LBB38_2071
; %bb.2052:
	s_cmp_gt_i32 s19, 24
	s_cbranch_scc0 .LBB38_2060
; %bb.2053:
	v_lshlrev_b32_e32 v6, 16, v9
	v_and_b32_e32 v5, 0x7fffffff, v6
	s_mov_b32 s2, 0x47800000
	v_cmp_gt_u32_e32 vcc, s2, v5
	v_mov_b32_e32 v7, 0x80
	s_and_saveexec_b64 s[2:3], vcc
	s_cbranch_execz .LBB38_2059
; %bb.2054:
	s_mov_b32 s10, 0x37ffffff
	v_and_b32_e32 v4, 0xffff, v9
	v_cmp_lt_u32_e32 vcc, s10, v5
	s_mov_b64 s[10:11], 0
                                        ; implicit-def: $vgpr5
	s_and_saveexec_b64 s[12:13], vcc
	s_xor_b64 s[12:13], exec, s[12:13]
	s_cbranch_execz .LBB38_2226
; %bb.2055:
	v_bfe_u32 v5, v4, 5, 1
	s_mov_b32 s16, 0x88fffff
	v_add3_u32 v5, v6, v5, s16
	s_mov_b64 s[10:11], exec
	v_lshrrev_b32_e32 v5, 21, v5
                                        ; implicit-def: $vgpr6
	s_andn2_saveexec_b64 s[12:13], s[12:13]
	s_cbranch_execnz .LBB38_2227
.LBB38_2056:
	s_or_b64 exec, exec, s[12:13]
	v_mov_b32_e32 v7, 0
	s_and_saveexec_b64 s[12:13], s[10:11]
.LBB38_2057:
	v_lshrrev_b32_e32 v4, 8, v4
	s_movk_i32 s10, 0x80
	v_and_or_b32 v7, v4, s10, v5
.LBB38_2058:
	s_or_b64 exec, exec, s[12:13]
.LBB38_2059:
	s_or_b64 exec, exec, s[2:3]
	s_mov_b64 s[2:3], 0
	global_store_byte v[0:1], v7, off
.LBB38_2060:
	s_and_b64 vcc, exec, s[2:3]
	s_cbranch_vccz .LBB38_2070
; %bb.2061:
	v_lshlrev_b32_e32 v6, 16, v9
	v_and_b32_e32 v7, 0x7fffffff, v6
	s_mov_b32 s2, 0x43f00000
	v_and_b32_e32 v4, 0xffff, v9
	v_cmp_gt_u32_e32 vcc, s2, v7
                                        ; implicit-def: $vgpr5
	s_and_saveexec_b64 s[2:3], vcc
	s_xor_b64 s[2:3], exec, s[2:3]
	s_cbranch_execz .LBB38_2067
; %bb.2062:
	s_mov_b32 s10, 0x3c7fffff
	v_cmp_lt_u32_e32 vcc, s10, v7
                                        ; implicit-def: $vgpr5
	s_and_saveexec_b64 s[10:11], vcc
	s_xor_b64 s[10:11], exec, s[10:11]
; %bb.2063:
	v_bfe_u32 v5, v4, 4, 1
	s_mov_b32 s12, 0x407ffff
	v_add3_u32 v5, v6, v5, s12
	v_lshrrev_b32_e32 v6, 20, v5
	v_and_b32_e32 v5, 0xff00000, v5
	s_mov_b32 s12, 0x7f00000
	v_mov_b32_e32 v7, 0x7e
	v_cmp_ne_u32_e32 vcc, s12, v5
	v_cndmask_b32_e32 v5, v7, v6, vcc
                                        ; implicit-def: $vgpr6
; %bb.2064:
	s_andn2_saveexec_b64 s[10:11], s[10:11]
; %bb.2065:
	s_mov_b32 s12, 0x46800000
	v_add_f32_e64 v5, |v6|, s12
; %bb.2066:
	s_or_b64 exec, exec, s[10:11]
                                        ; implicit-def: $vgpr7
.LBB38_2067:
	s_andn2_saveexec_b64 s[2:3], s[2:3]
; %bb.2068:
	s_mov_b32 s10, 0x7f800000
	v_mov_b32_e32 v5, 0x7e
	v_mov_b32_e32 v6, 0x7f
	v_cmp_lt_u32_e32 vcc, s10, v7
	v_cndmask_b32_e32 v5, v5, v6, vcc
; %bb.2069:
	s_or_b64 exec, exec, s[2:3]
	v_lshrrev_b32_e32 v4, 8, v4
	s_movk_i32 s2, 0x80
	v_and_or_b32 v4, v4, s2, v5
	global_store_byte v[0:1], v4, off
.LBB38_2070:
	s_mov_b64 s[2:3], 0
.LBB38_2071:
	s_andn2_b64 vcc, exec, s[2:3]
	s_cbranch_vccnz .LBB38_2081
; %bb.2072:
	v_lshlrev_b32_e32 v6, 16, v9
	v_and_b32_e32 v7, 0x7fffffff, v6
	s_mov_b32 s2, 0x47800000
	v_and_b32_e32 v4, 0xffff, v9
	v_cmp_gt_u32_e32 vcc, s2, v7
                                        ; implicit-def: $vgpr5
	s_and_saveexec_b64 s[2:3], vcc
	s_xor_b64 s[2:3], exec, s[2:3]
	s_cbranch_execz .LBB38_2078
; %bb.2073:
	s_mov_b32 s10, 0x387fffff
	v_cmp_lt_u32_e32 vcc, s10, v7
                                        ; implicit-def: $vgpr5
	s_and_saveexec_b64 s[10:11], vcc
	s_xor_b64 s[10:11], exec, s[10:11]
; %bb.2074:
	v_bfe_u32 v5, v4, 5, 1
	s_mov_b32 s12, 0x80fffff
	v_add3_u32 v5, v6, v5, s12
	v_lshrrev_b32_e32 v5, 21, v5
                                        ; implicit-def: $vgpr6
; %bb.2075:
	s_andn2_saveexec_b64 s[10:11], s[10:11]
; %bb.2076:
	s_mov_b32 s12, 0x43000000
	v_add_f32_e64 v5, |v6|, s12
; %bb.2077:
	s_or_b64 exec, exec, s[10:11]
                                        ; implicit-def: $vgpr7
.LBB38_2078:
	s_andn2_saveexec_b64 s[2:3], s[2:3]
; %bb.2079:
	s_mov_b32 s10, 0x7f800000
	v_mov_b32_e32 v5, 0x7c
	v_mov_b32_e32 v6, 0x7f
	v_cmp_lt_u32_e32 vcc, s10, v7
	v_cndmask_b32_e32 v5, v5, v6, vcc
; %bb.2080:
	s_or_b64 exec, exec, s[2:3]
	v_lshrrev_b32_e32 v4, 8, v4
	s_movk_i32 s2, 0x80
	v_and_or_b32 v4, v4, s2, v5
	global_store_byte v[0:1], v4, off
.LBB38_2081:
	s_mov_b64 s[2:3], 0
	s_mov_b64 s[10:11], -1
.LBB38_2082:
	s_andn2_b64 vcc, exec, s[2:3]
	s_mov_b64 s[2:3], 0
	s_cbranch_vccnz .LBB38_2089
; %bb.2083:
	s_cmp_gt_i32 s19, 14
	s_mov_b64 s[12:13], -1
	s_cbranch_scc0 .LBB38_2087
; %bb.2084:
	s_cmp_eq_u32 s19, 15
	s_mov_b64 s[0:1], -1
	s_cbranch_scc0 .LBB38_2086
; %bb.2085:
	global_store_short v[0:1], v9, off
	s_mov_b64 s[0:1], 0
	s_mov_b64 s[10:11], -1
.LBB38_2086:
	s_mov_b64 s[12:13], 0
.LBB38_2087:
	s_and_b64 vcc, exec, s[12:13]
	s_cbranch_vccz .LBB38_2089
; %bb.2088:
	s_cmp_lg_u32 s19, 11
	s_mov_b64 s[2:3], -1
	s_cselect_b64 s[0:1], -1, 0
.LBB38_2089:
	s_and_b64 vcc, exec, s[0:1]
	s_cbranch_vccnz .LBB38_2225
; %bb.2090:
	s_andn2_b64 vcc, exec, s[2:3]
	s_cbranch_vccnz .LBB38_2092
.LBB38_2091:
	v_and_b32_e32 v4, 0x7fff, v9
	v_cmp_ne_u16_e32 vcc, 0, v4
	v_cndmask_b32_e64 v4, 0, 1, vcc
	s_mov_b64 s[10:11], -1
	global_store_byte v[0:1], v4, off
.LBB38_2092:
	s_mov_b64 s[0:1], 0
	s_branch .LBB38_2094
.LBB38_2093:
	s_mov_b64 s[0:1], -1
	s_mov_b64 s[10:11], 0
.LBB38_2094:
	s_and_b64 vcc, exec, s[0:1]
	s_cbranch_vccz .LBB38_2133
; %bb.2095:
	s_and_b32 s2, 0xffff, s20
	s_cmp_lt_i32 s2, 5
	s_mov_b64 s[0:1], -1
	s_cbranch_scc1 .LBB38_2116
; %bb.2096:
	s_cmp_lt_i32 s2, 8
	s_cbranch_scc1 .LBB38_2106
; %bb.2097:
	s_cmp_lt_i32 s2, 9
	s_cbranch_scc1 .LBB38_2103
; %bb.2098:
	s_cmp_gt_i32 s2, 9
	s_cbranch_scc0 .LBB38_2100
; %bb.2099:
	v_lshlrev_b32_e32 v4, 16, v9
	v_cvt_f64_f32_e32 v[4:5], v4
	v_mov_b32_e32 v6, 0
	v_mov_b32_e32 v7, v6
	s_mov_b64 s[0:1], 0
	global_store_dwordx4 v[0:1], v[4:7], off
.LBB38_2100:
	s_andn2_b64 vcc, exec, s[0:1]
	s_cbranch_vccnz .LBB38_2102
; %bb.2101:
	v_lshlrev_b32_e32 v4, 16, v9
	v_mov_b32_e32 v5, 0
	global_store_dwordx2 v[0:1], v[4:5], off
.LBB38_2102:
	s_mov_b64 s[0:1], 0
.LBB38_2103:
	s_andn2_b64 vcc, exec, s[0:1]
	s_cbranch_vccnz .LBB38_2105
; %bb.2104:
	v_lshlrev_b32_e32 v4, 16, v9
	v_cvt_f16_f32_e32 v4, v4
	global_store_dword v[0:1], v4, off
.LBB38_2105:
	s_mov_b64 s[0:1], 0
.LBB38_2106:
	s_andn2_b64 vcc, exec, s[0:1]
	s_cbranch_vccnz .LBB38_2115
; %bb.2107:
	s_cmp_lt_i32 s2, 6
	s_mov_b64 s[0:1], -1
	s_cbranch_scc1 .LBB38_2113
; %bb.2108:
	s_cmp_gt_i32 s2, 6
	s_cbranch_scc0 .LBB38_2110
; %bb.2109:
	v_lshlrev_b32_e32 v4, 16, v9
	v_cvt_f64_f32_e32 v[4:5], v4
	s_mov_b64 s[0:1], 0
	global_store_dwordx2 v[0:1], v[4:5], off
.LBB38_2110:
	s_andn2_b64 vcc, exec, s[0:1]
	s_cbranch_vccnz .LBB38_2112
; %bb.2111:
	v_lshlrev_b32_e32 v4, 16, v9
	global_store_dword v[0:1], v4, off
.LBB38_2112:
	s_mov_b64 s[0:1], 0
.LBB38_2113:
	s_andn2_b64 vcc, exec, s[0:1]
	s_cbranch_vccnz .LBB38_2115
; %bb.2114:
	v_lshlrev_b32_e32 v4, 16, v9
	v_cvt_f16_f32_e32 v4, v4
	global_store_short v[0:1], v4, off
.LBB38_2115:
	s_mov_b64 s[0:1], 0
.LBB38_2116:
	s_andn2_b64 vcc, exec, s[0:1]
	s_cbranch_vccnz .LBB38_2132
; %bb.2117:
	s_cmp_lt_i32 s2, 2
	s_mov_b64 s[0:1], -1
	s_cbranch_scc1 .LBB38_2127
; %bb.2118:
	s_cmp_lt_i32 s2, 3
	s_cbranch_scc1 .LBB38_2124
; %bb.2119:
	s_cmp_gt_i32 s2, 3
	s_cbranch_scc0 .LBB38_2121
; %bb.2120:
	v_lshlrev_b32_e32 v4, 16, v9
	v_trunc_f32_e32 v4, v4
	s_mov_b32 s0, 0x2f800000
	v_mul_f32_e64 v5, |v4|, s0
	v_floor_f32_e32 v5, v5
	s_mov_b32 s0, 0xcf800000
	v_cvt_u32_f32_e32 v6, v5
	v_fma_f32 v5, v5, s0, |v4|
	v_cvt_u32_f32_e32 v5, v5
	v_ashrrev_i32_e32 v7, 31, v4
	v_xor_b32_e32 v6, v6, v7
	s_mov_b64 s[0:1], 0
	v_xor_b32_e32 v4, v5, v7
	v_sub_co_u32_e32 v4, vcc, v4, v7
	v_subb_co_u32_e32 v5, vcc, v6, v7, vcc
	global_store_dwordx2 v[0:1], v[4:5], off
.LBB38_2121:
	s_andn2_b64 vcc, exec, s[0:1]
	s_cbranch_vccnz .LBB38_2123
; %bb.2122:
	v_lshlrev_b32_e32 v4, 16, v9
	v_cvt_i32_f32_e32 v4, v4
	global_store_dword v[0:1], v4, off
.LBB38_2123:
	s_mov_b64 s[0:1], 0
.LBB38_2124:
	s_andn2_b64 vcc, exec, s[0:1]
	s_cbranch_vccnz .LBB38_2126
; %bb.2125:
	v_lshlrev_b32_e32 v4, 16, v9
	v_cvt_i32_f32_e32 v4, v4
	global_store_short v[0:1], v4, off
.LBB38_2126:
	s_mov_b64 s[0:1], 0
.LBB38_2127:
	s_andn2_b64 vcc, exec, s[0:1]
	s_cbranch_vccnz .LBB38_2132
; %bb.2128:
	s_mov_b64 s[0:1], -1
	s_cmp_gt_i32 s2, 0
	v_lshlrev_b32_e32 v4, 16, v9
	s_cbranch_scc0 .LBB38_2130
; %bb.2129:
	v_cvt_i32_f32_e32 v5, v4
	s_mov_b64 s[0:1], 0
	global_store_byte v[0:1], v5, off
.LBB38_2130:
	s_andn2_b64 vcc, exec, s[0:1]
	s_cbranch_vccnz .LBB38_2132
; %bb.2131:
	v_trunc_f32_e32 v4, v4
	s_mov_b32 s0, 0x2f800000
	v_mul_f32_e64 v5, |v4|, s0
	v_floor_f32_e32 v5, v5
	s_mov_b32 s0, 0xcf800000
	v_fma_f32 v5, v5, s0, |v4|
	v_cvt_u32_f32_e32 v5, v5
	v_ashrrev_i32_e32 v4, 31, v4
	v_xor_b32_e32 v5, v5, v4
	v_sub_u32_e32 v4, v5, v4
	global_store_byte v[0:1], v4, off
.LBB38_2132:
	s_mov_b64 s[10:11], -1
.LBB38_2133:
	s_andn2_b64 vcc, exec, s[10:11]
	s_cbranch_vccnz .LBB38_2210
; %bb.2134:
	v_add_u32_e32 v0, s18, v3
	v_ashrrev_i32_e32 v1, 31, v0
	v_mov_b32_e32 v3, s9
	v_add_co_u32_e32 v0, vcc, s8, v0
	s_cmp_lt_i32 s20, 11
	v_addc_co_u32_e32 v1, vcc, v3, v1, vcc
	s_cbranch_scc1 .LBB38_2211
; %bb.2135:
	s_and_b32 s16, 0xffff, s20
	s_mov_b64 s[8:9], -1
	s_mov_b64 s[2:3], 0
	s_cmp_gt_i32 s16, 25
	s_mov_b64 s[0:1], 0
	s_cbranch_scc0 .LBB38_2168
; %bb.2136:
	s_cmp_gt_i32 s16, 28
	s_cbranch_scc0 .LBB38_2152
; %bb.2137:
	s_cmp_gt_i32 s16, 43
	;; [unrolled: 3-line block ×3, first 2 shown]
	s_cbranch_scc0 .LBB38_2142
; %bb.2139:
	s_cmp_eq_u32 s16, 46
	s_mov_b64 s[0:1], -1
	s_cbranch_scc0 .LBB38_2141
; %bb.2140:
	v_and_b32_e32 v3, 0xffff, v2
	global_store_dword v[0:1], v3, off
	s_mov_b64 s[0:1], 0
.LBB38_2141:
	s_mov_b64 s[8:9], 0
.LBB38_2142:
	s_and_b64 vcc, exec, s[8:9]
	s_cbranch_vccz .LBB38_2147
; %bb.2143:
	s_cmp_eq_u32 s16, 44
	s_mov_b64 s[0:1], -1
	s_cbranch_scc0 .LBB38_2147
; %bb.2144:
	v_and_b32_e32 v4, 0xffff, v2
	v_bfe_u32 v3, v4, 7, 8
	s_movk_i32 s0, 0xff
	v_cmp_ne_u32_e32 vcc, s0, v3
	v_mov_b32_e32 v5, 0xff
	s_and_saveexec_b64 s[8:9], vcc
	s_cbranch_execz .LBB38_2146
; %bb.2145:
	v_lshlrev_b32_e32 v6, 16, v4
	s_mov_b32 s0, 0x3f0000
	v_lshrrev_b32_e32 v5, 7, v4
	v_and_b32_e32 v4, 64, v4
	v_and_or_b32 v3, v6, s0, v3
	v_cmp_ne_u32_e32 vcc, 0, v4
	v_cmp_ne_u32_e64 s[0:1], 0, v3
	s_and_b64 s[0:1], vcc, s[0:1]
	v_cndmask_b32_e64 v3, 0, 1, s[0:1]
	v_add_u32_e32 v5, v5, v3
.LBB38_2146:
	s_or_b64 exec, exec, s[8:9]
	s_mov_b64 s[0:1], 0
	global_store_byte v[0:1], v5, off
.LBB38_2147:
	s_mov_b64 s[8:9], 0
.LBB38_2148:
	s_and_b64 vcc, exec, s[8:9]
	s_cbranch_vccz .LBB38_2151
; %bb.2149:
	s_cmp_eq_u32 s16, 29
	s_mov_b64 s[0:1], -1
	s_cbranch_scc0 .LBB38_2151
; %bb.2150:
	v_lshlrev_b32_e32 v3, 16, v2
	v_trunc_f32_e32 v3, v3
	v_mul_f32_e32 v4, 0x2f800000, v3
	v_floor_f32_e32 v5, v4
	v_fmac_f32_e32 v3, 0xcf800000, v5
	v_cvt_u32_f32_e32 v4, v5
	v_cvt_u32_f32_e32 v3, v3
	s_mov_b64 s[0:1], 0
	global_store_dwordx2 v[0:1], v[3:4], off
.LBB38_2151:
	s_mov_b64 s[8:9], 0
.LBB38_2152:
	s_and_b64 vcc, exec, s[8:9]
	s_cbranch_vccz .LBB38_2167
; %bb.2153:
	s_cmp_lt_i32 s16, 27
	s_mov_b64 s[8:9], -1
	s_cbranch_scc1 .LBB38_2159
; %bb.2154:
	s_cmp_gt_i32 s16, 27
	s_cbranch_scc0 .LBB38_2156
; %bb.2155:
	v_lshlrev_b32_e32 v3, 16, v2
	v_cvt_u32_f32_e32 v3, v3
	s_mov_b64 s[8:9], 0
	global_store_dword v[0:1], v3, off
.LBB38_2156:
	s_andn2_b64 vcc, exec, s[8:9]
	s_cbranch_vccnz .LBB38_2158
; %bb.2157:
	v_lshlrev_b32_e32 v3, 16, v2
	v_cvt_u32_f32_e32 v3, v3
	global_store_short v[0:1], v3, off
.LBB38_2158:
	s_mov_b64 s[8:9], 0
.LBB38_2159:
	s_andn2_b64 vcc, exec, s[8:9]
	s_cbranch_vccnz .LBB38_2167
; %bb.2160:
	v_lshlrev_b32_e32 v5, 16, v2
	v_and_b32_e32 v4, 0x7fffffff, v5
	s_mov_b32 s8, 0x43800000
	v_cmp_gt_u32_e32 vcc, s8, v4
	v_mov_b32_e32 v6, 0x80
	s_and_saveexec_b64 s[8:9], vcc
	s_cbranch_execz .LBB38_2166
; %bb.2161:
	s_mov_b32 s10, 0x3bffffff
	v_and_b32_e32 v3, 0xffff, v2
	v_cmp_lt_u32_e32 vcc, s10, v4
	s_mov_b64 s[10:11], 0
                                        ; implicit-def: $vgpr4
	s_and_saveexec_b64 s[12:13], vcc
	s_xor_b64 s[12:13], exec, s[12:13]
	s_cbranch_execz .LBB38_2228
; %bb.2162:
	v_bfe_u32 v4, v3, 4, 1
	s_mov_b32 s17, 0x487ffff
	v_add3_u32 v4, v5, v4, s17
	s_mov_b64 s[10:11], exec
	v_lshrrev_b32_e32 v4, 20, v4
                                        ; implicit-def: $vgpr5
	s_andn2_saveexec_b64 s[12:13], s[12:13]
	s_cbranch_execnz .LBB38_2229
.LBB38_2163:
	s_or_b64 exec, exec, s[12:13]
	v_mov_b32_e32 v6, 0
	s_and_saveexec_b64 s[12:13], s[10:11]
.LBB38_2164:
	v_lshrrev_b32_e32 v3, 8, v3
	s_movk_i32 s10, 0x80
	v_and_or_b32 v6, v3, s10, v4
.LBB38_2165:
	s_or_b64 exec, exec, s[12:13]
.LBB38_2166:
	s_or_b64 exec, exec, s[8:9]
	global_store_byte v[0:1], v6, off
.LBB38_2167:
	s_mov_b64 s[8:9], 0
.LBB38_2168:
	s_and_b64 vcc, exec, s[8:9]
	s_cbranch_vccz .LBB38_2208
; %bb.2169:
	s_cmp_gt_i32 s16, 22
	s_mov_b64 s[2:3], -1
	s_cbranch_scc0 .LBB38_2201
; %bb.2170:
	s_cmp_lt_i32 s16, 24
	s_cbranch_scc1 .LBB38_2190
; %bb.2171:
	s_cmp_gt_i32 s16, 24
	s_cbranch_scc0 .LBB38_2179
; %bb.2172:
	v_lshlrev_b32_e32 v5, 16, v2
	v_and_b32_e32 v4, 0x7fffffff, v5
	s_mov_b32 s2, 0x47800000
	v_cmp_gt_u32_e32 vcc, s2, v4
	v_mov_b32_e32 v6, 0x80
	s_and_saveexec_b64 s[2:3], vcc
	s_cbranch_execz .LBB38_2178
; %bb.2173:
	s_mov_b32 s8, 0x37ffffff
	v_and_b32_e32 v3, 0xffff, v2
	v_cmp_lt_u32_e32 vcc, s8, v4
	s_mov_b64 s[8:9], 0
                                        ; implicit-def: $vgpr4
	s_and_saveexec_b64 s[10:11], vcc
	s_xor_b64 s[10:11], exec, s[10:11]
	s_cbranch_execz .LBB38_2231
; %bb.2174:
	v_bfe_u32 v4, v3, 5, 1
	s_mov_b32 s12, 0x88fffff
	v_add3_u32 v4, v5, v4, s12
	s_mov_b64 s[8:9], exec
	v_lshrrev_b32_e32 v4, 21, v4
                                        ; implicit-def: $vgpr5
	s_andn2_saveexec_b64 s[10:11], s[10:11]
	s_cbranch_execnz .LBB38_2232
.LBB38_2175:
	s_or_b64 exec, exec, s[10:11]
	v_mov_b32_e32 v6, 0
	s_and_saveexec_b64 s[10:11], s[8:9]
.LBB38_2176:
	v_lshrrev_b32_e32 v3, 8, v3
	s_movk_i32 s8, 0x80
	v_and_or_b32 v6, v3, s8, v4
.LBB38_2177:
	s_or_b64 exec, exec, s[10:11]
.LBB38_2178:
	s_or_b64 exec, exec, s[2:3]
	s_mov_b64 s[2:3], 0
	global_store_byte v[0:1], v6, off
.LBB38_2179:
	s_and_b64 vcc, exec, s[2:3]
	s_cbranch_vccz .LBB38_2189
; %bb.2180:
	v_lshlrev_b32_e32 v5, 16, v2
	v_and_b32_e32 v6, 0x7fffffff, v5
	s_mov_b32 s2, 0x43f00000
	v_and_b32_e32 v3, 0xffff, v2
	v_cmp_gt_u32_e32 vcc, s2, v6
                                        ; implicit-def: $vgpr4
	s_and_saveexec_b64 s[2:3], vcc
	s_xor_b64 s[2:3], exec, s[2:3]
	s_cbranch_execz .LBB38_2186
; %bb.2181:
	s_mov_b32 s8, 0x3c7fffff
	v_cmp_lt_u32_e32 vcc, s8, v6
                                        ; implicit-def: $vgpr4
	s_and_saveexec_b64 s[8:9], vcc
	s_xor_b64 s[8:9], exec, s[8:9]
; %bb.2182:
	v_bfe_u32 v4, v3, 4, 1
	s_mov_b32 s10, 0x407ffff
	v_add3_u32 v4, v5, v4, s10
	v_lshrrev_b32_e32 v5, 20, v4
	v_and_b32_e32 v4, 0xff00000, v4
	s_mov_b32 s10, 0x7f00000
	v_mov_b32_e32 v6, 0x7e
	v_cmp_ne_u32_e32 vcc, s10, v4
	v_cndmask_b32_e32 v4, v6, v5, vcc
                                        ; implicit-def: $vgpr5
; %bb.2183:
	s_andn2_saveexec_b64 s[8:9], s[8:9]
; %bb.2184:
	s_mov_b32 s10, 0x46800000
	v_add_f32_e64 v4, |v5|, s10
; %bb.2185:
	s_or_b64 exec, exec, s[8:9]
                                        ; implicit-def: $vgpr6
.LBB38_2186:
	s_andn2_saveexec_b64 s[2:3], s[2:3]
; %bb.2187:
	s_mov_b32 s8, 0x7f800000
	v_mov_b32_e32 v4, 0x7e
	v_mov_b32_e32 v5, 0x7f
	v_cmp_lt_u32_e32 vcc, s8, v6
	v_cndmask_b32_e32 v4, v4, v5, vcc
; %bb.2188:
	s_or_b64 exec, exec, s[2:3]
	v_lshrrev_b32_e32 v3, 8, v3
	s_movk_i32 s2, 0x80
	v_and_or_b32 v3, v3, s2, v4
	global_store_byte v[0:1], v3, off
.LBB38_2189:
	s_mov_b64 s[2:3], 0
.LBB38_2190:
	s_andn2_b64 vcc, exec, s[2:3]
	s_cbranch_vccnz .LBB38_2200
; %bb.2191:
	v_lshlrev_b32_e32 v5, 16, v2
	v_and_b32_e32 v6, 0x7fffffff, v5
	s_mov_b32 s2, 0x47800000
	v_and_b32_e32 v3, 0xffff, v2
	v_cmp_gt_u32_e32 vcc, s2, v6
                                        ; implicit-def: $vgpr4
	s_and_saveexec_b64 s[2:3], vcc
	s_xor_b64 s[2:3], exec, s[2:3]
	s_cbranch_execz .LBB38_2197
; %bb.2192:
	s_mov_b32 s8, 0x387fffff
	v_cmp_lt_u32_e32 vcc, s8, v6
                                        ; implicit-def: $vgpr4
	s_and_saveexec_b64 s[8:9], vcc
	s_xor_b64 s[8:9], exec, s[8:9]
; %bb.2193:
	v_bfe_u32 v4, v3, 5, 1
	s_mov_b32 s10, 0x80fffff
	v_add3_u32 v4, v5, v4, s10
	v_lshrrev_b32_e32 v4, 21, v4
                                        ; implicit-def: $vgpr5
; %bb.2194:
	s_andn2_saveexec_b64 s[8:9], s[8:9]
; %bb.2195:
	s_mov_b32 s10, 0x43000000
	v_add_f32_e64 v4, |v5|, s10
; %bb.2196:
	s_or_b64 exec, exec, s[8:9]
                                        ; implicit-def: $vgpr6
.LBB38_2197:
	s_andn2_saveexec_b64 s[2:3], s[2:3]
; %bb.2198:
	s_mov_b32 s8, 0x7f800000
	v_mov_b32_e32 v4, 0x7c
	v_mov_b32_e32 v5, 0x7f
	v_cmp_lt_u32_e32 vcc, s8, v6
	v_cndmask_b32_e32 v4, v4, v5, vcc
; %bb.2199:
	s_or_b64 exec, exec, s[2:3]
	v_lshrrev_b32_e32 v3, 8, v3
	s_movk_i32 s2, 0x80
	v_and_or_b32 v3, v3, s2, v4
	global_store_byte v[0:1], v3, off
.LBB38_2200:
	s_mov_b64 s[2:3], 0
.LBB38_2201:
	s_andn2_b64 vcc, exec, s[2:3]
	s_mov_b64 s[2:3], 0
	s_cbranch_vccnz .LBB38_2208
; %bb.2202:
	s_cmp_gt_i32 s16, 14
	s_mov_b64 s[8:9], -1
	s_cbranch_scc0 .LBB38_2206
; %bb.2203:
	s_cmp_eq_u32 s16, 15
	s_mov_b64 s[0:1], -1
	s_cbranch_scc0 .LBB38_2205
; %bb.2204:
	global_store_short v[0:1], v2, off
	s_mov_b64 s[0:1], 0
.LBB38_2205:
	s_mov_b64 s[8:9], 0
.LBB38_2206:
	s_and_b64 vcc, exec, s[8:9]
	s_cbranch_vccz .LBB38_2208
; %bb.2207:
	s_cmp_lg_u32 s16, 11
	s_mov_b64 s[2:3], -1
	s_cselect_b64 s[0:1], -1, 0
.LBB38_2208:
	s_and_b64 vcc, exec, s[0:1]
	s_cbranch_vccnz .LBB38_2230
.LBB38_2209:
	s_mov_b64 s[0:1], 0
	s_branch .LBB38_1811
.LBB38_2210:
	s_mov_b64 s[0:1], 0
                                        ; implicit-def: $sgpr20
                                        ; implicit-def: $vgpr0_vgpr1
	s_branch .LBB38_1810
.LBB38_2211:
	s_mov_b64 s[2:3], 0
	s_mov_b64 s[0:1], -1
	s_branch .LBB38_1811
.LBB38_2212:
	s_trap 2
	s_or_b64 s[14:15], s[14:15], exec
	s_cbranch_execz .LBB38_1655
	s_branch .LBB38_1656
.LBB38_2213:
	s_andn2_saveexec_b64 s[18:19], s[18:19]
	s_cbranch_execz .LBB38_1759
.LBB38_2214:
	s_mov_b32 s21, 0x46000000
	v_add_f32_e64 v5, |v6|, s21
	v_and_b32_e32 v5, 0xff, v5
	v_cmp_ne_u32_e32 vcc, 0, v5
	s_andn2_b64 s[16:17], s[16:17], exec
	s_and_b64 s[22:23], vcc, exec
	s_or_b64 s[16:17], s[16:17], s[22:23]
	s_or_b64 exec, exec, s[18:19]
	v_mov_b32_e32 v10, 0
	s_and_saveexec_b64 s[18:19], s[16:17]
	s_cbranch_execnz .LBB38_1760
	s_branch .LBB38_1761
.LBB38_2215:
	s_trap 2
	s_or_b64 s[14:15], s[14:15], exec
	s_cbranch_execz .LBB38_1807
	s_branch .LBB38_1808
.LBB38_2216:
	s_andn2_saveexec_b64 s[16:17], s[16:17]
	s_cbranch_execz .LBB38_1772
.LBB38_2217:
	s_mov_b32 s18, 0x42800000
	v_add_f32_e64 v5, |v6|, s18
	v_and_b32_e32 v5, 0xff, v5
	v_cmp_ne_u32_e32 vcc, 0, v5
	s_andn2_b64 s[12:13], s[12:13], exec
	s_and_b64 s[18:19], vcc, exec
	s_or_b64 s[12:13], s[12:13], s[18:19]
	s_or_b64 exec, exec, s[16:17]
	v_mov_b32_e32 v10, 0
	s_and_saveexec_b64 s[16:17], s[12:13]
	s_cbranch_execnz .LBB38_1773
	s_branch .LBB38_1774
.LBB38_2218:
	s_andn2_saveexec_b64 s[16:17], s[16:17]
	s_cbranch_execz .LBB38_1924
.LBB38_2219:
	s_mov_b32 s21, 0x46000000
	v_add_f32_e64 v5, |v6|, s21
	v_and_b32_e32 v5, 0xff, v5
	v_cmp_ne_u32_e32 vcc, 0, v5
	s_andn2_b64 s[12:13], s[12:13], exec
	s_and_b64 s[22:23], vcc, exec
	s_or_b64 s[12:13], s[12:13], s[22:23]
	s_or_b64 exec, exec, s[16:17]
	v_mov_b32_e32 v7, 0
	s_and_saveexec_b64 s[16:17], s[12:13]
	s_cbranch_execnz .LBB38_1925
	s_branch .LBB38_1926
.LBB38_2220:
	s_trap 2
	s_or_b64 s[14:15], s[14:15], exec
	s_cbranch_execz .LBB38_1972
	s_branch .LBB38_1973
.LBB38_2221:
	s_andn2_saveexec_b64 s[12:13], s[12:13]
	s_cbranch_execz .LBB38_1937
.LBB38_2222:
	s_mov_b32 s16, 0x42800000
	v_add_f32_e64 v5, |v6|, s16
	v_and_b32_e32 v5, 0xff, v5
	v_cmp_ne_u32_e32 vcc, 0, v5
	s_andn2_b64 s[10:11], s[10:11], exec
	s_and_b64 s[16:17], vcc, exec
	s_or_b64 s[10:11], s[10:11], s[16:17]
	s_or_b64 exec, exec, s[12:13]
	v_mov_b32_e32 v7, 0
	s_and_saveexec_b64 s[12:13], s[10:11]
	s_cbranch_execnz .LBB38_1938
	s_branch .LBB38_1939
.LBB38_2223:
	s_andn2_saveexec_b64 s[16:17], s[16:17]
	s_cbranch_execz .LBB38_2043
.LBB38_2224:
	s_mov_b32 s21, 0x46000000
	v_add_f32_e64 v5, |v6|, s21
	v_and_b32_e32 v5, 0xff, v5
	v_cmp_ne_u32_e32 vcc, 0, v5
	s_andn2_b64 s[12:13], s[12:13], exec
	s_and_b64 s[22:23], vcc, exec
	s_or_b64 s[12:13], s[12:13], s[22:23]
	s_or_b64 exec, exec, s[16:17]
	v_mov_b32_e32 v7, 0
	s_and_saveexec_b64 s[16:17], s[12:13]
	s_cbranch_execnz .LBB38_2044
	s_branch .LBB38_2045
.LBB38_2225:
	s_trap 2
	s_or_b64 s[14:15], s[14:15], exec
	s_cbranch_execz .LBB38_2091
	s_branch .LBB38_2092
.LBB38_2226:
	s_andn2_saveexec_b64 s[12:13], s[12:13]
	s_cbranch_execz .LBB38_2056
.LBB38_2227:
	s_mov_b32 s16, 0x42800000
	v_add_f32_e64 v5, |v6|, s16
	v_and_b32_e32 v5, 0xff, v5
	v_cmp_ne_u32_e32 vcc, 0, v5
	s_andn2_b64 s[10:11], s[10:11], exec
	s_and_b64 s[16:17], vcc, exec
	s_or_b64 s[10:11], s[10:11], s[16:17]
	s_or_b64 exec, exec, s[12:13]
	v_mov_b32_e32 v7, 0
	s_and_saveexec_b64 s[12:13], s[10:11]
	s_cbranch_execnz .LBB38_2057
	s_branch .LBB38_2058
.LBB38_2228:
	s_andn2_saveexec_b64 s[12:13], s[12:13]
	s_cbranch_execz .LBB38_2163
.LBB38_2229:
	s_mov_b32 s17, 0x46000000
	v_add_f32_e64 v4, |v5|, s17
	v_and_b32_e32 v4, 0xff, v4
	v_cmp_ne_u32_e32 vcc, 0, v4
	s_andn2_b64 s[10:11], s[10:11], exec
	s_and_b64 s[18:19], vcc, exec
	s_or_b64 s[10:11], s[10:11], s[18:19]
	s_or_b64 exec, exec, s[12:13]
	v_mov_b32_e32 v6, 0
	s_and_saveexec_b64 s[12:13], s[10:11]
	s_cbranch_execnz .LBB38_2164
	s_branch .LBB38_2165
.LBB38_2230:
	s_mov_b64 s[2:3], 0
	s_or_b64 s[14:15], s[14:15], exec
	s_trap 2
	s_branch .LBB38_2209
.LBB38_2231:
	s_andn2_saveexec_b64 s[10:11], s[10:11]
	s_cbranch_execz .LBB38_2175
.LBB38_2232:
	s_mov_b32 s12, 0x42800000
	v_add_f32_e64 v4, |v5|, s12
	v_and_b32_e32 v4, 0xff, v4
	v_cmp_ne_u32_e32 vcc, 0, v4
	s_andn2_b64 s[8:9], s[8:9], exec
	s_and_b64 s[12:13], vcc, exec
	s_or_b64 s[8:9], s[8:9], s[12:13]
	s_or_b64 exec, exec, s[10:11]
	v_mov_b32_e32 v6, 0
	s_and_saveexec_b64 s[10:11], s[8:9]
	s_cbranch_execnz .LBB38_2176
	s_branch .LBB38_2177
	.section	.rodata,"a",@progbits
	.p2align	6, 0x0
	.amdhsa_kernel _ZN2at6native32elementwise_kernel_manual_unrollILi128ELi4EZNS0_15gpu_kernel_implIZZZNS0_19digamma_kernel_cudaERNS_18TensorIteratorBaseEENKUlvE_clEvENKUlvE2_clEvEUlN3c108BFloat16EE_EEvS4_RKT_EUlibE_EEviT1_
		.amdhsa_group_segment_fixed_size 0
		.amdhsa_private_segment_fixed_size 0
		.amdhsa_kernarg_size 40
		.amdhsa_user_sgpr_count 6
		.amdhsa_user_sgpr_private_segment_buffer 1
		.amdhsa_user_sgpr_dispatch_ptr 0
		.amdhsa_user_sgpr_queue_ptr 0
		.amdhsa_user_sgpr_kernarg_segment_ptr 1
		.amdhsa_user_sgpr_dispatch_id 0
		.amdhsa_user_sgpr_flat_scratch_init 0
		.amdhsa_user_sgpr_private_segment_size 0
		.amdhsa_uses_dynamic_stack 0
		.amdhsa_system_sgpr_private_segment_wavefront_offset 0
		.amdhsa_system_sgpr_workgroup_id_x 1
		.amdhsa_system_sgpr_workgroup_id_y 0
		.amdhsa_system_sgpr_workgroup_id_z 0
		.amdhsa_system_sgpr_workgroup_info 0
		.amdhsa_system_vgpr_workitem_id 0
		.amdhsa_next_free_vgpr 30
		.amdhsa_next_free_sgpr 46
		.amdhsa_reserve_vcc 1
		.amdhsa_reserve_flat_scratch 0
		.amdhsa_float_round_mode_32 0
		.amdhsa_float_round_mode_16_64 0
		.amdhsa_float_denorm_mode_32 3
		.amdhsa_float_denorm_mode_16_64 3
		.amdhsa_dx10_clamp 1
		.amdhsa_ieee_mode 1
		.amdhsa_fp16_overflow 0
		.amdhsa_exception_fp_ieee_invalid_op 0
		.amdhsa_exception_fp_denorm_src 0
		.amdhsa_exception_fp_ieee_div_zero 0
		.amdhsa_exception_fp_ieee_overflow 0
		.amdhsa_exception_fp_ieee_underflow 0
		.amdhsa_exception_fp_ieee_inexact 0
		.amdhsa_exception_int_div_zero 0
	.end_amdhsa_kernel
	.section	.text._ZN2at6native32elementwise_kernel_manual_unrollILi128ELi4EZNS0_15gpu_kernel_implIZZZNS0_19digamma_kernel_cudaERNS_18TensorIteratorBaseEENKUlvE_clEvENKUlvE2_clEvEUlN3c108BFloat16EE_EEvS4_RKT_EUlibE_EEviT1_,"axG",@progbits,_ZN2at6native32elementwise_kernel_manual_unrollILi128ELi4EZNS0_15gpu_kernel_implIZZZNS0_19digamma_kernel_cudaERNS_18TensorIteratorBaseEENKUlvE_clEvENKUlvE2_clEvEUlN3c108BFloat16EE_EEvS4_RKT_EUlibE_EEviT1_,comdat
.Lfunc_end38:
	.size	_ZN2at6native32elementwise_kernel_manual_unrollILi128ELi4EZNS0_15gpu_kernel_implIZZZNS0_19digamma_kernel_cudaERNS_18TensorIteratorBaseEENKUlvE_clEvENKUlvE2_clEvEUlN3c108BFloat16EE_EEvS4_RKT_EUlibE_EEviT1_, .Lfunc_end38-_ZN2at6native32elementwise_kernel_manual_unrollILi128ELi4EZNS0_15gpu_kernel_implIZZZNS0_19digamma_kernel_cudaERNS_18TensorIteratorBaseEENKUlvE_clEvENKUlvE2_clEvEUlN3c108BFloat16EE_EEvS4_RKT_EUlibE_EEviT1_
                                        ; -- End function
	.set _ZN2at6native32elementwise_kernel_manual_unrollILi128ELi4EZNS0_15gpu_kernel_implIZZZNS0_19digamma_kernel_cudaERNS_18TensorIteratorBaseEENKUlvE_clEvENKUlvE2_clEvEUlN3c108BFloat16EE_EEvS4_RKT_EUlibE_EEviT1_.num_vgpr, 30
	.set _ZN2at6native32elementwise_kernel_manual_unrollILi128ELi4EZNS0_15gpu_kernel_implIZZZNS0_19digamma_kernel_cudaERNS_18TensorIteratorBaseEENKUlvE_clEvENKUlvE2_clEvEUlN3c108BFloat16EE_EEvS4_RKT_EUlibE_EEviT1_.num_agpr, 0
	.set _ZN2at6native32elementwise_kernel_manual_unrollILi128ELi4EZNS0_15gpu_kernel_implIZZZNS0_19digamma_kernel_cudaERNS_18TensorIteratorBaseEENKUlvE_clEvENKUlvE2_clEvEUlN3c108BFloat16EE_EEvS4_RKT_EUlibE_EEviT1_.numbered_sgpr, 46
	.set _ZN2at6native32elementwise_kernel_manual_unrollILi128ELi4EZNS0_15gpu_kernel_implIZZZNS0_19digamma_kernel_cudaERNS_18TensorIteratorBaseEENKUlvE_clEvENKUlvE2_clEvEUlN3c108BFloat16EE_EEvS4_RKT_EUlibE_EEviT1_.num_named_barrier, 0
	.set _ZN2at6native32elementwise_kernel_manual_unrollILi128ELi4EZNS0_15gpu_kernel_implIZZZNS0_19digamma_kernel_cudaERNS_18TensorIteratorBaseEENKUlvE_clEvENKUlvE2_clEvEUlN3c108BFloat16EE_EEvS4_RKT_EUlibE_EEviT1_.private_seg_size, 0
	.set _ZN2at6native32elementwise_kernel_manual_unrollILi128ELi4EZNS0_15gpu_kernel_implIZZZNS0_19digamma_kernel_cudaERNS_18TensorIteratorBaseEENKUlvE_clEvENKUlvE2_clEvEUlN3c108BFloat16EE_EEvS4_RKT_EUlibE_EEviT1_.uses_vcc, 1
	.set _ZN2at6native32elementwise_kernel_manual_unrollILi128ELi4EZNS0_15gpu_kernel_implIZZZNS0_19digamma_kernel_cudaERNS_18TensorIteratorBaseEENKUlvE_clEvENKUlvE2_clEvEUlN3c108BFloat16EE_EEvS4_RKT_EUlibE_EEviT1_.uses_flat_scratch, 0
	.set _ZN2at6native32elementwise_kernel_manual_unrollILi128ELi4EZNS0_15gpu_kernel_implIZZZNS0_19digamma_kernel_cudaERNS_18TensorIteratorBaseEENKUlvE_clEvENKUlvE2_clEvEUlN3c108BFloat16EE_EEvS4_RKT_EUlibE_EEviT1_.has_dyn_sized_stack, 0
	.set _ZN2at6native32elementwise_kernel_manual_unrollILi128ELi4EZNS0_15gpu_kernel_implIZZZNS0_19digamma_kernel_cudaERNS_18TensorIteratorBaseEENKUlvE_clEvENKUlvE2_clEvEUlN3c108BFloat16EE_EEvS4_RKT_EUlibE_EEviT1_.has_recursion, 0
	.set _ZN2at6native32elementwise_kernel_manual_unrollILi128ELi4EZNS0_15gpu_kernel_implIZZZNS0_19digamma_kernel_cudaERNS_18TensorIteratorBaseEENKUlvE_clEvENKUlvE2_clEvEUlN3c108BFloat16EE_EEvS4_RKT_EUlibE_EEviT1_.has_indirect_call, 0
	.section	.AMDGPU.csdata,"",@progbits
; Kernel info:
; codeLenInByte = 57264
; TotalNumSgprs: 50
; NumVgprs: 30
; ScratchSize: 0
; MemoryBound: 0
; FloatMode: 240
; IeeeMode: 1
; LDSByteSize: 0 bytes/workgroup (compile time only)
; SGPRBlocks: 6
; VGPRBlocks: 7
; NumSGPRsForWavesPerEU: 50
; NumVGPRsForWavesPerEU: 30
; Occupancy: 8
; WaveLimiterHint : 0
; COMPUTE_PGM_RSRC2:SCRATCH_EN: 0
; COMPUTE_PGM_RSRC2:USER_SGPR: 6
; COMPUTE_PGM_RSRC2:TRAP_HANDLER: 0
; COMPUTE_PGM_RSRC2:TGID_X_EN: 1
; COMPUTE_PGM_RSRC2:TGID_Y_EN: 0
; COMPUTE_PGM_RSRC2:TGID_Z_EN: 0
; COMPUTE_PGM_RSRC2:TIDIG_COMP_CNT: 0
	.section	.text._ZN2at6native32elementwise_kernel_manual_unrollILi128ELi4EZNS0_15gpu_kernel_implIZZZNS0_19digamma_kernel_cudaERNS_18TensorIteratorBaseEENKUlvE_clEvENKUlvE2_clEvEUlN3c108BFloat16EE_EEvS4_RKT_EUlibE0_EEviT1_,"axG",@progbits,_ZN2at6native32elementwise_kernel_manual_unrollILi128ELi4EZNS0_15gpu_kernel_implIZZZNS0_19digamma_kernel_cudaERNS_18TensorIteratorBaseEENKUlvE_clEvENKUlvE2_clEvEUlN3c108BFloat16EE_EEvS4_RKT_EUlibE0_EEviT1_,comdat
	.globl	_ZN2at6native32elementwise_kernel_manual_unrollILi128ELi4EZNS0_15gpu_kernel_implIZZZNS0_19digamma_kernel_cudaERNS_18TensorIteratorBaseEENKUlvE_clEvENKUlvE2_clEvEUlN3c108BFloat16EE_EEvS4_RKT_EUlibE0_EEviT1_ ; -- Begin function _ZN2at6native32elementwise_kernel_manual_unrollILi128ELi4EZNS0_15gpu_kernel_implIZZZNS0_19digamma_kernel_cudaERNS_18TensorIteratorBaseEENKUlvE_clEvENKUlvE2_clEvEUlN3c108BFloat16EE_EEvS4_RKT_EUlibE0_EEviT1_
	.p2align	8
	.type	_ZN2at6native32elementwise_kernel_manual_unrollILi128ELi4EZNS0_15gpu_kernel_implIZZZNS0_19digamma_kernel_cudaERNS_18TensorIteratorBaseEENKUlvE_clEvENKUlvE2_clEvEUlN3c108BFloat16EE_EEvS4_RKT_EUlibE0_EEviT1_,@function
_ZN2at6native32elementwise_kernel_manual_unrollILi128ELi4EZNS0_15gpu_kernel_implIZZZNS0_19digamma_kernel_cudaERNS_18TensorIteratorBaseEENKUlvE_clEvENKUlvE2_clEvEUlN3c108BFloat16EE_EEvS4_RKT_EUlibE0_EEviT1_: ; @_ZN2at6native32elementwise_kernel_manual_unrollILi128ELi4EZNS0_15gpu_kernel_implIZZZNS0_19digamma_kernel_cudaERNS_18TensorIteratorBaseEENKUlvE_clEvENKUlvE2_clEvEUlN3c108BFloat16EE_EEvS4_RKT_EUlibE0_EEviT1_
; %bb.0:
	s_load_dword s70, s[4:5], 0x0
	s_load_dword s33, s[4:5], 0x8
	s_add_u32 s34, s4, 8
	s_addc_u32 s35, s5, 0
	v_lshl_or_b32 v8, s6, 9, v0
	v_or_b32_e32 v15, 0x180, v8
	s_waitcnt lgkmcnt(0)
	s_add_i32 s72, s33, -1
	s_cmp_gt_u32 s72, 1
	v_cmp_le_i32_e32 vcc, s70, v15
	s_cselect_b64 s[40:41], -1, 0
	s_mov_b64 s[6:7], 0
	s_mov_b64 s[28:29], 0
	s_and_saveexec_b64 s[0:1], vcc
	s_xor_b64 s[42:43], exec, s[0:1]
	s_cbranch_execz .LBB39_1182
; %bb.1:
	v_mov_b32_e32 v0, 0
	global_load_ushort v0, v0, s[34:35] offset:345
	s_load_dwordx4 s[36:39], s[34:35], 0x4
	s_load_dwordx2 s[44:45], s[34:35], 0x14
	s_load_dwordx4 s[28:31], s[34:35], 0xc4
	s_load_dwordx4 s[24:27], s[34:35], 0x148
	s_cmp_lg_u32 s33, 0
	s_cselect_b64 s[50:51], -1, 0
	s_add_u32 s48, s34, 0xc4
	s_addc_u32 s49, s35, 0
	s_min_u32 s75, s72, 15
	s_cmp_gt_u32 s33, 1
	s_cselect_b64 s[46:47], -1, 0
	v_cmp_gt_i32_e32 vcc, s70, v8
	s_mov_b64 s[2:3], -1
	s_mov_b64 s[60:61], 0
	s_mov_b64 s[54:55], 0
	;; [unrolled: 1-line block ×3, first 2 shown]
	s_waitcnt vmcnt(0)
	v_readfirstlane_b32 s73, v0
	s_and_b32 s0, 0xffff, s73
	s_lshr_b32 s74, s0, 8
	s_and_saveexec_b64 s[56:57], vcc
	s_cbranch_execz .LBB39_290
; %bb.2:
	s_andn2_b64 vcc, exec, s[40:41]
	s_cbranch_vccnz .LBB39_7
; %bb.3:
	s_andn2_b64 vcc, exec, s[50:51]
	s_cbranch_vccnz .LBB39_8
; %bb.4:
	s_add_i32 s59, s75, 1
	s_cmp_eq_u32 s72, 2
	s_cbranch_scc1 .LBB39_9
; %bb.5:
	s_and_b32 s58, s59, 28
	v_mov_b32_e32 v2, 0
	s_mov_b32 s62, 0
	s_mov_b64 s[52:53], s[34:35]
	s_mov_b64 s[54:55], s[48:49]
	v_mov_b32_e32 v0, 0
	v_mov_b32_e32 v1, v8
.LBB39_6:                               ; =>This Inner Loop Header: Depth=1
	s_load_dwordx8 s[16:23], s[52:53], 0x4
	s_load_dwordx4 s[0:3], s[52:53], 0x24
	s_load_dwordx8 s[8:15], s[54:55], 0x0
	s_add_u32 s52, s52, 48
	s_addc_u32 s53, s53, 0
	s_waitcnt lgkmcnt(0)
	v_mul_hi_u32 v3, s17, v1
	s_add_i32 s62, s62, 4
	s_add_u32 s54, s54, 32
	s_addc_u32 s55, s55, 0
	v_add_u32_e32 v3, v1, v3
	v_lshrrev_b32_e32 v3, s18, v3
	v_mul_lo_u32 v4, v3, s16
	v_mul_hi_u32 v5, s20, v3
	s_cmp_lg_u32 s58, s62
	v_sub_u32_e32 v1, v1, v4
	v_add_u32_e32 v4, v3, v5
	v_mul_lo_u32 v5, v1, s8
	v_mul_lo_u32 v6, v1, s9
	v_lshrrev_b32_e32 v1, s21, v4
	v_mul_lo_u32 v4, v1, s19
	v_mul_hi_u32 v7, s23, v1
	v_sub_u32_e32 v3, v3, v4
	v_add_u32_e32 v4, v1, v7
	v_lshrrev_b32_e32 v4, s0, v4
	v_mul_hi_u32 v9, s2, v4
	v_mul_lo_u32 v10, v4, s22
	v_mul_lo_u32 v7, v3, s10
	;; [unrolled: 1-line block ×3, first 2 shown]
	v_sub_u32_e32 v10, v1, v10
	v_add_u32_e32 v1, v4, v9
	v_lshrrev_b32_e32 v1, s3, v1
	v_mul_lo_u32 v9, v1, s1
	v_mul_lo_u32 v11, v10, s12
	v_mul_lo_u32 v10, v10, s13
	v_add3_u32 v0, v5, v0, v7
	v_sub_u32_e32 v4, v4, v9
	v_mul_lo_u32 v9, v4, s14
	v_mul_lo_u32 v4, v4, s15
	v_add3_u32 v2, v6, v2, v3
	v_add3_u32 v0, v11, v0, v9
	;; [unrolled: 1-line block ×3, first 2 shown]
	s_cbranch_scc1 .LBB39_6
	s_branch .LBB39_10
.LBB39_7:
                                        ; implicit-def: $vgpr0
                                        ; implicit-def: $vgpr2
	s_branch .LBB39_14
.LBB39_8:
	v_mov_b32_e32 v0, 0
	v_mov_b32_e32 v2, 0
	s_branch .LBB39_13
.LBB39_9:
	s_mov_b32 s58, 0
	v_mov_b32_e32 v0, 0
	v_mov_b32_e32 v2, 0
	;; [unrolled: 1-line block ×3, first 2 shown]
.LBB39_10:
	s_and_b32 s8, s59, 3
	s_cmp_eq_u32 s8, 0
	s_cbranch_scc1 .LBB39_13
; %bb.11:
	s_lshl_b32 s0, s58, 3
	s_add_u32 s0, s34, s0
	s_addc_u32 s1, s35, 0
	s_add_u32 s0, s0, 0xc4
	s_addc_u32 s1, s1, 0
	s_mul_i32 s2, s58, 12
	s_add_u32 s2, s34, s2
	s_addc_u32 s3, s35, 0
.LBB39_12:                              ; =>This Inner Loop Header: Depth=1
	s_load_dwordx2 s[10:11], s[2:3], 0x4
	s_load_dword s9, s[2:3], 0xc
	s_load_dwordx2 s[12:13], s[0:1], 0x0
	s_add_u32 s2, s2, 12
	s_addc_u32 s3, s3, 0
	s_waitcnt lgkmcnt(0)
	v_mul_hi_u32 v3, s11, v1
	s_add_u32 s0, s0, 8
	s_addc_u32 s1, s1, 0
	s_add_i32 s8, s8, -1
	v_add_u32_e32 v3, v1, v3
	v_lshrrev_b32_e32 v4, s9, v3
	v_mul_lo_u32 v3, v4, s10
	s_cmp_lg_u32 s8, 0
	v_sub_u32_e32 v3, v1, v3
	v_mad_u64_u32 v[0:1], s[10:11], v3, s12, v[0:1]
	v_mad_u64_u32 v[2:3], s[10:11], v3, s13, v[2:3]
	v_mov_b32_e32 v1, v4
	s_cbranch_scc1 .LBB39_12
.LBB39_13:
	s_cbranch_execnz .LBB39_16
.LBB39_14:
	s_waitcnt lgkmcnt(0)
	v_mul_hi_u32 v0, s37, v8
	s_andn2_b64 vcc, exec, s[46:47]
	v_add_u32_e32 v0, v8, v0
	v_lshrrev_b32_e32 v1, s38, v0
	v_mul_lo_u32 v0, v1, s36
	v_sub_u32_e32 v2, v8, v0
	v_mul_lo_u32 v0, v2, s28
	v_mul_lo_u32 v2, v2, s29
	s_cbranch_vccnz .LBB39_16
; %bb.15:
	v_mul_hi_u32 v3, s44, v1
	v_add_u32_e32 v3, v1, v3
	v_lshrrev_b32_e32 v3, s45, v3
	v_mul_lo_u32 v3, v3, s39
	v_sub_u32_e32 v3, v1, v3
	v_mad_u64_u32 v[0:1], s[0:1], v3, s30, v[0:1]
	v_mad_u64_u32 v[2:3], s[0:1], v3, s31, v[2:3]
.LBB39_16:
	s_waitcnt lgkmcnt(0)
	v_mov_b32_e32 v3, s27
	s_and_b32 s12, 0xffff, s74
	v_add_co_u32_e32 v1, vcc, s26, v2
	s_cmp_lt_i32 s12, 11
	v_addc_co_u32_e32 v2, vcc, 0, v3, vcc
	s_cbranch_scc1 .LBB39_23
; %bb.17:
	s_cmp_gt_i32 s12, 25
	s_cbranch_scc0 .LBB39_56
; %bb.18:
	s_cmp_gt_i32 s12, 28
	s_cbranch_scc0 .LBB39_59
	;; [unrolled: 3-line block ×4, first 2 shown]
; %bb.21:
	s_cmp_eq_u32 s12, 46
	s_mov_b64 s[8:9], 0
	s_cbranch_scc0 .LBB39_65
; %bb.22:
	global_load_dword v3, v[1:2], off
	s_mov_b64 s[0:1], -1
	s_mov_b64 s[2:3], 0
	s_branch .LBB39_67
.LBB39_23:
	s_mov_b64 s[2:3], 0
                                        ; implicit-def: $vgpr3
	s_mov_b64 s[0:1], 0
	s_cbranch_execnz .LBB39_240
.LBB39_24:
	s_andn2_b64 vcc, exec, s[0:1]
	s_cbranch_vccnz .LBB39_287
.LBB39_25:
	s_waitcnt vmcnt(0)
	v_lshlrev_b32_e32 v7, 16, v3
	v_cmp_neq_f32_e32 vcc, 0, v7
                                        ; implicit-def: $vgpr2
	s_and_saveexec_b64 s[0:1], vcc
	s_xor_b64 s[8:9], exec, s[0:1]
	s_cbranch_execz .LBB39_47
; %bb.26:
	v_mov_b32_e32 v1, 0
	v_cmp_gt_f32_e32 vcc, 0, v7
	s_mov_b64 s[12:13], -1
	s_and_saveexec_b64 s[10:11], vcc
	s_cbranch_execz .LBB39_34
; %bb.27:
	v_trunc_f32_e32 v1, v7
	v_cmp_neq_f32_e32 vcc, v1, v7
	s_mov_b64 s[14:15], 0
	v_mov_b32_e32 v1, 0
	s_and_saveexec_b64 s[12:13], vcc
	s_cbranch_execz .LBB39_33
; %bb.28:
	v_cvt_f64_f32_e32 v[1:2], v7
	s_mov_b32 s0, 0
	s_mov_b32 s15, 0xc00921fb
	s_mov_b32 s14, 0x54442d18
	v_trunc_f64_e32 v[3:4], v[1:2]
	s_mov_b32 s1, 0x7ff00000
	v_cmp_neq_f64_e64 vcc, |v[1:2]|, s[0:1]
	v_bfrev_b32_e32 v5, 1
	s_mov_b32 s16, 0
	s_mov_b32 s17, 0x41d00000
                                        ; implicit-def: $vgpr9
	v_add_f64 v[3:4], v[1:2], -v[3:4]
	v_mul_f64 v[3:4], |v[3:4]|, s[14:15]
	v_cndmask_b32_e32 v2, v5, v4, vcc
	v_cndmask_b32_e32 v1, 0, v3, vcc
	v_cmp_nlt_f64_e64 s[16:17], |v[1:2]|, s[16:17]
                                        ; implicit-def: $vgpr3_vgpr4
                                        ; implicit-def: $vgpr5_vgpr6
	s_and_saveexec_b64 s[18:19], s[16:17]
	s_xor_b64 s[16:17], exec, s[18:19]
	s_cbranch_execz .LBB39_30
; %bb.29:
	v_trig_preop_f64 v[3:4], |v[1:2]|, 0
	s_mov_b32 s18, 0
	s_mov_b32 s19, 0x7b000000
	s_movk_i32 s15, 0xff80
	v_ldexp_f64 v[9:10], |v[1:2]|, s15
	v_cmp_ge_f64_e64 vcc, |v[1:2]|, s[18:19]
	v_trig_preop_f64 v[5:6], |v[1:2]|, 1
	v_and_b32_e32 v11, 0x7fffffff, v2
	v_trig_preop_f64 v[17:18], |v[1:2]|, 2
	v_mov_b32_e32 v28, 0x40100000
	v_mov_b32_e32 v27, 0
	s_mov_b32 s15, 0x3ff921fb
	v_cndmask_b32_e32 v10, v11, v10, vcc
	v_cndmask_b32_e32 v9, v1, v9, vcc
	v_mul_f64 v[11:12], v[3:4], v[9:10]
	v_mul_f64 v[13:14], v[5:6], v[9:10]
	;; [unrolled: 1-line block ×3, first 2 shown]
	v_fma_f64 v[3:4], v[3:4], v[9:10], -v[11:12]
	v_fma_f64 v[5:6], v[5:6], v[9:10], -v[13:14]
	;; [unrolled: 1-line block ×3, first 2 shown]
	v_add_f64 v[15:16], v[13:14], v[3:4]
	v_add_f64 v[19:20], v[15:16], -v[13:14]
	v_add_f64 v[25:26], v[11:12], v[15:16]
	v_add_f64 v[21:22], v[15:16], -v[19:20]
	v_add_f64 v[3:4], v[3:4], -v[19:20]
	v_add_f64 v[19:20], v[23:24], v[5:6]
	v_add_f64 v[11:12], v[25:26], -v[11:12]
	v_add_f64 v[13:14], v[13:14], -v[21:22]
	v_ldexp_f64 v[21:22], v[25:26], -2
	v_add_f64 v[29:30], v[19:20], -v[23:24]
	v_add_f64 v[11:12], v[15:16], -v[11:12]
	v_add_f64 v[3:4], v[3:4], v[13:14]
	v_fract_f64_e32 v[13:14], v[21:22]
	v_cmp_neq_f64_e64 vcc, |v[21:22]|, s[0:1]
	v_add_f64 v[5:6], v[5:6], -v[29:30]
	v_add_f64 v[15:16], v[19:20], v[3:4]
	v_ldexp_f64 v[13:14], v[13:14], 2
	v_add_f64 v[21:22], v[11:12], v[15:16]
	v_cndmask_b32_e32 v14, 0, v14, vcc
	v_cndmask_b32_e32 v13, 0, v13, vcc
	v_add_f64 v[31:32], v[15:16], -v[19:20]
	v_add_f64 v[25:26], v[21:22], v[13:14]
	v_add_f64 v[11:12], v[21:22], -v[11:12]
	v_add_f64 v[33:34], v[15:16], -v[31:32]
	;; [unrolled: 1-line block ×3, first 2 shown]
	v_cmp_gt_f64_e32 vcc, 0, v[25:26]
	v_add_f64 v[25:26], v[19:20], -v[29:30]
	v_add_f64 v[11:12], v[15:16], -v[11:12]
	;; [unrolled: 1-line block ×3, first 2 shown]
	v_cndmask_b32_e32 v28, 0, v28, vcc
	v_add_f64 v[13:14], v[13:14], v[27:28]
	v_add_f64 v[25:26], v[23:24], -v[25:26]
	v_add_f64 v[3:4], v[3:4], v[19:20]
	v_add_f64 v[35:36], v[21:22], v[13:14]
	;; [unrolled: 1-line block ×3, first 2 shown]
	v_cvt_i32_f64_e32 v30, v[35:36]
	v_add_f64 v[3:4], v[5:6], v[3:4]
	v_cvt_f64_i32_e32 v[28:29], v30
	v_add_f64 v[13:14], v[13:14], -v[28:29]
	v_add_f64 v[3:4], v[9:10], v[3:4]
	v_add_f64 v[5:6], v[21:22], v[13:14]
	;; [unrolled: 1-line block ×3, first 2 shown]
	v_mov_b32_e32 v12, 0x3ff00000
	v_add_f64 v[9:10], v[5:6], -v[13:14]
	v_cmp_le_f64_e32 vcc, 0.5, v[5:6]
	v_add_f64 v[10:11], v[21:22], -v[9:10]
	v_cndmask_b32_e32 v28, 0, v12, vcc
	v_add_f64 v[5:6], v[5:6], -v[27:28]
	v_addc_co_u32_e64 v9, s[0:1], 0, v30, vcc
	s_mov_b32 s0, 0x33145c07
	s_mov_b32 s1, 0x3c91a626
	v_add_f64 v[3:4], v[3:4], v[10:11]
	v_add_f64 v[10:11], v[5:6], v[3:4]
	v_mul_f64 v[12:13], v[10:11], s[14:15]
	v_add_f64 v[5:6], v[10:11], -v[5:6]
	v_fma_f64 v[14:15], v[10:11], s[14:15], -v[12:13]
	v_add_f64 v[3:4], v[3:4], -v[5:6]
	v_fma_f64 v[5:6], v[10:11], s[0:1], v[14:15]
	v_fma_f64 v[5:6], v[3:4], s[14:15], v[5:6]
	v_add_f64 v[3:4], v[12:13], v[5:6]
	v_add_f64 v[10:11], v[3:4], -v[12:13]
	v_add_f64 v[5:6], v[5:6], -v[10:11]
.LBB39_30:
	s_andn2_saveexec_b64 s[0:1], s[16:17]
	s_cbranch_execz .LBB39_32
; %bb.31:
	s_mov_b32 s14, 0x6dc9c883
	s_mov_b32 s15, 0x3fe45f30
	v_mul_f64 v[3:4], |v[1:2]|, s[14:15]
	s_mov_b32 s14, 0x54442d18
	s_mov_b32 s15, 0xbff921fb
	;; [unrolled: 1-line block ×4, first 2 shown]
	v_rndne_f64_e32 v[9:10], v[3:4]
	v_fma_f64 v[3:4], v[9:10], s[14:15], |v[1:2]|
	v_mul_f64 v[5:6], v[9:10], s[16:17]
	s_mov_b32 s14, 0x252049c0
	s_mov_b32 s15, 0xb97b839a
	v_fma_f64 v[15:16], v[9:10], s[16:17], v[3:4]
	v_add_f64 v[11:12], v[3:4], v[5:6]
	s_mov_b32 s17, 0x3c91a626
	v_add_f64 v[13:14], v[3:4], -v[11:12]
	v_add_f64 v[11:12], v[11:12], -v[15:16]
	v_add_f64 v[3:4], v[13:14], v[5:6]
	v_fma_f64 v[5:6], v[9:10], s[16:17], v[5:6]
	v_add_f64 v[3:4], v[11:12], v[3:4]
	v_add_f64 v[3:4], v[3:4], -v[5:6]
	v_fma_f64 v[5:6], v[9:10], s[14:15], v[3:4]
	v_cvt_i32_f64_e32 v9, v[9:10]
	v_add_f64 v[3:4], v[15:16], v[5:6]
	v_add_f64 v[11:12], v[3:4], -v[15:16]
	v_add_f64 v[5:6], v[5:6], -v[11:12]
.LBB39_32:
	s_or_b64 exec, exec, s[0:1]
	v_mul_f64 v[10:11], v[3:4], v[3:4]
	v_add_f64 v[12:13], v[5:6], v[5:6]
	s_mov_b32 s0, 0xc751c08c
	s_mov_b32 s1, 0x3ef5e089
	v_and_b32_e32 v9, 1, v9
	v_cmp_eq_u32_e32 vcc, 0, v9
	s_mov_b32 s16, 0x54442d18
	s_mov_b32 s17, 0xc00921fb
	v_fma_f64 v[14:15], v[3:4], v[3:4], -v[10:11]
	s_mov_b64 s[14:15], exec
	v_sub_f32_e32 v7, 1.0, v7
	v_fma_f64 v[12:13], v[3:4], v[12:13], v[14:15]
	v_add_f64 v[10:11], v[10:11], v[12:13]
	v_mov_b32_e32 v12, 0xa9a29f71
	v_mov_b32_e32 v13, 0xbf078809
	v_fma_f64 v[12:13], v[10:11], s[0:1], v[12:13]
	s_mov_b32 s0, 0x90a8aae0
	s_mov_b32 s1, 0x3f17746f
	v_fma_f64 v[12:13], v[10:11], v[12:13], s[0:1]
	s_mov_b32 s0, 0xa6fbf144
	s_mov_b32 s1, 0xbefbb44d
	;; [unrolled: 3-line block ×12, first 2 shown]
	v_fma_f64 v[12:13], v[10:11], v[12:13], s[0:1]
	s_movk_i32 s0, 0x1f8
	v_cmp_class_f64_e64 s[0:1], v[1:2], s0
	v_mul_f64 v[10:11], v[10:11], v[12:13]
	v_mul_f64 v[12:13], v[3:4], v[10:11]
	v_add_f64 v[14:15], v[3:4], v[12:13]
	v_fma_f64 v[10:11], v[3:4], v[10:11], -v[12:13]
	v_add_f64 v[3:4], v[14:15], -v[3:4]
	v_add_f64 v[5:6], v[5:6], v[10:11]
	v_add_f64 v[3:4], v[12:13], -v[3:4]
	v_add_f64 v[3:4], v[5:6], v[3:4]
	v_add_f64 v[5:6], v[14:15], v[3:4]
	v_rcp_f64_e32 v[10:11], v[5:6]
	v_fma_f64 v[12:13], -v[5:6], v[10:11], 1.0
	v_fma_f64 v[10:11], v[12:13], v[10:11], v[10:11]
	v_fma_f64 v[12:13], -v[5:6], v[10:11], 1.0
	v_fma_f64 v[10:11], v[12:13], v[10:11], v[10:11]
	v_add_f64 v[12:13], v[5:6], -v[14:15]
	v_mul_f64 v[14:15], v[5:6], v[10:11]
	v_add_f64 v[3:4], v[3:4], -v[12:13]
	v_fma_f64 v[12:13], v[10:11], v[5:6], -v[14:15]
	v_fma_f64 v[3:4], v[10:11], v[3:4], v[12:13]
	v_add_f64 v[12:13], v[14:15], v[3:4]
	v_add_f64 v[16:17], -v[12:13], 1.0
	v_add_f64 v[14:15], v[12:13], -v[14:15]
	v_add_f64 v[18:19], -v[16:17], 1.0
	v_add_f64 v[3:4], v[14:15], -v[3:4]
	v_add_f64 v[12:13], v[18:19], -v[12:13]
	v_add_f64 v[3:4], v[3:4], v[12:13]
	v_add_f64 v[3:4], v[16:17], v[3:4]
	v_mul_f64 v[3:4], v[10:11], v[3:4]
	v_add_f64 v[3:4], v[10:11], v[3:4]
	v_and_b32_e32 v10, 0x80000000, v2
	v_mov_b32_e32 v2, 0x7ff80000
	v_xor_b32_e32 v1, 0x80000000, v4
	v_cndmask_b32_e32 v3, v3, v5, vcc
	v_cndmask_b32_e32 v4, v1, v6, vcc
	v_cndmask_b32_e64 v1, 0, v3, s[0:1]
	v_xor_b32_e32 v3, v4, v10
	v_cndmask_b32_e64 v2, v2, v3, s[0:1]
	v_div_scale_f64 v[3:4], s[0:1], v[1:2], v[1:2], s[16:17]
	v_div_scale_f64 v[11:12], vcc, s[16:17], v[1:2], s[16:17]
	v_rcp_f64_e32 v[5:6], v[3:4]
	v_fma_f64 v[9:10], -v[3:4], v[5:6], 1.0
	v_fma_f64 v[5:6], v[5:6], v[9:10], v[5:6]
	v_fma_f64 v[9:10], -v[3:4], v[5:6], 1.0
	v_fma_f64 v[5:6], v[5:6], v[9:10], v[5:6]
	v_mul_f64 v[9:10], v[11:12], v[5:6]
	v_fma_f64 v[3:4], -v[3:4], v[9:10], v[11:12]
	v_div_fmas_f64 v[3:4], v[3:4], v[5:6], v[9:10]
	v_div_fixup_f64 v[1:2], v[3:4], v[1:2], s[16:17]
	v_cvt_f32_f64_e32 v1, v[1:2]
.LBB39_33:
	s_or_b64 exec, exec, s[12:13]
	s_orn2_b64 s[12:13], s[14:15], exec
.LBB39_34:
	s_or_b64 exec, exec, s[10:11]
	v_mov_b32_e32 v2, 0x7fc0
	s_and_saveexec_b64 s[0:1], s[12:13]
	s_cbranch_execz .LBB39_46
; %bb.35:
	s_mov_b32 s14, 0x41200000
	v_cmp_gt_f32_e32 vcc, s14, v7
	s_and_saveexec_b64 s[10:11], vcc
	s_cbranch_execz .LBB39_39
; %bb.36:
	s_mov_b64 s[12:13], 0
.LBB39_37:                              ; =>This Inner Loop Header: Depth=1
	v_div_scale_f32 v2, s[16:17], v7, v7, 1.0
	v_div_scale_f32 v3, vcc, 1.0, v7, 1.0
	v_rcp_f32_e32 v4, v2
	v_fma_f32 v5, -v2, v4, 1.0
	v_fmac_f32_e32 v4, v5, v4
	v_mul_f32_e32 v5, v3, v4
	v_fma_f32 v6, -v2, v5, v3
	v_fmac_f32_e32 v5, v6, v4
	v_fma_f32 v2, -v2, v5, v3
	v_div_fmas_f32 v2, v2, v4, v5
	v_div_fixup_f32 v2, v2, v7, 1.0
	v_add_f32_e32 v7, 1.0, v7
	v_cmp_ngt_f32_e32 vcc, s14, v7
	s_or_b64 s[12:13], vcc, s[12:13]
	v_sub_f32_e32 v1, v1, v2
	s_andn2_b64 exec, exec, s[12:13]
	s_cbranch_execnz .LBB39_37
; %bb.38:
	s_or_b64 exec, exec, s[12:13]
.LBB39_39:
	s_or_b64 exec, exec, s[10:11]
	s_mov_b32 s10, 0x41200000
	v_cmp_neq_f32_e32 vcc, s10, v7
                                        ; implicit-def: $vgpr2
	s_and_saveexec_b64 s[10:11], vcc
	s_xor_b64 s[10:11], exec, s[10:11]
	s_cbranch_execz .LBB39_43
; %bb.40:
	v_cvt_f64_f32_e32 v[2:3], v7
	s_mov_b32 s12, 0x85d8a000
	s_mov_b32 s13, 0x43763457
	v_cmp_gt_f64_e32 vcc, s[12:13], v[2:3]
	v_mov_b32_e32 v2, 0
	s_and_saveexec_b64 s[12:13], vcc
	s_cbranch_execz .LBB39_42
; %bb.41:
	v_mul_f32_e32 v2, v7, v7
	v_div_scale_f32 v3, s[14:15], v2, v2, 1.0
	v_div_scale_f32 v4, vcc, 1.0, v2, 1.0
	v_mov_b32_e32 v10, 0x3b820821
	v_rcp_f32_e32 v5, v3
	v_fma_f32 v6, -v3, v5, 1.0
	v_fmac_f32_e32 v5, v6, v5
	v_mul_f32_e32 v6, v4, v5
	v_fma_f32 v9, -v3, v6, v4
	v_fmac_f32_e32 v6, v9, v5
	v_fma_f32 v3, -v3, v6, v4
	v_div_fmas_f32 v3, v3, v5, v6
	v_mov_b32_e32 v4, 0x3daaaaab
	v_mov_b32_e32 v5, 0xbcaccacd
	;; [unrolled: 1-line block ×4, first 2 shown]
	v_div_fixup_f32 v2, v3, v2, 1.0
	v_fma_f32 v3, 0, v2, v4
	v_fmac_f32_e32 v5, v2, v3
	v_fmac_f32_e32 v6, v2, v5
	v_fmac_f32_e32 v9, v2, v6
	v_fmac_f32_e32 v10, v2, v9
	v_mov_b32_e32 v3, 0xbc088889
	v_fmac_f32_e32 v3, v2, v10
	v_fmac_f32_e32 v4, v2, v3
	v_mul_f32_e32 v2, v2, v4
.LBB39_42:
	s_or_b64 exec, exec, s[12:13]
	v_div_scale_f32 v3, s[12:13], v7, v7, -0.5
	v_div_scale_f32 v4, vcc, -0.5, v7, -0.5
	s_mov_b32 s12, 0x800000
	s_mov_b32 s13, 0x3f317217
	;; [unrolled: 1-line block ×3, first 2 shown]
	v_rcp_f32_e32 v5, v3
	v_fma_f32 v6, -v3, v5, 1.0
	v_fmac_f32_e32 v5, v6, v5
	v_mul_f32_e32 v6, v4, v5
	v_fma_f32 v9, -v3, v6, v4
	v_fmac_f32_e32 v6, v9, v5
	v_fma_f32 v3, -v3, v6, v4
	v_div_fmas_f32 v3, v3, v5, v6
	v_cmp_gt_f32_e32 vcc, s12, v7
	v_cndmask_b32_e64 v5, 0, 32, vcc
	v_ldexp_f32 v5, v7, v5
	v_log_f32_e32 v5, v5
	v_mov_b32_e32 v4, 0x41b17218
	v_cndmask_b32_e32 v4, 0, v4, vcc
	s_movk_i32 s12, 0x7fff
	v_mul_f32_e32 v9, 0x3f317217, v5
	v_fma_f32 v9, v5, s13, -v9
	v_fmac_f32_e32 v9, 0x3377d1cf, v5
	v_fmac_f32_e32 v9, 0x3f317217, v5
	v_cmp_lt_f32_e64 vcc, |v5|, s14
	v_cndmask_b32_e32 v5, v5, v9, vcc
	v_sub_f32_e32 v4, v5, v4
	v_mov_b32_e32 v6, 0x7fc0
	v_div_fixup_f32 v3, v3, v7, -0.5
	v_add_f32_e32 v3, v4, v3
	v_sub_f32_e32 v2, v3, v2
	v_add_f32_e32 v1, v1, v2
	v_bfe_u32 v2, v1, 16, 1
	v_cmp_o_f32_e32 vcc, v1, v1
	v_add3_u32 v1, v1, v2, s12
	v_cndmask_b32_sdwa v2, v6, v1, vcc dst_sel:DWORD dst_unused:UNUSED_PAD src0_sel:DWORD src1_sel:WORD_1
                                        ; implicit-def: $vgpr1
.LBB39_43:
	s_andn2_saveexec_b64 s[10:11], s[10:11]
; %bb.44:
	v_add_f32_e32 v1, 0x40101cb7, v1
	v_bfe_u32 v2, v1, 16, 1
	s_movk_i32 s12, 0x7fff
	v_add3_u32 v2, v1, v2, s12
	v_cmp_o_f32_e32 vcc, v1, v1
	v_mov_b32_e32 v1, 0x7fc0
	v_cndmask_b32_sdwa v2, v1, v2, vcc dst_sel:DWORD dst_unused:UNUSED_PAD src0_sel:DWORD src1_sel:WORD_1
; %bb.45:
	s_or_b64 exec, exec, s[10:11]
.LBB39_46:
	s_or_b64 exec, exec, s[0:1]
                                        ; implicit-def: $vgpr7
.LBB39_47:
	s_andn2_saveexec_b64 s[0:1], s[8:9]
; %bb.48:
	v_xor_b32_e32 v1, 0x80000000, v7
	v_and_b32_e32 v1, 0x80000000, v1
	v_or_b32_e32 v1, 0x7f800000, v1
	v_lshrrev_b32_e32 v2, 16, v1
; %bb.49:
	s_or_b64 exec, exec, s[0:1]
	v_mov_b32_e32 v1, s25
	s_and_b32 s14, s73, 0xff
	v_add_co_u32_e32 v0, vcc, s24, v0
	s_cmp_lt_i32 s14, 11
	v_addc_co_u32_e32 v1, vcc, 0, v1, vcc
	s_cbranch_scc1 .LBB39_57
; %bb.50:
	s_and_b32 s15, 0xffff, s14
	s_cmp_gt_i32 s15, 25
	s_cbranch_scc0 .LBB39_60
; %bb.51:
	s_cmp_gt_i32 s15, 28
	s_cbranch_scc0 .LBB39_62
; %bb.52:
	;; [unrolled: 3-line block ×4, first 2 shown]
	s_mov_b64 s[10:11], 0
	s_mov_b64 s[0:1], -1
	s_cmp_eq_u32 s15, 46
	s_mov_b64 s[8:9], 0
	s_cbranch_scc0 .LBB39_71
; %bb.55:
	v_and_b32_e32 v3, 0xffff, v2
	global_store_dword v[0:1], v3, off
	s_mov_b64 s[8:9], -1
	s_mov_b64 s[0:1], 0
	s_branch .LBB39_71
.LBB39_56:
	s_mov_b64 s[2:3], 0
	s_mov_b64 s[0:1], 0
                                        ; implicit-def: $vgpr3
	s_cbranch_execnz .LBB39_205
	s_branch .LBB39_239
.LBB39_57:
	s_mov_b64 s[0:1], 0
	s_mov_b64 s[8:9], 0
	s_cbranch_execnz .LBB39_140
.LBB39_58:
	s_andn2_b64 vcc, exec, s[8:9]
	s_cbranch_vccnz .LBB39_288
	s_branch .LBB39_178
.LBB39_59:
	s_mov_b64 s[8:9], -1
	s_mov_b64 s[2:3], 0
	s_mov_b64 s[0:1], 0
                                        ; implicit-def: $vgpr3
	s_branch .LBB39_186
.LBB39_60:
	s_mov_b64 s[10:11], -1
	s_mov_b64 s[0:1], 0
	s_mov_b64 s[8:9], 0
	s_branch .LBB39_98
.LBB39_61:
	s_mov_b64 s[8:9], -1
	s_mov_b64 s[2:3], 0
	s_mov_b64 s[0:1], 0
                                        ; implicit-def: $vgpr3
	s_branch .LBB39_181
.LBB39_62:
	s_mov_b64 s[10:11], -1
	s_mov_b64 s[0:1], 0
	s_mov_b64 s[8:9], 0
	s_branch .LBB39_81
.LBB39_63:
	s_mov_b64 s[8:9], -1
	s_mov_b64 s[2:3], 0
	s_branch .LBB39_66
.LBB39_64:
	s_mov_b64 s[10:11], -1
	s_mov_b64 s[0:1], 0
	s_mov_b64 s[8:9], 0
	s_branch .LBB39_77
.LBB39_65:
	s_mov_b64 s[2:3], -1
.LBB39_66:
	s_mov_b64 s[0:1], 0
                                        ; implicit-def: $vgpr3
.LBB39_67:
	s_and_b64 vcc, exec, s[8:9]
	s_cbranch_vccz .LBB39_180
; %bb.68:
	s_cmp_eq_u32 s12, 44
	s_cbranch_scc0 .LBB39_179
; %bb.69:
	global_load_ubyte v3, v[1:2], off
	s_movk_i32 s2, 0xff
	v_mov_b32_e32 v4, 0x7f800001
	v_mov_b32_e32 v5, 0x400000
	;; [unrolled: 1-line block ×3, first 2 shown]
	s_mov_b64 s[0:1], -1
	s_waitcnt vmcnt(0)
	v_lshlrev_b32_e32 v7, 23, v3
	v_cmp_ne_u32_e32 vcc, s2, v3
	v_cndmask_b32_e32 v4, v4, v7, vcc
	v_cmp_ne_u32_e32 vcc, 0, v3
	v_cndmask_b32_e32 v3, v5, v4, vcc
	v_add_u32_e32 v4, 0x7fff, v3
	v_cmp_o_f32_e32 vcc, v3, v3
	v_cndmask_b32_sdwa v3, v6, v4, vcc dst_sel:DWORD dst_unused:UNUSED_PAD src0_sel:DWORD src1_sel:WORD_1
	s_mov_b64 s[2:3], 0
	s_branch .LBB39_180
.LBB39_70:
	s_mov_b64 s[10:11], -1
	s_mov_b64 s[0:1], 0
	s_mov_b64 s[8:9], 0
.LBB39_71:
	s_and_b64 vcc, exec, s[10:11]
	s_cbranch_vccz .LBB39_76
; %bb.72:
	s_cmp_eq_u32 s15, 44
	s_mov_b64 s[0:1], -1
	s_cbranch_scc0 .LBB39_76
; %bb.73:
	v_and_b32_e32 v4, 0xffff, v2
	v_bfe_u32 v3, v4, 7, 8
	s_movk_i32 s0, 0xff
	v_cmp_ne_u32_e32 vcc, s0, v3
	v_mov_b32_e32 v5, 0xff
	s_and_saveexec_b64 s[8:9], vcc
	s_cbranch_execz .LBB39_75
; %bb.74:
	v_lshlrev_b32_e32 v6, 16, v4
	s_mov_b32 s0, 0x3f0000
	v_lshrrev_b32_e32 v5, 7, v4
	v_and_b32_e32 v4, 64, v4
	v_and_or_b32 v3, v6, s0, v3
	v_cmp_ne_u32_e32 vcc, 0, v4
	v_cmp_ne_u32_e64 s[0:1], 0, v3
	s_and_b64 s[0:1], vcc, s[0:1]
	v_cndmask_b32_e64 v3, 0, 1, s[0:1]
	v_add_u32_e32 v5, v5, v3
.LBB39_75:
	s_or_b64 exec, exec, s[8:9]
	s_mov_b64 s[8:9], -1
	s_mov_b64 s[0:1], 0
	global_store_byte v[0:1], v5, off
.LBB39_76:
	s_mov_b64 s[10:11], 0
.LBB39_77:
	s_and_b64 vcc, exec, s[10:11]
	s_cbranch_vccz .LBB39_80
; %bb.78:
	s_cmp_eq_u32 s15, 29
	s_mov_b64 s[0:1], -1
	s_cbranch_scc0 .LBB39_80
; %bb.79:
	v_lshlrev_b32_e32 v3, 16, v2
	v_trunc_f32_e32 v3, v3
	v_mul_f32_e32 v4, 0x2f800000, v3
	v_floor_f32_e32 v5, v4
	v_fmac_f32_e32 v3, 0xcf800000, v5
	v_cvt_u32_f32_e32 v4, v5
	v_cvt_u32_f32_e32 v3, v3
	s_mov_b64 s[8:9], -1
	s_mov_b64 s[0:1], 0
	s_mov_b64 s[10:11], 0
	global_store_dwordx2 v[0:1], v[3:4], off
	s_branch .LBB39_81
.LBB39_80:
	s_mov_b64 s[10:11], 0
.LBB39_81:
	s_and_b64 vcc, exec, s[10:11]
	s_cbranch_vccz .LBB39_97
; %bb.82:
	s_cmp_lt_i32 s15, 27
	s_mov_b64 s[8:9], -1
	s_cbranch_scc1 .LBB39_88
; %bb.83:
	s_cmp_gt_i32 s15, 27
	s_cbranch_scc0 .LBB39_85
; %bb.84:
	v_lshlrev_b32_e32 v3, 16, v2
	v_cvt_u32_f32_e32 v3, v3
	s_mov_b64 s[8:9], 0
	global_store_dword v[0:1], v3, off
.LBB39_85:
	s_andn2_b64 vcc, exec, s[8:9]
	s_cbranch_vccnz .LBB39_87
; %bb.86:
	v_lshlrev_b32_e32 v3, 16, v2
	v_cvt_u32_f32_e32 v3, v3
	global_store_short v[0:1], v3, off
.LBB39_87:
	s_mov_b64 s[8:9], 0
.LBB39_88:
	s_andn2_b64 vcc, exec, s[8:9]
	s_cbranch_vccnz .LBB39_96
; %bb.89:
	v_lshlrev_b32_e32 v5, 16, v2
	v_and_b32_e32 v4, 0x7fffffff, v5
	s_mov_b32 s8, 0x43800000
	v_cmp_gt_u32_e32 vcc, s8, v4
	v_mov_b32_e32 v6, 0x80
	s_and_saveexec_b64 s[8:9], vcc
	s_cbranch_execz .LBB39_95
; %bb.90:
	s_mov_b32 s10, 0x3bffffff
	v_and_b32_e32 v3, 0xffff, v2
	v_cmp_lt_u32_e32 vcc, s10, v4
	s_mov_b64 s[10:11], 0
                                        ; implicit-def: $vgpr4
	s_and_saveexec_b64 s[12:13], vcc
	s_xor_b64 s[12:13], exec, s[12:13]
	s_cbranch_execz .LBB39_355
; %bb.91:
	v_bfe_u32 v4, v3, 4, 1
	s_mov_b32 s16, 0x487ffff
	v_add3_u32 v4, v5, v4, s16
	s_mov_b64 s[10:11], exec
	v_lshrrev_b32_e32 v4, 20, v4
                                        ; implicit-def: $vgpr5
	s_andn2_saveexec_b64 s[12:13], s[12:13]
	s_cbranch_execnz .LBB39_356
.LBB39_92:
	s_or_b64 exec, exec, s[12:13]
	v_mov_b32_e32 v6, 0
	s_and_saveexec_b64 s[12:13], s[10:11]
.LBB39_93:
	v_lshrrev_b32_e32 v3, 8, v3
	s_movk_i32 s10, 0x80
	v_and_or_b32 v6, v3, s10, v4
.LBB39_94:
	s_or_b64 exec, exec, s[12:13]
.LBB39_95:
	s_or_b64 exec, exec, s[8:9]
	global_store_byte v[0:1], v6, off
.LBB39_96:
	s_mov_b64 s[8:9], -1
.LBB39_97:
	s_mov_b64 s[10:11], 0
.LBB39_98:
	s_and_b64 vcc, exec, s[10:11]
	s_cbranch_vccz .LBB39_139
; %bb.99:
	s_cmp_gt_i32 s15, 22
	s_mov_b64 s[10:11], -1
	s_cbranch_scc0 .LBB39_131
; %bb.100:
	s_cmp_lt_i32 s15, 24
	s_mov_b64 s[8:9], -1
	s_cbranch_scc1 .LBB39_120
; %bb.101:
	s_cmp_gt_i32 s15, 24
	s_cbranch_scc0 .LBB39_109
; %bb.102:
	v_lshlrev_b32_e32 v5, 16, v2
	v_and_b32_e32 v4, 0x7fffffff, v5
	s_mov_b32 s8, 0x47800000
	v_cmp_gt_u32_e32 vcc, s8, v4
	v_mov_b32_e32 v6, 0x80
	s_and_saveexec_b64 s[8:9], vcc
	s_cbranch_execz .LBB39_108
; %bb.103:
	s_mov_b32 s10, 0x37ffffff
	v_and_b32_e32 v3, 0xffff, v2
	v_cmp_lt_u32_e32 vcc, s10, v4
	s_mov_b64 s[10:11], 0
                                        ; implicit-def: $vgpr4
	s_and_saveexec_b64 s[12:13], vcc
	s_xor_b64 s[12:13], exec, s[12:13]
	s_cbranch_execz .LBB39_359
; %bb.104:
	v_bfe_u32 v4, v3, 5, 1
	s_mov_b32 s16, 0x88fffff
	v_add3_u32 v4, v5, v4, s16
	s_mov_b64 s[10:11], exec
	v_lshrrev_b32_e32 v4, 21, v4
                                        ; implicit-def: $vgpr5
	s_andn2_saveexec_b64 s[12:13], s[12:13]
	s_cbranch_execnz .LBB39_360
.LBB39_105:
	s_or_b64 exec, exec, s[12:13]
	v_mov_b32_e32 v6, 0
	s_and_saveexec_b64 s[12:13], s[10:11]
.LBB39_106:
	v_lshrrev_b32_e32 v3, 8, v3
	s_movk_i32 s10, 0x80
	v_and_or_b32 v6, v3, s10, v4
.LBB39_107:
	s_or_b64 exec, exec, s[12:13]
.LBB39_108:
	s_or_b64 exec, exec, s[8:9]
	s_mov_b64 s[8:9], 0
	global_store_byte v[0:1], v6, off
.LBB39_109:
	s_and_b64 vcc, exec, s[8:9]
	s_cbranch_vccz .LBB39_119
; %bb.110:
	v_lshlrev_b32_e32 v5, 16, v2
	v_and_b32_e32 v6, 0x7fffffff, v5
	s_mov_b32 s8, 0x43f00000
	v_and_b32_e32 v3, 0xffff, v2
	v_cmp_gt_u32_e32 vcc, s8, v6
                                        ; implicit-def: $vgpr4
	s_and_saveexec_b64 s[8:9], vcc
	s_xor_b64 s[8:9], exec, s[8:9]
	s_cbranch_execz .LBB39_116
; %bb.111:
	s_mov_b32 s10, 0x3c7fffff
	v_cmp_lt_u32_e32 vcc, s10, v6
                                        ; implicit-def: $vgpr4
	s_and_saveexec_b64 s[10:11], vcc
	s_xor_b64 s[10:11], exec, s[10:11]
; %bb.112:
	v_bfe_u32 v4, v3, 4, 1
	s_mov_b32 s12, 0x407ffff
	v_add3_u32 v4, v5, v4, s12
	v_lshrrev_b32_e32 v5, 20, v4
	v_and_b32_e32 v4, 0xff00000, v4
	s_mov_b32 s12, 0x7f00000
	v_mov_b32_e32 v6, 0x7e
	v_cmp_ne_u32_e32 vcc, s12, v4
	v_cndmask_b32_e32 v4, v6, v5, vcc
                                        ; implicit-def: $vgpr5
; %bb.113:
	s_andn2_saveexec_b64 s[10:11], s[10:11]
; %bb.114:
	s_mov_b32 s12, 0x46800000
	v_add_f32_e64 v4, |v5|, s12
; %bb.115:
	s_or_b64 exec, exec, s[10:11]
                                        ; implicit-def: $vgpr6
.LBB39_116:
	s_andn2_saveexec_b64 s[8:9], s[8:9]
; %bb.117:
	s_mov_b32 s10, 0x7f800000
	v_mov_b32_e32 v4, 0x7e
	v_mov_b32_e32 v5, 0x7f
	v_cmp_lt_u32_e32 vcc, s10, v6
	v_cndmask_b32_e32 v4, v4, v5, vcc
; %bb.118:
	s_or_b64 exec, exec, s[8:9]
	v_lshrrev_b32_e32 v3, 8, v3
	s_movk_i32 s8, 0x80
	v_and_or_b32 v3, v3, s8, v4
	global_store_byte v[0:1], v3, off
.LBB39_119:
	s_mov_b64 s[8:9], 0
.LBB39_120:
	s_andn2_b64 vcc, exec, s[8:9]
	s_cbranch_vccnz .LBB39_130
; %bb.121:
	v_lshlrev_b32_e32 v5, 16, v2
	v_and_b32_e32 v6, 0x7fffffff, v5
	s_mov_b32 s8, 0x47800000
	v_and_b32_e32 v3, 0xffff, v2
	v_cmp_gt_u32_e32 vcc, s8, v6
                                        ; implicit-def: $vgpr4
	s_and_saveexec_b64 s[8:9], vcc
	s_xor_b64 s[8:9], exec, s[8:9]
	s_cbranch_execz .LBB39_127
; %bb.122:
	s_mov_b32 s10, 0x387fffff
	v_cmp_lt_u32_e32 vcc, s10, v6
                                        ; implicit-def: $vgpr4
	s_and_saveexec_b64 s[10:11], vcc
	s_xor_b64 s[10:11], exec, s[10:11]
; %bb.123:
	v_bfe_u32 v4, v3, 5, 1
	s_mov_b32 s12, 0x80fffff
	v_add3_u32 v4, v5, v4, s12
	v_lshrrev_b32_e32 v4, 21, v4
                                        ; implicit-def: $vgpr5
; %bb.124:
	s_andn2_saveexec_b64 s[10:11], s[10:11]
; %bb.125:
	s_mov_b32 s12, 0x43000000
	v_add_f32_e64 v4, |v5|, s12
; %bb.126:
	s_or_b64 exec, exec, s[10:11]
                                        ; implicit-def: $vgpr6
.LBB39_127:
	s_andn2_saveexec_b64 s[8:9], s[8:9]
; %bb.128:
	s_mov_b32 s10, 0x7f800000
	v_mov_b32_e32 v4, 0x7c
	v_mov_b32_e32 v5, 0x7f
	v_cmp_lt_u32_e32 vcc, s10, v6
	v_cndmask_b32_e32 v4, v4, v5, vcc
; %bb.129:
	s_or_b64 exec, exec, s[8:9]
	v_lshrrev_b32_e32 v3, 8, v3
	s_movk_i32 s8, 0x80
	v_and_or_b32 v3, v3, s8, v4
	global_store_byte v[0:1], v3, off
.LBB39_130:
	s_mov_b64 s[10:11], 0
	s_mov_b64 s[8:9], -1
.LBB39_131:
	s_andn2_b64 vcc, exec, s[10:11]
	s_cbranch_vccnz .LBB39_139
; %bb.132:
	s_cmp_gt_i32 s15, 14
	s_mov_b64 s[10:11], -1
	s_cbranch_scc0 .LBB39_136
; %bb.133:
	s_cmp_eq_u32 s15, 15
	s_mov_b64 s[0:1], -1
	s_cbranch_scc0 .LBB39_135
; %bb.134:
	global_store_short v[0:1], v2, off
	s_mov_b64 s[8:9], -1
	s_mov_b64 s[0:1], 0
.LBB39_135:
	s_mov_b64 s[10:11], 0
.LBB39_136:
	s_and_b64 vcc, exec, s[10:11]
	s_cbranch_vccz .LBB39_139
; %bb.137:
	s_cmp_eq_u32 s15, 11
	s_mov_b64 s[0:1], -1
	s_cbranch_scc0 .LBB39_139
; %bb.138:
	v_and_b32_e32 v3, 0x7fff, v2
	v_cmp_ne_u16_e32 vcc, 0, v3
	v_cndmask_b32_e64 v3, 0, 1, vcc
	s_mov_b64 s[8:9], -1
	s_mov_b64 s[0:1], 0
	global_store_byte v[0:1], v3, off
.LBB39_139:
	s_branch .LBB39_58
.LBB39_140:
	s_and_b32 s10, 0xffff, s14
	s_cmp_lt_i32 s10, 5
	s_mov_b64 s[8:9], -1
	s_cbranch_scc1 .LBB39_161
; %bb.141:
	s_cmp_lt_i32 s10, 8
	s_cbranch_scc1 .LBB39_151
; %bb.142:
	s_cmp_lt_i32 s10, 9
	s_cbranch_scc1 .LBB39_148
; %bb.143:
	s_cmp_gt_i32 s10, 9
	s_cbranch_scc0 .LBB39_145
; %bb.144:
	v_lshlrev_b32_e32 v3, 16, v2
	v_cvt_f64_f32_e32 v[3:4], v3
	v_mov_b32_e32 v5, 0
	v_mov_b32_e32 v6, v5
	s_mov_b64 s[8:9], 0
	global_store_dwordx4 v[0:1], v[3:6], off
.LBB39_145:
	s_andn2_b64 vcc, exec, s[8:9]
	s_cbranch_vccnz .LBB39_147
; %bb.146:
	v_lshlrev_b32_e32 v3, 16, v2
	v_mov_b32_e32 v4, 0
	global_store_dwordx2 v[0:1], v[3:4], off
.LBB39_147:
	s_mov_b64 s[8:9], 0
.LBB39_148:
	s_andn2_b64 vcc, exec, s[8:9]
	s_cbranch_vccnz .LBB39_150
; %bb.149:
	v_lshlrev_b32_e32 v3, 16, v2
	v_cvt_f16_f32_e32 v3, v3
	global_store_dword v[0:1], v3, off
.LBB39_150:
	s_mov_b64 s[8:9], 0
.LBB39_151:
	s_andn2_b64 vcc, exec, s[8:9]
	s_cbranch_vccnz .LBB39_160
; %bb.152:
	s_cmp_lt_i32 s10, 6
	s_mov_b64 s[8:9], -1
	s_cbranch_scc1 .LBB39_158
; %bb.153:
	s_cmp_gt_i32 s10, 6
	s_cbranch_scc0 .LBB39_155
; %bb.154:
	v_lshlrev_b32_e32 v3, 16, v2
	v_cvt_f64_f32_e32 v[3:4], v3
	s_mov_b64 s[8:9], 0
	global_store_dwordx2 v[0:1], v[3:4], off
.LBB39_155:
	s_andn2_b64 vcc, exec, s[8:9]
	s_cbranch_vccnz .LBB39_157
; %bb.156:
	v_lshlrev_b32_e32 v3, 16, v2
	global_store_dword v[0:1], v3, off
.LBB39_157:
	s_mov_b64 s[8:9], 0
.LBB39_158:
	s_andn2_b64 vcc, exec, s[8:9]
	s_cbranch_vccnz .LBB39_160
; %bb.159:
	v_lshlrev_b32_e32 v3, 16, v2
	v_cvt_f16_f32_e32 v3, v3
	global_store_short v[0:1], v3, off
.LBB39_160:
	s_mov_b64 s[8:9], 0
.LBB39_161:
	s_andn2_b64 vcc, exec, s[8:9]
	s_cbranch_vccnz .LBB39_177
; %bb.162:
	s_cmp_lt_i32 s10, 2
	s_mov_b64 s[8:9], -1
	s_cbranch_scc1 .LBB39_172
; %bb.163:
	s_cmp_lt_i32 s10, 3
	s_cbranch_scc1 .LBB39_169
; %bb.164:
	s_cmp_gt_i32 s10, 3
	s_cbranch_scc0 .LBB39_166
; %bb.165:
	v_lshlrev_b32_e32 v3, 16, v2
	v_trunc_f32_e32 v3, v3
	s_mov_b32 s8, 0x2f800000
	v_mul_f32_e64 v4, |v3|, s8
	v_floor_f32_e32 v4, v4
	s_mov_b32 s8, 0xcf800000
	v_cvt_u32_f32_e32 v5, v4
	v_fma_f32 v4, v4, s8, |v3|
	v_cvt_u32_f32_e32 v4, v4
	v_ashrrev_i32_e32 v6, 31, v3
	v_xor_b32_e32 v5, v5, v6
	s_mov_b64 s[8:9], 0
	v_xor_b32_e32 v3, v4, v6
	v_sub_co_u32_e32 v3, vcc, v3, v6
	v_subb_co_u32_e32 v4, vcc, v5, v6, vcc
	global_store_dwordx2 v[0:1], v[3:4], off
.LBB39_166:
	s_andn2_b64 vcc, exec, s[8:9]
	s_cbranch_vccnz .LBB39_168
; %bb.167:
	v_lshlrev_b32_e32 v3, 16, v2
	v_cvt_i32_f32_e32 v3, v3
	global_store_dword v[0:1], v3, off
.LBB39_168:
	s_mov_b64 s[8:9], 0
.LBB39_169:
	s_andn2_b64 vcc, exec, s[8:9]
	s_cbranch_vccnz .LBB39_171
; %bb.170:
	v_lshlrev_b32_e32 v3, 16, v2
	v_cvt_i32_f32_e32 v3, v3
	global_store_short v[0:1], v3, off
.LBB39_171:
	s_mov_b64 s[8:9], 0
.LBB39_172:
	s_andn2_b64 vcc, exec, s[8:9]
	s_cbranch_vccnz .LBB39_177
; %bb.173:
	s_cmp_gt_i32 s10, 0
	s_mov_b64 s[8:9], -1
	s_cbranch_scc0 .LBB39_175
; %bb.174:
	v_lshlrev_b32_e32 v3, 16, v2
	v_cvt_i32_f32_e32 v3, v3
	s_mov_b64 s[8:9], 0
	global_store_byte v[0:1], v3, off
.LBB39_175:
	s_andn2_b64 vcc, exec, s[8:9]
	s_cbranch_vccnz .LBB39_177
; %bb.176:
	v_lshlrev_b32_e32 v2, 16, v2
	v_trunc_f32_e32 v2, v2
	s_mov_b32 s8, 0x2f800000
	v_mul_f32_e64 v3, |v2|, s8
	v_floor_f32_e32 v3, v3
	s_mov_b32 s8, 0xcf800000
	v_fma_f32 v3, v3, s8, |v2|
	v_cvt_u32_f32_e32 v3, v3
	v_ashrrev_i32_e32 v2, 31, v2
	v_xor_b32_e32 v3, v3, v2
	v_sub_u32_e32 v2, v3, v2
	global_store_byte v[0:1], v2, off
.LBB39_177:
.LBB39_178:
	v_add_u32_e32 v8, 0x80, v8
	s_mov_b64 s[8:9], -1
	s_branch .LBB39_289
.LBB39_179:
	s_mov_b64 s[2:3], -1
                                        ; implicit-def: $vgpr3
.LBB39_180:
	s_mov_b64 s[8:9], 0
.LBB39_181:
	s_and_b64 vcc, exec, s[8:9]
	s_cbranch_vccz .LBB39_185
; %bb.182:
	s_cmp_eq_u32 s12, 29
	s_cbranch_scc0 .LBB39_184
; %bb.183:
	global_load_dwordx2 v[3:4], v[1:2], off
	s_movk_i32 s2, 0x7fff
	s_mov_b64 s[0:1], -1
	s_mov_b64 s[8:9], 0
	s_waitcnt vmcnt(0)
	v_ffbh_u32_e32 v5, v4
	v_min_u32_e32 v5, 32, v5
	v_lshlrev_b64 v[3:4], v5, v[3:4]
	v_min_u32_e32 v3, 1, v3
	v_or_b32_e32 v3, v4, v3
	v_cvt_f32_u32_e32 v3, v3
	v_sub_u32_e32 v4, 32, v5
	v_ldexp_f32 v3, v3, v4
	v_bfe_u32 v4, v3, 16, 1
	v_add3_u32 v3, v3, v4, s2
	v_lshrrev_b32_e32 v3, 16, v3
	s_mov_b64 s[2:3], 0
	s_branch .LBB39_186
.LBB39_184:
	s_mov_b64 s[2:3], -1
                                        ; implicit-def: $vgpr3
.LBB39_185:
	s_mov_b64 s[8:9], 0
.LBB39_186:
	s_and_b64 vcc, exec, s[8:9]
	s_cbranch_vccz .LBB39_204
; %bb.187:
	s_cmp_lt_i32 s12, 27
	s_cbranch_scc1 .LBB39_190
; %bb.188:
	s_cmp_gt_i32 s12, 27
	s_cbranch_scc0 .LBB39_191
; %bb.189:
	global_load_dword v3, v[1:2], off
	s_movk_i32 s0, 0x7fff
	s_waitcnt vmcnt(0)
	v_cvt_f32_u32_e32 v3, v3
	v_bfe_u32 v4, v3, 16, 1
	v_add3_u32 v3, v3, v4, s0
	v_lshrrev_b32_e32 v3, 16, v3
	s_mov_b64 s[0:1], 0
	s_branch .LBB39_192
.LBB39_190:
	s_mov_b64 s[0:1], -1
                                        ; implicit-def: $vgpr3
	s_branch .LBB39_195
.LBB39_191:
	s_mov_b64 s[0:1], -1
                                        ; implicit-def: $vgpr3
.LBB39_192:
	s_andn2_b64 vcc, exec, s[0:1]
	s_cbranch_vccnz .LBB39_194
; %bb.193:
	global_load_ushort v3, v[1:2], off
	s_movk_i32 s0, 0x7fff
	s_waitcnt vmcnt(0)
	v_cvt_f32_u32_e32 v3, v3
	v_bfe_u32 v4, v3, 16, 1
	v_add3_u32 v3, v3, v4, s0
	v_lshrrev_b32_e32 v3, 16, v3
.LBB39_194:
	s_mov_b64 s[0:1], 0
.LBB39_195:
	s_andn2_b64 vcc, exec, s[0:1]
	s_cbranch_vccnz .LBB39_203
; %bb.196:
	global_load_ubyte v3, v[1:2], off
	s_movk_i32 s0, 0x7f
	s_waitcnt vmcnt(0)
	v_cmp_lt_i16_e32 vcc, s0, v3
	s_mov_b64 s[0:1], 0
	s_and_saveexec_b64 s[8:9], vcc
	s_xor_b64 s[8:9], exec, s[8:9]
	s_cbranch_execz .LBB39_216
; %bb.197:
	s_movk_i32 s0, 0x80
	v_cmp_eq_u16_e32 vcc, s0, v3
	s_mov_b64 s[0:1], -1
	s_and_saveexec_b64 s[10:11], vcc
; %bb.198:
	s_xor_b64 s[0:1], exec, -1
; %bb.199:
	s_or_b64 exec, exec, s[10:11]
	s_and_b64 s[0:1], s[0:1], exec
	s_or_saveexec_b64 s[8:9], s[8:9]
	v_mov_b32_e32 v4, 0x7f800001
	s_xor_b64 exec, exec, s[8:9]
	s_cbranch_execnz .LBB39_217
.LBB39_200:
	s_or_b64 exec, exec, s[8:9]
	s_and_saveexec_b64 s[8:9], s[0:1]
	s_cbranch_execz .LBB39_202
.LBB39_201:
	v_lshlrev_b32_e32 v4, 24, v3
	v_and_b32_e32 v3, 0xffff, v3
	v_and_b32_e32 v5, 7, v3
	v_ffbh_u32_e32 v7, v5
	v_min_u32_e32 v7, 32, v7
	v_subrev_u32_e32 v9, 28, v7
	v_bfe_u32 v6, v3, 3, 4
	v_lshlrev_b32_e32 v3, v9, v3
	v_sub_u32_e32 v7, 29, v7
	v_and_b32_e32 v3, 7, v3
	v_cmp_eq_u32_e32 vcc, 0, v6
	v_cndmask_b32_e32 v6, v6, v7, vcc
	v_cndmask_b32_e32 v3, v5, v3, vcc
	v_mov_b32_e32 v5, 0x3b800000
	v_lshlrev_b32_e32 v3, 20, v3
	v_and_b32_e32 v4, 0x80000000, v4
	v_lshl_add_u32 v5, v6, 23, v5
	v_or3_b32 v4, v4, v5, v3
.LBB39_202:
	s_or_b64 exec, exec, s[8:9]
	v_bfe_u32 v3, v4, 16, 1
	s_movk_i32 s0, 0x7fff
	v_add3_u32 v3, v4, v3, s0
	v_cmp_o_f32_e32 vcc, v4, v4
	v_mov_b32_e32 v4, 0x7fc0
	v_cndmask_b32_sdwa v3, v4, v3, vcc dst_sel:DWORD dst_unused:UNUSED_PAD src0_sel:DWORD src1_sel:WORD_1
.LBB39_203:
	s_mov_b64 s[0:1], -1
.LBB39_204:
	s_branch .LBB39_239
.LBB39_205:
	s_cmp_gt_i32 s12, 22
	s_cbranch_scc0 .LBB39_215
; %bb.206:
	s_cmp_lt_i32 s12, 24
	s_cbranch_scc1 .LBB39_218
; %bb.207:
	s_cmp_gt_i32 s12, 24
	s_cbranch_scc0 .LBB39_219
; %bb.208:
	global_load_ubyte v3, v[1:2], off
	s_movk_i32 s0, 0x7f
	s_waitcnt vmcnt(0)
	v_cmp_lt_i16_e32 vcc, s0, v3
	s_mov_b64 s[0:1], 0
	s_and_saveexec_b64 s[8:9], vcc
	s_xor_b64 s[8:9], exec, s[8:9]
	s_cbranch_execz .LBB39_231
; %bb.209:
	s_movk_i32 s0, 0x80
	v_cmp_eq_u16_e32 vcc, s0, v3
	s_mov_b64 s[0:1], -1
	s_and_saveexec_b64 s[10:11], vcc
; %bb.210:
	s_xor_b64 s[0:1], exec, -1
; %bb.211:
	s_or_b64 exec, exec, s[10:11]
	s_and_b64 s[0:1], s[0:1], exec
	s_or_saveexec_b64 s[8:9], s[8:9]
	v_mov_b32_e32 v4, 0x7f800001
	s_xor_b64 exec, exec, s[8:9]
	s_cbranch_execnz .LBB39_232
.LBB39_212:
	s_or_b64 exec, exec, s[8:9]
	s_and_saveexec_b64 s[8:9], s[0:1]
	s_cbranch_execz .LBB39_214
.LBB39_213:
	v_lshlrev_b32_e32 v4, 24, v3
	v_and_b32_e32 v3, 0xffff, v3
	v_and_b32_e32 v5, 3, v3
	v_ffbh_u32_e32 v7, v5
	v_min_u32_e32 v7, 32, v7
	v_subrev_u32_e32 v9, 29, v7
	v_bfe_u32 v6, v3, 2, 5
	v_lshlrev_b32_e32 v3, v9, v3
	v_sub_u32_e32 v7, 30, v7
	v_and_b32_e32 v3, 3, v3
	v_cmp_eq_u32_e32 vcc, 0, v6
	v_cndmask_b32_e32 v6, v6, v7, vcc
	v_cndmask_b32_e32 v3, v5, v3, vcc
	v_mov_b32_e32 v5, 0x37800000
	v_lshlrev_b32_e32 v3, 21, v3
	v_and_b32_e32 v4, 0x80000000, v4
	v_lshl_add_u32 v5, v6, 23, v5
	v_or3_b32 v4, v4, v5, v3
.LBB39_214:
	s_or_b64 exec, exec, s[8:9]
	v_bfe_u32 v3, v4, 16, 1
	s_movk_i32 s0, 0x7fff
	v_add3_u32 v3, v4, v3, s0
	v_cmp_o_f32_e32 vcc, v4, v4
	v_mov_b32_e32 v4, 0x7fc0
	v_cndmask_b32_sdwa v3, v4, v3, vcc dst_sel:DWORD dst_unused:UNUSED_PAD src0_sel:DWORD src1_sel:WORD_1
	s_mov_b64 s[0:1], 0
	s_branch .LBB39_220
.LBB39_215:
	s_mov_b64 s[8:9], -1
                                        ; implicit-def: $vgpr3
	s_branch .LBB39_226
.LBB39_216:
	s_or_saveexec_b64 s[8:9], s[8:9]
	v_mov_b32_e32 v4, 0x7f800001
	s_xor_b64 exec, exec, s[8:9]
	s_cbranch_execz .LBB39_200
.LBB39_217:
	v_cmp_ne_u16_e32 vcc, 0, v3
	s_andn2_b64 s[0:1], s[0:1], exec
	s_and_b64 s[10:11], vcc, exec
	v_mov_b32_e32 v4, 0
	s_or_b64 s[0:1], s[0:1], s[10:11]
	s_or_b64 exec, exec, s[8:9]
	s_and_saveexec_b64 s[8:9], s[0:1]
	s_cbranch_execnz .LBB39_201
	s_branch .LBB39_202
.LBB39_218:
	s_mov_b64 s[0:1], -1
                                        ; implicit-def: $vgpr3
	s_branch .LBB39_223
.LBB39_219:
	s_mov_b64 s[0:1], -1
                                        ; implicit-def: $vgpr3
.LBB39_220:
	s_and_b64 vcc, exec, s[0:1]
	s_cbranch_vccz .LBB39_222
; %bb.221:
	global_load_ubyte v3, v[1:2], off
	s_mov_b32 s0, 0x7f800000
	s_brev_b32 s1, 1
	s_movk_i32 s8, 0x7fff
	s_waitcnt vmcnt(0)
	v_lshlrev_b32_e32 v3, 24, v3
	v_and_b32_e32 v4, 0x7f000000, v3
	v_ffbh_u32_e32 v5, v4
	v_min_u32_e32 v5, 32, v5
	v_sub_u32_e64 v5, v5, 4 clamp
	v_lshlrev_b32_e32 v7, v5, v4
	v_lshlrev_b32_e32 v5, 23, v5
	v_lshrrev_b32_e32 v7, 4, v7
	v_add_u32_e32 v6, 0x1000000, v4
	v_sub_u32_e32 v5, v7, v5
	v_ashrrev_i32_e32 v6, 8, v6
	v_add_u32_e32 v5, 0x3c000000, v5
	v_and_or_b32 v5, v6, s0, v5
	v_cmp_ne_u32_e32 vcc, 0, v4
	v_cndmask_b32_e32 v4, 0, v5, vcc
	v_and_or_b32 v3, v3, s1, v4
	v_bfe_u32 v4, v4, 16, 1
	v_add3_u32 v4, v3, v4, s8
	v_cmp_o_f32_e32 vcc, v3, v3
	v_mov_b32_e32 v3, 0x7fc0
	v_cndmask_b32_sdwa v3, v3, v4, vcc dst_sel:DWORD dst_unused:UNUSED_PAD src0_sel:DWORD src1_sel:WORD_1
.LBB39_222:
	s_mov_b64 s[0:1], 0
.LBB39_223:
	s_andn2_b64 vcc, exec, s[0:1]
	s_cbranch_vccnz .LBB39_225
; %bb.224:
	global_load_ubyte v3, v[1:2], off
	s_movk_i32 s0, 0x7f00
	s_brev_b32 s1, 16
	s_brev_b32 s8, 1
	s_movk_i32 s9, 0x7fff
	s_waitcnt vmcnt(0)
	v_lshlrev_b16_e32 v4, 8, v3
	v_lshlrev_b32_e32 v3, 25, v3
	v_lshrrev_b32_e32 v5, 4, v3
	v_and_or_b32 v6, v4, s0, 0.5
	v_or_b32_e32 v5, 0x70000000, v5
	v_add_f32_e32 v6, -0.5, v6
	v_mul_f32_e32 v5, 0x7800000, v5
	v_cmp_gt_u32_e32 vcc, s1, v3
	v_bfe_i32 v4, v4, 0, 16
	v_cndmask_b32_e32 v3, v5, v6, vcc
	v_and_or_b32 v4, v4, s8, v3
	v_bfe_u32 v3, v3, 16, 1
	v_add3_u32 v3, v4, v3, s9
	v_cmp_o_f32_e32 vcc, v4, v4
	v_mov_b32_e32 v4, 0x7fc0
	v_cndmask_b32_sdwa v3, v4, v3, vcc dst_sel:DWORD dst_unused:UNUSED_PAD src0_sel:DWORD src1_sel:WORD_1
.LBB39_225:
	s_mov_b64 s[8:9], 0
	s_mov_b64 s[0:1], -1
.LBB39_226:
	s_andn2_b64 vcc, exec, s[8:9]
	s_cbranch_vccnz .LBB39_239
; %bb.227:
	s_cmp_gt_i32 s12, 14
	s_cbranch_scc0 .LBB39_230
; %bb.228:
	s_cmp_eq_u32 s12, 15
	s_cbranch_scc0 .LBB39_233
; %bb.229:
	global_load_ushort v3, v[1:2], off
	s_mov_b64 s[0:1], -1
	s_mov_b64 s[2:3], 0
	s_branch .LBB39_234
.LBB39_230:
	s_mov_b64 s[8:9], -1
                                        ; implicit-def: $vgpr3
	s_branch .LBB39_235
.LBB39_231:
	s_or_saveexec_b64 s[8:9], s[8:9]
	v_mov_b32_e32 v4, 0x7f800001
	s_xor_b64 exec, exec, s[8:9]
	s_cbranch_execz .LBB39_212
.LBB39_232:
	v_cmp_ne_u16_e32 vcc, 0, v3
	s_andn2_b64 s[0:1], s[0:1], exec
	s_and_b64 s[10:11], vcc, exec
	v_mov_b32_e32 v4, 0
	s_or_b64 s[0:1], s[0:1], s[10:11]
	s_or_b64 exec, exec, s[8:9]
	s_and_saveexec_b64 s[8:9], s[0:1]
	s_cbranch_execnz .LBB39_213
	s_branch .LBB39_214
.LBB39_233:
	s_mov_b64 s[2:3], -1
                                        ; implicit-def: $vgpr3
.LBB39_234:
	s_mov_b64 s[8:9], 0
.LBB39_235:
	s_and_b64 vcc, exec, s[8:9]
	s_cbranch_vccz .LBB39_239
; %bb.236:
	s_cmp_eq_u32 s12, 11
	s_cbranch_scc0 .LBB39_238
; %bb.237:
	global_load_ubyte v3, v[1:2], off
	s_mov_b64 s[0:1], -1
	s_mov_b64 s[2:3], 0
	s_waitcnt vmcnt(0)
	v_cmp_ne_u16_e32 vcc, 0, v3
	v_cndmask_b32_e64 v3, 0, 1.0, vcc
	v_lshrrev_b32_e32 v3, 16, v3
	s_branch .LBB39_239
.LBB39_238:
	s_mov_b64 s[2:3], -1
                                        ; implicit-def: $vgpr3
.LBB39_239:
	s_branch .LBB39_24
.LBB39_240:
	s_cmp_lt_i32 s12, 5
	s_cbranch_scc1 .LBB39_245
; %bb.241:
	s_cmp_lt_i32 s12, 8
	s_cbranch_scc1 .LBB39_246
; %bb.242:
	;; [unrolled: 3-line block ×3, first 2 shown]
	s_cmp_gt_i32 s12, 9
	s_cbranch_scc0 .LBB39_248
; %bb.244:
	global_load_dwordx2 v[3:4], v[1:2], off
	s_movk_i32 s0, 0x7fff
	s_waitcnt vmcnt(0)
	v_cvt_f32_f64_e32 v3, v[3:4]
	v_mov_b32_e32 v4, 0x7fc0
	v_bfe_u32 v5, v3, 16, 1
	v_cmp_o_f32_e32 vcc, v3, v3
	v_add3_u32 v3, v3, v5, s0
	v_cndmask_b32_sdwa v3, v4, v3, vcc dst_sel:DWORD dst_unused:UNUSED_PAD src0_sel:DWORD src1_sel:WORD_1
	s_mov_b64 s[0:1], 0
	s_branch .LBB39_249
.LBB39_245:
                                        ; implicit-def: $vgpr3
	s_branch .LBB39_267
.LBB39_246:
	s_mov_b64 s[0:1], -1
                                        ; implicit-def: $vgpr3
	s_branch .LBB39_255
.LBB39_247:
	s_mov_b64 s[0:1], -1
                                        ; implicit-def: $vgpr3
	s_branch .LBB39_252
.LBB39_248:
	s_mov_b64 s[0:1], -1
                                        ; implicit-def: $vgpr3
.LBB39_249:
	s_andn2_b64 vcc, exec, s[0:1]
	s_cbranch_vccnz .LBB39_251
; %bb.250:
	global_load_dword v3, v[1:2], off
	s_movk_i32 s0, 0x7fff
	v_mov_b32_e32 v4, 0x7fc0
	s_waitcnt vmcnt(0)
	v_bfe_u32 v5, v3, 16, 1
	v_cmp_o_f32_e32 vcc, v3, v3
	v_add3_u32 v3, v3, v5, s0
	v_cndmask_b32_sdwa v3, v4, v3, vcc dst_sel:DWORD dst_unused:UNUSED_PAD src0_sel:DWORD src1_sel:WORD_1
.LBB39_251:
	s_mov_b64 s[0:1], 0
.LBB39_252:
	s_andn2_b64 vcc, exec, s[0:1]
	s_cbranch_vccnz .LBB39_254
; %bb.253:
	global_load_dword v3, v[1:2], off
	s_movk_i32 s0, 0x7fff
	v_mov_b32_e32 v5, 0x7fc0
	s_waitcnt vmcnt(0)
	v_cvt_f32_f16_e32 v4, v3
	v_cmp_o_f16_e32 vcc, v3, v3
	v_bfe_u32 v3, v4, 16, 1
	v_add3_u32 v3, v4, v3, s0
	v_cndmask_b32_sdwa v3, v5, v3, vcc dst_sel:DWORD dst_unused:UNUSED_PAD src0_sel:DWORD src1_sel:WORD_1
.LBB39_254:
	s_mov_b64 s[0:1], 0
.LBB39_255:
	s_andn2_b64 vcc, exec, s[0:1]
	s_cbranch_vccnz .LBB39_266
; %bb.256:
	s_cmp_lt_i32 s12, 6
	s_cbranch_scc1 .LBB39_259
; %bb.257:
	s_cmp_gt_i32 s12, 6
	s_cbranch_scc0 .LBB39_260
; %bb.258:
	global_load_dwordx2 v[3:4], v[1:2], off
	s_movk_i32 s0, 0x7fff
	s_waitcnt vmcnt(0)
	v_cvt_f32_f64_e32 v3, v[3:4]
	v_mov_b32_e32 v4, 0x7fc0
	v_bfe_u32 v5, v3, 16, 1
	v_cmp_o_f32_e32 vcc, v3, v3
	v_add3_u32 v3, v3, v5, s0
	v_cndmask_b32_sdwa v3, v4, v3, vcc dst_sel:DWORD dst_unused:UNUSED_PAD src0_sel:DWORD src1_sel:WORD_1
	s_mov_b64 s[0:1], 0
	s_branch .LBB39_261
.LBB39_259:
	s_mov_b64 s[0:1], -1
                                        ; implicit-def: $vgpr3
	s_branch .LBB39_264
.LBB39_260:
	s_mov_b64 s[0:1], -1
                                        ; implicit-def: $vgpr3
.LBB39_261:
	s_andn2_b64 vcc, exec, s[0:1]
	s_cbranch_vccnz .LBB39_263
; %bb.262:
	global_load_dword v3, v[1:2], off
	s_movk_i32 s0, 0x7fff
	v_mov_b32_e32 v4, 0x7fc0
	s_waitcnt vmcnt(0)
	v_bfe_u32 v5, v3, 16, 1
	v_cmp_o_f32_e32 vcc, v3, v3
	v_add3_u32 v3, v3, v5, s0
	v_cndmask_b32_sdwa v3, v4, v3, vcc dst_sel:DWORD dst_unused:UNUSED_PAD src0_sel:DWORD src1_sel:WORD_1
.LBB39_263:
	s_mov_b64 s[0:1], 0
.LBB39_264:
	s_andn2_b64 vcc, exec, s[0:1]
	s_cbranch_vccnz .LBB39_266
; %bb.265:
	global_load_ushort v3, v[1:2], off
	s_movk_i32 s0, 0x7fff
	v_mov_b32_e32 v5, 0x7fc0
	s_waitcnt vmcnt(0)
	v_cvt_f32_f16_e32 v4, v3
	v_cmp_o_f16_e32 vcc, v3, v3
	v_bfe_u32 v3, v4, 16, 1
	v_add3_u32 v3, v4, v3, s0
	v_cndmask_b32_sdwa v3, v5, v3, vcc dst_sel:DWORD dst_unused:UNUSED_PAD src0_sel:DWORD src1_sel:WORD_1
.LBB39_266:
	s_cbranch_execnz .LBB39_286
.LBB39_267:
	s_cmp_lt_i32 s12, 2
	s_cbranch_scc1 .LBB39_271
; %bb.268:
	s_cmp_lt_i32 s12, 3
	s_cbranch_scc1 .LBB39_272
; %bb.269:
	s_cmp_gt_i32 s12, 3
	s_cbranch_scc0 .LBB39_273
; %bb.270:
	global_load_dwordx2 v[3:4], v[1:2], off
	s_movk_i32 s0, 0x7fff
	s_waitcnt vmcnt(0)
	v_xor_b32_e32 v6, v3, v4
	v_ffbh_i32_e32 v5, v4
	v_ashrrev_i32_e32 v6, 31, v6
	v_add_u32_e32 v5, -1, v5
	v_add_u32_e32 v6, 32, v6
	v_min_u32_e32 v5, v5, v6
	v_lshlrev_b64 v[3:4], v5, v[3:4]
	v_min_u32_e32 v3, 1, v3
	v_or_b32_e32 v3, v4, v3
	v_cvt_f32_i32_e32 v3, v3
	v_sub_u32_e32 v4, 32, v5
	v_ldexp_f32 v3, v3, v4
	v_bfe_u32 v4, v3, 16, 1
	v_add3_u32 v3, v3, v4, s0
	v_lshrrev_b32_e32 v3, 16, v3
	s_mov_b64 s[0:1], 0
	s_branch .LBB39_274
.LBB39_271:
	s_mov_b64 s[0:1], -1
                                        ; implicit-def: $vgpr3
	s_branch .LBB39_280
.LBB39_272:
	s_mov_b64 s[0:1], -1
                                        ; implicit-def: $vgpr3
	s_branch .LBB39_277
.LBB39_273:
	s_mov_b64 s[0:1], -1
                                        ; implicit-def: $vgpr3
.LBB39_274:
	s_andn2_b64 vcc, exec, s[0:1]
	s_cbranch_vccnz .LBB39_276
; %bb.275:
	global_load_dword v3, v[1:2], off
	s_movk_i32 s0, 0x7fff
	s_waitcnt vmcnt(0)
	v_cvt_f32_i32_e32 v3, v3
	v_bfe_u32 v4, v3, 16, 1
	v_add3_u32 v3, v3, v4, s0
	v_lshrrev_b32_e32 v3, 16, v3
.LBB39_276:
	s_mov_b64 s[0:1], 0
.LBB39_277:
	s_andn2_b64 vcc, exec, s[0:1]
	s_cbranch_vccnz .LBB39_279
; %bb.278:
	global_load_sshort v3, v[1:2], off
	s_movk_i32 s0, 0x7fff
	s_waitcnt vmcnt(0)
	v_cvt_f32_i32_e32 v3, v3
	v_bfe_u32 v4, v3, 16, 1
	v_add3_u32 v3, v3, v4, s0
	v_lshrrev_b32_e32 v3, 16, v3
.LBB39_279:
	s_mov_b64 s[0:1], 0
.LBB39_280:
	s_andn2_b64 vcc, exec, s[0:1]
	s_cbranch_vccnz .LBB39_286
; %bb.281:
	s_cmp_gt_i32 s12, 0
	s_cbranch_scc0 .LBB39_283
; %bb.282:
	global_load_sbyte v3, v[1:2], off
	s_movk_i32 s0, 0x7fff
	s_waitcnt vmcnt(0)
	v_cvt_f32_i32_e32 v3, v3
	v_bfe_u32 v4, v3, 16, 1
	v_add3_u32 v3, v3, v4, s0
	v_lshrrev_b32_e32 v3, 16, v3
	s_mov_b64 s[0:1], 0
	s_branch .LBB39_284
.LBB39_283:
	s_mov_b64 s[0:1], -1
                                        ; implicit-def: $vgpr3
.LBB39_284:
	s_andn2_b64 vcc, exec, s[0:1]
	s_cbranch_vccnz .LBB39_286
; %bb.285:
	global_load_ubyte v1, v[1:2], off
	s_movk_i32 s0, 0x7fff
	s_waitcnt vmcnt(0)
	v_cvt_f32_ubyte0_e32 v1, v1
	v_bfe_u32 v2, v1, 16, 1
	v_add3_u32 v1, v1, v2, s0
	v_lshrrev_b32_e32 v3, 16, v1
.LBB39_286:
	s_branch .LBB39_25
.LBB39_287:
	s_mov_b64 s[0:1], 0
.LBB39_288:
	s_mov_b64 s[8:9], 0
                                        ; implicit-def: $vgpr8
.LBB39_289:
	s_and_b64 s[52:53], s[0:1], exec
	s_and_b64 s[54:55], s[2:3], exec
	s_orn2_b64 s[2:3], s[8:9], exec
.LBB39_290:
	s_or_b64 exec, exec, s[56:57]
	s_mov_b64 s[10:11], 0
	s_mov_b64 s[0:1], 0
                                        ; implicit-def: $vgpr1_vgpr2
                                        ; implicit-def: $vgpr0
                                        ; implicit-def: $vgpr4
	s_and_saveexec_b64 s[56:57], s[2:3]
	s_cbranch_execz .LBB39_297
; %bb.291:
	v_cmp_gt_i32_e32 vcc, s70, v8
	s_mov_b64 s[0:1], -1
	s_mov_b64 s[58:59], s[54:55]
	s_mov_b64 s[60:61], s[52:53]
	s_and_saveexec_b64 s[62:63], vcc
	s_cbranch_execz .LBB39_590
; %bb.292:
	s_andn2_b64 vcc, exec, s[40:41]
	s_cbranch_vccnz .LBB39_300
; %bb.293:
	s_andn2_b64 vcc, exec, s[50:51]
	s_cbranch_vccnz .LBB39_301
; %bb.294:
	s_add_i32 s65, s75, 1
	s_cmp_eq_u32 s72, 2
	s_cbranch_scc1 .LBB39_302
; %bb.295:
	s_and_b32 s64, s65, 28
	v_mov_b32_e32 v2, 0
	s_mov_b32 s66, 0
	s_mov_b64 s[58:59], s[34:35]
	s_mov_b64 s[60:61], s[48:49]
	v_mov_b32_e32 v0, 0
	v_mov_b32_e32 v1, v8
.LBB39_296:                             ; =>This Inner Loop Header: Depth=1
	s_load_dwordx8 s[16:23], s[58:59], 0x4
	s_load_dwordx4 s[0:3], s[58:59], 0x24
	s_load_dwordx8 s[8:15], s[60:61], 0x0
	s_add_u32 s58, s58, 48
	s_addc_u32 s59, s59, 0
	s_waitcnt vmcnt(0) lgkmcnt(0)
	v_mul_hi_u32 v3, s17, v1
	s_add_i32 s66, s66, 4
	s_add_u32 s60, s60, 32
	s_addc_u32 s61, s61, 0
	v_add_u32_e32 v3, v1, v3
	v_lshrrev_b32_e32 v3, s18, v3
	v_mul_lo_u32 v4, v3, s16
	v_mul_hi_u32 v5, s20, v3
	s_cmp_eq_u32 s64, s66
	v_sub_u32_e32 v1, v1, v4
	v_add_u32_e32 v4, v3, v5
	v_mul_lo_u32 v5, v1, s8
	v_mul_lo_u32 v6, v1, s9
	v_lshrrev_b32_e32 v1, s21, v4
	v_mul_lo_u32 v4, v1, s19
	v_mul_hi_u32 v7, s23, v1
	v_sub_u32_e32 v3, v3, v4
	v_add_u32_e32 v4, v1, v7
	v_lshrrev_b32_e32 v4, s0, v4
	v_mul_hi_u32 v9, s2, v4
	v_mul_lo_u32 v10, v4, s22
	v_mul_lo_u32 v7, v3, s10
	v_mul_lo_u32 v3, v3, s11
	v_sub_u32_e32 v10, v1, v10
	v_add_u32_e32 v1, v4, v9
	v_lshrrev_b32_e32 v1, s3, v1
	v_mul_lo_u32 v9, v1, s1
	v_mul_lo_u32 v11, v10, s12
	;; [unrolled: 1-line block ×3, first 2 shown]
	v_add3_u32 v0, v5, v0, v7
	v_sub_u32_e32 v4, v4, v9
	v_mul_lo_u32 v9, v4, s14
	v_mul_lo_u32 v4, v4, s15
	v_add3_u32 v2, v6, v2, v3
	v_add3_u32 v0, v11, v0, v9
	;; [unrolled: 1-line block ×3, first 2 shown]
	s_cbranch_scc0 .LBB39_296
	s_branch .LBB39_303
.LBB39_297:
	s_or_b64 exec, exec, s[56:57]
	s_mov_b64 s[2:3], 0
	s_and_saveexec_b64 s[8:9], s[54:55]
	s_cbranch_execnz .LBB39_990
.LBB39_298:
	s_or_b64 exec, exec, s[8:9]
	s_and_saveexec_b64 s[8:9], s[60:61]
	s_xor_b64 s[8:9], exec, s[8:9]
	s_cbranch_execz .LBB39_991
.LBB39_299:
	global_load_ubyte v3, v[1:2], off
	s_or_b64 s[0:1], s[0:1], exec
	s_waitcnt vmcnt(0)
	v_cmp_ne_u16_e32 vcc, 0, v3
	v_cndmask_b32_e64 v3, 0, 1.0, vcc
	v_lshrrev_b32_e32 v4, 16, v3
	s_or_b64 exec, exec, s[8:9]
	s_and_saveexec_b64 s[8:9], s[10:11]
	s_cbranch_execz .LBB39_1037
	s_branch .LBB39_992
.LBB39_300:
                                        ; implicit-def: $vgpr0
                                        ; implicit-def: $vgpr2
	s_andn2_b64 vcc, exec, s[0:1]
	s_cbranch_vccz .LBB39_307
	s_branch .LBB39_309
.LBB39_301:
	v_mov_b32_e32 v0, 0
	v_mov_b32_e32 v2, 0
	s_branch .LBB39_306
.LBB39_302:
	s_mov_b32 s64, 0
	v_mov_b32_e32 v0, 0
	v_mov_b32_e32 v2, 0
	;; [unrolled: 1-line block ×3, first 2 shown]
.LBB39_303:
	s_and_b32 s8, s65, 3
	s_cmp_eq_u32 s8, 0
	s_cbranch_scc1 .LBB39_306
; %bb.304:
	s_lshl_b32 s0, s64, 3
	s_add_u32 s0, s34, s0
	s_addc_u32 s1, s35, 0
	s_add_u32 s0, s0, 0xc4
	s_addc_u32 s1, s1, 0
	s_mul_i32 s2, s64, 12
	s_add_u32 s2, s34, s2
	s_addc_u32 s3, s35, 0
.LBB39_305:                             ; =>This Inner Loop Header: Depth=1
	s_load_dwordx2 s[10:11], s[2:3], 0x4
	s_load_dword s9, s[2:3], 0xc
	s_load_dwordx2 s[12:13], s[0:1], 0x0
	s_add_u32 s2, s2, 12
	s_addc_u32 s3, s3, 0
	s_waitcnt vmcnt(0) lgkmcnt(0)
	v_mul_hi_u32 v3, s11, v1
	s_add_u32 s0, s0, 8
	s_addc_u32 s1, s1, 0
	s_add_i32 s8, s8, -1
	v_add_u32_e32 v3, v1, v3
	v_lshrrev_b32_e32 v4, s9, v3
	v_mul_lo_u32 v3, v4, s10
	s_cmp_lg_u32 s8, 0
	v_sub_u32_e32 v3, v1, v3
	v_mad_u64_u32 v[0:1], s[10:11], v3, s12, v[0:1]
	v_mad_u64_u32 v[2:3], s[10:11], v3, s13, v[2:3]
	v_mov_b32_e32 v1, v4
	s_cbranch_scc1 .LBB39_305
.LBB39_306:
	s_cbranch_execnz .LBB39_309
.LBB39_307:
	s_waitcnt lgkmcnt(0)
	v_mul_hi_u32 v0, s37, v8
	s_andn2_b64 vcc, exec, s[46:47]
	v_add_u32_e32 v0, v8, v0
	v_lshrrev_b32_e32 v1, s38, v0
	v_mul_lo_u32 v0, v1, s36
	v_sub_u32_e32 v2, v8, v0
	v_mul_lo_u32 v0, v2, s28
	v_mul_lo_u32 v2, v2, s29
	s_cbranch_vccnz .LBB39_309
; %bb.308:
	s_waitcnt vmcnt(0)
	v_mul_hi_u32 v3, s44, v1
	v_add_u32_e32 v3, v1, v3
	v_lshrrev_b32_e32 v3, s45, v3
	v_mul_lo_u32 v3, v3, s39
	v_sub_u32_e32 v3, v1, v3
	v_mad_u64_u32 v[0:1], s[0:1], v3, s30, v[0:1]
	v_mad_u64_u32 v[2:3], s[0:1], v3, s31, v[2:3]
.LBB39_309:
	s_waitcnt vmcnt(0) lgkmcnt(0)
	v_mov_b32_e32 v3, s27
	s_and_b32 s12, 0xffff, s74
	v_add_co_u32_e32 v1, vcc, s26, v2
	s_cmp_lt_i32 s12, 11
	v_addc_co_u32_e32 v2, vcc, 0, v3, vcc
	s_cbranch_scc1 .LBB39_316
; %bb.310:
	s_cmp_gt_i32 s12, 25
	s_cbranch_scc0 .LBB39_349
; %bb.311:
	s_cmp_gt_i32 s12, 28
	s_cbranch_scc0 .LBB39_351
	;; [unrolled: 3-line block ×4, first 2 shown]
; %bb.314:
	s_cmp_eq_u32 s12, 46
	s_mov_b64 s[8:9], 0
	s_cbranch_scc0 .LBB39_361
; %bb.315:
	global_load_dword v3, v[1:2], off
	s_mov_b64 s[0:1], -1
	s_mov_b64 s[2:3], 0
	s_branch .LBB39_362
.LBB39_316:
	s_mov_b64 s[0:1], 0
                                        ; implicit-def: $vgpr3
	s_mov_b64 s[2:3], s[54:55]
	s_cbranch_execnz .LBB39_539
.LBB39_317:
	s_andn2_b64 vcc, exec, s[0:1]
	s_cbranch_vccnz .LBB39_587
.LBB39_318:
	s_waitcnt vmcnt(0)
	v_lshlrev_b32_e32 v7, 16, v3
	v_cmp_neq_f32_e32 vcc, 0, v7
                                        ; implicit-def: $vgpr2
	s_and_saveexec_b64 s[0:1], vcc
	s_xor_b64 s[8:9], exec, s[0:1]
	s_cbranch_execz .LBB39_340
; %bb.319:
	v_mov_b32_e32 v1, 0
	v_cmp_gt_f32_e32 vcc, 0, v7
	s_mov_b64 s[12:13], -1
	s_and_saveexec_b64 s[10:11], vcc
	s_cbranch_execz .LBB39_327
; %bb.320:
	v_trunc_f32_e32 v1, v7
	v_cmp_neq_f32_e32 vcc, v1, v7
	s_mov_b64 s[14:15], 0
	v_mov_b32_e32 v1, 0
	s_and_saveexec_b64 s[12:13], vcc
	s_cbranch_execz .LBB39_326
; %bb.321:
	v_cvt_f64_f32_e32 v[1:2], v7
	s_mov_b32 s0, 0
	s_mov_b32 s15, 0xc00921fb
	;; [unrolled: 1-line block ×3, first 2 shown]
	v_trunc_f64_e32 v[3:4], v[1:2]
	s_mov_b32 s1, 0x7ff00000
	v_cmp_neq_f64_e64 vcc, |v[1:2]|, s[0:1]
	v_bfrev_b32_e32 v5, 1
	s_mov_b32 s16, 0
	s_mov_b32 s17, 0x41d00000
                                        ; implicit-def: $vgpr9
	v_add_f64 v[3:4], v[1:2], -v[3:4]
	v_mul_f64 v[3:4], |v[3:4]|, s[14:15]
	v_cndmask_b32_e32 v2, v5, v4, vcc
	v_cndmask_b32_e32 v1, 0, v3, vcc
	v_cmp_nlt_f64_e64 s[16:17], |v[1:2]|, s[16:17]
                                        ; implicit-def: $vgpr3_vgpr4
                                        ; implicit-def: $vgpr5_vgpr6
	s_and_saveexec_b64 s[18:19], s[16:17]
	s_xor_b64 s[16:17], exec, s[18:19]
	s_cbranch_execz .LBB39_323
; %bb.322:
	v_trig_preop_f64 v[3:4], |v[1:2]|, 0
	s_mov_b32 s18, 0
	s_mov_b32 s19, 0x7b000000
	s_movk_i32 s15, 0xff80
	v_ldexp_f64 v[9:10], |v[1:2]|, s15
	v_cmp_ge_f64_e64 vcc, |v[1:2]|, s[18:19]
	v_trig_preop_f64 v[5:6], |v[1:2]|, 1
	v_and_b32_e32 v11, 0x7fffffff, v2
	v_trig_preop_f64 v[17:18], |v[1:2]|, 2
	v_mov_b32_e32 v28, 0x40100000
	v_mov_b32_e32 v27, 0
	s_mov_b32 s15, 0x3ff921fb
	v_cndmask_b32_e32 v10, v11, v10, vcc
	v_cndmask_b32_e32 v9, v1, v9, vcc
	v_mul_f64 v[11:12], v[3:4], v[9:10]
	v_mul_f64 v[13:14], v[5:6], v[9:10]
	;; [unrolled: 1-line block ×3, first 2 shown]
	v_fma_f64 v[3:4], v[3:4], v[9:10], -v[11:12]
	v_fma_f64 v[5:6], v[5:6], v[9:10], -v[13:14]
	;; [unrolled: 1-line block ×3, first 2 shown]
	v_add_f64 v[15:16], v[13:14], v[3:4]
	v_add_f64 v[19:20], v[15:16], -v[13:14]
	v_add_f64 v[25:26], v[11:12], v[15:16]
	v_add_f64 v[21:22], v[15:16], -v[19:20]
	v_add_f64 v[3:4], v[3:4], -v[19:20]
	v_add_f64 v[19:20], v[23:24], v[5:6]
	v_add_f64 v[11:12], v[25:26], -v[11:12]
	v_add_f64 v[13:14], v[13:14], -v[21:22]
	v_ldexp_f64 v[21:22], v[25:26], -2
	v_add_f64 v[29:30], v[19:20], -v[23:24]
	v_add_f64 v[11:12], v[15:16], -v[11:12]
	v_add_f64 v[3:4], v[3:4], v[13:14]
	v_fract_f64_e32 v[13:14], v[21:22]
	v_cmp_neq_f64_e64 vcc, |v[21:22]|, s[0:1]
	v_add_f64 v[5:6], v[5:6], -v[29:30]
	v_add_f64 v[15:16], v[19:20], v[3:4]
	v_ldexp_f64 v[13:14], v[13:14], 2
	v_add_f64 v[21:22], v[11:12], v[15:16]
	v_cndmask_b32_e32 v14, 0, v14, vcc
	v_cndmask_b32_e32 v13, 0, v13, vcc
	v_add_f64 v[31:32], v[15:16], -v[19:20]
	v_add_f64 v[25:26], v[21:22], v[13:14]
	v_add_f64 v[11:12], v[21:22], -v[11:12]
	v_add_f64 v[33:34], v[15:16], -v[31:32]
	;; [unrolled: 1-line block ×3, first 2 shown]
	v_cmp_gt_f64_e32 vcc, 0, v[25:26]
	v_add_f64 v[25:26], v[19:20], -v[29:30]
	v_add_f64 v[11:12], v[15:16], -v[11:12]
	;; [unrolled: 1-line block ×3, first 2 shown]
	v_cndmask_b32_e32 v28, 0, v28, vcc
	v_add_f64 v[13:14], v[13:14], v[27:28]
	v_add_f64 v[25:26], v[23:24], -v[25:26]
	v_add_f64 v[3:4], v[3:4], v[19:20]
	v_add_f64 v[35:36], v[21:22], v[13:14]
	;; [unrolled: 1-line block ×3, first 2 shown]
	v_cvt_i32_f64_e32 v30, v[35:36]
	v_add_f64 v[3:4], v[5:6], v[3:4]
	v_cvt_f64_i32_e32 v[28:29], v30
	v_add_f64 v[13:14], v[13:14], -v[28:29]
	v_add_f64 v[3:4], v[9:10], v[3:4]
	v_add_f64 v[5:6], v[21:22], v[13:14]
	;; [unrolled: 1-line block ×3, first 2 shown]
	v_mov_b32_e32 v12, 0x3ff00000
	v_add_f64 v[9:10], v[5:6], -v[13:14]
	v_cmp_le_f64_e32 vcc, 0.5, v[5:6]
	v_add_f64 v[10:11], v[21:22], -v[9:10]
	v_cndmask_b32_e32 v28, 0, v12, vcc
	v_add_f64 v[5:6], v[5:6], -v[27:28]
	v_addc_co_u32_e64 v9, s[0:1], 0, v30, vcc
	s_mov_b32 s0, 0x33145c07
	s_mov_b32 s1, 0x3c91a626
	v_add_f64 v[3:4], v[3:4], v[10:11]
	v_add_f64 v[10:11], v[5:6], v[3:4]
	v_mul_f64 v[12:13], v[10:11], s[14:15]
	v_add_f64 v[5:6], v[10:11], -v[5:6]
	v_fma_f64 v[14:15], v[10:11], s[14:15], -v[12:13]
	v_add_f64 v[3:4], v[3:4], -v[5:6]
	v_fma_f64 v[5:6], v[10:11], s[0:1], v[14:15]
	v_fma_f64 v[5:6], v[3:4], s[14:15], v[5:6]
	v_add_f64 v[3:4], v[12:13], v[5:6]
	v_add_f64 v[10:11], v[3:4], -v[12:13]
	v_add_f64 v[5:6], v[5:6], -v[10:11]
.LBB39_323:
	s_andn2_saveexec_b64 s[0:1], s[16:17]
	s_cbranch_execz .LBB39_325
; %bb.324:
	s_mov_b32 s14, 0x6dc9c883
	s_mov_b32 s15, 0x3fe45f30
	v_mul_f64 v[3:4], |v[1:2]|, s[14:15]
	s_mov_b32 s14, 0x54442d18
	s_mov_b32 s15, 0xbff921fb
	;; [unrolled: 1-line block ×4, first 2 shown]
	v_rndne_f64_e32 v[9:10], v[3:4]
	v_fma_f64 v[3:4], v[9:10], s[14:15], |v[1:2]|
	v_mul_f64 v[5:6], v[9:10], s[16:17]
	s_mov_b32 s14, 0x252049c0
	s_mov_b32 s15, 0xb97b839a
	v_fma_f64 v[15:16], v[9:10], s[16:17], v[3:4]
	v_add_f64 v[11:12], v[3:4], v[5:6]
	s_mov_b32 s17, 0x3c91a626
	v_add_f64 v[13:14], v[3:4], -v[11:12]
	v_add_f64 v[11:12], v[11:12], -v[15:16]
	v_add_f64 v[3:4], v[13:14], v[5:6]
	v_fma_f64 v[5:6], v[9:10], s[16:17], v[5:6]
	v_add_f64 v[3:4], v[11:12], v[3:4]
	v_add_f64 v[3:4], v[3:4], -v[5:6]
	v_fma_f64 v[5:6], v[9:10], s[14:15], v[3:4]
	v_cvt_i32_f64_e32 v9, v[9:10]
	v_add_f64 v[3:4], v[15:16], v[5:6]
	v_add_f64 v[11:12], v[3:4], -v[15:16]
	v_add_f64 v[5:6], v[5:6], -v[11:12]
.LBB39_325:
	s_or_b64 exec, exec, s[0:1]
	v_mul_f64 v[10:11], v[3:4], v[3:4]
	v_add_f64 v[12:13], v[5:6], v[5:6]
	s_mov_b32 s0, 0xc751c08c
	s_mov_b32 s1, 0x3ef5e089
	v_and_b32_e32 v9, 1, v9
	v_cmp_eq_u32_e32 vcc, 0, v9
	s_mov_b32 s16, 0x54442d18
	s_mov_b32 s17, 0xc00921fb
	v_fma_f64 v[14:15], v[3:4], v[3:4], -v[10:11]
	s_mov_b64 s[14:15], exec
	v_sub_f32_e32 v7, 1.0, v7
	v_fma_f64 v[12:13], v[3:4], v[12:13], v[14:15]
	v_add_f64 v[10:11], v[10:11], v[12:13]
	v_mov_b32_e32 v12, 0xa9a29f71
	v_mov_b32_e32 v13, 0xbf078809
	v_fma_f64 v[12:13], v[10:11], s[0:1], v[12:13]
	s_mov_b32 s0, 0x90a8aae0
	s_mov_b32 s1, 0x3f17746f
	v_fma_f64 v[12:13], v[10:11], v[12:13], s[0:1]
	s_mov_b32 s0, 0xa6fbf144
	s_mov_b32 s1, 0xbefbb44d
	;; [unrolled: 3-line block ×12, first 2 shown]
	v_fma_f64 v[12:13], v[10:11], v[12:13], s[0:1]
	s_movk_i32 s0, 0x1f8
	v_cmp_class_f64_e64 s[0:1], v[1:2], s0
	v_mul_f64 v[10:11], v[10:11], v[12:13]
	v_mul_f64 v[12:13], v[3:4], v[10:11]
	v_add_f64 v[14:15], v[3:4], v[12:13]
	v_fma_f64 v[10:11], v[3:4], v[10:11], -v[12:13]
	v_add_f64 v[3:4], v[14:15], -v[3:4]
	v_add_f64 v[5:6], v[5:6], v[10:11]
	v_add_f64 v[3:4], v[12:13], -v[3:4]
	v_add_f64 v[3:4], v[5:6], v[3:4]
	v_add_f64 v[5:6], v[14:15], v[3:4]
	v_rcp_f64_e32 v[10:11], v[5:6]
	v_fma_f64 v[12:13], -v[5:6], v[10:11], 1.0
	v_fma_f64 v[10:11], v[12:13], v[10:11], v[10:11]
	v_fma_f64 v[12:13], -v[5:6], v[10:11], 1.0
	v_fma_f64 v[10:11], v[12:13], v[10:11], v[10:11]
	v_add_f64 v[12:13], v[5:6], -v[14:15]
	v_mul_f64 v[14:15], v[5:6], v[10:11]
	v_add_f64 v[3:4], v[3:4], -v[12:13]
	v_fma_f64 v[12:13], v[10:11], v[5:6], -v[14:15]
	v_fma_f64 v[3:4], v[10:11], v[3:4], v[12:13]
	v_add_f64 v[12:13], v[14:15], v[3:4]
	v_add_f64 v[16:17], -v[12:13], 1.0
	v_add_f64 v[14:15], v[12:13], -v[14:15]
	v_add_f64 v[18:19], -v[16:17], 1.0
	v_add_f64 v[3:4], v[14:15], -v[3:4]
	v_add_f64 v[12:13], v[18:19], -v[12:13]
	v_add_f64 v[3:4], v[3:4], v[12:13]
	v_add_f64 v[3:4], v[16:17], v[3:4]
	v_mul_f64 v[3:4], v[10:11], v[3:4]
	v_add_f64 v[3:4], v[10:11], v[3:4]
	v_and_b32_e32 v10, 0x80000000, v2
	v_mov_b32_e32 v2, 0x7ff80000
	v_xor_b32_e32 v1, 0x80000000, v4
	v_cndmask_b32_e32 v3, v3, v5, vcc
	v_cndmask_b32_e32 v4, v1, v6, vcc
	v_cndmask_b32_e64 v1, 0, v3, s[0:1]
	v_xor_b32_e32 v3, v4, v10
	v_cndmask_b32_e64 v2, v2, v3, s[0:1]
	v_div_scale_f64 v[3:4], s[0:1], v[1:2], v[1:2], s[16:17]
	v_div_scale_f64 v[11:12], vcc, s[16:17], v[1:2], s[16:17]
	v_rcp_f64_e32 v[5:6], v[3:4]
	v_fma_f64 v[9:10], -v[3:4], v[5:6], 1.0
	v_fma_f64 v[5:6], v[5:6], v[9:10], v[5:6]
	v_fma_f64 v[9:10], -v[3:4], v[5:6], 1.0
	v_fma_f64 v[5:6], v[5:6], v[9:10], v[5:6]
	v_mul_f64 v[9:10], v[11:12], v[5:6]
	v_fma_f64 v[3:4], -v[3:4], v[9:10], v[11:12]
	v_div_fmas_f64 v[3:4], v[3:4], v[5:6], v[9:10]
	v_div_fixup_f64 v[1:2], v[3:4], v[1:2], s[16:17]
	v_cvt_f32_f64_e32 v1, v[1:2]
.LBB39_326:
	s_or_b64 exec, exec, s[12:13]
	s_orn2_b64 s[12:13], s[14:15], exec
.LBB39_327:
	s_or_b64 exec, exec, s[10:11]
	v_mov_b32_e32 v2, 0x7fc0
	s_and_saveexec_b64 s[0:1], s[12:13]
	s_cbranch_execz .LBB39_339
; %bb.328:
	s_mov_b32 s14, 0x41200000
	v_cmp_gt_f32_e32 vcc, s14, v7
	s_and_saveexec_b64 s[10:11], vcc
	s_cbranch_execz .LBB39_332
; %bb.329:
	s_mov_b64 s[12:13], 0
.LBB39_330:                             ; =>This Inner Loop Header: Depth=1
	v_div_scale_f32 v2, s[16:17], v7, v7, 1.0
	v_div_scale_f32 v3, vcc, 1.0, v7, 1.0
	v_rcp_f32_e32 v4, v2
	v_fma_f32 v5, -v2, v4, 1.0
	v_fmac_f32_e32 v4, v5, v4
	v_mul_f32_e32 v5, v3, v4
	v_fma_f32 v6, -v2, v5, v3
	v_fmac_f32_e32 v5, v6, v4
	v_fma_f32 v2, -v2, v5, v3
	v_div_fmas_f32 v2, v2, v4, v5
	v_div_fixup_f32 v2, v2, v7, 1.0
	v_add_f32_e32 v7, 1.0, v7
	v_cmp_ngt_f32_e32 vcc, s14, v7
	s_or_b64 s[12:13], vcc, s[12:13]
	v_sub_f32_e32 v1, v1, v2
	s_andn2_b64 exec, exec, s[12:13]
	s_cbranch_execnz .LBB39_330
; %bb.331:
	s_or_b64 exec, exec, s[12:13]
.LBB39_332:
	s_or_b64 exec, exec, s[10:11]
	s_mov_b32 s10, 0x41200000
	v_cmp_neq_f32_e32 vcc, s10, v7
                                        ; implicit-def: $vgpr2
	s_and_saveexec_b64 s[10:11], vcc
	s_xor_b64 s[10:11], exec, s[10:11]
	s_cbranch_execz .LBB39_336
; %bb.333:
	v_cvt_f64_f32_e32 v[2:3], v7
	s_mov_b32 s12, 0x85d8a000
	s_mov_b32 s13, 0x43763457
	v_cmp_gt_f64_e32 vcc, s[12:13], v[2:3]
	v_mov_b32_e32 v2, 0
	s_and_saveexec_b64 s[12:13], vcc
	s_cbranch_execz .LBB39_335
; %bb.334:
	v_mul_f32_e32 v2, v7, v7
	v_div_scale_f32 v3, s[14:15], v2, v2, 1.0
	v_div_scale_f32 v4, vcc, 1.0, v2, 1.0
	v_mov_b32_e32 v10, 0x3b820821
	v_rcp_f32_e32 v5, v3
	v_fma_f32 v6, -v3, v5, 1.0
	v_fmac_f32_e32 v5, v6, v5
	v_mul_f32_e32 v6, v4, v5
	v_fma_f32 v9, -v3, v6, v4
	v_fmac_f32_e32 v6, v9, v5
	v_fma_f32 v3, -v3, v6, v4
	v_div_fmas_f32 v3, v3, v5, v6
	v_mov_b32_e32 v4, 0x3daaaaab
	v_mov_b32_e32 v5, 0xbcaccacd
	;; [unrolled: 1-line block ×4, first 2 shown]
	v_div_fixup_f32 v2, v3, v2, 1.0
	v_fma_f32 v3, 0, v2, v4
	v_fmac_f32_e32 v5, v2, v3
	v_fmac_f32_e32 v6, v2, v5
	;; [unrolled: 1-line block ×4, first 2 shown]
	v_mov_b32_e32 v3, 0xbc088889
	v_fmac_f32_e32 v3, v2, v10
	v_fmac_f32_e32 v4, v2, v3
	v_mul_f32_e32 v2, v2, v4
.LBB39_335:
	s_or_b64 exec, exec, s[12:13]
	v_div_scale_f32 v3, s[12:13], v7, v7, -0.5
	v_div_scale_f32 v4, vcc, -0.5, v7, -0.5
	s_mov_b32 s12, 0x800000
	s_mov_b32 s13, 0x3f317217
	;; [unrolled: 1-line block ×3, first 2 shown]
	v_rcp_f32_e32 v5, v3
	v_fma_f32 v6, -v3, v5, 1.0
	v_fmac_f32_e32 v5, v6, v5
	v_mul_f32_e32 v6, v4, v5
	v_fma_f32 v9, -v3, v6, v4
	v_fmac_f32_e32 v6, v9, v5
	v_fma_f32 v3, -v3, v6, v4
	v_div_fmas_f32 v3, v3, v5, v6
	v_cmp_gt_f32_e32 vcc, s12, v7
	v_cndmask_b32_e64 v5, 0, 32, vcc
	v_ldexp_f32 v5, v7, v5
	v_log_f32_e32 v5, v5
	v_mov_b32_e32 v4, 0x41b17218
	v_cndmask_b32_e32 v4, 0, v4, vcc
	s_movk_i32 s12, 0x7fff
	v_mul_f32_e32 v9, 0x3f317217, v5
	v_fma_f32 v9, v5, s13, -v9
	v_fmac_f32_e32 v9, 0x3377d1cf, v5
	v_fmac_f32_e32 v9, 0x3f317217, v5
	v_cmp_lt_f32_e64 vcc, |v5|, s14
	v_cndmask_b32_e32 v5, v5, v9, vcc
	v_sub_f32_e32 v4, v5, v4
	v_mov_b32_e32 v6, 0x7fc0
	v_div_fixup_f32 v3, v3, v7, -0.5
	v_add_f32_e32 v3, v4, v3
	v_sub_f32_e32 v2, v3, v2
	v_add_f32_e32 v1, v1, v2
	v_bfe_u32 v2, v1, 16, 1
	v_cmp_o_f32_e32 vcc, v1, v1
	v_add3_u32 v1, v1, v2, s12
	v_cndmask_b32_sdwa v2, v6, v1, vcc dst_sel:DWORD dst_unused:UNUSED_PAD src0_sel:DWORD src1_sel:WORD_1
                                        ; implicit-def: $vgpr1
.LBB39_336:
	s_andn2_saveexec_b64 s[10:11], s[10:11]
; %bb.337:
	v_add_f32_e32 v1, 0x40101cb7, v1
	v_bfe_u32 v2, v1, 16, 1
	s_movk_i32 s12, 0x7fff
	v_add3_u32 v2, v1, v2, s12
	v_cmp_o_f32_e32 vcc, v1, v1
	v_mov_b32_e32 v1, 0x7fc0
	v_cndmask_b32_sdwa v2, v1, v2, vcc dst_sel:DWORD dst_unused:UNUSED_PAD src0_sel:DWORD src1_sel:WORD_1
; %bb.338:
	s_or_b64 exec, exec, s[10:11]
.LBB39_339:
	s_or_b64 exec, exec, s[0:1]
                                        ; implicit-def: $vgpr7
.LBB39_340:
	s_andn2_saveexec_b64 s[0:1], s[8:9]
; %bb.341:
	v_xor_b32_e32 v1, 0x80000000, v7
	v_and_b32_e32 v1, 0x80000000, v1
	v_or_b32_e32 v1, 0x7f800000, v1
	v_lshrrev_b32_e32 v2, 16, v1
; %bb.342:
	s_or_b64 exec, exec, s[0:1]
	v_mov_b32_e32 v1, s25
	s_and_b32 s14, s73, 0xff
	v_add_co_u32_e32 v0, vcc, s24, v0
	s_cmp_lt_i32 s14, 11
	v_addc_co_u32_e32 v1, vcc, 0, v1, vcc
	s_cbranch_scc1 .LBB39_350
; %bb.343:
	s_and_b32 s15, 0xffff, s14
	s_cmp_gt_i32 s15, 25
	s_cbranch_scc0 .LBB39_352
; %bb.344:
	s_cmp_gt_i32 s15, 28
	s_cbranch_scc0 .LBB39_354
; %bb.345:
	;; [unrolled: 3-line block ×4, first 2 shown]
	s_mov_b64 s[10:11], 0
	s_mov_b64 s[0:1], -1
	s_cmp_eq_u32 s15, 46
	s_mov_b64 s[8:9], 0
	s_cbranch_scc0 .LBB39_366
; %bb.348:
	v_and_b32_e32 v3, 0xffff, v2
	global_store_dword v[0:1], v3, off
	s_mov_b64 s[8:9], -1
	s_mov_b64 s[0:1], 0
	s_branch .LBB39_366
.LBB39_349:
	s_mov_b64 s[8:9], -1
	s_mov_b64 s[0:1], 0
	s_mov_b64 s[2:3], s[54:55]
                                        ; implicit-def: $vgpr3
	s_branch .LBB39_503
.LBB39_350:
	s_mov_b64 s[10:11], -1
	s_mov_b64 s[8:9], 0
	s_mov_b64 s[0:1], s[52:53]
	s_branch .LBB39_435
.LBB39_351:
	s_mov_b64 s[8:9], -1
	s_mov_b64 s[0:1], 0
	s_mov_b64 s[2:3], s[54:55]
                                        ; implicit-def: $vgpr3
	s_branch .LBB39_484
.LBB39_352:
	s_mov_b64 s[10:11], -1
	s_mov_b64 s[8:9], 0
	s_mov_b64 s[0:1], s[52:53]
	s_branch .LBB39_393
.LBB39_353:
	s_mov_b64 s[8:9], -1
	s_mov_b64 s[0:1], 0
	s_mov_b64 s[2:3], s[54:55]
                                        ; implicit-def: $vgpr3
	s_branch .LBB39_479
.LBB39_354:
	s_mov_b64 s[10:11], -1
	s_mov_b64 s[8:9], 0
	s_mov_b64 s[0:1], s[52:53]
	s_branch .LBB39_376
.LBB39_355:
	s_andn2_saveexec_b64 s[12:13], s[12:13]
	s_cbranch_execz .LBB39_92
.LBB39_356:
	s_mov_b32 s16, 0x46000000
	v_add_f32_e64 v4, |v5|, s16
	v_and_b32_e32 v4, 0xff, v4
	v_cmp_ne_u32_e32 vcc, 0, v4
	s_andn2_b64 s[10:11], s[10:11], exec
	s_and_b64 s[16:17], vcc, exec
	s_or_b64 s[10:11], s[10:11], s[16:17]
	s_or_b64 exec, exec, s[12:13]
	v_mov_b32_e32 v6, 0
	s_and_saveexec_b64 s[12:13], s[10:11]
	s_cbranch_execnz .LBB39_93
	s_branch .LBB39_94
.LBB39_357:
	s_mov_b64 s[8:9], -1
	s_mov_b64 s[0:1], 0
	s_mov_b64 s[2:3], s[54:55]
                                        ; implicit-def: $vgpr3
	s_branch .LBB39_362
.LBB39_358:
	s_mov_b64 s[10:11], -1
	s_mov_b64 s[8:9], 0
	s_mov_b64 s[0:1], s[52:53]
	s_branch .LBB39_372
.LBB39_359:
	s_andn2_saveexec_b64 s[12:13], s[12:13]
	s_cbranch_execz .LBB39_105
.LBB39_360:
	s_mov_b32 s16, 0x42800000
	v_add_f32_e64 v4, |v5|, s16
	v_and_b32_e32 v4, 0xff, v4
	v_cmp_ne_u32_e32 vcc, 0, v4
	s_andn2_b64 s[10:11], s[10:11], exec
	s_and_b64 s[16:17], vcc, exec
	s_or_b64 s[10:11], s[10:11], s[16:17]
	s_or_b64 exec, exec, s[12:13]
	v_mov_b32_e32 v6, 0
	s_and_saveexec_b64 s[12:13], s[10:11]
	s_cbranch_execnz .LBB39_106
	s_branch .LBB39_107
.LBB39_361:
	s_mov_b64 s[2:3], -1
                                        ; implicit-def: $vgpr3
	s_mov_b64 s[0:1], 0
.LBB39_362:
	s_and_b64 vcc, exec, s[8:9]
	s_cbranch_vccz .LBB39_478
; %bb.363:
	s_cmp_eq_u32 s12, 44
	s_cbranch_scc0 .LBB39_477
; %bb.364:
	global_load_ubyte v3, v[1:2], off
	s_movk_i32 s2, 0xff
	v_mov_b32_e32 v4, 0x7f800001
	v_mov_b32_e32 v5, 0x400000
	v_mov_b32_e32 v6, 0x7fc0
	s_mov_b64 s[0:1], -1
	s_waitcnt vmcnt(0)
	v_lshlrev_b32_e32 v7, 23, v3
	v_cmp_ne_u32_e32 vcc, s2, v3
	v_cndmask_b32_e32 v4, v4, v7, vcc
	v_cmp_ne_u32_e32 vcc, 0, v3
	v_cndmask_b32_e32 v3, v5, v4, vcc
	v_add_u32_e32 v4, 0x7fff, v3
	v_cmp_o_f32_e32 vcc, v3, v3
	v_cndmask_b32_sdwa v3, v6, v4, vcc dst_sel:DWORD dst_unused:UNUSED_PAD src0_sel:DWORD src1_sel:WORD_1
	s_mov_b64 s[2:3], 0
	s_branch .LBB39_478
.LBB39_365:
	s_mov_b64 s[10:11], -1
	s_mov_b64 s[8:9], 0
	s_mov_b64 s[0:1], s[52:53]
.LBB39_366:
	s_and_b64 vcc, exec, s[10:11]
	s_cbranch_vccz .LBB39_371
; %bb.367:
	s_cmp_eq_u32 s15, 44
	s_mov_b64 s[0:1], -1
	s_cbranch_scc0 .LBB39_371
; %bb.368:
	v_and_b32_e32 v4, 0xffff, v2
	v_bfe_u32 v3, v4, 7, 8
	s_movk_i32 s0, 0xff
	v_cmp_ne_u32_e32 vcc, s0, v3
	v_mov_b32_e32 v5, 0xff
	s_and_saveexec_b64 s[8:9], vcc
	s_cbranch_execz .LBB39_370
; %bb.369:
	v_lshlrev_b32_e32 v6, 16, v4
	s_mov_b32 s0, 0x3f0000
	v_lshrrev_b32_e32 v5, 7, v4
	v_and_b32_e32 v4, 64, v4
	v_and_or_b32 v3, v6, s0, v3
	v_cmp_ne_u32_e32 vcc, 0, v4
	v_cmp_ne_u32_e64 s[0:1], 0, v3
	s_and_b64 s[0:1], vcc, s[0:1]
	v_cndmask_b32_e64 v3, 0, 1, s[0:1]
	v_add_u32_e32 v5, v5, v3
.LBB39_370:
	s_or_b64 exec, exec, s[8:9]
	s_mov_b64 s[8:9], -1
	s_mov_b64 s[0:1], 0
	global_store_byte v[0:1], v5, off
.LBB39_371:
	s_mov_b64 s[10:11], 0
.LBB39_372:
	s_and_b64 vcc, exec, s[10:11]
	s_cbranch_vccz .LBB39_375
; %bb.373:
	s_cmp_eq_u32 s15, 29
	s_mov_b64 s[0:1], -1
	s_cbranch_scc0 .LBB39_375
; %bb.374:
	v_lshlrev_b32_e32 v3, 16, v2
	v_trunc_f32_e32 v3, v3
	v_mul_f32_e32 v4, 0x2f800000, v3
	v_floor_f32_e32 v5, v4
	v_fmac_f32_e32 v3, 0xcf800000, v5
	v_cvt_u32_f32_e32 v4, v5
	v_cvt_u32_f32_e32 v3, v3
	s_mov_b64 s[8:9], -1
	s_mov_b64 s[0:1], 0
	s_mov_b64 s[10:11], 0
	global_store_dwordx2 v[0:1], v[3:4], off
	s_branch .LBB39_376
.LBB39_375:
	s_mov_b64 s[10:11], 0
.LBB39_376:
	s_and_b64 vcc, exec, s[10:11]
	s_cbranch_vccz .LBB39_392
; %bb.377:
	s_cmp_lt_i32 s15, 27
	s_mov_b64 s[8:9], -1
	s_cbranch_scc1 .LBB39_383
; %bb.378:
	s_cmp_gt_i32 s15, 27
	s_cbranch_scc0 .LBB39_380
; %bb.379:
	v_lshlrev_b32_e32 v3, 16, v2
	v_cvt_u32_f32_e32 v3, v3
	s_mov_b64 s[8:9], 0
	global_store_dword v[0:1], v3, off
.LBB39_380:
	s_andn2_b64 vcc, exec, s[8:9]
	s_cbranch_vccnz .LBB39_382
; %bb.381:
	v_lshlrev_b32_e32 v3, 16, v2
	v_cvt_u32_f32_e32 v3, v3
	global_store_short v[0:1], v3, off
.LBB39_382:
	s_mov_b64 s[8:9], 0
.LBB39_383:
	s_andn2_b64 vcc, exec, s[8:9]
	s_cbranch_vccnz .LBB39_391
; %bb.384:
	v_lshlrev_b32_e32 v5, 16, v2
	v_and_b32_e32 v4, 0x7fffffff, v5
	s_mov_b32 s8, 0x43800000
	v_cmp_gt_u32_e32 vcc, s8, v4
	v_mov_b32_e32 v6, 0x80
	s_and_saveexec_b64 s[8:9], vcc
	s_cbranch_execz .LBB39_390
; %bb.385:
	s_mov_b32 s10, 0x3bffffff
	v_and_b32_e32 v3, 0xffff, v2
	v_cmp_lt_u32_e32 vcc, s10, v4
	s_mov_b64 s[10:11], 0
                                        ; implicit-def: $vgpr4
	s_and_saveexec_b64 s[12:13], vcc
	s_xor_b64 s[12:13], exec, s[12:13]
	s_cbranch_execz .LBB39_618
; %bb.386:
	v_bfe_u32 v4, v3, 4, 1
	s_mov_b32 s16, 0x487ffff
	v_add3_u32 v4, v5, v4, s16
	s_mov_b64 s[10:11], exec
	v_lshrrev_b32_e32 v4, 20, v4
                                        ; implicit-def: $vgpr5
	s_andn2_saveexec_b64 s[12:13], s[12:13]
	s_cbranch_execnz .LBB39_619
.LBB39_387:
	s_or_b64 exec, exec, s[12:13]
	v_mov_b32_e32 v6, 0
	s_and_saveexec_b64 s[12:13], s[10:11]
.LBB39_388:
	v_lshrrev_b32_e32 v3, 8, v3
	s_movk_i32 s10, 0x80
	v_and_or_b32 v6, v3, s10, v4
.LBB39_389:
	s_or_b64 exec, exec, s[12:13]
.LBB39_390:
	s_or_b64 exec, exec, s[8:9]
	global_store_byte v[0:1], v6, off
.LBB39_391:
	s_mov_b64 s[8:9], -1
.LBB39_392:
	s_mov_b64 s[10:11], 0
.LBB39_393:
	s_and_b64 vcc, exec, s[10:11]
	s_cbranch_vccz .LBB39_434
; %bb.394:
	s_cmp_gt_i32 s15, 22
	s_mov_b64 s[10:11], -1
	s_cbranch_scc0 .LBB39_426
; %bb.395:
	s_cmp_lt_i32 s15, 24
	s_mov_b64 s[8:9], -1
	s_cbranch_scc1 .LBB39_415
; %bb.396:
	s_cmp_gt_i32 s15, 24
	s_cbranch_scc0 .LBB39_404
; %bb.397:
	v_lshlrev_b32_e32 v5, 16, v2
	v_and_b32_e32 v4, 0x7fffffff, v5
	s_mov_b32 s8, 0x47800000
	v_cmp_gt_u32_e32 vcc, s8, v4
	v_mov_b32_e32 v6, 0x80
	s_and_saveexec_b64 s[8:9], vcc
	s_cbranch_execz .LBB39_403
; %bb.398:
	s_mov_b32 s10, 0x37ffffff
	v_and_b32_e32 v3, 0xffff, v2
	v_cmp_lt_u32_e32 vcc, s10, v4
	s_mov_b64 s[10:11], 0
                                        ; implicit-def: $vgpr4
	s_and_saveexec_b64 s[12:13], vcc
	s_xor_b64 s[12:13], exec, s[12:13]
	s_cbranch_execz .LBB39_621
; %bb.399:
	v_bfe_u32 v4, v3, 5, 1
	s_mov_b32 s16, 0x88fffff
	v_add3_u32 v4, v5, v4, s16
	s_mov_b64 s[10:11], exec
	v_lshrrev_b32_e32 v4, 21, v4
                                        ; implicit-def: $vgpr5
	s_andn2_saveexec_b64 s[12:13], s[12:13]
	s_cbranch_execnz .LBB39_622
.LBB39_400:
	s_or_b64 exec, exec, s[12:13]
	v_mov_b32_e32 v6, 0
	s_and_saveexec_b64 s[12:13], s[10:11]
.LBB39_401:
	v_lshrrev_b32_e32 v3, 8, v3
	s_movk_i32 s10, 0x80
	v_and_or_b32 v6, v3, s10, v4
.LBB39_402:
	s_or_b64 exec, exec, s[12:13]
.LBB39_403:
	s_or_b64 exec, exec, s[8:9]
	s_mov_b64 s[8:9], 0
	global_store_byte v[0:1], v6, off
.LBB39_404:
	s_and_b64 vcc, exec, s[8:9]
	s_cbranch_vccz .LBB39_414
; %bb.405:
	v_lshlrev_b32_e32 v5, 16, v2
	v_and_b32_e32 v6, 0x7fffffff, v5
	s_mov_b32 s8, 0x43f00000
	v_and_b32_e32 v3, 0xffff, v2
	v_cmp_gt_u32_e32 vcc, s8, v6
                                        ; implicit-def: $vgpr4
	s_and_saveexec_b64 s[8:9], vcc
	s_xor_b64 s[8:9], exec, s[8:9]
	s_cbranch_execz .LBB39_411
; %bb.406:
	s_mov_b32 s10, 0x3c7fffff
	v_cmp_lt_u32_e32 vcc, s10, v6
                                        ; implicit-def: $vgpr4
	s_and_saveexec_b64 s[10:11], vcc
	s_xor_b64 s[10:11], exec, s[10:11]
; %bb.407:
	v_bfe_u32 v4, v3, 4, 1
	s_mov_b32 s12, 0x407ffff
	v_add3_u32 v4, v5, v4, s12
	v_lshrrev_b32_e32 v5, 20, v4
	v_and_b32_e32 v4, 0xff00000, v4
	s_mov_b32 s12, 0x7f00000
	v_mov_b32_e32 v6, 0x7e
	v_cmp_ne_u32_e32 vcc, s12, v4
	v_cndmask_b32_e32 v4, v6, v5, vcc
                                        ; implicit-def: $vgpr5
; %bb.408:
	s_andn2_saveexec_b64 s[10:11], s[10:11]
; %bb.409:
	s_mov_b32 s12, 0x46800000
	v_add_f32_e64 v4, |v5|, s12
; %bb.410:
	s_or_b64 exec, exec, s[10:11]
                                        ; implicit-def: $vgpr6
.LBB39_411:
	s_andn2_saveexec_b64 s[8:9], s[8:9]
; %bb.412:
	s_mov_b32 s10, 0x7f800000
	v_mov_b32_e32 v4, 0x7e
	v_mov_b32_e32 v5, 0x7f
	v_cmp_lt_u32_e32 vcc, s10, v6
	v_cndmask_b32_e32 v4, v4, v5, vcc
; %bb.413:
	s_or_b64 exec, exec, s[8:9]
	v_lshrrev_b32_e32 v3, 8, v3
	s_movk_i32 s8, 0x80
	v_and_or_b32 v3, v3, s8, v4
	global_store_byte v[0:1], v3, off
.LBB39_414:
	s_mov_b64 s[8:9], 0
.LBB39_415:
	s_andn2_b64 vcc, exec, s[8:9]
	s_cbranch_vccnz .LBB39_425
; %bb.416:
	v_lshlrev_b32_e32 v5, 16, v2
	v_and_b32_e32 v6, 0x7fffffff, v5
	s_mov_b32 s8, 0x47800000
	v_and_b32_e32 v3, 0xffff, v2
	v_cmp_gt_u32_e32 vcc, s8, v6
                                        ; implicit-def: $vgpr4
	s_and_saveexec_b64 s[8:9], vcc
	s_xor_b64 s[8:9], exec, s[8:9]
	s_cbranch_execz .LBB39_422
; %bb.417:
	s_mov_b32 s10, 0x387fffff
	v_cmp_lt_u32_e32 vcc, s10, v6
                                        ; implicit-def: $vgpr4
	s_and_saveexec_b64 s[10:11], vcc
	s_xor_b64 s[10:11], exec, s[10:11]
; %bb.418:
	v_bfe_u32 v4, v3, 5, 1
	s_mov_b32 s12, 0x80fffff
	v_add3_u32 v4, v5, v4, s12
	v_lshrrev_b32_e32 v4, 21, v4
                                        ; implicit-def: $vgpr5
; %bb.419:
	s_andn2_saveexec_b64 s[10:11], s[10:11]
; %bb.420:
	s_mov_b32 s12, 0x43000000
	v_add_f32_e64 v4, |v5|, s12
; %bb.421:
	s_or_b64 exec, exec, s[10:11]
                                        ; implicit-def: $vgpr6
.LBB39_422:
	s_andn2_saveexec_b64 s[8:9], s[8:9]
; %bb.423:
	s_mov_b32 s10, 0x7f800000
	v_mov_b32_e32 v4, 0x7c
	v_mov_b32_e32 v5, 0x7f
	v_cmp_lt_u32_e32 vcc, s10, v6
	v_cndmask_b32_e32 v4, v4, v5, vcc
; %bb.424:
	s_or_b64 exec, exec, s[8:9]
	v_lshrrev_b32_e32 v3, 8, v3
	s_movk_i32 s8, 0x80
	v_and_or_b32 v3, v3, s8, v4
	global_store_byte v[0:1], v3, off
.LBB39_425:
	s_mov_b64 s[10:11], 0
	s_mov_b64 s[8:9], -1
.LBB39_426:
	s_andn2_b64 vcc, exec, s[10:11]
	s_cbranch_vccnz .LBB39_434
; %bb.427:
	s_cmp_gt_i32 s15, 14
	s_mov_b64 s[10:11], -1
	s_cbranch_scc0 .LBB39_431
; %bb.428:
	s_cmp_eq_u32 s15, 15
	s_mov_b64 s[0:1], -1
	s_cbranch_scc0 .LBB39_430
; %bb.429:
	global_store_short v[0:1], v2, off
	s_mov_b64 s[8:9], -1
	s_mov_b64 s[0:1], 0
.LBB39_430:
	s_mov_b64 s[10:11], 0
.LBB39_431:
	s_and_b64 vcc, exec, s[10:11]
	s_cbranch_vccz .LBB39_434
; %bb.432:
	s_cmp_eq_u32 s15, 11
	s_mov_b64 s[0:1], -1
	s_cbranch_scc0 .LBB39_434
; %bb.433:
	v_and_b32_e32 v3, 0x7fff, v2
	v_cmp_ne_u16_e32 vcc, 0, v3
	v_cndmask_b32_e64 v3, 0, 1, vcc
	s_mov_b64 s[8:9], -1
	s_mov_b64 s[0:1], 0
	global_store_byte v[0:1], v3, off
.LBB39_434:
	s_mov_b64 s[10:11], 0
.LBB39_435:
	s_and_b64 vcc, exec, s[10:11]
	s_cbranch_vccz .LBB39_474
; %bb.436:
	s_and_b32 s10, 0xffff, s14
	s_cmp_lt_i32 s10, 5
	s_mov_b64 s[8:9], -1
	s_cbranch_scc1 .LBB39_457
; %bb.437:
	s_cmp_lt_i32 s10, 8
	s_cbranch_scc1 .LBB39_447
; %bb.438:
	s_cmp_lt_i32 s10, 9
	s_cbranch_scc1 .LBB39_444
; %bb.439:
	s_cmp_gt_i32 s10, 9
	s_cbranch_scc0 .LBB39_441
; %bb.440:
	v_lshlrev_b32_e32 v3, 16, v2
	v_cvt_f64_f32_e32 v[3:4], v3
	v_mov_b32_e32 v5, 0
	v_mov_b32_e32 v6, v5
	s_mov_b64 s[8:9], 0
	global_store_dwordx4 v[0:1], v[3:6], off
.LBB39_441:
	s_andn2_b64 vcc, exec, s[8:9]
	s_cbranch_vccnz .LBB39_443
; %bb.442:
	v_lshlrev_b32_e32 v3, 16, v2
	v_mov_b32_e32 v4, 0
	global_store_dwordx2 v[0:1], v[3:4], off
.LBB39_443:
	s_mov_b64 s[8:9], 0
.LBB39_444:
	s_andn2_b64 vcc, exec, s[8:9]
	s_cbranch_vccnz .LBB39_446
; %bb.445:
	v_lshlrev_b32_e32 v3, 16, v2
	v_cvt_f16_f32_e32 v3, v3
	global_store_dword v[0:1], v3, off
.LBB39_446:
	s_mov_b64 s[8:9], 0
.LBB39_447:
	s_andn2_b64 vcc, exec, s[8:9]
	s_cbranch_vccnz .LBB39_456
; %bb.448:
	s_cmp_lt_i32 s10, 6
	s_mov_b64 s[8:9], -1
	s_cbranch_scc1 .LBB39_454
; %bb.449:
	s_cmp_gt_i32 s10, 6
	s_cbranch_scc0 .LBB39_451
; %bb.450:
	v_lshlrev_b32_e32 v3, 16, v2
	v_cvt_f64_f32_e32 v[3:4], v3
	s_mov_b64 s[8:9], 0
	global_store_dwordx2 v[0:1], v[3:4], off
.LBB39_451:
	s_andn2_b64 vcc, exec, s[8:9]
	s_cbranch_vccnz .LBB39_453
; %bb.452:
	v_lshlrev_b32_e32 v3, 16, v2
	global_store_dword v[0:1], v3, off
.LBB39_453:
	s_mov_b64 s[8:9], 0
.LBB39_454:
	s_andn2_b64 vcc, exec, s[8:9]
	s_cbranch_vccnz .LBB39_456
; %bb.455:
	v_lshlrev_b32_e32 v3, 16, v2
	v_cvt_f16_f32_e32 v3, v3
	global_store_short v[0:1], v3, off
.LBB39_456:
	s_mov_b64 s[8:9], 0
.LBB39_457:
	s_andn2_b64 vcc, exec, s[8:9]
	s_cbranch_vccnz .LBB39_473
; %bb.458:
	s_cmp_lt_i32 s10, 2
	s_mov_b64 s[8:9], -1
	s_cbranch_scc1 .LBB39_468
; %bb.459:
	s_cmp_lt_i32 s10, 3
	s_cbranch_scc1 .LBB39_465
; %bb.460:
	s_cmp_gt_i32 s10, 3
	s_cbranch_scc0 .LBB39_462
; %bb.461:
	v_lshlrev_b32_e32 v3, 16, v2
	v_trunc_f32_e32 v3, v3
	s_mov_b32 s8, 0x2f800000
	v_mul_f32_e64 v4, |v3|, s8
	v_floor_f32_e32 v4, v4
	s_mov_b32 s8, 0xcf800000
	v_cvt_u32_f32_e32 v5, v4
	v_fma_f32 v4, v4, s8, |v3|
	v_cvt_u32_f32_e32 v4, v4
	v_ashrrev_i32_e32 v6, 31, v3
	v_xor_b32_e32 v5, v5, v6
	s_mov_b64 s[8:9], 0
	v_xor_b32_e32 v3, v4, v6
	v_sub_co_u32_e32 v3, vcc, v3, v6
	v_subb_co_u32_e32 v4, vcc, v5, v6, vcc
	global_store_dwordx2 v[0:1], v[3:4], off
.LBB39_462:
	s_andn2_b64 vcc, exec, s[8:9]
	s_cbranch_vccnz .LBB39_464
; %bb.463:
	v_lshlrev_b32_e32 v3, 16, v2
	v_cvt_i32_f32_e32 v3, v3
	global_store_dword v[0:1], v3, off
.LBB39_464:
	s_mov_b64 s[8:9], 0
.LBB39_465:
	s_andn2_b64 vcc, exec, s[8:9]
	s_cbranch_vccnz .LBB39_467
; %bb.466:
	v_lshlrev_b32_e32 v3, 16, v2
	v_cvt_i32_f32_e32 v3, v3
	global_store_short v[0:1], v3, off
.LBB39_467:
	s_mov_b64 s[8:9], 0
.LBB39_468:
	s_andn2_b64 vcc, exec, s[8:9]
	s_cbranch_vccnz .LBB39_473
; %bb.469:
	s_mov_b64 s[8:9], -1
	s_cmp_gt_i32 s10, 0
	v_lshlrev_b32_e32 v2, 16, v2
	s_cbranch_scc0 .LBB39_471
; %bb.470:
	v_cvt_i32_f32_e32 v3, v2
	s_mov_b64 s[8:9], 0
	global_store_byte v[0:1], v3, off
.LBB39_471:
	s_andn2_b64 vcc, exec, s[8:9]
	s_cbranch_vccnz .LBB39_473
; %bb.472:
	v_trunc_f32_e32 v2, v2
	s_mov_b32 s8, 0x2f800000
	v_mul_f32_e64 v3, |v2|, s8
	v_floor_f32_e32 v3, v3
	s_mov_b32 s8, 0xcf800000
	v_fma_f32 v3, v3, s8, |v2|
	v_cvt_u32_f32_e32 v3, v3
	v_ashrrev_i32_e32 v2, 31, v2
	v_xor_b32_e32 v3, v3, v2
	v_sub_u32_e32 v2, v3, v2
	global_store_byte v[0:1], v2, off
.LBB39_473:
	s_mov_b64 s[8:9], -1
.LBB39_474:
	s_andn2_b64 vcc, exec, s[8:9]
	s_cbranch_vccnz .LBB39_476
; %bb.475:
	v_add_u32_e32 v8, 0x80, v8
	s_mov_b64 s[8:9], -1
	s_branch .LBB39_589
.LBB39_476:
	s_mov_b64 s[8:9], 0
	s_branch .LBB39_588
.LBB39_477:
	s_mov_b64 s[2:3], -1
                                        ; implicit-def: $vgpr3
.LBB39_478:
	s_mov_b64 s[8:9], 0
.LBB39_479:
	s_and_b64 vcc, exec, s[8:9]
	s_cbranch_vccz .LBB39_483
; %bb.480:
	s_cmp_eq_u32 s12, 29
	s_cbranch_scc0 .LBB39_482
; %bb.481:
	global_load_dwordx2 v[3:4], v[1:2], off
	s_movk_i32 s2, 0x7fff
	s_mov_b64 s[0:1], -1
	s_mov_b64 s[8:9], 0
	s_waitcnt vmcnt(0)
	v_ffbh_u32_e32 v5, v4
	v_min_u32_e32 v5, 32, v5
	v_lshlrev_b64 v[3:4], v5, v[3:4]
	v_min_u32_e32 v3, 1, v3
	v_or_b32_e32 v3, v4, v3
	v_cvt_f32_u32_e32 v3, v3
	v_sub_u32_e32 v4, 32, v5
	v_ldexp_f32 v3, v3, v4
	v_bfe_u32 v4, v3, 16, 1
	v_add3_u32 v3, v3, v4, s2
	v_lshrrev_b32_e32 v3, 16, v3
	s_mov_b64 s[2:3], 0
	s_branch .LBB39_484
.LBB39_482:
	s_mov_b64 s[2:3], -1
                                        ; implicit-def: $vgpr3
.LBB39_483:
	s_mov_b64 s[8:9], 0
.LBB39_484:
	s_and_b64 vcc, exec, s[8:9]
	s_cbranch_vccz .LBB39_502
; %bb.485:
	s_cmp_lt_i32 s12, 27
	s_cbranch_scc1 .LBB39_488
; %bb.486:
	s_cmp_gt_i32 s12, 27
	s_cbranch_scc0 .LBB39_489
; %bb.487:
	global_load_dword v3, v[1:2], off
	s_movk_i32 s0, 0x7fff
	s_waitcnt vmcnt(0)
	v_cvt_f32_u32_e32 v3, v3
	v_bfe_u32 v4, v3, 16, 1
	v_add3_u32 v3, v3, v4, s0
	v_lshrrev_b32_e32 v3, 16, v3
	s_mov_b64 s[0:1], 0
	s_branch .LBB39_490
.LBB39_488:
	s_mov_b64 s[0:1], -1
                                        ; implicit-def: $vgpr3
	s_branch .LBB39_493
.LBB39_489:
	s_mov_b64 s[0:1], -1
                                        ; implicit-def: $vgpr3
.LBB39_490:
	s_andn2_b64 vcc, exec, s[0:1]
	s_cbranch_vccnz .LBB39_492
; %bb.491:
	global_load_ushort v3, v[1:2], off
	s_movk_i32 s0, 0x7fff
	s_waitcnt vmcnt(0)
	v_cvt_f32_u32_e32 v3, v3
	v_bfe_u32 v4, v3, 16, 1
	v_add3_u32 v3, v3, v4, s0
	v_lshrrev_b32_e32 v3, 16, v3
.LBB39_492:
	s_mov_b64 s[0:1], 0
.LBB39_493:
	s_andn2_b64 vcc, exec, s[0:1]
	s_cbranch_vccnz .LBB39_501
; %bb.494:
	global_load_ubyte v3, v[1:2], off
	s_movk_i32 s0, 0x7f
	s_waitcnt vmcnt(0)
	v_cmp_lt_i16_e32 vcc, s0, v3
	s_mov_b64 s[0:1], 0
	s_and_saveexec_b64 s[8:9], vcc
	s_xor_b64 s[8:9], exec, s[8:9]
	s_cbranch_execz .LBB39_515
; %bb.495:
	s_movk_i32 s0, 0x80
	v_cmp_eq_u16_e32 vcc, s0, v3
	s_mov_b64 s[0:1], -1
	s_and_saveexec_b64 s[10:11], vcc
; %bb.496:
	s_xor_b64 s[0:1], exec, -1
; %bb.497:
	s_or_b64 exec, exec, s[10:11]
	s_and_b64 s[0:1], s[0:1], exec
	s_or_saveexec_b64 s[8:9], s[8:9]
	v_mov_b32_e32 v4, 0x7f800001
	s_xor_b64 exec, exec, s[8:9]
	s_cbranch_execnz .LBB39_516
.LBB39_498:
	s_or_b64 exec, exec, s[8:9]
	s_and_saveexec_b64 s[8:9], s[0:1]
	s_cbranch_execz .LBB39_500
.LBB39_499:
	v_lshlrev_b32_e32 v4, 24, v3
	v_and_b32_e32 v3, 0xffff, v3
	v_and_b32_e32 v5, 7, v3
	v_ffbh_u32_e32 v7, v5
	v_min_u32_e32 v7, 32, v7
	v_subrev_u32_e32 v9, 28, v7
	v_bfe_u32 v6, v3, 3, 4
	v_lshlrev_b32_e32 v3, v9, v3
	v_sub_u32_e32 v7, 29, v7
	v_and_b32_e32 v3, 7, v3
	v_cmp_eq_u32_e32 vcc, 0, v6
	v_cndmask_b32_e32 v6, v6, v7, vcc
	v_cndmask_b32_e32 v3, v5, v3, vcc
	v_mov_b32_e32 v5, 0x3b800000
	v_lshlrev_b32_e32 v3, 20, v3
	v_and_b32_e32 v4, 0x80000000, v4
	v_lshl_add_u32 v5, v6, 23, v5
	v_or3_b32 v4, v4, v5, v3
.LBB39_500:
	s_or_b64 exec, exec, s[8:9]
	v_bfe_u32 v3, v4, 16, 1
	s_movk_i32 s0, 0x7fff
	v_add3_u32 v3, v4, v3, s0
	v_cmp_o_f32_e32 vcc, v4, v4
	v_mov_b32_e32 v4, 0x7fc0
	v_cndmask_b32_sdwa v3, v4, v3, vcc dst_sel:DWORD dst_unused:UNUSED_PAD src0_sel:DWORD src1_sel:WORD_1
.LBB39_501:
	s_mov_b64 s[0:1], -1
.LBB39_502:
	s_mov_b64 s[8:9], 0
.LBB39_503:
	s_and_b64 vcc, exec, s[8:9]
	s_cbranch_vccz .LBB39_538
; %bb.504:
	s_cmp_gt_i32 s12, 22
	s_cbranch_scc0 .LBB39_514
; %bb.505:
	s_cmp_lt_i32 s12, 24
	s_cbranch_scc1 .LBB39_517
; %bb.506:
	s_cmp_gt_i32 s12, 24
	s_cbranch_scc0 .LBB39_518
; %bb.507:
	global_load_ubyte v3, v[1:2], off
	s_movk_i32 s0, 0x7f
	s_waitcnt vmcnt(0)
	v_cmp_lt_i16_e32 vcc, s0, v3
	s_mov_b64 s[0:1], 0
	s_and_saveexec_b64 s[8:9], vcc
	s_xor_b64 s[8:9], exec, s[8:9]
	s_cbranch_execz .LBB39_530
; %bb.508:
	s_movk_i32 s0, 0x80
	v_cmp_eq_u16_e32 vcc, s0, v3
	s_mov_b64 s[0:1], -1
	s_and_saveexec_b64 s[10:11], vcc
; %bb.509:
	s_xor_b64 s[0:1], exec, -1
; %bb.510:
	s_or_b64 exec, exec, s[10:11]
	s_and_b64 s[0:1], s[0:1], exec
	s_or_saveexec_b64 s[8:9], s[8:9]
	v_mov_b32_e32 v4, 0x7f800001
	s_xor_b64 exec, exec, s[8:9]
	s_cbranch_execnz .LBB39_531
.LBB39_511:
	s_or_b64 exec, exec, s[8:9]
	s_and_saveexec_b64 s[8:9], s[0:1]
	s_cbranch_execz .LBB39_513
.LBB39_512:
	v_lshlrev_b32_e32 v4, 24, v3
	v_and_b32_e32 v3, 0xffff, v3
	v_and_b32_e32 v5, 3, v3
	v_ffbh_u32_e32 v7, v5
	v_min_u32_e32 v7, 32, v7
	v_subrev_u32_e32 v9, 29, v7
	v_bfe_u32 v6, v3, 2, 5
	v_lshlrev_b32_e32 v3, v9, v3
	v_sub_u32_e32 v7, 30, v7
	v_and_b32_e32 v3, 3, v3
	v_cmp_eq_u32_e32 vcc, 0, v6
	v_cndmask_b32_e32 v6, v6, v7, vcc
	v_cndmask_b32_e32 v3, v5, v3, vcc
	v_mov_b32_e32 v5, 0x37800000
	v_lshlrev_b32_e32 v3, 21, v3
	v_and_b32_e32 v4, 0x80000000, v4
	v_lshl_add_u32 v5, v6, 23, v5
	v_or3_b32 v4, v4, v5, v3
.LBB39_513:
	s_or_b64 exec, exec, s[8:9]
	v_bfe_u32 v3, v4, 16, 1
	s_movk_i32 s0, 0x7fff
	v_add3_u32 v3, v4, v3, s0
	v_cmp_o_f32_e32 vcc, v4, v4
	v_mov_b32_e32 v4, 0x7fc0
	v_cndmask_b32_sdwa v3, v4, v3, vcc dst_sel:DWORD dst_unused:UNUSED_PAD src0_sel:DWORD src1_sel:WORD_1
	s_mov_b64 s[0:1], 0
	s_branch .LBB39_519
.LBB39_514:
	s_mov_b64 s[8:9], -1
                                        ; implicit-def: $vgpr3
	s_branch .LBB39_525
.LBB39_515:
	s_or_saveexec_b64 s[8:9], s[8:9]
	v_mov_b32_e32 v4, 0x7f800001
	s_xor_b64 exec, exec, s[8:9]
	s_cbranch_execz .LBB39_498
.LBB39_516:
	v_cmp_ne_u16_e32 vcc, 0, v3
	s_andn2_b64 s[0:1], s[0:1], exec
	s_and_b64 s[10:11], vcc, exec
	v_mov_b32_e32 v4, 0
	s_or_b64 s[0:1], s[0:1], s[10:11]
	s_or_b64 exec, exec, s[8:9]
	s_and_saveexec_b64 s[8:9], s[0:1]
	s_cbranch_execnz .LBB39_499
	s_branch .LBB39_500
.LBB39_517:
	s_mov_b64 s[0:1], -1
                                        ; implicit-def: $vgpr3
	s_branch .LBB39_522
.LBB39_518:
	s_mov_b64 s[0:1], -1
                                        ; implicit-def: $vgpr3
.LBB39_519:
	s_and_b64 vcc, exec, s[0:1]
	s_cbranch_vccz .LBB39_521
; %bb.520:
	global_load_ubyte v3, v[1:2], off
	s_mov_b32 s0, 0x7f800000
	s_brev_b32 s1, 1
	s_movk_i32 s8, 0x7fff
	s_waitcnt vmcnt(0)
	v_lshlrev_b32_e32 v3, 24, v3
	v_and_b32_e32 v4, 0x7f000000, v3
	v_ffbh_u32_e32 v5, v4
	v_min_u32_e32 v5, 32, v5
	v_sub_u32_e64 v5, v5, 4 clamp
	v_lshlrev_b32_e32 v7, v5, v4
	v_lshlrev_b32_e32 v5, 23, v5
	v_lshrrev_b32_e32 v7, 4, v7
	v_add_u32_e32 v6, 0x1000000, v4
	v_sub_u32_e32 v5, v7, v5
	v_ashrrev_i32_e32 v6, 8, v6
	v_add_u32_e32 v5, 0x3c000000, v5
	v_and_or_b32 v5, v6, s0, v5
	v_cmp_ne_u32_e32 vcc, 0, v4
	v_cndmask_b32_e32 v4, 0, v5, vcc
	v_and_or_b32 v3, v3, s1, v4
	v_bfe_u32 v4, v4, 16, 1
	v_add3_u32 v4, v3, v4, s8
	v_cmp_o_f32_e32 vcc, v3, v3
	v_mov_b32_e32 v3, 0x7fc0
	v_cndmask_b32_sdwa v3, v3, v4, vcc dst_sel:DWORD dst_unused:UNUSED_PAD src0_sel:DWORD src1_sel:WORD_1
.LBB39_521:
	s_mov_b64 s[0:1], 0
.LBB39_522:
	s_andn2_b64 vcc, exec, s[0:1]
	s_cbranch_vccnz .LBB39_524
; %bb.523:
	global_load_ubyte v3, v[1:2], off
	s_movk_i32 s0, 0x7f00
	s_brev_b32 s1, 16
	s_brev_b32 s8, 1
	s_movk_i32 s9, 0x7fff
	s_waitcnt vmcnt(0)
	v_lshlrev_b16_e32 v4, 8, v3
	v_lshlrev_b32_e32 v3, 25, v3
	v_lshrrev_b32_e32 v5, 4, v3
	v_and_or_b32 v6, v4, s0, 0.5
	v_or_b32_e32 v5, 0x70000000, v5
	v_add_f32_e32 v6, -0.5, v6
	v_mul_f32_e32 v5, 0x7800000, v5
	v_cmp_gt_u32_e32 vcc, s1, v3
	v_bfe_i32 v4, v4, 0, 16
	v_cndmask_b32_e32 v3, v5, v6, vcc
	v_and_or_b32 v4, v4, s8, v3
	v_bfe_u32 v3, v3, 16, 1
	v_add3_u32 v3, v4, v3, s9
	v_cmp_o_f32_e32 vcc, v4, v4
	v_mov_b32_e32 v4, 0x7fc0
	v_cndmask_b32_sdwa v3, v4, v3, vcc dst_sel:DWORD dst_unused:UNUSED_PAD src0_sel:DWORD src1_sel:WORD_1
.LBB39_524:
	s_mov_b64 s[8:9], 0
	s_mov_b64 s[0:1], -1
.LBB39_525:
	s_andn2_b64 vcc, exec, s[8:9]
	s_cbranch_vccnz .LBB39_538
; %bb.526:
	s_cmp_gt_i32 s12, 14
	s_cbranch_scc0 .LBB39_529
; %bb.527:
	s_cmp_eq_u32 s12, 15
	s_cbranch_scc0 .LBB39_532
; %bb.528:
	global_load_ushort v3, v[1:2], off
	s_mov_b64 s[0:1], -1
	s_mov_b64 s[2:3], 0
	s_branch .LBB39_533
.LBB39_529:
	s_mov_b64 s[8:9], -1
                                        ; implicit-def: $vgpr3
	s_branch .LBB39_534
.LBB39_530:
	s_or_saveexec_b64 s[8:9], s[8:9]
	v_mov_b32_e32 v4, 0x7f800001
	s_xor_b64 exec, exec, s[8:9]
	s_cbranch_execz .LBB39_511
.LBB39_531:
	v_cmp_ne_u16_e32 vcc, 0, v3
	s_andn2_b64 s[0:1], s[0:1], exec
	s_and_b64 s[10:11], vcc, exec
	v_mov_b32_e32 v4, 0
	s_or_b64 s[0:1], s[0:1], s[10:11]
	s_or_b64 exec, exec, s[8:9]
	s_and_saveexec_b64 s[8:9], s[0:1]
	s_cbranch_execnz .LBB39_512
	s_branch .LBB39_513
.LBB39_532:
	s_mov_b64 s[2:3], -1
                                        ; implicit-def: $vgpr3
.LBB39_533:
	s_mov_b64 s[8:9], 0
.LBB39_534:
	s_and_b64 vcc, exec, s[8:9]
	s_cbranch_vccz .LBB39_538
; %bb.535:
	s_cmp_eq_u32 s12, 11
	s_cbranch_scc0 .LBB39_537
; %bb.536:
	global_load_ubyte v3, v[1:2], off
	s_mov_b64 s[0:1], -1
	s_mov_b64 s[2:3], 0
	s_waitcnt vmcnt(0)
	v_cmp_ne_u16_e32 vcc, 0, v3
	v_cndmask_b32_e64 v3, 0, 1.0, vcc
	v_lshrrev_b32_e32 v3, 16, v3
	s_branch .LBB39_538
.LBB39_537:
	s_mov_b64 s[2:3], -1
                                        ; implicit-def: $vgpr3
.LBB39_538:
	s_branch .LBB39_317
.LBB39_539:
	s_cmp_lt_i32 s12, 5
	s_cbranch_scc1 .LBB39_544
; %bb.540:
	s_cmp_lt_i32 s12, 8
	s_cbranch_scc1 .LBB39_545
; %bb.541:
	;; [unrolled: 3-line block ×3, first 2 shown]
	s_cmp_gt_i32 s12, 9
	s_cbranch_scc0 .LBB39_547
; %bb.543:
	global_load_dwordx2 v[3:4], v[1:2], off
	s_movk_i32 s0, 0x7fff
	s_waitcnt vmcnt(0)
	v_cvt_f32_f64_e32 v3, v[3:4]
	v_mov_b32_e32 v4, 0x7fc0
	v_bfe_u32 v5, v3, 16, 1
	v_cmp_o_f32_e32 vcc, v3, v3
	v_add3_u32 v3, v3, v5, s0
	v_cndmask_b32_sdwa v3, v4, v3, vcc dst_sel:DWORD dst_unused:UNUSED_PAD src0_sel:DWORD src1_sel:WORD_1
	s_mov_b64 s[0:1], 0
	s_branch .LBB39_548
.LBB39_544:
	s_mov_b64 s[0:1], -1
                                        ; implicit-def: $vgpr3
	s_branch .LBB39_566
.LBB39_545:
	s_mov_b64 s[0:1], -1
                                        ; implicit-def: $vgpr3
	s_branch .LBB39_554
.LBB39_546:
	s_mov_b64 s[0:1], -1
                                        ; implicit-def: $vgpr3
	s_branch .LBB39_551
.LBB39_547:
	s_mov_b64 s[0:1], -1
                                        ; implicit-def: $vgpr3
.LBB39_548:
	s_andn2_b64 vcc, exec, s[0:1]
	s_cbranch_vccnz .LBB39_550
; %bb.549:
	global_load_dword v3, v[1:2], off
	s_movk_i32 s0, 0x7fff
	v_mov_b32_e32 v4, 0x7fc0
	s_waitcnt vmcnt(0)
	v_bfe_u32 v5, v3, 16, 1
	v_cmp_o_f32_e32 vcc, v3, v3
	v_add3_u32 v3, v3, v5, s0
	v_cndmask_b32_sdwa v3, v4, v3, vcc dst_sel:DWORD dst_unused:UNUSED_PAD src0_sel:DWORD src1_sel:WORD_1
.LBB39_550:
	s_mov_b64 s[0:1], 0
.LBB39_551:
	s_andn2_b64 vcc, exec, s[0:1]
	s_cbranch_vccnz .LBB39_553
; %bb.552:
	global_load_dword v3, v[1:2], off
	s_movk_i32 s0, 0x7fff
	v_mov_b32_e32 v5, 0x7fc0
	s_waitcnt vmcnt(0)
	v_cvt_f32_f16_e32 v4, v3
	v_cmp_o_f16_e32 vcc, v3, v3
	v_bfe_u32 v3, v4, 16, 1
	v_add3_u32 v3, v4, v3, s0
	v_cndmask_b32_sdwa v3, v5, v3, vcc dst_sel:DWORD dst_unused:UNUSED_PAD src0_sel:DWORD src1_sel:WORD_1
.LBB39_553:
	s_mov_b64 s[0:1], 0
.LBB39_554:
	s_andn2_b64 vcc, exec, s[0:1]
	s_cbranch_vccnz .LBB39_565
; %bb.555:
	s_cmp_lt_i32 s12, 6
	s_cbranch_scc1 .LBB39_558
; %bb.556:
	s_cmp_gt_i32 s12, 6
	s_cbranch_scc0 .LBB39_559
; %bb.557:
	global_load_dwordx2 v[3:4], v[1:2], off
	s_movk_i32 s0, 0x7fff
	s_waitcnt vmcnt(0)
	v_cvt_f32_f64_e32 v3, v[3:4]
	v_mov_b32_e32 v4, 0x7fc0
	v_bfe_u32 v5, v3, 16, 1
	v_cmp_o_f32_e32 vcc, v3, v3
	v_add3_u32 v3, v3, v5, s0
	v_cndmask_b32_sdwa v3, v4, v3, vcc dst_sel:DWORD dst_unused:UNUSED_PAD src0_sel:DWORD src1_sel:WORD_1
	s_mov_b64 s[0:1], 0
	s_branch .LBB39_560
.LBB39_558:
	s_mov_b64 s[0:1], -1
                                        ; implicit-def: $vgpr3
	s_branch .LBB39_563
.LBB39_559:
	s_mov_b64 s[0:1], -1
                                        ; implicit-def: $vgpr3
.LBB39_560:
	s_andn2_b64 vcc, exec, s[0:1]
	s_cbranch_vccnz .LBB39_562
; %bb.561:
	global_load_dword v3, v[1:2], off
	s_movk_i32 s0, 0x7fff
	v_mov_b32_e32 v4, 0x7fc0
	s_waitcnt vmcnt(0)
	v_bfe_u32 v5, v3, 16, 1
	v_cmp_o_f32_e32 vcc, v3, v3
	v_add3_u32 v3, v3, v5, s0
	v_cndmask_b32_sdwa v3, v4, v3, vcc dst_sel:DWORD dst_unused:UNUSED_PAD src0_sel:DWORD src1_sel:WORD_1
.LBB39_562:
	s_mov_b64 s[0:1], 0
.LBB39_563:
	s_andn2_b64 vcc, exec, s[0:1]
	s_cbranch_vccnz .LBB39_565
; %bb.564:
	global_load_ushort v3, v[1:2], off
	s_movk_i32 s0, 0x7fff
	v_mov_b32_e32 v5, 0x7fc0
	s_waitcnt vmcnt(0)
	v_cvt_f32_f16_e32 v4, v3
	v_cmp_o_f16_e32 vcc, v3, v3
	v_bfe_u32 v3, v4, 16, 1
	v_add3_u32 v3, v4, v3, s0
	v_cndmask_b32_sdwa v3, v5, v3, vcc dst_sel:DWORD dst_unused:UNUSED_PAD src0_sel:DWORD src1_sel:WORD_1
.LBB39_565:
	s_mov_b64 s[0:1], 0
.LBB39_566:
	s_andn2_b64 vcc, exec, s[0:1]
	s_cbranch_vccnz .LBB39_586
; %bb.567:
	s_cmp_lt_i32 s12, 2
	s_cbranch_scc1 .LBB39_571
; %bb.568:
	s_cmp_lt_i32 s12, 3
	s_cbranch_scc1 .LBB39_572
; %bb.569:
	s_cmp_gt_i32 s12, 3
	s_cbranch_scc0 .LBB39_573
; %bb.570:
	global_load_dwordx2 v[3:4], v[1:2], off
	s_movk_i32 s0, 0x7fff
	s_waitcnt vmcnt(0)
	v_xor_b32_e32 v6, v3, v4
	v_ffbh_i32_e32 v5, v4
	v_ashrrev_i32_e32 v6, 31, v6
	v_add_u32_e32 v5, -1, v5
	v_add_u32_e32 v6, 32, v6
	v_min_u32_e32 v5, v5, v6
	v_lshlrev_b64 v[3:4], v5, v[3:4]
	v_min_u32_e32 v3, 1, v3
	v_or_b32_e32 v3, v4, v3
	v_cvt_f32_i32_e32 v3, v3
	v_sub_u32_e32 v4, 32, v5
	v_ldexp_f32 v3, v3, v4
	v_bfe_u32 v4, v3, 16, 1
	v_add3_u32 v3, v3, v4, s0
	v_lshrrev_b32_e32 v3, 16, v3
	s_mov_b64 s[0:1], 0
	s_branch .LBB39_574
.LBB39_571:
	s_mov_b64 s[0:1], -1
                                        ; implicit-def: $vgpr3
	s_branch .LBB39_580
.LBB39_572:
	s_mov_b64 s[0:1], -1
                                        ; implicit-def: $vgpr3
	s_branch .LBB39_577
.LBB39_573:
	s_mov_b64 s[0:1], -1
                                        ; implicit-def: $vgpr3
.LBB39_574:
	s_andn2_b64 vcc, exec, s[0:1]
	s_cbranch_vccnz .LBB39_576
; %bb.575:
	global_load_dword v3, v[1:2], off
	s_movk_i32 s0, 0x7fff
	s_waitcnt vmcnt(0)
	v_cvt_f32_i32_e32 v3, v3
	v_bfe_u32 v4, v3, 16, 1
	v_add3_u32 v3, v3, v4, s0
	v_lshrrev_b32_e32 v3, 16, v3
.LBB39_576:
	s_mov_b64 s[0:1], 0
.LBB39_577:
	s_andn2_b64 vcc, exec, s[0:1]
	s_cbranch_vccnz .LBB39_579
; %bb.578:
	global_load_sshort v3, v[1:2], off
	s_movk_i32 s0, 0x7fff
	s_waitcnt vmcnt(0)
	v_cvt_f32_i32_e32 v3, v3
	v_bfe_u32 v4, v3, 16, 1
	v_add3_u32 v3, v3, v4, s0
	v_lshrrev_b32_e32 v3, 16, v3
.LBB39_579:
	s_mov_b64 s[0:1], 0
.LBB39_580:
	s_andn2_b64 vcc, exec, s[0:1]
	s_cbranch_vccnz .LBB39_586
; %bb.581:
	s_cmp_gt_i32 s12, 0
	s_cbranch_scc0 .LBB39_583
; %bb.582:
	global_load_sbyte v3, v[1:2], off
	s_movk_i32 s0, 0x7fff
	s_waitcnt vmcnt(0)
	v_cvt_f32_i32_e32 v3, v3
	v_bfe_u32 v4, v3, 16, 1
	v_add3_u32 v3, v3, v4, s0
	v_lshrrev_b32_e32 v3, 16, v3
	s_mov_b64 s[0:1], 0
	s_branch .LBB39_584
.LBB39_583:
	s_mov_b64 s[0:1], -1
                                        ; implicit-def: $vgpr3
.LBB39_584:
	s_andn2_b64 vcc, exec, s[0:1]
	s_cbranch_vccnz .LBB39_586
; %bb.585:
	global_load_ubyte v1, v[1:2], off
	s_movk_i32 s0, 0x7fff
	s_waitcnt vmcnt(0)
	v_cvt_f32_ubyte0_e32 v1, v1
	v_bfe_u32 v2, v1, 16, 1
	v_add3_u32 v1, v1, v2, s0
	v_lshrrev_b32_e32 v3, 16, v1
.LBB39_586:
	s_branch .LBB39_318
.LBB39_587:
	s_mov_b64 s[8:9], 0
	s_mov_b64 s[0:1], s[52:53]
.LBB39_588:
                                        ; implicit-def: $vgpr8
.LBB39_589:
	s_andn2_b64 s[10:11], s[52:53], exec
	s_and_b64 s[0:1], s[0:1], exec
	s_or_b64 s[60:61], s[10:11], s[0:1]
	s_andn2_b64 s[0:1], s[54:55], exec
	s_and_b64 s[2:3], s[2:3], exec
	s_or_b64 s[58:59], s[0:1], s[2:3]
	s_orn2_b64 s[0:1], s[8:9], exec
.LBB39_590:
	s_or_b64 exec, exec, s[62:63]
	s_mov_b64 s[2:3], 0
	s_mov_b64 s[8:9], 0
	;; [unrolled: 1-line block ×3, first 2 shown]
                                        ; implicit-def: $vgpr1_vgpr2
                                        ; implicit-def: $vgpr0
                                        ; implicit-def: $vgpr4
	s_and_saveexec_b64 s[62:63], s[0:1]
	s_cbranch_execz .LBB39_989
; %bb.591:
	v_cmp_gt_i32_e32 vcc, s70, v8
	s_mov_b64 s[2:3], -1
	s_mov_b64 s[66:67], s[58:59]
	s_mov_b64 s[68:69], s[60:61]
	s_and_saveexec_b64 s[64:65], vcc
	s_cbranch_execz .LBB39_889
; %bb.592:
	s_andn2_b64 vcc, exec, s[40:41]
	s_cbranch_vccnz .LBB39_597
; %bb.593:
	s_andn2_b64 vcc, exec, s[50:51]
	s_cbranch_vccnz .LBB39_598
; %bb.594:
	s_add_i32 s76, s75, 1
	s_cmp_eq_u32 s72, 2
	s_cbranch_scc1 .LBB39_599
; %bb.595:
	s_and_b32 s71, s76, 28
	v_mov_b32_e32 v2, 0
	s_mov_b32 s77, 0
	s_mov_b64 s[66:67], s[34:35]
	s_mov_b64 s[68:69], s[48:49]
	v_mov_b32_e32 v0, 0
	v_mov_b32_e32 v1, v8
.LBB39_596:                             ; =>This Inner Loop Header: Depth=1
	s_load_dwordx8 s[16:23], s[66:67], 0x4
	s_load_dwordx4 s[0:3], s[66:67], 0x24
	s_load_dwordx8 s[8:15], s[68:69], 0x0
	s_add_u32 s66, s66, 48
	s_addc_u32 s67, s67, 0
	s_waitcnt vmcnt(0) lgkmcnt(0)
	v_mul_hi_u32 v3, s17, v1
	s_add_i32 s77, s77, 4
	s_add_u32 s68, s68, 32
	s_addc_u32 s69, s69, 0
	v_add_u32_e32 v3, v1, v3
	v_lshrrev_b32_e32 v3, s18, v3
	v_mul_lo_u32 v4, v3, s16
	v_mul_hi_u32 v5, s20, v3
	s_cmp_eq_u32 s71, s77
	v_sub_u32_e32 v1, v1, v4
	v_add_u32_e32 v4, v3, v5
	v_mul_lo_u32 v5, v1, s8
	v_mul_lo_u32 v6, v1, s9
	v_lshrrev_b32_e32 v1, s21, v4
	v_mul_lo_u32 v4, v1, s19
	v_mul_hi_u32 v7, s23, v1
	v_sub_u32_e32 v3, v3, v4
	v_add_u32_e32 v4, v1, v7
	v_lshrrev_b32_e32 v4, s0, v4
	v_mul_hi_u32 v9, s2, v4
	v_mul_lo_u32 v10, v4, s22
	v_mul_lo_u32 v7, v3, s10
	;; [unrolled: 1-line block ×3, first 2 shown]
	v_sub_u32_e32 v10, v1, v10
	v_add_u32_e32 v1, v4, v9
	v_lshrrev_b32_e32 v1, s3, v1
	v_mul_lo_u32 v9, v1, s1
	v_mul_lo_u32 v11, v10, s12
	;; [unrolled: 1-line block ×3, first 2 shown]
	v_add3_u32 v0, v5, v0, v7
	v_sub_u32_e32 v4, v4, v9
	v_mul_lo_u32 v9, v4, s14
	v_mul_lo_u32 v4, v4, s15
	v_add3_u32 v2, v6, v2, v3
	v_add3_u32 v0, v11, v0, v9
	;; [unrolled: 1-line block ×3, first 2 shown]
	s_cbranch_scc0 .LBB39_596
	s_branch .LBB39_600
.LBB39_597:
	s_mov_b64 s[0:1], -1
                                        ; implicit-def: $vgpr0
                                        ; implicit-def: $vgpr2
	s_branch .LBB39_604
.LBB39_598:
	v_mov_b32_e32 v0, 0
	v_mov_b32_e32 v2, 0
	s_branch .LBB39_603
.LBB39_599:
	s_mov_b32 s71, 0
	v_mov_b32_e32 v0, 0
	v_mov_b32_e32 v2, 0
	;; [unrolled: 1-line block ×3, first 2 shown]
.LBB39_600:
	s_and_b32 s8, s76, 3
	s_cmp_eq_u32 s8, 0
	s_cbranch_scc1 .LBB39_603
; %bb.601:
	s_lshl_b32 s0, s71, 3
	s_add_u32 s0, s34, s0
	s_addc_u32 s1, s35, 0
	s_add_u32 s0, s0, 0xc4
	s_addc_u32 s1, s1, 0
	s_mul_i32 s2, s71, 12
	s_add_u32 s2, s34, s2
	s_addc_u32 s3, s35, 0
.LBB39_602:                             ; =>This Inner Loop Header: Depth=1
	s_load_dwordx2 s[10:11], s[2:3], 0x4
	s_load_dword s9, s[2:3], 0xc
	s_load_dwordx2 s[12:13], s[0:1], 0x0
	s_add_u32 s2, s2, 12
	s_addc_u32 s3, s3, 0
	s_waitcnt vmcnt(0) lgkmcnt(0)
	v_mul_hi_u32 v3, s11, v1
	s_add_u32 s0, s0, 8
	s_addc_u32 s1, s1, 0
	s_add_i32 s8, s8, -1
	v_add_u32_e32 v3, v1, v3
	v_lshrrev_b32_e32 v4, s9, v3
	v_mul_lo_u32 v3, v4, s10
	s_cmp_lg_u32 s8, 0
	v_sub_u32_e32 v3, v1, v3
	v_mad_u64_u32 v[0:1], s[10:11], v3, s12, v[0:1]
	v_mad_u64_u32 v[2:3], s[10:11], v3, s13, v[2:3]
	v_mov_b32_e32 v1, v4
	s_cbranch_scc1 .LBB39_602
.LBB39_603:
	s_mov_b64 s[0:1], 0
.LBB39_604:
	s_andn2_b64 vcc, exec, s[0:1]
	s_cbranch_vccnz .LBB39_607
; %bb.605:
	s_waitcnt lgkmcnt(0)
	v_mul_hi_u32 v0, s37, v8
	s_andn2_b64 vcc, exec, s[46:47]
	v_add_u32_e32 v0, v8, v0
	v_lshrrev_b32_e32 v1, s38, v0
	v_mul_lo_u32 v0, v1, s36
	v_sub_u32_e32 v2, v8, v0
	v_mul_lo_u32 v0, v2, s28
	v_mul_lo_u32 v2, v2, s29
	s_cbranch_vccnz .LBB39_607
; %bb.606:
	s_waitcnt vmcnt(0)
	v_mul_hi_u32 v3, s44, v1
	v_add_u32_e32 v3, v1, v3
	v_lshrrev_b32_e32 v3, s45, v3
	v_mul_lo_u32 v3, v3, s39
	v_sub_u32_e32 v3, v1, v3
	v_mad_u64_u32 v[0:1], s[0:1], v3, s30, v[0:1]
	v_mad_u64_u32 v[2:3], s[0:1], v3, s31, v[2:3]
.LBB39_607:
	s_waitcnt vmcnt(0) lgkmcnt(0)
	v_mov_b32_e32 v3, s27
	s_and_b32 s12, 0xffff, s74
	v_add_co_u32_e32 v1, vcc, s26, v2
	s_cmp_lt_i32 s12, 11
	v_addc_co_u32_e32 v2, vcc, 0, v3, vcc
	s_cbranch_scc1 .LBB39_614
; %bb.608:
	s_cmp_gt_i32 s12, 25
	s_cbranch_scc0 .LBB39_615
; %bb.609:
	s_cmp_gt_i32 s12, 28
	s_cbranch_scc0 .LBB39_616
	;; [unrolled: 3-line block ×4, first 2 shown]
; %bb.612:
	s_cmp_eq_u32 s12, 46
	s_mov_b64 s[8:9], 0
	s_cbranch_scc0 .LBB39_623
; %bb.613:
	global_load_dword v3, v[1:2], off
	s_mov_b64 s[0:1], -1
	s_mov_b64 s[2:3], 0
	s_branch .LBB39_624
.LBB39_614:
	s_mov_b64 s[8:9], -1
	s_mov_b64 s[0:1], 0
                                        ; implicit-def: $vgpr3
	s_mov_b64 s[2:3], s[58:59]
	s_branch .LBB39_689
.LBB39_615:
	s_mov_b64 s[8:9], -1
	s_mov_b64 s[0:1], 0
	s_mov_b64 s[2:3], s[58:59]
                                        ; implicit-def: $vgpr3
	s_branch .LBB39_653
.LBB39_616:
	s_mov_b64 s[8:9], -1
	s_mov_b64 s[0:1], 0
	s_mov_b64 s[2:3], s[58:59]
                                        ; implicit-def: $vgpr3
	s_branch .LBB39_634
.LBB39_617:
	s_mov_b64 s[8:9], -1
	s_mov_b64 s[0:1], 0
	s_mov_b64 s[2:3], s[58:59]
                                        ; implicit-def: $vgpr3
	s_branch .LBB39_629
.LBB39_618:
	s_andn2_saveexec_b64 s[12:13], s[12:13]
	s_cbranch_execz .LBB39_387
.LBB39_619:
	s_mov_b32 s16, 0x46000000
	v_add_f32_e64 v4, |v5|, s16
	v_and_b32_e32 v4, 0xff, v4
	v_cmp_ne_u32_e32 vcc, 0, v4
	s_andn2_b64 s[10:11], s[10:11], exec
	s_and_b64 s[16:17], vcc, exec
	s_or_b64 s[10:11], s[10:11], s[16:17]
	s_or_b64 exec, exec, s[12:13]
	v_mov_b32_e32 v6, 0
	s_and_saveexec_b64 s[12:13], s[10:11]
	s_cbranch_execnz .LBB39_388
	s_branch .LBB39_389
.LBB39_620:
	s_mov_b64 s[8:9], -1
	s_mov_b64 s[0:1], 0
	s_mov_b64 s[2:3], s[58:59]
                                        ; implicit-def: $vgpr3
	s_branch .LBB39_624
.LBB39_621:
	s_andn2_saveexec_b64 s[12:13], s[12:13]
	s_cbranch_execz .LBB39_400
.LBB39_622:
	s_mov_b32 s16, 0x42800000
	v_add_f32_e64 v4, |v5|, s16
	v_and_b32_e32 v4, 0xff, v4
	v_cmp_ne_u32_e32 vcc, 0, v4
	s_andn2_b64 s[10:11], s[10:11], exec
	s_and_b64 s[16:17], vcc, exec
	s_or_b64 s[10:11], s[10:11], s[16:17]
	s_or_b64 exec, exec, s[12:13]
	v_mov_b32_e32 v6, 0
	s_and_saveexec_b64 s[12:13], s[10:11]
	s_cbranch_execnz .LBB39_401
	s_branch .LBB39_402
.LBB39_623:
	s_mov_b64 s[2:3], -1
                                        ; implicit-def: $vgpr3
	s_mov_b64 s[0:1], 0
.LBB39_624:
	s_and_b64 vcc, exec, s[8:9]
	s_cbranch_vccz .LBB39_628
; %bb.625:
	s_cmp_eq_u32 s12, 44
	s_cbranch_scc0 .LBB39_627
; %bb.626:
	global_load_ubyte v3, v[1:2], off
	s_movk_i32 s2, 0xff
	v_mov_b32_e32 v4, 0x7f800001
	v_mov_b32_e32 v5, 0x400000
	v_mov_b32_e32 v6, 0x7fc0
	s_mov_b64 s[0:1], -1
	s_waitcnt vmcnt(0)
	v_lshlrev_b32_e32 v7, 23, v3
	v_cmp_ne_u32_e32 vcc, s2, v3
	v_cndmask_b32_e32 v4, v4, v7, vcc
	v_cmp_ne_u32_e32 vcc, 0, v3
	v_cndmask_b32_e32 v3, v5, v4, vcc
	v_add_u32_e32 v4, 0x7fff, v3
	v_cmp_o_f32_e32 vcc, v3, v3
	v_cndmask_b32_sdwa v3, v6, v4, vcc dst_sel:DWORD dst_unused:UNUSED_PAD src0_sel:DWORD src1_sel:WORD_1
	s_mov_b64 s[2:3], 0
	s_branch .LBB39_628
.LBB39_627:
	s_mov_b64 s[2:3], -1
                                        ; implicit-def: $vgpr3
.LBB39_628:
	s_mov_b64 s[8:9], 0
.LBB39_629:
	s_and_b64 vcc, exec, s[8:9]
	s_cbranch_vccz .LBB39_633
; %bb.630:
	s_cmp_eq_u32 s12, 29
	s_cbranch_scc0 .LBB39_632
; %bb.631:
	global_load_dwordx2 v[3:4], v[1:2], off
	s_movk_i32 s2, 0x7fff
	s_mov_b64 s[0:1], -1
	s_mov_b64 s[8:9], 0
	s_waitcnt vmcnt(0)
	v_ffbh_u32_e32 v5, v4
	v_min_u32_e32 v5, 32, v5
	v_lshlrev_b64 v[3:4], v5, v[3:4]
	v_min_u32_e32 v3, 1, v3
	v_or_b32_e32 v3, v4, v3
	v_cvt_f32_u32_e32 v3, v3
	v_sub_u32_e32 v4, 32, v5
	v_ldexp_f32 v3, v3, v4
	v_bfe_u32 v4, v3, 16, 1
	v_add3_u32 v3, v3, v4, s2
	v_lshrrev_b32_e32 v3, 16, v3
	s_mov_b64 s[2:3], 0
	s_branch .LBB39_634
.LBB39_632:
	s_mov_b64 s[2:3], -1
                                        ; implicit-def: $vgpr3
.LBB39_633:
	s_mov_b64 s[8:9], 0
.LBB39_634:
	s_and_b64 vcc, exec, s[8:9]
	s_cbranch_vccz .LBB39_652
; %bb.635:
	s_cmp_lt_i32 s12, 27
	s_cbranch_scc1 .LBB39_638
; %bb.636:
	s_cmp_gt_i32 s12, 27
	s_cbranch_scc0 .LBB39_639
; %bb.637:
	global_load_dword v3, v[1:2], off
	s_movk_i32 s0, 0x7fff
	s_waitcnt vmcnt(0)
	v_cvt_f32_u32_e32 v3, v3
	v_bfe_u32 v4, v3, 16, 1
	v_add3_u32 v3, v3, v4, s0
	v_lshrrev_b32_e32 v3, 16, v3
	s_mov_b64 s[0:1], 0
	s_branch .LBB39_640
.LBB39_638:
	s_mov_b64 s[0:1], -1
                                        ; implicit-def: $vgpr3
	s_branch .LBB39_643
.LBB39_639:
	s_mov_b64 s[0:1], -1
                                        ; implicit-def: $vgpr3
.LBB39_640:
	s_andn2_b64 vcc, exec, s[0:1]
	s_cbranch_vccnz .LBB39_642
; %bb.641:
	global_load_ushort v3, v[1:2], off
	s_movk_i32 s0, 0x7fff
	s_waitcnt vmcnt(0)
	v_cvt_f32_u32_e32 v3, v3
	v_bfe_u32 v4, v3, 16, 1
	v_add3_u32 v3, v3, v4, s0
	v_lshrrev_b32_e32 v3, 16, v3
.LBB39_642:
	s_mov_b64 s[0:1], 0
.LBB39_643:
	s_andn2_b64 vcc, exec, s[0:1]
	s_cbranch_vccnz .LBB39_651
; %bb.644:
	global_load_ubyte v3, v[1:2], off
	s_movk_i32 s0, 0x7f
	s_waitcnt vmcnt(0)
	v_cmp_lt_i16_e32 vcc, s0, v3
	s_mov_b64 s[0:1], 0
	s_and_saveexec_b64 s[8:9], vcc
	s_xor_b64 s[8:9], exec, s[8:9]
	s_cbranch_execz .LBB39_665
; %bb.645:
	s_movk_i32 s0, 0x80
	v_cmp_eq_u16_e32 vcc, s0, v3
	s_mov_b64 s[0:1], -1
	s_and_saveexec_b64 s[10:11], vcc
; %bb.646:
	s_xor_b64 s[0:1], exec, -1
; %bb.647:
	s_or_b64 exec, exec, s[10:11]
	s_and_b64 s[0:1], s[0:1], exec
	s_or_saveexec_b64 s[8:9], s[8:9]
	v_mov_b32_e32 v4, 0x7f800001
	s_xor_b64 exec, exec, s[8:9]
	s_cbranch_execnz .LBB39_666
.LBB39_648:
	s_or_b64 exec, exec, s[8:9]
	s_and_saveexec_b64 s[8:9], s[0:1]
	s_cbranch_execz .LBB39_650
.LBB39_649:
	v_lshlrev_b32_e32 v4, 24, v3
	v_and_b32_e32 v3, 0xffff, v3
	v_and_b32_e32 v5, 7, v3
	v_ffbh_u32_e32 v7, v5
	v_min_u32_e32 v7, 32, v7
	v_subrev_u32_e32 v9, 28, v7
	v_bfe_u32 v6, v3, 3, 4
	v_lshlrev_b32_e32 v3, v9, v3
	v_sub_u32_e32 v7, 29, v7
	v_and_b32_e32 v3, 7, v3
	v_cmp_eq_u32_e32 vcc, 0, v6
	v_cndmask_b32_e32 v6, v6, v7, vcc
	v_cndmask_b32_e32 v3, v5, v3, vcc
	v_mov_b32_e32 v5, 0x3b800000
	v_lshlrev_b32_e32 v3, 20, v3
	v_and_b32_e32 v4, 0x80000000, v4
	v_lshl_add_u32 v5, v6, 23, v5
	v_or3_b32 v4, v4, v5, v3
.LBB39_650:
	s_or_b64 exec, exec, s[8:9]
	v_bfe_u32 v3, v4, 16, 1
	s_movk_i32 s0, 0x7fff
	v_add3_u32 v3, v4, v3, s0
	v_cmp_o_f32_e32 vcc, v4, v4
	v_mov_b32_e32 v4, 0x7fc0
	v_cndmask_b32_sdwa v3, v4, v3, vcc dst_sel:DWORD dst_unused:UNUSED_PAD src0_sel:DWORD src1_sel:WORD_1
.LBB39_651:
	s_mov_b64 s[0:1], -1
.LBB39_652:
	s_mov_b64 s[8:9], 0
.LBB39_653:
	s_and_b64 vcc, exec, s[8:9]
	s_cbranch_vccz .LBB39_688
; %bb.654:
	s_cmp_gt_i32 s12, 22
	s_cbranch_scc0 .LBB39_664
; %bb.655:
	s_cmp_lt_i32 s12, 24
	s_cbranch_scc1 .LBB39_667
; %bb.656:
	s_cmp_gt_i32 s12, 24
	s_cbranch_scc0 .LBB39_668
; %bb.657:
	global_load_ubyte v3, v[1:2], off
	s_movk_i32 s0, 0x7f
	s_waitcnt vmcnt(0)
	v_cmp_lt_i16_e32 vcc, s0, v3
	s_mov_b64 s[0:1], 0
	s_and_saveexec_b64 s[8:9], vcc
	s_xor_b64 s[8:9], exec, s[8:9]
	s_cbranch_execz .LBB39_680
; %bb.658:
	s_movk_i32 s0, 0x80
	v_cmp_eq_u16_e32 vcc, s0, v3
	s_mov_b64 s[0:1], -1
	s_and_saveexec_b64 s[10:11], vcc
; %bb.659:
	s_xor_b64 s[0:1], exec, -1
; %bb.660:
	s_or_b64 exec, exec, s[10:11]
	s_and_b64 s[0:1], s[0:1], exec
	s_or_saveexec_b64 s[8:9], s[8:9]
	v_mov_b32_e32 v4, 0x7f800001
	s_xor_b64 exec, exec, s[8:9]
	s_cbranch_execnz .LBB39_681
.LBB39_661:
	s_or_b64 exec, exec, s[8:9]
	s_and_saveexec_b64 s[8:9], s[0:1]
	s_cbranch_execz .LBB39_663
.LBB39_662:
	v_lshlrev_b32_e32 v4, 24, v3
	v_and_b32_e32 v3, 0xffff, v3
	v_and_b32_e32 v5, 3, v3
	v_ffbh_u32_e32 v7, v5
	v_min_u32_e32 v7, 32, v7
	v_subrev_u32_e32 v9, 29, v7
	v_bfe_u32 v6, v3, 2, 5
	v_lshlrev_b32_e32 v3, v9, v3
	v_sub_u32_e32 v7, 30, v7
	v_and_b32_e32 v3, 3, v3
	v_cmp_eq_u32_e32 vcc, 0, v6
	v_cndmask_b32_e32 v6, v6, v7, vcc
	v_cndmask_b32_e32 v3, v5, v3, vcc
	v_mov_b32_e32 v5, 0x37800000
	v_lshlrev_b32_e32 v3, 21, v3
	v_and_b32_e32 v4, 0x80000000, v4
	v_lshl_add_u32 v5, v6, 23, v5
	v_or3_b32 v4, v4, v5, v3
.LBB39_663:
	s_or_b64 exec, exec, s[8:9]
	v_bfe_u32 v3, v4, 16, 1
	s_movk_i32 s0, 0x7fff
	v_add3_u32 v3, v4, v3, s0
	v_cmp_o_f32_e32 vcc, v4, v4
	v_mov_b32_e32 v4, 0x7fc0
	v_cndmask_b32_sdwa v3, v4, v3, vcc dst_sel:DWORD dst_unused:UNUSED_PAD src0_sel:DWORD src1_sel:WORD_1
	s_mov_b64 s[0:1], 0
	s_branch .LBB39_669
.LBB39_664:
	s_mov_b64 s[8:9], -1
                                        ; implicit-def: $vgpr3
	s_branch .LBB39_675
.LBB39_665:
	s_or_saveexec_b64 s[8:9], s[8:9]
	v_mov_b32_e32 v4, 0x7f800001
	s_xor_b64 exec, exec, s[8:9]
	s_cbranch_execz .LBB39_648
.LBB39_666:
	v_cmp_ne_u16_e32 vcc, 0, v3
	s_andn2_b64 s[0:1], s[0:1], exec
	s_and_b64 s[10:11], vcc, exec
	v_mov_b32_e32 v4, 0
	s_or_b64 s[0:1], s[0:1], s[10:11]
	s_or_b64 exec, exec, s[8:9]
	s_and_saveexec_b64 s[8:9], s[0:1]
	s_cbranch_execnz .LBB39_649
	s_branch .LBB39_650
.LBB39_667:
	s_mov_b64 s[0:1], -1
                                        ; implicit-def: $vgpr3
	s_branch .LBB39_672
.LBB39_668:
	s_mov_b64 s[0:1], -1
                                        ; implicit-def: $vgpr3
.LBB39_669:
	s_and_b64 vcc, exec, s[0:1]
	s_cbranch_vccz .LBB39_671
; %bb.670:
	global_load_ubyte v3, v[1:2], off
	s_mov_b32 s0, 0x7f800000
	s_brev_b32 s1, 1
	s_movk_i32 s8, 0x7fff
	s_waitcnt vmcnt(0)
	v_lshlrev_b32_e32 v3, 24, v3
	v_and_b32_e32 v4, 0x7f000000, v3
	v_ffbh_u32_e32 v5, v4
	v_min_u32_e32 v5, 32, v5
	v_sub_u32_e64 v5, v5, 4 clamp
	v_lshlrev_b32_e32 v7, v5, v4
	v_lshlrev_b32_e32 v5, 23, v5
	v_lshrrev_b32_e32 v7, 4, v7
	v_add_u32_e32 v6, 0x1000000, v4
	v_sub_u32_e32 v5, v7, v5
	v_ashrrev_i32_e32 v6, 8, v6
	v_add_u32_e32 v5, 0x3c000000, v5
	v_and_or_b32 v5, v6, s0, v5
	v_cmp_ne_u32_e32 vcc, 0, v4
	v_cndmask_b32_e32 v4, 0, v5, vcc
	v_and_or_b32 v3, v3, s1, v4
	v_bfe_u32 v4, v4, 16, 1
	v_add3_u32 v4, v3, v4, s8
	v_cmp_o_f32_e32 vcc, v3, v3
	v_mov_b32_e32 v3, 0x7fc0
	v_cndmask_b32_sdwa v3, v3, v4, vcc dst_sel:DWORD dst_unused:UNUSED_PAD src0_sel:DWORD src1_sel:WORD_1
.LBB39_671:
	s_mov_b64 s[0:1], 0
.LBB39_672:
	s_andn2_b64 vcc, exec, s[0:1]
	s_cbranch_vccnz .LBB39_674
; %bb.673:
	global_load_ubyte v3, v[1:2], off
	s_movk_i32 s0, 0x7f00
	s_brev_b32 s1, 16
	s_brev_b32 s8, 1
	s_movk_i32 s9, 0x7fff
	s_waitcnt vmcnt(0)
	v_lshlrev_b16_e32 v4, 8, v3
	v_lshlrev_b32_e32 v3, 25, v3
	v_lshrrev_b32_e32 v5, 4, v3
	v_and_or_b32 v6, v4, s0, 0.5
	v_or_b32_e32 v5, 0x70000000, v5
	v_add_f32_e32 v6, -0.5, v6
	v_mul_f32_e32 v5, 0x7800000, v5
	v_cmp_gt_u32_e32 vcc, s1, v3
	v_bfe_i32 v4, v4, 0, 16
	v_cndmask_b32_e32 v3, v5, v6, vcc
	v_and_or_b32 v4, v4, s8, v3
	v_bfe_u32 v3, v3, 16, 1
	v_add3_u32 v3, v4, v3, s9
	v_cmp_o_f32_e32 vcc, v4, v4
	v_mov_b32_e32 v4, 0x7fc0
	v_cndmask_b32_sdwa v3, v4, v3, vcc dst_sel:DWORD dst_unused:UNUSED_PAD src0_sel:DWORD src1_sel:WORD_1
.LBB39_674:
	s_mov_b64 s[8:9], 0
	s_mov_b64 s[0:1], -1
.LBB39_675:
	s_andn2_b64 vcc, exec, s[8:9]
	s_cbranch_vccnz .LBB39_688
; %bb.676:
	s_cmp_gt_i32 s12, 14
	s_cbranch_scc0 .LBB39_679
; %bb.677:
	s_cmp_eq_u32 s12, 15
	s_cbranch_scc0 .LBB39_682
; %bb.678:
	global_load_ushort v3, v[1:2], off
	s_mov_b64 s[0:1], -1
	s_mov_b64 s[2:3], 0
	s_branch .LBB39_683
.LBB39_679:
	s_mov_b64 s[8:9], -1
                                        ; implicit-def: $vgpr3
	s_branch .LBB39_684
.LBB39_680:
	s_or_saveexec_b64 s[8:9], s[8:9]
	v_mov_b32_e32 v4, 0x7f800001
	s_xor_b64 exec, exec, s[8:9]
	s_cbranch_execz .LBB39_661
.LBB39_681:
	v_cmp_ne_u16_e32 vcc, 0, v3
	s_andn2_b64 s[0:1], s[0:1], exec
	s_and_b64 s[10:11], vcc, exec
	v_mov_b32_e32 v4, 0
	s_or_b64 s[0:1], s[0:1], s[10:11]
	s_or_b64 exec, exec, s[8:9]
	s_and_saveexec_b64 s[8:9], s[0:1]
	s_cbranch_execnz .LBB39_662
	s_branch .LBB39_663
.LBB39_682:
	s_mov_b64 s[2:3], -1
                                        ; implicit-def: $vgpr3
.LBB39_683:
	s_mov_b64 s[8:9], 0
.LBB39_684:
	s_and_b64 vcc, exec, s[8:9]
	s_cbranch_vccz .LBB39_688
; %bb.685:
	s_cmp_eq_u32 s12, 11
	s_cbranch_scc0 .LBB39_687
; %bb.686:
	global_load_ubyte v3, v[1:2], off
	s_mov_b64 s[0:1], -1
	s_mov_b64 s[2:3], 0
	s_waitcnt vmcnt(0)
	v_cmp_ne_u16_e32 vcc, 0, v3
	v_cndmask_b32_e64 v3, 0, 1.0, vcc
	v_lshrrev_b32_e32 v3, 16, v3
	s_branch .LBB39_688
.LBB39_687:
	s_mov_b64 s[2:3], -1
                                        ; implicit-def: $vgpr3
.LBB39_688:
	s_mov_b64 s[8:9], 0
.LBB39_689:
	s_and_b64 vcc, exec, s[8:9]
	s_cbranch_vccz .LBB39_738
; %bb.690:
	s_cmp_lt_i32 s12, 5
	s_cbranch_scc1 .LBB39_695
; %bb.691:
	s_cmp_lt_i32 s12, 8
	s_cbranch_scc1 .LBB39_696
	;; [unrolled: 3-line block ×3, first 2 shown]
; %bb.693:
	s_cmp_gt_i32 s12, 9
	s_cbranch_scc0 .LBB39_698
; %bb.694:
	global_load_dwordx2 v[3:4], v[1:2], off
	s_movk_i32 s0, 0x7fff
	s_waitcnt vmcnt(0)
	v_cvt_f32_f64_e32 v3, v[3:4]
	v_mov_b32_e32 v4, 0x7fc0
	v_bfe_u32 v5, v3, 16, 1
	v_cmp_o_f32_e32 vcc, v3, v3
	v_add3_u32 v3, v3, v5, s0
	v_cndmask_b32_sdwa v3, v4, v3, vcc dst_sel:DWORD dst_unused:UNUSED_PAD src0_sel:DWORD src1_sel:WORD_1
	s_mov_b64 s[0:1], 0
	s_branch .LBB39_699
.LBB39_695:
	s_mov_b64 s[0:1], -1
                                        ; implicit-def: $vgpr3
	s_branch .LBB39_717
.LBB39_696:
	s_mov_b64 s[0:1], -1
                                        ; implicit-def: $vgpr3
	s_branch .LBB39_705
.LBB39_697:
	s_mov_b64 s[0:1], -1
                                        ; implicit-def: $vgpr3
	s_branch .LBB39_702
.LBB39_698:
	s_mov_b64 s[0:1], -1
                                        ; implicit-def: $vgpr3
.LBB39_699:
	s_andn2_b64 vcc, exec, s[0:1]
	s_cbranch_vccnz .LBB39_701
; %bb.700:
	global_load_dword v3, v[1:2], off
	s_movk_i32 s0, 0x7fff
	v_mov_b32_e32 v4, 0x7fc0
	s_waitcnt vmcnt(0)
	v_bfe_u32 v5, v3, 16, 1
	v_cmp_o_f32_e32 vcc, v3, v3
	v_add3_u32 v3, v3, v5, s0
	v_cndmask_b32_sdwa v3, v4, v3, vcc dst_sel:DWORD dst_unused:UNUSED_PAD src0_sel:DWORD src1_sel:WORD_1
.LBB39_701:
	s_mov_b64 s[0:1], 0
.LBB39_702:
	s_andn2_b64 vcc, exec, s[0:1]
	s_cbranch_vccnz .LBB39_704
; %bb.703:
	global_load_dword v3, v[1:2], off
	s_movk_i32 s0, 0x7fff
	v_mov_b32_e32 v5, 0x7fc0
	s_waitcnt vmcnt(0)
	v_cvt_f32_f16_e32 v4, v3
	v_cmp_o_f16_e32 vcc, v3, v3
	v_bfe_u32 v3, v4, 16, 1
	v_add3_u32 v3, v4, v3, s0
	v_cndmask_b32_sdwa v3, v5, v3, vcc dst_sel:DWORD dst_unused:UNUSED_PAD src0_sel:DWORD src1_sel:WORD_1
.LBB39_704:
	s_mov_b64 s[0:1], 0
.LBB39_705:
	s_andn2_b64 vcc, exec, s[0:1]
	s_cbranch_vccnz .LBB39_716
; %bb.706:
	s_cmp_lt_i32 s12, 6
	s_cbranch_scc1 .LBB39_709
; %bb.707:
	s_cmp_gt_i32 s12, 6
	s_cbranch_scc0 .LBB39_710
; %bb.708:
	global_load_dwordx2 v[3:4], v[1:2], off
	s_movk_i32 s0, 0x7fff
	s_waitcnt vmcnt(0)
	v_cvt_f32_f64_e32 v3, v[3:4]
	v_mov_b32_e32 v4, 0x7fc0
	v_bfe_u32 v5, v3, 16, 1
	v_cmp_o_f32_e32 vcc, v3, v3
	v_add3_u32 v3, v3, v5, s0
	v_cndmask_b32_sdwa v3, v4, v3, vcc dst_sel:DWORD dst_unused:UNUSED_PAD src0_sel:DWORD src1_sel:WORD_1
	s_mov_b64 s[0:1], 0
	s_branch .LBB39_711
.LBB39_709:
	s_mov_b64 s[0:1], -1
                                        ; implicit-def: $vgpr3
	s_branch .LBB39_714
.LBB39_710:
	s_mov_b64 s[0:1], -1
                                        ; implicit-def: $vgpr3
.LBB39_711:
	s_andn2_b64 vcc, exec, s[0:1]
	s_cbranch_vccnz .LBB39_713
; %bb.712:
	global_load_dword v3, v[1:2], off
	s_movk_i32 s0, 0x7fff
	v_mov_b32_e32 v4, 0x7fc0
	s_waitcnt vmcnt(0)
	v_bfe_u32 v5, v3, 16, 1
	v_cmp_o_f32_e32 vcc, v3, v3
	v_add3_u32 v3, v3, v5, s0
	v_cndmask_b32_sdwa v3, v4, v3, vcc dst_sel:DWORD dst_unused:UNUSED_PAD src0_sel:DWORD src1_sel:WORD_1
.LBB39_713:
	s_mov_b64 s[0:1], 0
.LBB39_714:
	s_andn2_b64 vcc, exec, s[0:1]
	s_cbranch_vccnz .LBB39_716
; %bb.715:
	global_load_ushort v3, v[1:2], off
	s_movk_i32 s0, 0x7fff
	v_mov_b32_e32 v5, 0x7fc0
	s_waitcnt vmcnt(0)
	v_cvt_f32_f16_e32 v4, v3
	v_cmp_o_f16_e32 vcc, v3, v3
	v_bfe_u32 v3, v4, 16, 1
	v_add3_u32 v3, v4, v3, s0
	v_cndmask_b32_sdwa v3, v5, v3, vcc dst_sel:DWORD dst_unused:UNUSED_PAD src0_sel:DWORD src1_sel:WORD_1
.LBB39_716:
	s_mov_b64 s[0:1], 0
.LBB39_717:
	s_andn2_b64 vcc, exec, s[0:1]
	s_cbranch_vccnz .LBB39_737
; %bb.718:
	s_cmp_lt_i32 s12, 2
	s_cbranch_scc1 .LBB39_722
; %bb.719:
	s_cmp_lt_i32 s12, 3
	s_cbranch_scc1 .LBB39_723
; %bb.720:
	s_cmp_gt_i32 s12, 3
	s_cbranch_scc0 .LBB39_724
; %bb.721:
	global_load_dwordx2 v[3:4], v[1:2], off
	s_movk_i32 s0, 0x7fff
	s_waitcnt vmcnt(0)
	v_xor_b32_e32 v6, v3, v4
	v_ffbh_i32_e32 v5, v4
	v_ashrrev_i32_e32 v6, 31, v6
	v_add_u32_e32 v5, -1, v5
	v_add_u32_e32 v6, 32, v6
	v_min_u32_e32 v5, v5, v6
	v_lshlrev_b64 v[3:4], v5, v[3:4]
	v_min_u32_e32 v3, 1, v3
	v_or_b32_e32 v3, v4, v3
	v_cvt_f32_i32_e32 v3, v3
	v_sub_u32_e32 v4, 32, v5
	v_ldexp_f32 v3, v3, v4
	v_bfe_u32 v4, v3, 16, 1
	v_add3_u32 v3, v3, v4, s0
	v_lshrrev_b32_e32 v3, 16, v3
	s_mov_b64 s[0:1], 0
	s_branch .LBB39_725
.LBB39_722:
	s_mov_b64 s[0:1], -1
                                        ; implicit-def: $vgpr3
	s_branch .LBB39_731
.LBB39_723:
	s_mov_b64 s[0:1], -1
                                        ; implicit-def: $vgpr3
	s_branch .LBB39_728
.LBB39_724:
	s_mov_b64 s[0:1], -1
                                        ; implicit-def: $vgpr3
.LBB39_725:
	s_andn2_b64 vcc, exec, s[0:1]
	s_cbranch_vccnz .LBB39_727
; %bb.726:
	global_load_dword v3, v[1:2], off
	s_movk_i32 s0, 0x7fff
	s_waitcnt vmcnt(0)
	v_cvt_f32_i32_e32 v3, v3
	v_bfe_u32 v4, v3, 16, 1
	v_add3_u32 v3, v3, v4, s0
	v_lshrrev_b32_e32 v3, 16, v3
.LBB39_727:
	s_mov_b64 s[0:1], 0
.LBB39_728:
	s_andn2_b64 vcc, exec, s[0:1]
	s_cbranch_vccnz .LBB39_730
; %bb.729:
	global_load_sshort v3, v[1:2], off
	s_movk_i32 s0, 0x7fff
	s_waitcnt vmcnt(0)
	v_cvt_f32_i32_e32 v3, v3
	v_bfe_u32 v4, v3, 16, 1
	v_add3_u32 v3, v3, v4, s0
	v_lshrrev_b32_e32 v3, 16, v3
.LBB39_730:
	s_mov_b64 s[0:1], 0
.LBB39_731:
	s_andn2_b64 vcc, exec, s[0:1]
	s_cbranch_vccnz .LBB39_737
; %bb.732:
	s_cmp_gt_i32 s12, 0
	s_cbranch_scc0 .LBB39_734
; %bb.733:
	global_load_sbyte v3, v[1:2], off
	s_movk_i32 s0, 0x7fff
	s_waitcnt vmcnt(0)
	v_cvt_f32_i32_e32 v3, v3
	v_bfe_u32 v4, v3, 16, 1
	v_add3_u32 v3, v3, v4, s0
	v_lshrrev_b32_e32 v3, 16, v3
	s_mov_b64 s[0:1], 0
	s_branch .LBB39_735
.LBB39_734:
	s_mov_b64 s[0:1], -1
                                        ; implicit-def: $vgpr3
.LBB39_735:
	s_andn2_b64 vcc, exec, s[0:1]
	s_cbranch_vccnz .LBB39_737
; %bb.736:
	global_load_ubyte v1, v[1:2], off
	s_movk_i32 s0, 0x7fff
	s_waitcnt vmcnt(0)
	v_cvt_f32_ubyte0_e32 v1, v1
	v_bfe_u32 v2, v1, 16, 1
	v_add3_u32 v1, v1, v2, s0
	v_lshrrev_b32_e32 v3, 16, v1
.LBB39_737:
	s_mov_b64 s[0:1], -1
.LBB39_738:
	s_andn2_b64 vcc, exec, s[0:1]
	s_cbranch_vccnz .LBB39_770
; %bb.739:
	s_waitcnt vmcnt(0)
	v_lshlrev_b32_e32 v7, 16, v3
	v_cmp_neq_f32_e32 vcc, 0, v7
                                        ; implicit-def: $vgpr2
	s_and_saveexec_b64 s[0:1], vcc
	s_xor_b64 s[8:9], exec, s[0:1]
	s_cbranch_execz .LBB39_761
; %bb.740:
	v_mov_b32_e32 v1, 0
	v_cmp_gt_f32_e32 vcc, 0, v7
	s_mov_b64 s[12:13], -1
	s_and_saveexec_b64 s[10:11], vcc
	s_cbranch_execz .LBB39_748
; %bb.741:
	v_trunc_f32_e32 v1, v7
	v_cmp_neq_f32_e32 vcc, v1, v7
	s_mov_b64 s[14:15], 0
	v_mov_b32_e32 v1, 0
	s_and_saveexec_b64 s[12:13], vcc
	s_cbranch_execz .LBB39_747
; %bb.742:
	v_cvt_f64_f32_e32 v[1:2], v7
	s_mov_b32 s0, 0
	s_mov_b32 s15, 0xc00921fb
	s_mov_b32 s14, 0x54442d18
	v_trunc_f64_e32 v[3:4], v[1:2]
	s_mov_b32 s1, 0x7ff00000
	v_cmp_neq_f64_e64 vcc, |v[1:2]|, s[0:1]
	v_bfrev_b32_e32 v5, 1
	s_mov_b32 s16, 0
	s_mov_b32 s17, 0x41d00000
                                        ; implicit-def: $vgpr9
	v_add_f64 v[3:4], v[1:2], -v[3:4]
	v_mul_f64 v[3:4], |v[3:4]|, s[14:15]
	v_cndmask_b32_e32 v2, v5, v4, vcc
	v_cndmask_b32_e32 v1, 0, v3, vcc
	v_cmp_nlt_f64_e64 s[16:17], |v[1:2]|, s[16:17]
                                        ; implicit-def: $vgpr3_vgpr4
                                        ; implicit-def: $vgpr5_vgpr6
	s_and_saveexec_b64 s[18:19], s[16:17]
	s_xor_b64 s[16:17], exec, s[18:19]
	s_cbranch_execz .LBB39_744
; %bb.743:
	v_trig_preop_f64 v[3:4], |v[1:2]|, 0
	s_mov_b32 s18, 0
	s_mov_b32 s19, 0x7b000000
	s_movk_i32 s15, 0xff80
	v_ldexp_f64 v[9:10], |v[1:2]|, s15
	v_cmp_ge_f64_e64 vcc, |v[1:2]|, s[18:19]
	v_trig_preop_f64 v[5:6], |v[1:2]|, 1
	v_and_b32_e32 v11, 0x7fffffff, v2
	v_trig_preop_f64 v[17:18], |v[1:2]|, 2
	v_mov_b32_e32 v28, 0x40100000
	v_mov_b32_e32 v27, 0
	s_mov_b32 s15, 0x3ff921fb
	v_cndmask_b32_e32 v10, v11, v10, vcc
	v_cndmask_b32_e32 v9, v1, v9, vcc
	v_mul_f64 v[11:12], v[3:4], v[9:10]
	v_mul_f64 v[13:14], v[5:6], v[9:10]
	;; [unrolled: 1-line block ×3, first 2 shown]
	v_fma_f64 v[3:4], v[3:4], v[9:10], -v[11:12]
	v_fma_f64 v[5:6], v[5:6], v[9:10], -v[13:14]
	v_fma_f64 v[9:10], v[17:18], v[9:10], -v[23:24]
	v_add_f64 v[15:16], v[13:14], v[3:4]
	v_add_f64 v[19:20], v[15:16], -v[13:14]
	v_add_f64 v[25:26], v[11:12], v[15:16]
	v_add_f64 v[21:22], v[15:16], -v[19:20]
	v_add_f64 v[3:4], v[3:4], -v[19:20]
	v_add_f64 v[19:20], v[23:24], v[5:6]
	v_add_f64 v[11:12], v[25:26], -v[11:12]
	v_add_f64 v[13:14], v[13:14], -v[21:22]
	v_ldexp_f64 v[21:22], v[25:26], -2
	v_add_f64 v[29:30], v[19:20], -v[23:24]
	v_add_f64 v[11:12], v[15:16], -v[11:12]
	v_add_f64 v[3:4], v[3:4], v[13:14]
	v_fract_f64_e32 v[13:14], v[21:22]
	v_cmp_neq_f64_e64 vcc, |v[21:22]|, s[0:1]
	v_add_f64 v[5:6], v[5:6], -v[29:30]
	v_add_f64 v[15:16], v[19:20], v[3:4]
	v_ldexp_f64 v[13:14], v[13:14], 2
	v_add_f64 v[21:22], v[11:12], v[15:16]
	v_cndmask_b32_e32 v14, 0, v14, vcc
	v_cndmask_b32_e32 v13, 0, v13, vcc
	v_add_f64 v[31:32], v[15:16], -v[19:20]
	v_add_f64 v[25:26], v[21:22], v[13:14]
	v_add_f64 v[11:12], v[21:22], -v[11:12]
	v_add_f64 v[33:34], v[15:16], -v[31:32]
	;; [unrolled: 1-line block ×3, first 2 shown]
	v_cmp_gt_f64_e32 vcc, 0, v[25:26]
	v_add_f64 v[25:26], v[19:20], -v[29:30]
	v_add_f64 v[11:12], v[15:16], -v[11:12]
	;; [unrolled: 1-line block ×3, first 2 shown]
	v_cndmask_b32_e32 v28, 0, v28, vcc
	v_add_f64 v[13:14], v[13:14], v[27:28]
	v_add_f64 v[25:26], v[23:24], -v[25:26]
	v_add_f64 v[3:4], v[3:4], v[19:20]
	v_add_f64 v[35:36], v[21:22], v[13:14]
	v_add_f64 v[5:6], v[5:6], v[25:26]
	v_cvt_i32_f64_e32 v30, v[35:36]
	v_add_f64 v[3:4], v[5:6], v[3:4]
	v_cvt_f64_i32_e32 v[28:29], v30
	v_add_f64 v[13:14], v[13:14], -v[28:29]
	v_add_f64 v[3:4], v[9:10], v[3:4]
	v_add_f64 v[5:6], v[21:22], v[13:14]
	;; [unrolled: 1-line block ×3, first 2 shown]
	v_mov_b32_e32 v12, 0x3ff00000
	v_add_f64 v[9:10], v[5:6], -v[13:14]
	v_cmp_le_f64_e32 vcc, 0.5, v[5:6]
	v_add_f64 v[10:11], v[21:22], -v[9:10]
	v_cndmask_b32_e32 v28, 0, v12, vcc
	v_add_f64 v[5:6], v[5:6], -v[27:28]
	v_addc_co_u32_e64 v9, s[0:1], 0, v30, vcc
	s_mov_b32 s0, 0x33145c07
	s_mov_b32 s1, 0x3c91a626
	v_add_f64 v[3:4], v[3:4], v[10:11]
	v_add_f64 v[10:11], v[5:6], v[3:4]
	v_mul_f64 v[12:13], v[10:11], s[14:15]
	v_add_f64 v[5:6], v[10:11], -v[5:6]
	v_fma_f64 v[14:15], v[10:11], s[14:15], -v[12:13]
	v_add_f64 v[3:4], v[3:4], -v[5:6]
	v_fma_f64 v[5:6], v[10:11], s[0:1], v[14:15]
	v_fma_f64 v[5:6], v[3:4], s[14:15], v[5:6]
	v_add_f64 v[3:4], v[12:13], v[5:6]
	v_add_f64 v[10:11], v[3:4], -v[12:13]
	v_add_f64 v[5:6], v[5:6], -v[10:11]
.LBB39_744:
	s_andn2_saveexec_b64 s[0:1], s[16:17]
	s_cbranch_execz .LBB39_746
; %bb.745:
	s_mov_b32 s14, 0x6dc9c883
	s_mov_b32 s15, 0x3fe45f30
	v_mul_f64 v[3:4], |v[1:2]|, s[14:15]
	s_mov_b32 s14, 0x54442d18
	s_mov_b32 s15, 0xbff921fb
	;; [unrolled: 1-line block ×4, first 2 shown]
	v_rndne_f64_e32 v[9:10], v[3:4]
	v_fma_f64 v[3:4], v[9:10], s[14:15], |v[1:2]|
	v_mul_f64 v[5:6], v[9:10], s[16:17]
	s_mov_b32 s14, 0x252049c0
	s_mov_b32 s15, 0xb97b839a
	v_fma_f64 v[15:16], v[9:10], s[16:17], v[3:4]
	v_add_f64 v[11:12], v[3:4], v[5:6]
	s_mov_b32 s17, 0x3c91a626
	v_add_f64 v[13:14], v[3:4], -v[11:12]
	v_add_f64 v[11:12], v[11:12], -v[15:16]
	v_add_f64 v[3:4], v[13:14], v[5:6]
	v_fma_f64 v[5:6], v[9:10], s[16:17], v[5:6]
	v_add_f64 v[3:4], v[11:12], v[3:4]
	v_add_f64 v[3:4], v[3:4], -v[5:6]
	v_fma_f64 v[5:6], v[9:10], s[14:15], v[3:4]
	v_cvt_i32_f64_e32 v9, v[9:10]
	v_add_f64 v[3:4], v[15:16], v[5:6]
	v_add_f64 v[11:12], v[3:4], -v[15:16]
	v_add_f64 v[5:6], v[5:6], -v[11:12]
.LBB39_746:
	s_or_b64 exec, exec, s[0:1]
	v_mul_f64 v[10:11], v[3:4], v[3:4]
	v_add_f64 v[12:13], v[5:6], v[5:6]
	s_mov_b32 s0, 0xc751c08c
	s_mov_b32 s1, 0x3ef5e089
	v_and_b32_e32 v9, 1, v9
	v_cmp_eq_u32_e32 vcc, 0, v9
	s_mov_b32 s16, 0x54442d18
	s_mov_b32 s17, 0xc00921fb
	v_fma_f64 v[14:15], v[3:4], v[3:4], -v[10:11]
	s_mov_b64 s[14:15], exec
	v_sub_f32_e32 v7, 1.0, v7
	v_fma_f64 v[12:13], v[3:4], v[12:13], v[14:15]
	v_add_f64 v[10:11], v[10:11], v[12:13]
	v_mov_b32_e32 v12, 0xa9a29f71
	v_mov_b32_e32 v13, 0xbf078809
	v_fma_f64 v[12:13], v[10:11], s[0:1], v[12:13]
	s_mov_b32 s0, 0x90a8aae0
	s_mov_b32 s1, 0x3f17746f
	v_fma_f64 v[12:13], v[10:11], v[12:13], s[0:1]
	s_mov_b32 s0, 0xa6fbf144
	s_mov_b32 s1, 0xbefbb44d
	;; [unrolled: 3-line block ×12, first 2 shown]
	v_fma_f64 v[12:13], v[10:11], v[12:13], s[0:1]
	s_movk_i32 s0, 0x1f8
	v_cmp_class_f64_e64 s[0:1], v[1:2], s0
	v_mul_f64 v[10:11], v[10:11], v[12:13]
	v_mul_f64 v[12:13], v[3:4], v[10:11]
	v_add_f64 v[14:15], v[3:4], v[12:13]
	v_fma_f64 v[10:11], v[3:4], v[10:11], -v[12:13]
	v_add_f64 v[3:4], v[14:15], -v[3:4]
	v_add_f64 v[5:6], v[5:6], v[10:11]
	v_add_f64 v[3:4], v[12:13], -v[3:4]
	v_add_f64 v[3:4], v[5:6], v[3:4]
	v_add_f64 v[5:6], v[14:15], v[3:4]
	v_rcp_f64_e32 v[10:11], v[5:6]
	v_fma_f64 v[12:13], -v[5:6], v[10:11], 1.0
	v_fma_f64 v[10:11], v[12:13], v[10:11], v[10:11]
	v_fma_f64 v[12:13], -v[5:6], v[10:11], 1.0
	v_fma_f64 v[10:11], v[12:13], v[10:11], v[10:11]
	v_add_f64 v[12:13], v[5:6], -v[14:15]
	v_mul_f64 v[14:15], v[5:6], v[10:11]
	v_add_f64 v[3:4], v[3:4], -v[12:13]
	v_fma_f64 v[12:13], v[10:11], v[5:6], -v[14:15]
	v_fma_f64 v[3:4], v[10:11], v[3:4], v[12:13]
	v_add_f64 v[12:13], v[14:15], v[3:4]
	v_add_f64 v[16:17], -v[12:13], 1.0
	v_add_f64 v[14:15], v[12:13], -v[14:15]
	v_add_f64 v[18:19], -v[16:17], 1.0
	v_add_f64 v[3:4], v[14:15], -v[3:4]
	v_add_f64 v[12:13], v[18:19], -v[12:13]
	v_add_f64 v[3:4], v[3:4], v[12:13]
	v_add_f64 v[3:4], v[16:17], v[3:4]
	v_mul_f64 v[3:4], v[10:11], v[3:4]
	v_add_f64 v[3:4], v[10:11], v[3:4]
	v_and_b32_e32 v10, 0x80000000, v2
	v_mov_b32_e32 v2, 0x7ff80000
	v_xor_b32_e32 v1, 0x80000000, v4
	v_cndmask_b32_e32 v3, v3, v5, vcc
	v_cndmask_b32_e32 v4, v1, v6, vcc
	v_cndmask_b32_e64 v1, 0, v3, s[0:1]
	v_xor_b32_e32 v3, v4, v10
	v_cndmask_b32_e64 v2, v2, v3, s[0:1]
	v_div_scale_f64 v[3:4], s[0:1], v[1:2], v[1:2], s[16:17]
	v_div_scale_f64 v[11:12], vcc, s[16:17], v[1:2], s[16:17]
	v_rcp_f64_e32 v[5:6], v[3:4]
	v_fma_f64 v[9:10], -v[3:4], v[5:6], 1.0
	v_fma_f64 v[5:6], v[5:6], v[9:10], v[5:6]
	v_fma_f64 v[9:10], -v[3:4], v[5:6], 1.0
	v_fma_f64 v[5:6], v[5:6], v[9:10], v[5:6]
	v_mul_f64 v[9:10], v[11:12], v[5:6]
	v_fma_f64 v[3:4], -v[3:4], v[9:10], v[11:12]
	v_div_fmas_f64 v[3:4], v[3:4], v[5:6], v[9:10]
	v_div_fixup_f64 v[1:2], v[3:4], v[1:2], s[16:17]
	v_cvt_f32_f64_e32 v1, v[1:2]
.LBB39_747:
	s_or_b64 exec, exec, s[12:13]
	s_orn2_b64 s[12:13], s[14:15], exec
.LBB39_748:
	s_or_b64 exec, exec, s[10:11]
	v_mov_b32_e32 v2, 0x7fc0
	s_and_saveexec_b64 s[0:1], s[12:13]
	s_cbranch_execz .LBB39_760
; %bb.749:
	s_mov_b32 s14, 0x41200000
	v_cmp_gt_f32_e32 vcc, s14, v7
	s_and_saveexec_b64 s[10:11], vcc
	s_cbranch_execz .LBB39_753
; %bb.750:
	s_mov_b64 s[12:13], 0
.LBB39_751:                             ; =>This Inner Loop Header: Depth=1
	v_div_scale_f32 v2, s[16:17], v7, v7, 1.0
	v_div_scale_f32 v3, vcc, 1.0, v7, 1.0
	v_rcp_f32_e32 v4, v2
	v_fma_f32 v5, -v2, v4, 1.0
	v_fmac_f32_e32 v4, v5, v4
	v_mul_f32_e32 v5, v3, v4
	v_fma_f32 v6, -v2, v5, v3
	v_fmac_f32_e32 v5, v6, v4
	v_fma_f32 v2, -v2, v5, v3
	v_div_fmas_f32 v2, v2, v4, v5
	v_div_fixup_f32 v2, v2, v7, 1.0
	v_add_f32_e32 v7, 1.0, v7
	v_cmp_ngt_f32_e32 vcc, s14, v7
	s_or_b64 s[12:13], vcc, s[12:13]
	v_sub_f32_e32 v1, v1, v2
	s_andn2_b64 exec, exec, s[12:13]
	s_cbranch_execnz .LBB39_751
; %bb.752:
	s_or_b64 exec, exec, s[12:13]
.LBB39_753:
	s_or_b64 exec, exec, s[10:11]
	s_mov_b32 s10, 0x41200000
	v_cmp_neq_f32_e32 vcc, s10, v7
                                        ; implicit-def: $vgpr2
	s_and_saveexec_b64 s[10:11], vcc
	s_xor_b64 s[10:11], exec, s[10:11]
	s_cbranch_execz .LBB39_757
; %bb.754:
	v_cvt_f64_f32_e32 v[2:3], v7
	s_mov_b32 s12, 0x85d8a000
	s_mov_b32 s13, 0x43763457
	v_cmp_gt_f64_e32 vcc, s[12:13], v[2:3]
	v_mov_b32_e32 v2, 0
	s_and_saveexec_b64 s[12:13], vcc
	s_cbranch_execz .LBB39_756
; %bb.755:
	v_mul_f32_e32 v2, v7, v7
	v_div_scale_f32 v3, s[14:15], v2, v2, 1.0
	v_div_scale_f32 v4, vcc, 1.0, v2, 1.0
	v_mov_b32_e32 v10, 0x3b820821
	v_rcp_f32_e32 v5, v3
	v_fma_f32 v6, -v3, v5, 1.0
	v_fmac_f32_e32 v5, v6, v5
	v_mul_f32_e32 v6, v4, v5
	v_fma_f32 v9, -v3, v6, v4
	v_fmac_f32_e32 v6, v9, v5
	v_fma_f32 v3, -v3, v6, v4
	v_div_fmas_f32 v3, v3, v5, v6
	v_mov_b32_e32 v4, 0x3daaaaab
	v_mov_b32_e32 v5, 0xbcaccacd
	;; [unrolled: 1-line block ×4, first 2 shown]
	v_div_fixup_f32 v2, v3, v2, 1.0
	v_fma_f32 v3, 0, v2, v4
	v_fmac_f32_e32 v5, v2, v3
	v_fmac_f32_e32 v6, v2, v5
	;; [unrolled: 1-line block ×4, first 2 shown]
	v_mov_b32_e32 v3, 0xbc088889
	v_fmac_f32_e32 v3, v2, v10
	v_fmac_f32_e32 v4, v2, v3
	v_mul_f32_e32 v2, v2, v4
.LBB39_756:
	s_or_b64 exec, exec, s[12:13]
	v_div_scale_f32 v3, s[12:13], v7, v7, -0.5
	v_div_scale_f32 v4, vcc, -0.5, v7, -0.5
	s_mov_b32 s12, 0x800000
	s_mov_b32 s13, 0x3f317217
	;; [unrolled: 1-line block ×3, first 2 shown]
	v_rcp_f32_e32 v5, v3
	v_fma_f32 v6, -v3, v5, 1.0
	v_fmac_f32_e32 v5, v6, v5
	v_mul_f32_e32 v6, v4, v5
	v_fma_f32 v9, -v3, v6, v4
	v_fmac_f32_e32 v6, v9, v5
	v_fma_f32 v3, -v3, v6, v4
	v_div_fmas_f32 v3, v3, v5, v6
	v_cmp_gt_f32_e32 vcc, s12, v7
	v_cndmask_b32_e64 v5, 0, 32, vcc
	v_ldexp_f32 v5, v7, v5
	v_log_f32_e32 v5, v5
	v_mov_b32_e32 v4, 0x41b17218
	v_cndmask_b32_e32 v4, 0, v4, vcc
	s_movk_i32 s12, 0x7fff
	v_mul_f32_e32 v9, 0x3f317217, v5
	v_fma_f32 v9, v5, s13, -v9
	v_fmac_f32_e32 v9, 0x3377d1cf, v5
	v_fmac_f32_e32 v9, 0x3f317217, v5
	v_cmp_lt_f32_e64 vcc, |v5|, s14
	v_cndmask_b32_e32 v5, v5, v9, vcc
	v_sub_f32_e32 v4, v5, v4
	v_mov_b32_e32 v6, 0x7fc0
	v_div_fixup_f32 v3, v3, v7, -0.5
	v_add_f32_e32 v3, v4, v3
	v_sub_f32_e32 v2, v3, v2
	v_add_f32_e32 v1, v1, v2
	v_bfe_u32 v2, v1, 16, 1
	v_cmp_o_f32_e32 vcc, v1, v1
	v_add3_u32 v1, v1, v2, s12
	v_cndmask_b32_sdwa v2, v6, v1, vcc dst_sel:DWORD dst_unused:UNUSED_PAD src0_sel:DWORD src1_sel:WORD_1
                                        ; implicit-def: $vgpr1
.LBB39_757:
	s_andn2_saveexec_b64 s[10:11], s[10:11]
; %bb.758:
	v_add_f32_e32 v1, 0x40101cb7, v1
	v_bfe_u32 v2, v1, 16, 1
	s_movk_i32 s12, 0x7fff
	v_add3_u32 v2, v1, v2, s12
	v_cmp_o_f32_e32 vcc, v1, v1
	v_mov_b32_e32 v1, 0x7fc0
	v_cndmask_b32_sdwa v2, v1, v2, vcc dst_sel:DWORD dst_unused:UNUSED_PAD src0_sel:DWORD src1_sel:WORD_1
; %bb.759:
	s_or_b64 exec, exec, s[10:11]
.LBB39_760:
	s_or_b64 exec, exec, s[0:1]
                                        ; implicit-def: $vgpr7
.LBB39_761:
	s_andn2_saveexec_b64 s[0:1], s[8:9]
; %bb.762:
	v_xor_b32_e32 v1, 0x80000000, v7
	v_and_b32_e32 v1, 0x80000000, v1
	v_or_b32_e32 v1, 0x7f800000, v1
	v_lshrrev_b32_e32 v2, 16, v1
; %bb.763:
	s_or_b64 exec, exec, s[0:1]
	v_mov_b32_e32 v1, s25
	s_and_b32 s14, s73, 0xff
	v_add_co_u32_e32 v0, vcc, s24, v0
	s_cmp_lt_i32 s14, 11
	v_addc_co_u32_e32 v1, vcc, 0, v1, vcc
	s_cbranch_scc1 .LBB39_771
; %bb.764:
	s_and_b32 s15, 0xffff, s14
	s_cmp_gt_i32 s15, 25
	s_cbranch_scc0 .LBB39_772
; %bb.765:
	s_cmp_gt_i32 s15, 28
	s_cbranch_scc0 .LBB39_773
; %bb.766:
	;; [unrolled: 3-line block ×4, first 2 shown]
	s_mov_b64 s[10:11], 0
	s_mov_b64 s[0:1], -1
	s_cmp_eq_u32 s15, 46
	s_mov_b64 s[8:9], 0
	s_cbranch_scc0 .LBB39_776
; %bb.769:
	v_and_b32_e32 v3, 0xffff, v2
	global_store_dword v[0:1], v3, off
	s_mov_b64 s[8:9], -1
	s_mov_b64 s[0:1], 0
	s_branch .LBB39_776
.LBB39_770:
	s_mov_b64 s[8:9], 0
	s_mov_b64 s[0:1], s[60:61]
	s_branch .LBB39_887
.LBB39_771:
	s_mov_b64 s[10:11], -1
	s_mov_b64 s[8:9], 0
	s_mov_b64 s[0:1], s[60:61]
	s_branch .LBB39_845
.LBB39_772:
	s_mov_b64 s[10:11], -1
	s_mov_b64 s[8:9], 0
	s_mov_b64 s[0:1], s[60:61]
	s_branch .LBB39_803
.LBB39_773:
	s_mov_b64 s[10:11], -1
	s_mov_b64 s[8:9], 0
	s_mov_b64 s[0:1], s[60:61]
	s_branch .LBB39_786
.LBB39_774:
	s_mov_b64 s[10:11], -1
	s_mov_b64 s[8:9], 0
	s_mov_b64 s[0:1], s[60:61]
	s_branch .LBB39_782
.LBB39_775:
	s_mov_b64 s[10:11], -1
	s_mov_b64 s[8:9], 0
	s_mov_b64 s[0:1], s[60:61]
.LBB39_776:
	s_and_b64 vcc, exec, s[10:11]
	s_cbranch_vccz .LBB39_781
; %bb.777:
	s_cmp_eq_u32 s15, 44
	s_mov_b64 s[0:1], -1
	s_cbranch_scc0 .LBB39_781
; %bb.778:
	v_and_b32_e32 v4, 0xffff, v2
	v_bfe_u32 v3, v4, 7, 8
	s_movk_i32 s0, 0xff
	v_cmp_ne_u32_e32 vcc, s0, v3
	v_mov_b32_e32 v5, 0xff
	s_and_saveexec_b64 s[8:9], vcc
	s_cbranch_execz .LBB39_780
; %bb.779:
	v_lshlrev_b32_e32 v6, 16, v4
	s_mov_b32 s0, 0x3f0000
	v_lshrrev_b32_e32 v5, 7, v4
	v_and_b32_e32 v4, 64, v4
	v_and_or_b32 v3, v6, s0, v3
	v_cmp_ne_u32_e32 vcc, 0, v4
	v_cmp_ne_u32_e64 s[0:1], 0, v3
	s_and_b64 s[0:1], vcc, s[0:1]
	v_cndmask_b32_e64 v3, 0, 1, s[0:1]
	v_add_u32_e32 v5, v5, v3
.LBB39_780:
	s_or_b64 exec, exec, s[8:9]
	s_mov_b64 s[8:9], -1
	s_mov_b64 s[0:1], 0
	global_store_byte v[0:1], v5, off
.LBB39_781:
	s_mov_b64 s[10:11], 0
.LBB39_782:
	s_and_b64 vcc, exec, s[10:11]
	s_cbranch_vccz .LBB39_785
; %bb.783:
	s_cmp_eq_u32 s15, 29
	s_mov_b64 s[0:1], -1
	s_cbranch_scc0 .LBB39_785
; %bb.784:
	v_lshlrev_b32_e32 v3, 16, v2
	v_trunc_f32_e32 v3, v3
	v_mul_f32_e32 v4, 0x2f800000, v3
	v_floor_f32_e32 v5, v4
	v_fmac_f32_e32 v3, 0xcf800000, v5
	v_cvt_u32_f32_e32 v4, v5
	v_cvt_u32_f32_e32 v3, v3
	s_mov_b64 s[8:9], -1
	s_mov_b64 s[0:1], 0
	s_mov_b64 s[10:11], 0
	global_store_dwordx2 v[0:1], v[3:4], off
	s_branch .LBB39_786
.LBB39_785:
	s_mov_b64 s[10:11], 0
.LBB39_786:
	s_and_b64 vcc, exec, s[10:11]
	s_cbranch_vccz .LBB39_802
; %bb.787:
	s_cmp_lt_i32 s15, 27
	s_mov_b64 s[8:9], -1
	s_cbranch_scc1 .LBB39_793
; %bb.788:
	s_cmp_gt_i32 s15, 27
	s_cbranch_scc0 .LBB39_790
; %bb.789:
	v_lshlrev_b32_e32 v3, 16, v2
	v_cvt_u32_f32_e32 v3, v3
	s_mov_b64 s[8:9], 0
	global_store_dword v[0:1], v3, off
.LBB39_790:
	s_andn2_b64 vcc, exec, s[8:9]
	s_cbranch_vccnz .LBB39_792
; %bb.791:
	v_lshlrev_b32_e32 v3, 16, v2
	v_cvt_u32_f32_e32 v3, v3
	global_store_short v[0:1], v3, off
.LBB39_792:
	s_mov_b64 s[8:9], 0
.LBB39_793:
	s_andn2_b64 vcc, exec, s[8:9]
	s_cbranch_vccnz .LBB39_801
; %bb.794:
	v_lshlrev_b32_e32 v5, 16, v2
	v_and_b32_e32 v4, 0x7fffffff, v5
	s_mov_b32 s8, 0x43800000
	v_cmp_gt_u32_e32 vcc, s8, v4
	v_mov_b32_e32 v6, 0x80
	s_and_saveexec_b64 s[8:9], vcc
	s_cbranch_execz .LBB39_800
; %bb.795:
	s_mov_b32 s10, 0x3bffffff
	v_and_b32_e32 v3, 0xffff, v2
	v_cmp_lt_u32_e32 vcc, s10, v4
	s_mov_b64 s[10:11], 0
                                        ; implicit-def: $vgpr4
	s_and_saveexec_b64 s[12:13], vcc
	s_xor_b64 s[12:13], exec, s[12:13]
	s_cbranch_execz .LBB39_917
; %bb.796:
	v_bfe_u32 v4, v3, 4, 1
	s_mov_b32 s16, 0x487ffff
	v_add3_u32 v4, v5, v4, s16
	s_mov_b64 s[10:11], exec
	v_lshrrev_b32_e32 v4, 20, v4
                                        ; implicit-def: $vgpr5
	s_andn2_saveexec_b64 s[12:13], s[12:13]
	s_cbranch_execnz .LBB39_918
.LBB39_797:
	s_or_b64 exec, exec, s[12:13]
	v_mov_b32_e32 v6, 0
	s_and_saveexec_b64 s[12:13], s[10:11]
.LBB39_798:
	v_lshrrev_b32_e32 v3, 8, v3
	s_movk_i32 s10, 0x80
	v_and_or_b32 v6, v3, s10, v4
.LBB39_799:
	s_or_b64 exec, exec, s[12:13]
.LBB39_800:
	s_or_b64 exec, exec, s[8:9]
	global_store_byte v[0:1], v6, off
.LBB39_801:
	s_mov_b64 s[8:9], -1
.LBB39_802:
	s_mov_b64 s[10:11], 0
.LBB39_803:
	s_and_b64 vcc, exec, s[10:11]
	s_cbranch_vccz .LBB39_844
; %bb.804:
	s_cmp_gt_i32 s15, 22
	s_mov_b64 s[10:11], -1
	s_cbranch_scc0 .LBB39_836
; %bb.805:
	s_cmp_lt_i32 s15, 24
	s_mov_b64 s[8:9], -1
	s_cbranch_scc1 .LBB39_825
; %bb.806:
	s_cmp_gt_i32 s15, 24
	s_cbranch_scc0 .LBB39_814
; %bb.807:
	v_lshlrev_b32_e32 v5, 16, v2
	v_and_b32_e32 v4, 0x7fffffff, v5
	s_mov_b32 s8, 0x47800000
	v_cmp_gt_u32_e32 vcc, s8, v4
	v_mov_b32_e32 v6, 0x80
	s_and_saveexec_b64 s[8:9], vcc
	s_cbranch_execz .LBB39_813
; %bb.808:
	s_mov_b32 s10, 0x37ffffff
	v_and_b32_e32 v3, 0xffff, v2
	v_cmp_lt_u32_e32 vcc, s10, v4
	s_mov_b64 s[10:11], 0
                                        ; implicit-def: $vgpr4
	s_and_saveexec_b64 s[12:13], vcc
	s_xor_b64 s[12:13], exec, s[12:13]
	s_cbranch_execz .LBB39_920
; %bb.809:
	v_bfe_u32 v4, v3, 5, 1
	s_mov_b32 s16, 0x88fffff
	v_add3_u32 v4, v5, v4, s16
	s_mov_b64 s[10:11], exec
	v_lshrrev_b32_e32 v4, 21, v4
                                        ; implicit-def: $vgpr5
	s_andn2_saveexec_b64 s[12:13], s[12:13]
	s_cbranch_execnz .LBB39_921
.LBB39_810:
	s_or_b64 exec, exec, s[12:13]
	v_mov_b32_e32 v6, 0
	s_and_saveexec_b64 s[12:13], s[10:11]
.LBB39_811:
	v_lshrrev_b32_e32 v3, 8, v3
	s_movk_i32 s10, 0x80
	v_and_or_b32 v6, v3, s10, v4
.LBB39_812:
	s_or_b64 exec, exec, s[12:13]
.LBB39_813:
	s_or_b64 exec, exec, s[8:9]
	s_mov_b64 s[8:9], 0
	global_store_byte v[0:1], v6, off
.LBB39_814:
	s_and_b64 vcc, exec, s[8:9]
	s_cbranch_vccz .LBB39_824
; %bb.815:
	v_lshlrev_b32_e32 v5, 16, v2
	v_and_b32_e32 v6, 0x7fffffff, v5
	s_mov_b32 s8, 0x43f00000
	v_and_b32_e32 v3, 0xffff, v2
	v_cmp_gt_u32_e32 vcc, s8, v6
                                        ; implicit-def: $vgpr4
	s_and_saveexec_b64 s[8:9], vcc
	s_xor_b64 s[8:9], exec, s[8:9]
	s_cbranch_execz .LBB39_821
; %bb.816:
	s_mov_b32 s10, 0x3c7fffff
	v_cmp_lt_u32_e32 vcc, s10, v6
                                        ; implicit-def: $vgpr4
	s_and_saveexec_b64 s[10:11], vcc
	s_xor_b64 s[10:11], exec, s[10:11]
; %bb.817:
	v_bfe_u32 v4, v3, 4, 1
	s_mov_b32 s12, 0x407ffff
	v_add3_u32 v4, v5, v4, s12
	v_lshrrev_b32_e32 v5, 20, v4
	v_and_b32_e32 v4, 0xff00000, v4
	s_mov_b32 s12, 0x7f00000
	v_mov_b32_e32 v6, 0x7e
	v_cmp_ne_u32_e32 vcc, s12, v4
	v_cndmask_b32_e32 v4, v6, v5, vcc
                                        ; implicit-def: $vgpr5
; %bb.818:
	s_andn2_saveexec_b64 s[10:11], s[10:11]
; %bb.819:
	s_mov_b32 s12, 0x46800000
	v_add_f32_e64 v4, |v5|, s12
; %bb.820:
	s_or_b64 exec, exec, s[10:11]
                                        ; implicit-def: $vgpr6
.LBB39_821:
	s_andn2_saveexec_b64 s[8:9], s[8:9]
; %bb.822:
	s_mov_b32 s10, 0x7f800000
	v_mov_b32_e32 v4, 0x7e
	v_mov_b32_e32 v5, 0x7f
	v_cmp_lt_u32_e32 vcc, s10, v6
	v_cndmask_b32_e32 v4, v4, v5, vcc
; %bb.823:
	s_or_b64 exec, exec, s[8:9]
	v_lshrrev_b32_e32 v3, 8, v3
	s_movk_i32 s8, 0x80
	v_and_or_b32 v3, v3, s8, v4
	global_store_byte v[0:1], v3, off
.LBB39_824:
	s_mov_b64 s[8:9], 0
.LBB39_825:
	s_andn2_b64 vcc, exec, s[8:9]
	s_cbranch_vccnz .LBB39_835
; %bb.826:
	v_lshlrev_b32_e32 v5, 16, v2
	v_and_b32_e32 v6, 0x7fffffff, v5
	s_mov_b32 s8, 0x47800000
	v_and_b32_e32 v3, 0xffff, v2
	v_cmp_gt_u32_e32 vcc, s8, v6
                                        ; implicit-def: $vgpr4
	s_and_saveexec_b64 s[8:9], vcc
	s_xor_b64 s[8:9], exec, s[8:9]
	s_cbranch_execz .LBB39_832
; %bb.827:
	s_mov_b32 s10, 0x387fffff
	v_cmp_lt_u32_e32 vcc, s10, v6
                                        ; implicit-def: $vgpr4
	s_and_saveexec_b64 s[10:11], vcc
	s_xor_b64 s[10:11], exec, s[10:11]
; %bb.828:
	v_bfe_u32 v4, v3, 5, 1
	s_mov_b32 s12, 0x80fffff
	v_add3_u32 v4, v5, v4, s12
	v_lshrrev_b32_e32 v4, 21, v4
                                        ; implicit-def: $vgpr5
; %bb.829:
	s_andn2_saveexec_b64 s[10:11], s[10:11]
; %bb.830:
	s_mov_b32 s12, 0x43000000
	v_add_f32_e64 v4, |v5|, s12
; %bb.831:
	s_or_b64 exec, exec, s[10:11]
                                        ; implicit-def: $vgpr6
.LBB39_832:
	s_andn2_saveexec_b64 s[8:9], s[8:9]
; %bb.833:
	s_mov_b32 s10, 0x7f800000
	v_mov_b32_e32 v4, 0x7c
	v_mov_b32_e32 v5, 0x7f
	v_cmp_lt_u32_e32 vcc, s10, v6
	v_cndmask_b32_e32 v4, v4, v5, vcc
; %bb.834:
	s_or_b64 exec, exec, s[8:9]
	v_lshrrev_b32_e32 v3, 8, v3
	s_movk_i32 s8, 0x80
	v_and_or_b32 v3, v3, s8, v4
	global_store_byte v[0:1], v3, off
.LBB39_835:
	s_mov_b64 s[10:11], 0
	s_mov_b64 s[8:9], -1
.LBB39_836:
	s_andn2_b64 vcc, exec, s[10:11]
	s_cbranch_vccnz .LBB39_844
; %bb.837:
	s_cmp_gt_i32 s15, 14
	s_mov_b64 s[10:11], -1
	s_cbranch_scc0 .LBB39_841
; %bb.838:
	s_cmp_eq_u32 s15, 15
	s_mov_b64 s[0:1], -1
	s_cbranch_scc0 .LBB39_840
; %bb.839:
	global_store_short v[0:1], v2, off
	s_mov_b64 s[8:9], -1
	s_mov_b64 s[0:1], 0
.LBB39_840:
	s_mov_b64 s[10:11], 0
.LBB39_841:
	s_and_b64 vcc, exec, s[10:11]
	s_cbranch_vccz .LBB39_844
; %bb.842:
	s_cmp_eq_u32 s15, 11
	s_mov_b64 s[0:1], -1
	s_cbranch_scc0 .LBB39_844
; %bb.843:
	v_and_b32_e32 v3, 0x7fff, v2
	v_cmp_ne_u16_e32 vcc, 0, v3
	v_cndmask_b32_e64 v3, 0, 1, vcc
	s_mov_b64 s[8:9], -1
	s_mov_b64 s[0:1], 0
	global_store_byte v[0:1], v3, off
.LBB39_844:
	s_mov_b64 s[10:11], 0
.LBB39_845:
	s_and_b64 vcc, exec, s[10:11]
	s_cbranch_vccz .LBB39_884
; %bb.846:
	s_and_b32 s10, 0xffff, s14
	s_cmp_lt_i32 s10, 5
	s_mov_b64 s[8:9], -1
	s_cbranch_scc1 .LBB39_867
; %bb.847:
	s_cmp_lt_i32 s10, 8
	s_cbranch_scc1 .LBB39_857
; %bb.848:
	s_cmp_lt_i32 s10, 9
	s_cbranch_scc1 .LBB39_854
; %bb.849:
	s_cmp_gt_i32 s10, 9
	s_cbranch_scc0 .LBB39_851
; %bb.850:
	v_lshlrev_b32_e32 v3, 16, v2
	v_cvt_f64_f32_e32 v[3:4], v3
	v_mov_b32_e32 v5, 0
	v_mov_b32_e32 v6, v5
	s_mov_b64 s[8:9], 0
	global_store_dwordx4 v[0:1], v[3:6], off
.LBB39_851:
	s_andn2_b64 vcc, exec, s[8:9]
	s_cbranch_vccnz .LBB39_853
; %bb.852:
	v_lshlrev_b32_e32 v3, 16, v2
	v_mov_b32_e32 v4, 0
	global_store_dwordx2 v[0:1], v[3:4], off
.LBB39_853:
	s_mov_b64 s[8:9], 0
.LBB39_854:
	s_andn2_b64 vcc, exec, s[8:9]
	s_cbranch_vccnz .LBB39_856
; %bb.855:
	v_lshlrev_b32_e32 v3, 16, v2
	v_cvt_f16_f32_e32 v3, v3
	global_store_dword v[0:1], v3, off
.LBB39_856:
	s_mov_b64 s[8:9], 0
.LBB39_857:
	s_andn2_b64 vcc, exec, s[8:9]
	s_cbranch_vccnz .LBB39_866
; %bb.858:
	s_cmp_lt_i32 s10, 6
	s_mov_b64 s[8:9], -1
	s_cbranch_scc1 .LBB39_864
; %bb.859:
	s_cmp_gt_i32 s10, 6
	s_cbranch_scc0 .LBB39_861
; %bb.860:
	v_lshlrev_b32_e32 v3, 16, v2
	v_cvt_f64_f32_e32 v[3:4], v3
	s_mov_b64 s[8:9], 0
	global_store_dwordx2 v[0:1], v[3:4], off
.LBB39_861:
	s_andn2_b64 vcc, exec, s[8:9]
	s_cbranch_vccnz .LBB39_863
; %bb.862:
	v_lshlrev_b32_e32 v3, 16, v2
	global_store_dword v[0:1], v3, off
.LBB39_863:
	s_mov_b64 s[8:9], 0
.LBB39_864:
	s_andn2_b64 vcc, exec, s[8:9]
	s_cbranch_vccnz .LBB39_866
; %bb.865:
	v_lshlrev_b32_e32 v3, 16, v2
	v_cvt_f16_f32_e32 v3, v3
	global_store_short v[0:1], v3, off
.LBB39_866:
	s_mov_b64 s[8:9], 0
.LBB39_867:
	s_andn2_b64 vcc, exec, s[8:9]
	s_cbranch_vccnz .LBB39_883
; %bb.868:
	s_cmp_lt_i32 s10, 2
	s_mov_b64 s[8:9], -1
	s_cbranch_scc1 .LBB39_878
; %bb.869:
	s_cmp_lt_i32 s10, 3
	s_cbranch_scc1 .LBB39_875
; %bb.870:
	s_cmp_gt_i32 s10, 3
	s_cbranch_scc0 .LBB39_872
; %bb.871:
	v_lshlrev_b32_e32 v3, 16, v2
	v_trunc_f32_e32 v3, v3
	s_mov_b32 s8, 0x2f800000
	v_mul_f32_e64 v4, |v3|, s8
	v_floor_f32_e32 v4, v4
	s_mov_b32 s8, 0xcf800000
	v_cvt_u32_f32_e32 v5, v4
	v_fma_f32 v4, v4, s8, |v3|
	v_cvt_u32_f32_e32 v4, v4
	v_ashrrev_i32_e32 v6, 31, v3
	v_xor_b32_e32 v5, v5, v6
	s_mov_b64 s[8:9], 0
	v_xor_b32_e32 v3, v4, v6
	v_sub_co_u32_e32 v3, vcc, v3, v6
	v_subb_co_u32_e32 v4, vcc, v5, v6, vcc
	global_store_dwordx2 v[0:1], v[3:4], off
.LBB39_872:
	s_andn2_b64 vcc, exec, s[8:9]
	s_cbranch_vccnz .LBB39_874
; %bb.873:
	v_lshlrev_b32_e32 v3, 16, v2
	v_cvt_i32_f32_e32 v3, v3
	global_store_dword v[0:1], v3, off
.LBB39_874:
	s_mov_b64 s[8:9], 0
.LBB39_875:
	s_andn2_b64 vcc, exec, s[8:9]
	s_cbranch_vccnz .LBB39_877
; %bb.876:
	v_lshlrev_b32_e32 v3, 16, v2
	v_cvt_i32_f32_e32 v3, v3
	global_store_short v[0:1], v3, off
.LBB39_877:
	s_mov_b64 s[8:9], 0
.LBB39_878:
	s_andn2_b64 vcc, exec, s[8:9]
	s_cbranch_vccnz .LBB39_883
; %bb.879:
	s_mov_b64 s[8:9], -1
	s_cmp_gt_i32 s10, 0
	v_lshlrev_b32_e32 v2, 16, v2
	s_cbranch_scc0 .LBB39_881
; %bb.880:
	v_cvt_i32_f32_e32 v3, v2
	s_mov_b64 s[8:9], 0
	global_store_byte v[0:1], v3, off
.LBB39_881:
	s_andn2_b64 vcc, exec, s[8:9]
	s_cbranch_vccnz .LBB39_883
; %bb.882:
	v_trunc_f32_e32 v2, v2
	s_mov_b32 s8, 0x2f800000
	v_mul_f32_e64 v3, |v2|, s8
	v_floor_f32_e32 v3, v3
	s_mov_b32 s8, 0xcf800000
	v_fma_f32 v3, v3, s8, |v2|
	v_cvt_u32_f32_e32 v3, v3
	v_ashrrev_i32_e32 v2, 31, v2
	v_xor_b32_e32 v3, v3, v2
	v_sub_u32_e32 v2, v3, v2
	global_store_byte v[0:1], v2, off
.LBB39_883:
	s_mov_b64 s[8:9], -1
.LBB39_884:
	s_andn2_b64 vcc, exec, s[8:9]
	s_cbranch_vccnz .LBB39_886
; %bb.885:
	v_add_u32_e32 v8, 0x80, v8
	s_mov_b64 s[8:9], -1
	s_branch .LBB39_888
.LBB39_886:
	s_mov_b64 s[8:9], 0
.LBB39_887:
                                        ; implicit-def: $vgpr8
.LBB39_888:
	s_andn2_b64 s[10:11], s[60:61], exec
	s_and_b64 s[0:1], s[0:1], exec
	s_or_b64 s[68:69], s[10:11], s[0:1]
	s_andn2_b64 s[0:1], s[58:59], exec
	s_and_b64 s[2:3], s[2:3], exec
	s_or_b64 s[66:67], s[0:1], s[2:3]
	s_orn2_b64 s[2:3], s[8:9], exec
.LBB39_889:
	s_or_b64 exec, exec, s[64:65]
	s_mov_b64 s[0:1], 0
	s_mov_b64 s[8:9], 0
	;; [unrolled: 1-line block ×3, first 2 shown]
                                        ; implicit-def: $vgpr1_vgpr2
                                        ; implicit-def: $vgpr0
                                        ; implicit-def: $vgpr4
	s_and_saveexec_b64 s[64:65], s[2:3]
	s_cbranch_execz .LBB39_988
; %bb.890:
	v_cmp_gt_i32_e32 vcc, s70, v8
	s_mov_b64 s[2:3], 0
	s_mov_b64 s[12:13], s[66:67]
                                        ; implicit-def: $vgpr1_vgpr2
                                        ; implicit-def: $vgpr0
                                        ; implicit-def: $vgpr4
	s_and_saveexec_b64 s[70:71], vcc
	s_cbranch_execz .LBB39_987
; %bb.891:
	s_andn2_b64 vcc, exec, s[40:41]
	s_cbranch_vccnz .LBB39_896
; %bb.892:
	s_andn2_b64 vcc, exec, s[50:51]
	s_cbranch_vccnz .LBB39_897
; %bb.893:
	s_add_i32 s76, s75, 1
	s_cmp_eq_u32 s72, 2
	s_cbranch_scc1 .LBB39_898
; %bb.894:
	s_and_b32 s75, s76, 28
	v_mov_b32_e32 v2, 0
	s_mov_b32 s77, 0
	s_mov_b64 s[50:51], s[34:35]
	v_mov_b32_e32 v0, 0
	v_mov_b32_e32 v1, v8
.LBB39_895:                             ; =>This Inner Loop Header: Depth=1
	s_load_dwordx8 s[16:23], s[50:51], 0x4
	s_load_dwordx4 s[0:3], s[50:51], 0x24
	s_load_dwordx8 s[8:15], s[48:49], 0x0
	s_add_u32 s50, s50, 48
	s_addc_u32 s51, s51, 0
	s_waitcnt vmcnt(0) lgkmcnt(0)
	v_mul_hi_u32 v3, s17, v1
	s_add_i32 s77, s77, 4
	s_add_u32 s48, s48, 32
	s_addc_u32 s49, s49, 0
	v_add_u32_e32 v3, v1, v3
	v_lshrrev_b32_e32 v3, s18, v3
	v_mul_lo_u32 v4, v3, s16
	v_mul_hi_u32 v5, s20, v3
	s_cmp_eq_u32 s75, s77
	v_sub_u32_e32 v1, v1, v4
	v_add_u32_e32 v4, v3, v5
	v_mul_lo_u32 v5, v1, s8
	v_mul_lo_u32 v6, v1, s9
	v_lshrrev_b32_e32 v1, s21, v4
	v_mul_lo_u32 v4, v1, s19
	v_mul_hi_u32 v7, s23, v1
	v_sub_u32_e32 v3, v3, v4
	v_add_u32_e32 v4, v1, v7
	v_lshrrev_b32_e32 v4, s0, v4
	v_mul_hi_u32 v9, s2, v4
	v_mul_lo_u32 v10, v4, s22
	v_mul_lo_u32 v7, v3, s10
	v_mul_lo_u32 v3, v3, s11
	v_sub_u32_e32 v10, v1, v10
	v_add_u32_e32 v1, v4, v9
	v_lshrrev_b32_e32 v1, s3, v1
	v_mul_lo_u32 v9, v1, s1
	v_mul_lo_u32 v11, v10, s12
	v_mul_lo_u32 v10, v10, s13
	v_add3_u32 v0, v5, v0, v7
	v_sub_u32_e32 v4, v4, v9
	v_mul_lo_u32 v9, v4, s14
	v_mul_lo_u32 v4, v4, s15
	v_add3_u32 v2, v6, v2, v3
	v_add3_u32 v0, v11, v0, v9
	v_add3_u32 v2, v10, v2, v4
	s_cbranch_scc0 .LBB39_895
	s_branch .LBB39_899
.LBB39_896:
	s_mov_b64 s[0:1], -1
                                        ; implicit-def: $vgpr0
                                        ; implicit-def: $vgpr2
	s_branch .LBB39_903
.LBB39_897:
	v_mov_b32_e32 v0, 0
	v_mov_b32_e32 v2, 0
	s_branch .LBB39_902
.LBB39_898:
	s_mov_b32 s75, 0
	v_mov_b32_e32 v0, 0
	v_mov_b32_e32 v2, 0
	;; [unrolled: 1-line block ×3, first 2 shown]
.LBB39_899:
	s_and_b32 s8, s76, 3
	s_cmp_eq_u32 s8, 0
	s_cbranch_scc1 .LBB39_902
; %bb.900:
	s_lshl_b32 s0, s75, 3
	s_add_u32 s0, s34, s0
	s_addc_u32 s1, s35, 0
	s_add_u32 s0, s0, 0xc4
	s_addc_u32 s1, s1, 0
	s_mul_i32 s2, s75, 12
	s_add_u32 s2, s34, s2
	s_addc_u32 s3, s35, 0
.LBB39_901:                             ; =>This Inner Loop Header: Depth=1
	s_load_dwordx2 s[10:11], s[2:3], 0x4
	s_load_dword s9, s[2:3], 0xc
	s_load_dwordx2 s[12:13], s[0:1], 0x0
	s_add_u32 s2, s2, 12
	s_addc_u32 s3, s3, 0
	s_waitcnt vmcnt(0) lgkmcnt(0)
	v_mul_hi_u32 v3, s11, v1
	s_add_u32 s0, s0, 8
	s_addc_u32 s1, s1, 0
	s_add_i32 s8, s8, -1
	v_add_u32_e32 v3, v1, v3
	v_lshrrev_b32_e32 v4, s9, v3
	v_mul_lo_u32 v3, v4, s10
	s_cmp_lg_u32 s8, 0
	v_sub_u32_e32 v3, v1, v3
	v_mad_u64_u32 v[0:1], s[10:11], v3, s12, v[0:1]
	v_mad_u64_u32 v[2:3], s[10:11], v3, s13, v[2:3]
	v_mov_b32_e32 v1, v4
	s_cbranch_scc1 .LBB39_901
.LBB39_902:
	s_mov_b64 s[0:1], 0
.LBB39_903:
	s_andn2_b64 vcc, exec, s[0:1]
	s_cbranch_vccnz .LBB39_906
; %bb.904:
	s_waitcnt lgkmcnt(0)
	v_mul_hi_u32 v0, s37, v8
	s_andn2_b64 vcc, exec, s[46:47]
	v_add_u32_e32 v0, v8, v0
	v_lshrrev_b32_e32 v1, s38, v0
	v_mul_lo_u32 v0, v1, s36
	v_sub_u32_e32 v2, v8, v0
	v_mul_lo_u32 v0, v2, s28
	v_mul_lo_u32 v2, v2, s29
	s_cbranch_vccnz .LBB39_906
; %bb.905:
	s_waitcnt vmcnt(0)
	v_mul_hi_u32 v3, s44, v1
	v_add_u32_e32 v3, v1, v3
	v_lshrrev_b32_e32 v3, s45, v3
	v_mul_lo_u32 v3, v3, s39
	v_sub_u32_e32 v3, v1, v3
	v_mad_u64_u32 v[0:1], s[0:1], v3, s30, v[0:1]
	v_mad_u64_u32 v[2:3], s[0:1], v3, s31, v[2:3]
.LBB39_906:
	s_waitcnt vmcnt(0) lgkmcnt(0)
	v_mov_b32_e32 v3, s27
	s_and_b32 s14, 0xffff, s74
	v_add_co_u32_e32 v1, vcc, s26, v2
	s_cmp_lt_i32 s14, 11
	v_addc_co_u32_e32 v2, vcc, 0, v3, vcc
	s_cbranch_scc1 .LBB39_913
; %bb.907:
	s_cmp_gt_i32 s14, 25
	s_mov_b64 s[2:3], 0
	s_cbranch_scc0 .LBB39_914
; %bb.908:
	s_cmp_gt_i32 s14, 28
	s_cbranch_scc0 .LBB39_915
; %bb.909:
	s_cmp_gt_i32 s14, 43
	s_cbranch_scc0 .LBB39_916
; %bb.910:
	s_cmp_gt_i32 s14, 45
	s_cbranch_scc0 .LBB39_919
; %bb.911:
	s_cmp_eq_u32 s14, 46
	s_mov_b64 s[10:11], 0
	s_cbranch_scc0 .LBB39_922
; %bb.912:
	global_load_dword v4, v[1:2], off
	s_mov_b64 s[0:1], 0
	s_mov_b64 s[8:9], -1
	s_branch .LBB39_923
.LBB39_913:
	s_mov_b64 s[12:13], -1
	s_mov_b64 s[8:9], 0
	s_mov_b64 s[2:3], 0
	;; [unrolled: 1-line block ×3, first 2 shown]
                                        ; implicit-def: $vgpr4
	s_branch .LBB39_986
.LBB39_914:
	s_mov_b64 s[10:11], -1
	s_mov_b64 s[8:9], 0
	s_mov_b64 s[0:1], s[66:67]
                                        ; implicit-def: $vgpr4
	s_branch .LBB39_952
.LBB39_915:
	s_mov_b64 s[10:11], -1
	s_mov_b64 s[8:9], 0
	s_mov_b64 s[0:1], s[66:67]
                                        ; implicit-def: $vgpr4
	s_branch .LBB39_933
.LBB39_916:
	s_mov_b64 s[10:11], -1
	s_mov_b64 s[8:9], 0
	s_mov_b64 s[0:1], s[66:67]
                                        ; implicit-def: $vgpr4
	s_branch .LBB39_928
.LBB39_917:
	s_andn2_saveexec_b64 s[12:13], s[12:13]
	s_cbranch_execz .LBB39_797
.LBB39_918:
	s_mov_b32 s16, 0x46000000
	v_add_f32_e64 v4, |v5|, s16
	v_and_b32_e32 v4, 0xff, v4
	v_cmp_ne_u32_e32 vcc, 0, v4
	s_andn2_b64 s[10:11], s[10:11], exec
	s_and_b64 s[16:17], vcc, exec
	s_or_b64 s[10:11], s[10:11], s[16:17]
	s_or_b64 exec, exec, s[12:13]
	v_mov_b32_e32 v6, 0
	s_and_saveexec_b64 s[12:13], s[10:11]
	s_cbranch_execnz .LBB39_798
	s_branch .LBB39_799
.LBB39_919:
	s_mov_b64 s[10:11], -1
	s_mov_b64 s[8:9], 0
	s_mov_b64 s[0:1], s[66:67]
                                        ; implicit-def: $vgpr4
	s_branch .LBB39_923
.LBB39_920:
	s_andn2_saveexec_b64 s[12:13], s[12:13]
	s_cbranch_execz .LBB39_810
.LBB39_921:
	s_mov_b32 s16, 0x42800000
	v_add_f32_e64 v4, |v5|, s16
	v_and_b32_e32 v4, 0xff, v4
	v_cmp_ne_u32_e32 vcc, 0, v4
	s_andn2_b64 s[10:11], s[10:11], exec
	s_and_b64 s[16:17], vcc, exec
	s_or_b64 s[10:11], s[10:11], s[16:17]
	s_or_b64 exec, exec, s[12:13]
	v_mov_b32_e32 v6, 0
	s_and_saveexec_b64 s[12:13], s[10:11]
	s_cbranch_execnz .LBB39_811
	s_branch .LBB39_812
.LBB39_922:
	s_mov_b64 s[0:1], -1
                                        ; implicit-def: $vgpr4
	s_mov_b64 s[8:9], 0
.LBB39_923:
	s_and_b64 vcc, exec, s[10:11]
	s_cbranch_vccz .LBB39_927
; %bb.924:
	s_cmp_eq_u32 s14, 44
	s_cbranch_scc0 .LBB39_926
; %bb.925:
	global_load_ubyte v3, v[1:2], off
	s_movk_i32 s8, 0xff
	s_waitcnt vmcnt(1)
	v_mov_b32_e32 v4, 0x7f800001
	v_mov_b32_e32 v5, 0x400000
	;; [unrolled: 1-line block ×3, first 2 shown]
	s_mov_b64 s[0:1], 0
	s_waitcnt vmcnt(0)
	v_lshlrev_b32_e32 v7, 23, v3
	v_cmp_ne_u32_e32 vcc, s8, v3
	v_cndmask_b32_e32 v4, v4, v7, vcc
	v_cmp_ne_u32_e32 vcc, 0, v3
	v_cndmask_b32_e32 v3, v5, v4, vcc
	v_add_u32_e32 v4, 0x7fff, v3
	v_cmp_o_f32_e32 vcc, v3, v3
	v_cndmask_b32_sdwa v4, v6, v4, vcc dst_sel:DWORD dst_unused:UNUSED_PAD src0_sel:DWORD src1_sel:WORD_1
	s_mov_b64 s[8:9], -1
	s_branch .LBB39_927
.LBB39_926:
	s_mov_b64 s[0:1], -1
                                        ; implicit-def: $vgpr4
.LBB39_927:
	s_mov_b64 s[10:11], 0
.LBB39_928:
	s_and_b64 vcc, exec, s[10:11]
	s_cbranch_vccz .LBB39_932
; %bb.929:
	s_cmp_eq_u32 s14, 29
	s_cbranch_scc0 .LBB39_931
; %bb.930:
	global_load_dwordx2 v[3:4], v[1:2], off
	s_movk_i32 s8, 0x7fff
	s_mov_b64 s[0:1], 0
	s_mov_b64 s[10:11], 0
	s_waitcnt vmcnt(0)
	v_ffbh_u32_e32 v5, v4
	v_min_u32_e32 v5, 32, v5
	v_lshlrev_b64 v[3:4], v5, v[3:4]
	v_min_u32_e32 v3, 1, v3
	v_or_b32_e32 v3, v4, v3
	v_cvt_f32_u32_e32 v3, v3
	v_sub_u32_e32 v4, 32, v5
	v_ldexp_f32 v3, v3, v4
	v_bfe_u32 v4, v3, 16, 1
	v_add3_u32 v3, v3, v4, s8
	v_lshrrev_b32_e32 v4, 16, v3
	s_mov_b64 s[8:9], -1
	s_branch .LBB39_933
.LBB39_931:
	s_mov_b64 s[0:1], -1
                                        ; implicit-def: $vgpr4
.LBB39_932:
	s_mov_b64 s[10:11], 0
.LBB39_933:
	s_and_b64 vcc, exec, s[10:11]
	s_cbranch_vccz .LBB39_951
; %bb.934:
	s_cmp_lt_i32 s14, 27
	s_cbranch_scc1 .LBB39_937
; %bb.935:
	s_cmp_gt_i32 s14, 27
	s_cbranch_scc0 .LBB39_938
; %bb.936:
	global_load_dword v3, v[1:2], off
	s_movk_i32 s8, 0x7fff
	s_waitcnt vmcnt(0)
	v_cvt_f32_u32_e32 v3, v3
	v_bfe_u32 v4, v3, 16, 1
	v_add3_u32 v3, v3, v4, s8
	v_lshrrev_b32_e32 v4, 16, v3
	s_mov_b64 s[8:9], 0
	s_branch .LBB39_939
.LBB39_937:
	s_mov_b64 s[8:9], -1
                                        ; implicit-def: $vgpr4
	s_branch .LBB39_942
.LBB39_938:
	s_mov_b64 s[8:9], -1
                                        ; implicit-def: $vgpr4
.LBB39_939:
	s_andn2_b64 vcc, exec, s[8:9]
	s_cbranch_vccnz .LBB39_941
; %bb.940:
	global_load_ushort v3, v[1:2], off
	s_movk_i32 s8, 0x7fff
	s_waitcnt vmcnt(0)
	v_cvt_f32_u32_e32 v3, v3
	v_bfe_u32 v4, v3, 16, 1
	v_add3_u32 v3, v3, v4, s8
	v_lshrrev_b32_e32 v4, 16, v3
.LBB39_941:
	s_mov_b64 s[8:9], 0
.LBB39_942:
	s_andn2_b64 vcc, exec, s[8:9]
	s_cbranch_vccnz .LBB39_950
; %bb.943:
	global_load_ubyte v3, v[1:2], off
	s_movk_i32 s8, 0x7f
	s_waitcnt vmcnt(0)
	v_cmp_lt_i16_e32 vcc, s8, v3
	s_mov_b64 s[8:9], 0
	s_and_saveexec_b64 s[10:11], vcc
	s_xor_b64 s[10:11], exec, s[10:11]
	s_cbranch_execz .LBB39_964
; %bb.944:
	s_movk_i32 s8, 0x80
	v_cmp_eq_u16_e32 vcc, s8, v3
	s_mov_b64 s[8:9], -1
	s_and_saveexec_b64 s[12:13], vcc
; %bb.945:
	s_xor_b64 s[8:9], exec, -1
; %bb.946:
	s_or_b64 exec, exec, s[12:13]
	s_and_b64 s[8:9], s[8:9], exec
	s_or_saveexec_b64 s[10:11], s[10:11]
	v_mov_b32_e32 v4, 0x7f800001
	s_xor_b64 exec, exec, s[10:11]
	s_cbranch_execnz .LBB39_965
.LBB39_947:
	s_or_b64 exec, exec, s[10:11]
	s_and_saveexec_b64 s[10:11], s[8:9]
	s_cbranch_execz .LBB39_949
.LBB39_948:
	v_lshlrev_b32_e32 v4, 24, v3
	v_and_b32_e32 v3, 0xffff, v3
	v_and_b32_e32 v5, 7, v3
	v_ffbh_u32_e32 v7, v5
	v_min_u32_e32 v7, 32, v7
	v_subrev_u32_e32 v8, 28, v7
	v_bfe_u32 v6, v3, 3, 4
	v_lshlrev_b32_e32 v3, v8, v3
	v_sub_u32_e32 v7, 29, v7
	v_and_b32_e32 v3, 7, v3
	v_cmp_eq_u32_e32 vcc, 0, v6
	v_cndmask_b32_e32 v6, v6, v7, vcc
	v_cndmask_b32_e32 v3, v5, v3, vcc
	v_mov_b32_e32 v5, 0x3b800000
	v_lshlrev_b32_e32 v3, 20, v3
	v_and_b32_e32 v4, 0x80000000, v4
	v_lshl_add_u32 v5, v6, 23, v5
	v_or3_b32 v4, v4, v5, v3
.LBB39_949:
	s_or_b64 exec, exec, s[10:11]
	v_bfe_u32 v3, v4, 16, 1
	s_movk_i32 s8, 0x7fff
	v_add3_u32 v3, v4, v3, s8
	v_cmp_o_f32_e32 vcc, v4, v4
	v_mov_b32_e32 v4, 0x7fc0
	v_cndmask_b32_sdwa v4, v4, v3, vcc dst_sel:DWORD dst_unused:UNUSED_PAD src0_sel:DWORD src1_sel:WORD_1
.LBB39_950:
	s_mov_b64 s[8:9], -1
.LBB39_951:
	s_mov_b64 s[10:11], 0
.LBB39_952:
	s_and_b64 vcc, exec, s[10:11]
	s_cbranch_vccz .LBB39_985
; %bb.953:
	s_cmp_gt_i32 s14, 22
	s_cbranch_scc0 .LBB39_963
; %bb.954:
	s_cmp_lt_i32 s14, 24
	s_cbranch_scc1 .LBB39_966
; %bb.955:
	s_cmp_gt_i32 s14, 24
	s_cbranch_scc0 .LBB39_967
; %bb.956:
	global_load_ubyte v3, v[1:2], off
	s_movk_i32 s2, 0x7f
	s_waitcnt vmcnt(0)
	v_cmp_lt_i16_e32 vcc, s2, v3
	s_mov_b64 s[2:3], 0
	s_and_saveexec_b64 s[8:9], vcc
	s_xor_b64 s[8:9], exec, s[8:9]
	s_cbranch_execz .LBB39_979
; %bb.957:
	s_movk_i32 s2, 0x80
	v_cmp_eq_u16_e32 vcc, s2, v3
	s_mov_b64 s[2:3], -1
	s_and_saveexec_b64 s[10:11], vcc
; %bb.958:
	s_xor_b64 s[2:3], exec, -1
; %bb.959:
	s_or_b64 exec, exec, s[10:11]
	s_and_b64 s[2:3], s[2:3], exec
	s_or_saveexec_b64 s[8:9], s[8:9]
	v_mov_b32_e32 v4, 0x7f800001
	s_xor_b64 exec, exec, s[8:9]
	s_cbranch_execnz .LBB39_980
.LBB39_960:
	s_or_b64 exec, exec, s[8:9]
	s_and_saveexec_b64 s[8:9], s[2:3]
	s_cbranch_execz .LBB39_962
.LBB39_961:
	v_lshlrev_b32_e32 v4, 24, v3
	v_and_b32_e32 v3, 0xffff, v3
	v_and_b32_e32 v5, 3, v3
	v_ffbh_u32_e32 v7, v5
	v_min_u32_e32 v7, 32, v7
	v_subrev_u32_e32 v8, 29, v7
	v_bfe_u32 v6, v3, 2, 5
	v_lshlrev_b32_e32 v3, v8, v3
	v_sub_u32_e32 v7, 30, v7
	v_and_b32_e32 v3, 3, v3
	v_cmp_eq_u32_e32 vcc, 0, v6
	v_cndmask_b32_e32 v6, v6, v7, vcc
	v_cndmask_b32_e32 v3, v5, v3, vcc
	v_mov_b32_e32 v5, 0x37800000
	v_lshlrev_b32_e32 v3, 21, v3
	v_and_b32_e32 v4, 0x80000000, v4
	v_lshl_add_u32 v5, v6, 23, v5
	v_or3_b32 v4, v4, v5, v3
.LBB39_962:
	s_or_b64 exec, exec, s[8:9]
	v_bfe_u32 v3, v4, 16, 1
	s_movk_i32 s2, 0x7fff
	v_add3_u32 v3, v4, v3, s2
	v_cmp_o_f32_e32 vcc, v4, v4
	v_mov_b32_e32 v4, 0x7fc0
	v_cndmask_b32_sdwa v4, v4, v3, vcc dst_sel:DWORD dst_unused:UNUSED_PAD src0_sel:DWORD src1_sel:WORD_1
	s_mov_b64 s[2:3], 0
	s_branch .LBB39_968
.LBB39_963:
	s_mov_b64 s[2:3], -1
                                        ; implicit-def: $vgpr4
	s_branch .LBB39_974
.LBB39_964:
	s_or_saveexec_b64 s[10:11], s[10:11]
	v_mov_b32_e32 v4, 0x7f800001
	s_xor_b64 exec, exec, s[10:11]
	s_cbranch_execz .LBB39_947
.LBB39_965:
	v_cmp_ne_u16_e32 vcc, 0, v3
	s_andn2_b64 s[8:9], s[8:9], exec
	s_and_b64 s[12:13], vcc, exec
	v_mov_b32_e32 v4, 0
	s_or_b64 s[8:9], s[8:9], s[12:13]
	s_or_b64 exec, exec, s[10:11]
	s_and_saveexec_b64 s[10:11], s[8:9]
	s_cbranch_execnz .LBB39_948
	s_branch .LBB39_949
.LBB39_966:
	s_mov_b64 s[2:3], -1
                                        ; implicit-def: $vgpr4
	s_branch .LBB39_971
.LBB39_967:
	s_mov_b64 s[2:3], -1
                                        ; implicit-def: $vgpr4
.LBB39_968:
	s_and_b64 vcc, exec, s[2:3]
	s_cbranch_vccz .LBB39_970
; %bb.969:
	global_load_ubyte v3, v[1:2], off
	s_mov_b32 s2, 0x7f800000
	s_brev_b32 s3, 1
	s_movk_i32 s8, 0x7fff
	s_waitcnt vmcnt(0)
	v_lshlrev_b32_e32 v3, 24, v3
	v_and_b32_e32 v4, 0x7f000000, v3
	v_ffbh_u32_e32 v5, v4
	v_min_u32_e32 v5, 32, v5
	v_sub_u32_e64 v5, v5, 4 clamp
	v_lshlrev_b32_e32 v7, v5, v4
	v_lshlrev_b32_e32 v5, 23, v5
	v_lshrrev_b32_e32 v7, 4, v7
	v_add_u32_e32 v6, 0x1000000, v4
	v_sub_u32_e32 v5, v7, v5
	v_ashrrev_i32_e32 v6, 8, v6
	v_add_u32_e32 v5, 0x3c000000, v5
	v_and_or_b32 v5, v6, s2, v5
	v_cmp_ne_u32_e32 vcc, 0, v4
	v_cndmask_b32_e32 v4, 0, v5, vcc
	v_and_or_b32 v3, v3, s3, v4
	v_bfe_u32 v4, v4, 16, 1
	v_add3_u32 v4, v3, v4, s8
	v_cmp_o_f32_e32 vcc, v3, v3
	v_mov_b32_e32 v3, 0x7fc0
	v_cndmask_b32_sdwa v4, v3, v4, vcc dst_sel:DWORD dst_unused:UNUSED_PAD src0_sel:DWORD src1_sel:WORD_1
.LBB39_970:
	s_mov_b64 s[2:3], 0
.LBB39_971:
	s_andn2_b64 vcc, exec, s[2:3]
	s_cbranch_vccnz .LBB39_973
; %bb.972:
	global_load_ubyte v3, v[1:2], off
	s_movk_i32 s2, 0x7f00
	s_brev_b32 s3, 16
	s_brev_b32 s8, 1
	s_movk_i32 s9, 0x7fff
	s_waitcnt vmcnt(0)
	v_lshlrev_b16_e32 v4, 8, v3
	v_lshlrev_b32_e32 v3, 25, v3
	v_lshrrev_b32_e32 v5, 4, v3
	v_and_or_b32 v6, v4, s2, 0.5
	v_or_b32_e32 v5, 0x70000000, v5
	v_add_f32_e32 v6, -0.5, v6
	v_mul_f32_e32 v5, 0x7800000, v5
	v_cmp_gt_u32_e32 vcc, s3, v3
	v_bfe_i32 v4, v4, 0, 16
	v_cndmask_b32_e32 v3, v5, v6, vcc
	v_and_or_b32 v4, v4, s8, v3
	v_bfe_u32 v3, v3, 16, 1
	v_add3_u32 v3, v4, v3, s9
	v_cmp_o_f32_e32 vcc, v4, v4
	v_mov_b32_e32 v4, 0x7fc0
	v_cndmask_b32_sdwa v4, v4, v3, vcc dst_sel:DWORD dst_unused:UNUSED_PAD src0_sel:DWORD src1_sel:WORD_1
.LBB39_973:
	s_mov_b64 s[2:3], 0
	s_mov_b64 s[8:9], -1
.LBB39_974:
	s_andn2_b64 vcc, exec, s[2:3]
	s_mov_b64 s[2:3], 0
	s_cbranch_vccnz .LBB39_985
; %bb.975:
	s_cmp_gt_i32 s14, 14
	s_cbranch_scc0 .LBB39_978
; %bb.976:
	s_cmp_eq_u32 s14, 15
	s_cbranch_scc0 .LBB39_981
; %bb.977:
	global_load_ushort v4, v[1:2], off
	s_mov_b64 s[0:1], 0
	s_mov_b64 s[8:9], -1
	s_branch .LBB39_982
.LBB39_978:
	s_mov_b64 s[10:11], -1
                                        ; implicit-def: $vgpr4
	s_branch .LBB39_983
.LBB39_979:
	s_or_saveexec_b64 s[8:9], s[8:9]
	v_mov_b32_e32 v4, 0x7f800001
	s_xor_b64 exec, exec, s[8:9]
	s_cbranch_execz .LBB39_960
.LBB39_980:
	v_cmp_ne_u16_e32 vcc, 0, v3
	s_andn2_b64 s[2:3], s[2:3], exec
	s_and_b64 s[10:11], vcc, exec
	v_mov_b32_e32 v4, 0
	s_or_b64 s[2:3], s[2:3], s[10:11]
	s_or_b64 exec, exec, s[8:9]
	s_and_saveexec_b64 s[8:9], s[2:3]
	s_cbranch_execnz .LBB39_961
	s_branch .LBB39_962
.LBB39_981:
	s_mov_b64 s[0:1], -1
                                        ; implicit-def: $vgpr4
.LBB39_982:
	s_mov_b64 s[10:11], 0
.LBB39_983:
	s_and_b64 vcc, exec, s[10:11]
	s_cbranch_vccz .LBB39_985
; %bb.984:
	s_cmp_lg_u32 s14, 11
	s_cselect_b64 s[10:11], -1, 0
	s_andn2_b64 s[0:1], s[0:1], exec
	s_and_b64 s[10:11], s[10:11], exec
	s_mov_b64 s[2:3], -1
	s_or_b64 s[0:1], s[0:1], s[10:11]
.LBB39_985:
	s_mov_b64 s[12:13], 0
.LBB39_986:
	s_and_b64 s[10:11], s[8:9], exec
	s_and_b64 s[8:9], s[12:13], exec
	s_andn2_b64 s[12:13], s[66:67], exec
	s_and_b64 s[0:1], s[0:1], exec
	s_and_b64 s[2:3], s[2:3], exec
	s_or_b64 s[12:13], s[12:13], s[0:1]
.LBB39_987:
	s_or_b64 exec, exec, s[70:71]
	s_and_b64 s[0:1], s[2:3], exec
	s_andn2_b64 s[2:3], s[66:67], exec
	s_and_b64 s[12:13], s[12:13], exec
	s_and_b64 s[10:11], s[10:11], exec
	;; [unrolled: 1-line block ×3, first 2 shown]
	s_or_b64 s[66:67], s[2:3], s[12:13]
.LBB39_988:
	s_or_b64 exec, exec, s[64:65]
	s_andn2_b64 s[2:3], s[60:61], exec
	s_and_b64 s[12:13], s[68:69], exec
	s_or_b64 s[60:61], s[2:3], s[12:13]
	s_and_b64 s[2:3], s[0:1], exec
	s_andn2_b64 s[0:1], s[58:59], exec
	s_and_b64 s[12:13], s[66:67], exec
	s_and_b64 s[10:11], s[10:11], exec
	;; [unrolled: 1-line block ×3, first 2 shown]
	s_or_b64 s[58:59], s[0:1], s[12:13]
.LBB39_989:
	s_or_b64 exec, exec, s[62:63]
	s_andn2_b64 s[0:1], s[52:53], exec
	s_and_b64 s[12:13], s[60:61], exec
	s_or_b64 s[52:53], s[0:1], s[12:13]
	s_and_b64 s[0:1], s[10:11], exec
	s_and_b64 s[10:11], s[8:9], exec
	;; [unrolled: 1-line block ×3, first 2 shown]
	s_andn2_b64 s[2:3], s[54:55], exec
	s_and_b64 s[8:9], s[58:59], exec
	s_or_b64 s[54:55], s[2:3], s[8:9]
	s_or_b64 exec, exec, s[56:57]
	s_mov_b64 s[2:3], 0
	s_and_saveexec_b64 s[8:9], s[54:55]
	s_cbranch_execz .LBB39_298
.LBB39_990:
	s_mov_b64 s[2:3], exec
	s_andn2_b64 s[60:61], s[60:61], exec
	s_trap 2
	s_or_b64 exec, exec, s[8:9]
	s_and_saveexec_b64 s[8:9], s[60:61]
	s_xor_b64 s[8:9], exec, s[8:9]
	s_cbranch_execnz .LBB39_299
.LBB39_991:
	s_or_b64 exec, exec, s[8:9]
	s_and_saveexec_b64 s[8:9], s[10:11]
	s_cbranch_execz .LBB39_1037
.LBB39_992:
	s_sext_i32_i16 s10, s74
	s_cmp_lt_i32 s10, 5
	s_cbranch_scc1 .LBB39_997
; %bb.993:
	s_cmp_lt_i32 s10, 8
	s_cbranch_scc1 .LBB39_998
; %bb.994:
	;; [unrolled: 3-line block ×3, first 2 shown]
	s_cmp_gt_i32 s10, 9
	s_cbranch_scc0 .LBB39_1000
; %bb.996:
	global_load_dwordx2 v[3:4], v[1:2], off
	s_movk_i32 s10, 0x7fff
	s_waitcnt vmcnt(0)
	v_cvt_f32_f64_e32 v3, v[3:4]
	v_mov_b32_e32 v4, 0x7fc0
	v_bfe_u32 v5, v3, 16, 1
	v_cmp_o_f32_e32 vcc, v3, v3
	v_add3_u32 v3, v3, v5, s10
	v_cndmask_b32_sdwa v4, v4, v3, vcc dst_sel:DWORD dst_unused:UNUSED_PAD src0_sel:DWORD src1_sel:WORD_1
	s_mov_b64 s[10:11], 0
	s_branch .LBB39_1001
.LBB39_997:
                                        ; implicit-def: $vgpr4
	s_branch .LBB39_1018
.LBB39_998:
                                        ; implicit-def: $vgpr4
	s_branch .LBB39_1007
.LBB39_999:
	s_mov_b64 s[10:11], -1
                                        ; implicit-def: $vgpr4
	s_branch .LBB39_1004
.LBB39_1000:
	s_mov_b64 s[10:11], -1
                                        ; implicit-def: $vgpr4
.LBB39_1001:
	s_andn2_b64 vcc, exec, s[10:11]
	s_cbranch_vccnz .LBB39_1003
; %bb.1002:
	global_load_dword v3, v[1:2], off
	s_movk_i32 s10, 0x7fff
	s_waitcnt vmcnt(1)
	v_mov_b32_e32 v4, 0x7fc0
	s_waitcnt vmcnt(0)
	v_bfe_u32 v5, v3, 16, 1
	v_cmp_o_f32_e32 vcc, v3, v3
	v_add3_u32 v3, v3, v5, s10
	v_cndmask_b32_sdwa v4, v4, v3, vcc dst_sel:DWORD dst_unused:UNUSED_PAD src0_sel:DWORD src1_sel:WORD_1
.LBB39_1003:
	s_mov_b64 s[10:11], 0
.LBB39_1004:
	s_andn2_b64 vcc, exec, s[10:11]
	s_cbranch_vccnz .LBB39_1006
; %bb.1005:
	global_load_dword v3, v[1:2], off
	s_movk_i32 s10, 0x7fff
	v_mov_b32_e32 v5, 0x7fc0
	s_waitcnt vmcnt(0)
	v_cvt_f32_f16_e32 v4, v3
	v_cmp_o_f16_e32 vcc, v3, v3
	v_bfe_u32 v3, v4, 16, 1
	v_add3_u32 v3, v4, v3, s10
	v_cndmask_b32_sdwa v4, v5, v3, vcc dst_sel:DWORD dst_unused:UNUSED_PAD src0_sel:DWORD src1_sel:WORD_1
.LBB39_1006:
	s_cbranch_execnz .LBB39_1017
.LBB39_1007:
	s_sext_i32_i16 s10, s74
	s_cmp_lt_i32 s10, 6
	s_cbranch_scc1 .LBB39_1010
; %bb.1008:
	s_cmp_gt_i32 s10, 6
	s_cbranch_scc0 .LBB39_1011
; %bb.1009:
	global_load_dwordx2 v[3:4], v[1:2], off
	s_movk_i32 s10, 0x7fff
	s_waitcnt vmcnt(0)
	v_cvt_f32_f64_e32 v3, v[3:4]
	v_mov_b32_e32 v4, 0x7fc0
	v_bfe_u32 v5, v3, 16, 1
	v_cmp_o_f32_e32 vcc, v3, v3
	v_add3_u32 v3, v3, v5, s10
	v_cndmask_b32_sdwa v4, v4, v3, vcc dst_sel:DWORD dst_unused:UNUSED_PAD src0_sel:DWORD src1_sel:WORD_1
	s_mov_b64 s[10:11], 0
	s_branch .LBB39_1012
.LBB39_1010:
	s_mov_b64 s[10:11], -1
                                        ; implicit-def: $vgpr4
	s_branch .LBB39_1015
.LBB39_1011:
	s_mov_b64 s[10:11], -1
                                        ; implicit-def: $vgpr4
.LBB39_1012:
	s_andn2_b64 vcc, exec, s[10:11]
	s_cbranch_vccnz .LBB39_1014
; %bb.1013:
	global_load_dword v3, v[1:2], off
	s_movk_i32 s10, 0x7fff
	s_waitcnt vmcnt(1)
	v_mov_b32_e32 v4, 0x7fc0
	s_waitcnt vmcnt(0)
	v_bfe_u32 v5, v3, 16, 1
	v_cmp_o_f32_e32 vcc, v3, v3
	v_add3_u32 v3, v3, v5, s10
	v_cndmask_b32_sdwa v4, v4, v3, vcc dst_sel:DWORD dst_unused:UNUSED_PAD src0_sel:DWORD src1_sel:WORD_1
.LBB39_1014:
	s_mov_b64 s[10:11], 0
.LBB39_1015:
	s_andn2_b64 vcc, exec, s[10:11]
	s_cbranch_vccnz .LBB39_1017
; %bb.1016:
	global_load_ushort v3, v[1:2], off
	s_movk_i32 s10, 0x7fff
	v_mov_b32_e32 v5, 0x7fc0
	s_waitcnt vmcnt(0)
	v_cvt_f32_f16_e32 v4, v3
	v_cmp_o_f16_e32 vcc, v3, v3
	v_bfe_u32 v3, v4, 16, 1
	v_add3_u32 v3, v4, v3, s10
	v_cndmask_b32_sdwa v4, v5, v3, vcc dst_sel:DWORD dst_unused:UNUSED_PAD src0_sel:DWORD src1_sel:WORD_1
.LBB39_1017:
	s_cbranch_execnz .LBB39_1036
.LBB39_1018:
	s_sext_i32_i16 s10, s74
	s_cmp_lt_i32 s10, 2
	s_cbranch_scc1 .LBB39_1022
; %bb.1019:
	s_cmp_lt_i32 s10, 3
	s_cbranch_scc1 .LBB39_1023
; %bb.1020:
	s_cmp_gt_i32 s10, 3
	s_cbranch_scc0 .LBB39_1024
; %bb.1021:
	global_load_dwordx2 v[3:4], v[1:2], off
	s_movk_i32 s10, 0x7fff
	s_waitcnt vmcnt(0)
	v_xor_b32_e32 v6, v3, v4
	v_ffbh_i32_e32 v5, v4
	v_ashrrev_i32_e32 v6, 31, v6
	v_add_u32_e32 v5, -1, v5
	v_add_u32_e32 v6, 32, v6
	v_min_u32_e32 v5, v5, v6
	v_lshlrev_b64 v[3:4], v5, v[3:4]
	v_min_u32_e32 v3, 1, v3
	v_or_b32_e32 v3, v4, v3
	v_cvt_f32_i32_e32 v3, v3
	v_sub_u32_e32 v4, 32, v5
	v_ldexp_f32 v3, v3, v4
	v_bfe_u32 v4, v3, 16, 1
	v_add3_u32 v3, v3, v4, s10
	v_lshrrev_b32_e32 v4, 16, v3
	s_mov_b64 s[10:11], 0
	s_branch .LBB39_1025
.LBB39_1022:
                                        ; implicit-def: $vgpr4
	s_branch .LBB39_1031
.LBB39_1023:
	s_mov_b64 s[10:11], -1
                                        ; implicit-def: $vgpr4
	s_branch .LBB39_1028
.LBB39_1024:
	s_mov_b64 s[10:11], -1
                                        ; implicit-def: $vgpr4
.LBB39_1025:
	s_andn2_b64 vcc, exec, s[10:11]
	s_cbranch_vccnz .LBB39_1027
; %bb.1026:
	global_load_dword v3, v[1:2], off
	s_movk_i32 s10, 0x7fff
	s_waitcnt vmcnt(0)
	v_cvt_f32_i32_e32 v3, v3
	v_bfe_u32 v4, v3, 16, 1
	v_add3_u32 v3, v3, v4, s10
	v_lshrrev_b32_e32 v4, 16, v3
.LBB39_1027:
	s_mov_b64 s[10:11], 0
.LBB39_1028:
	s_andn2_b64 vcc, exec, s[10:11]
	s_cbranch_vccnz .LBB39_1030
; %bb.1029:
	global_load_sshort v3, v[1:2], off
	s_movk_i32 s10, 0x7fff
	s_waitcnt vmcnt(0)
	v_cvt_f32_i32_e32 v3, v3
	v_bfe_u32 v4, v3, 16, 1
	v_add3_u32 v3, v3, v4, s10
	v_lshrrev_b32_e32 v4, 16, v3
.LBB39_1030:
	s_cbranch_execnz .LBB39_1036
.LBB39_1031:
	s_sext_i32_i16 s10, s74
	s_cmp_gt_i32 s10, 0
	s_cbranch_scc0 .LBB39_1033
; %bb.1032:
	global_load_sbyte v3, v[1:2], off
	s_movk_i32 s10, 0x7fff
	s_waitcnt vmcnt(0)
	v_cvt_f32_i32_e32 v3, v3
	v_bfe_u32 v4, v3, 16, 1
	v_add3_u32 v3, v3, v4, s10
	v_lshrrev_b32_e32 v4, 16, v3
	s_mov_b64 s[10:11], 0
	s_branch .LBB39_1034
.LBB39_1033:
	s_mov_b64 s[10:11], -1
                                        ; implicit-def: $vgpr4
.LBB39_1034:
	s_andn2_b64 vcc, exec, s[10:11]
	s_cbranch_vccnz .LBB39_1036
; %bb.1035:
	global_load_ubyte v1, v[1:2], off
	s_movk_i32 s10, 0x7fff
	s_waitcnt vmcnt(0)
	v_cvt_f32_ubyte0_e32 v1, v1
	v_bfe_u32 v2, v1, 16, 1
	v_add3_u32 v1, v1, v2, s10
	v_lshrrev_b32_e32 v4, 16, v1
.LBB39_1036:
	s_or_b64 s[0:1], s[0:1], exec
.LBB39_1037:
	s_or_b64 exec, exec, s[8:9]
	s_mov_b64 s[12:13], 0
	s_mov_b64 s[10:11], 0
                                        ; implicit-def: $sgpr18
                                        ; implicit-def: $vgpr1_vgpr2
                                        ; implicit-def: $vgpr3
	s_and_saveexec_b64 s[8:9], s[0:1]
	s_cbranch_execz .LBB39_1079
; %bb.1038:
	s_waitcnt vmcnt(0)
	v_lshlrev_b32_e32 v7, 16, v4
	v_cmp_neq_f32_e32 vcc, 0, v7
                                        ; implicit-def: $vgpr3
	s_and_saveexec_b64 s[0:1], vcc
	s_xor_b64 s[10:11], exec, s[0:1]
	s_cbranch_execz .LBB39_1060
; %bb.1039:
	v_mov_b32_e32 v1, 0
	v_cmp_gt_f32_e32 vcc, 0, v7
	s_mov_b64 s[14:15], -1
	s_and_saveexec_b64 s[12:13], vcc
	s_cbranch_execz .LBB39_1047
; %bb.1040:
	v_trunc_f32_e32 v1, v7
	v_cmp_neq_f32_e32 vcc, v1, v7
	s_mov_b64 s[16:17], 0
	v_mov_b32_e32 v1, 0
	s_and_saveexec_b64 s[14:15], vcc
	s_cbranch_execz .LBB39_1046
; %bb.1041:
	v_cvt_f64_f32_e32 v[1:2], v7
	s_mov_b32 s0, 0
	s_mov_b32 s17, 0xc00921fb
	;; [unrolled: 1-line block ×3, first 2 shown]
	v_trunc_f64_e32 v[3:4], v[1:2]
	s_mov_b32 s1, 0x7ff00000
	v_cmp_neq_f64_e64 vcc, |v[1:2]|, s[0:1]
	v_bfrev_b32_e32 v5, 1
	s_mov_b32 s18, 0
	s_mov_b32 s19, 0x41d00000
                                        ; implicit-def: $vgpr8
	v_add_f64 v[3:4], v[1:2], -v[3:4]
	v_mul_f64 v[3:4], |v[3:4]|, s[16:17]
	v_cndmask_b32_e32 v2, v5, v4, vcc
	v_cndmask_b32_e32 v1, 0, v3, vcc
	v_cmp_nlt_f64_e64 s[18:19], |v[1:2]|, s[18:19]
                                        ; implicit-def: $vgpr3_vgpr4
                                        ; implicit-def: $vgpr5_vgpr6
	s_and_saveexec_b64 s[20:21], s[18:19]
	s_xor_b64 s[18:19], exec, s[20:21]
	s_cbranch_execz .LBB39_1043
; %bb.1042:
	v_trig_preop_f64 v[3:4], |v[1:2]|, 0
	s_mov_b32 s20, 0
	s_mov_b32 s21, 0x7b000000
	s_movk_i32 s17, 0xff80
	v_ldexp_f64 v[8:9], |v[1:2]|, s17
	v_cmp_ge_f64_e64 vcc, |v[1:2]|, s[20:21]
	v_trig_preop_f64 v[5:6], |v[1:2]|, 1
	v_and_b32_e32 v10, 0x7fffffff, v2
	v_trig_preop_f64 v[16:17], |v[1:2]|, 2
	v_mov_b32_e32 v27, 0x40100000
	v_mov_b32_e32 v26, 0
	s_mov_b32 s17, 0x3ff921fb
	v_cndmask_b32_e32 v9, v10, v9, vcc
	v_cndmask_b32_e32 v8, v1, v8, vcc
	v_mul_f64 v[10:11], v[3:4], v[8:9]
	v_mul_f64 v[12:13], v[5:6], v[8:9]
	;; [unrolled: 1-line block ×3, first 2 shown]
	v_fma_f64 v[3:4], v[3:4], v[8:9], -v[10:11]
	v_fma_f64 v[5:6], v[5:6], v[8:9], -v[12:13]
	;; [unrolled: 1-line block ×3, first 2 shown]
	v_add_f64 v[14:15], v[12:13], v[3:4]
	v_add_f64 v[18:19], v[14:15], -v[12:13]
	v_add_f64 v[24:25], v[10:11], v[14:15]
	v_add_f64 v[20:21], v[14:15], -v[18:19]
	v_add_f64 v[3:4], v[3:4], -v[18:19]
	v_add_f64 v[18:19], v[22:23], v[5:6]
	v_add_f64 v[10:11], v[24:25], -v[10:11]
	v_add_f64 v[12:13], v[12:13], -v[20:21]
	v_ldexp_f64 v[20:21], v[24:25], -2
	v_add_f64 v[28:29], v[18:19], -v[22:23]
	v_add_f64 v[10:11], v[14:15], -v[10:11]
	v_add_f64 v[3:4], v[3:4], v[12:13]
	v_fract_f64_e32 v[12:13], v[20:21]
	v_cmp_neq_f64_e64 vcc, |v[20:21]|, s[0:1]
	v_add_f64 v[5:6], v[5:6], -v[28:29]
	v_add_f64 v[14:15], v[18:19], v[3:4]
	v_ldexp_f64 v[12:13], v[12:13], 2
	v_add_f64 v[20:21], v[10:11], v[14:15]
	v_cndmask_b32_e32 v13, 0, v13, vcc
	v_cndmask_b32_e32 v12, 0, v12, vcc
	v_add_f64 v[30:31], v[14:15], -v[18:19]
	v_add_f64 v[24:25], v[20:21], v[12:13]
	v_add_f64 v[10:11], v[20:21], -v[10:11]
	v_add_f64 v[32:33], v[14:15], -v[30:31]
	;; [unrolled: 1-line block ×3, first 2 shown]
	v_cmp_gt_f64_e32 vcc, 0, v[24:25]
	v_add_f64 v[24:25], v[18:19], -v[28:29]
	v_add_f64 v[10:11], v[14:15], -v[10:11]
	;; [unrolled: 1-line block ×3, first 2 shown]
	v_cndmask_b32_e32 v27, 0, v27, vcc
	v_add_f64 v[12:13], v[12:13], v[26:27]
	v_add_f64 v[24:25], v[22:23], -v[24:25]
	v_add_f64 v[3:4], v[3:4], v[18:19]
	v_add_f64 v[34:35], v[20:21], v[12:13]
	;; [unrolled: 1-line block ×3, first 2 shown]
	v_cvt_i32_f64_e32 v29, v[34:35]
	v_add_f64 v[3:4], v[5:6], v[3:4]
	v_cvt_f64_i32_e32 v[27:28], v29
	v_add_f64 v[12:13], v[12:13], -v[27:28]
	v_add_f64 v[3:4], v[8:9], v[3:4]
	v_add_f64 v[5:6], v[20:21], v[12:13]
	;; [unrolled: 1-line block ×3, first 2 shown]
	v_mov_b32_e32 v11, 0x3ff00000
	v_add_f64 v[8:9], v[5:6], -v[12:13]
	v_cmp_le_f64_e32 vcc, 0.5, v[5:6]
	v_add_f64 v[9:10], v[20:21], -v[8:9]
	v_cndmask_b32_e32 v27, 0, v11, vcc
	v_add_f64 v[5:6], v[5:6], -v[26:27]
	v_addc_co_u32_e64 v8, s[0:1], 0, v29, vcc
	s_mov_b32 s0, 0x33145c07
	s_mov_b32 s1, 0x3c91a626
	v_add_f64 v[3:4], v[3:4], v[9:10]
	v_add_f64 v[9:10], v[5:6], v[3:4]
	v_mul_f64 v[11:12], v[9:10], s[16:17]
	v_add_f64 v[5:6], v[9:10], -v[5:6]
	v_fma_f64 v[13:14], v[9:10], s[16:17], -v[11:12]
	v_add_f64 v[3:4], v[3:4], -v[5:6]
	v_fma_f64 v[5:6], v[9:10], s[0:1], v[13:14]
	v_fma_f64 v[5:6], v[3:4], s[16:17], v[5:6]
	v_add_f64 v[3:4], v[11:12], v[5:6]
	v_add_f64 v[9:10], v[3:4], -v[11:12]
	v_add_f64 v[5:6], v[5:6], -v[9:10]
.LBB39_1043:
	s_andn2_saveexec_b64 s[0:1], s[18:19]
	s_cbranch_execz .LBB39_1045
; %bb.1044:
	s_mov_b32 s16, 0x6dc9c883
	s_mov_b32 s17, 0x3fe45f30
	v_mul_f64 v[3:4], |v[1:2]|, s[16:17]
	s_mov_b32 s16, 0x54442d18
	s_mov_b32 s17, 0xbff921fb
	;; [unrolled: 1-line block ×4, first 2 shown]
	v_rndne_f64_e32 v[8:9], v[3:4]
	v_fma_f64 v[3:4], v[8:9], s[16:17], |v[1:2]|
	v_mul_f64 v[5:6], v[8:9], s[18:19]
	s_mov_b32 s16, 0x252049c0
	s_mov_b32 s17, 0xb97b839a
	v_fma_f64 v[14:15], v[8:9], s[18:19], v[3:4]
	v_add_f64 v[10:11], v[3:4], v[5:6]
	s_mov_b32 s19, 0x3c91a626
	v_add_f64 v[12:13], v[3:4], -v[10:11]
	v_add_f64 v[10:11], v[10:11], -v[14:15]
	v_add_f64 v[3:4], v[12:13], v[5:6]
	v_fma_f64 v[5:6], v[8:9], s[18:19], v[5:6]
	v_add_f64 v[3:4], v[10:11], v[3:4]
	v_add_f64 v[3:4], v[3:4], -v[5:6]
	v_fma_f64 v[5:6], v[8:9], s[16:17], v[3:4]
	v_cvt_i32_f64_e32 v8, v[8:9]
	v_add_f64 v[3:4], v[14:15], v[5:6]
	v_add_f64 v[10:11], v[3:4], -v[14:15]
	v_add_f64 v[5:6], v[5:6], -v[10:11]
.LBB39_1045:
	s_or_b64 exec, exec, s[0:1]
	v_mul_f64 v[9:10], v[3:4], v[3:4]
	v_add_f64 v[11:12], v[5:6], v[5:6]
	s_mov_b32 s0, 0xc751c08c
	s_mov_b32 s1, 0x3ef5e089
	v_and_b32_e32 v8, 1, v8
	v_cmp_eq_u32_e32 vcc, 0, v8
	s_mov_b32 s18, 0x54442d18
	s_mov_b32 s19, 0xc00921fb
	v_fma_f64 v[13:14], v[3:4], v[3:4], -v[9:10]
	s_mov_b64 s[16:17], exec
	v_sub_f32_e32 v7, 1.0, v7
	v_fma_f64 v[11:12], v[3:4], v[11:12], v[13:14]
	v_add_f64 v[9:10], v[9:10], v[11:12]
	v_mov_b32_e32 v11, 0xa9a29f71
	v_mov_b32_e32 v12, 0xbf078809
	v_fma_f64 v[11:12], v[9:10], s[0:1], v[11:12]
	s_mov_b32 s0, 0x90a8aae0
	s_mov_b32 s1, 0x3f17746f
	v_fma_f64 v[11:12], v[9:10], v[11:12], s[0:1]
	s_mov_b32 s0, 0xa6fbf144
	s_mov_b32 s1, 0xbefbb44d
	;; [unrolled: 3-line block ×12, first 2 shown]
	v_fma_f64 v[11:12], v[9:10], v[11:12], s[0:1]
	s_movk_i32 s0, 0x1f8
	v_cmp_class_f64_e64 s[0:1], v[1:2], s0
	v_mul_f64 v[9:10], v[9:10], v[11:12]
	v_mul_f64 v[11:12], v[3:4], v[9:10]
	v_add_f64 v[13:14], v[3:4], v[11:12]
	v_fma_f64 v[9:10], v[3:4], v[9:10], -v[11:12]
	v_add_f64 v[3:4], v[13:14], -v[3:4]
	v_add_f64 v[5:6], v[5:6], v[9:10]
	v_add_f64 v[3:4], v[11:12], -v[3:4]
	v_add_f64 v[3:4], v[5:6], v[3:4]
	v_add_f64 v[5:6], v[13:14], v[3:4]
	v_rcp_f64_e32 v[9:10], v[5:6]
	v_fma_f64 v[11:12], -v[5:6], v[9:10], 1.0
	v_fma_f64 v[9:10], v[11:12], v[9:10], v[9:10]
	v_fma_f64 v[11:12], -v[5:6], v[9:10], 1.0
	v_fma_f64 v[9:10], v[11:12], v[9:10], v[9:10]
	v_add_f64 v[11:12], v[5:6], -v[13:14]
	v_mul_f64 v[13:14], v[5:6], v[9:10]
	v_add_f64 v[3:4], v[3:4], -v[11:12]
	v_fma_f64 v[11:12], v[9:10], v[5:6], -v[13:14]
	v_fma_f64 v[3:4], v[9:10], v[3:4], v[11:12]
	v_add_f64 v[11:12], v[13:14], v[3:4]
	v_add_f64 v[15:16], -v[11:12], 1.0
	v_add_f64 v[13:14], v[11:12], -v[13:14]
	v_add_f64 v[17:18], -v[15:16], 1.0
	v_add_f64 v[3:4], v[13:14], -v[3:4]
	v_add_f64 v[11:12], v[17:18], -v[11:12]
	v_add_f64 v[3:4], v[3:4], v[11:12]
	v_add_f64 v[3:4], v[15:16], v[3:4]
	v_mul_f64 v[3:4], v[9:10], v[3:4]
	v_add_f64 v[3:4], v[9:10], v[3:4]
	v_and_b32_e32 v9, 0x80000000, v2
	v_mov_b32_e32 v2, 0x7ff80000
	v_xor_b32_e32 v1, 0x80000000, v4
	v_cndmask_b32_e32 v3, v3, v5, vcc
	v_cndmask_b32_e32 v4, v1, v6, vcc
	v_cndmask_b32_e64 v1, 0, v3, s[0:1]
	v_xor_b32_e32 v3, v4, v9
	v_cndmask_b32_e64 v2, v2, v3, s[0:1]
	v_div_scale_f64 v[3:4], s[0:1], v[1:2], v[1:2], s[18:19]
	v_div_scale_f64 v[10:11], vcc, s[18:19], v[1:2], s[18:19]
	v_rcp_f64_e32 v[5:6], v[3:4]
	v_fma_f64 v[8:9], -v[3:4], v[5:6], 1.0
	v_fma_f64 v[5:6], v[5:6], v[8:9], v[5:6]
	v_fma_f64 v[8:9], -v[3:4], v[5:6], 1.0
	v_fma_f64 v[5:6], v[5:6], v[8:9], v[5:6]
	v_mul_f64 v[8:9], v[10:11], v[5:6]
	v_fma_f64 v[3:4], -v[3:4], v[8:9], v[10:11]
	v_div_fmas_f64 v[3:4], v[3:4], v[5:6], v[8:9]
	v_div_fixup_f64 v[1:2], v[3:4], v[1:2], s[18:19]
	v_cvt_f32_f64_e32 v1, v[1:2]
.LBB39_1046:
	s_or_b64 exec, exec, s[14:15]
	s_orn2_b64 s[14:15], s[16:17], exec
.LBB39_1047:
	s_or_b64 exec, exec, s[12:13]
	v_mov_b32_e32 v3, 0x7fc0
	s_and_saveexec_b64 s[0:1], s[14:15]
	s_cbranch_execz .LBB39_1059
; %bb.1048:
	s_mov_b32 s16, 0x41200000
	v_cmp_gt_f32_e32 vcc, s16, v7
	s_and_saveexec_b64 s[12:13], vcc
	s_cbranch_execz .LBB39_1052
; %bb.1049:
	s_mov_b64 s[14:15], 0
.LBB39_1050:                            ; =>This Inner Loop Header: Depth=1
	v_div_scale_f32 v2, s[18:19], v7, v7, 1.0
	v_div_scale_f32 v3, vcc, 1.0, v7, 1.0
	v_rcp_f32_e32 v4, v2
	v_fma_f32 v5, -v2, v4, 1.0
	v_fmac_f32_e32 v4, v5, v4
	v_mul_f32_e32 v5, v3, v4
	v_fma_f32 v6, -v2, v5, v3
	v_fmac_f32_e32 v5, v6, v4
	v_fma_f32 v2, -v2, v5, v3
	v_div_fmas_f32 v2, v2, v4, v5
	v_div_fixup_f32 v2, v2, v7, 1.0
	v_add_f32_e32 v7, 1.0, v7
	v_cmp_ngt_f32_e32 vcc, s16, v7
	s_or_b64 s[14:15], vcc, s[14:15]
	v_sub_f32_e32 v1, v1, v2
	s_andn2_b64 exec, exec, s[14:15]
	s_cbranch_execnz .LBB39_1050
; %bb.1051:
	s_or_b64 exec, exec, s[14:15]
.LBB39_1052:
	s_or_b64 exec, exec, s[12:13]
	s_mov_b32 s12, 0x41200000
	v_cmp_neq_f32_e32 vcc, s12, v7
                                        ; implicit-def: $vgpr3
	s_and_saveexec_b64 s[12:13], vcc
	s_xor_b64 s[12:13], exec, s[12:13]
	s_cbranch_execz .LBB39_1056
; %bb.1053:
	v_cvt_f64_f32_e32 v[2:3], v7
	s_mov_b32 s14, 0x85d8a000
	s_mov_b32 s15, 0x43763457
	v_cmp_gt_f64_e32 vcc, s[14:15], v[2:3]
	v_mov_b32_e32 v2, 0
	s_and_saveexec_b64 s[14:15], vcc
	s_cbranch_execz .LBB39_1055
; %bb.1054:
	v_mul_f32_e32 v2, v7, v7
	v_div_scale_f32 v3, s[16:17], v2, v2, 1.0
	v_div_scale_f32 v4, vcc, 1.0, v2, 1.0
	v_mov_b32_e32 v9, 0x3b820821
	v_rcp_f32_e32 v5, v3
	v_fma_f32 v6, -v3, v5, 1.0
	v_fmac_f32_e32 v5, v6, v5
	v_mul_f32_e32 v6, v4, v5
	v_fma_f32 v8, -v3, v6, v4
	v_fmac_f32_e32 v6, v8, v5
	v_fma_f32 v3, -v3, v6, v4
	v_div_fmas_f32 v3, v3, v5, v6
	v_mov_b32_e32 v4, 0x3daaaaab
	v_mov_b32_e32 v5, 0xbcaccacd
	;; [unrolled: 1-line block ×4, first 2 shown]
	v_div_fixup_f32 v2, v3, v2, 1.0
	v_fma_f32 v3, 0, v2, v4
	v_fmac_f32_e32 v5, v2, v3
	v_fmac_f32_e32 v6, v2, v5
	;; [unrolled: 1-line block ×4, first 2 shown]
	v_mov_b32_e32 v3, 0xbc088889
	v_fmac_f32_e32 v3, v2, v9
	v_fmac_f32_e32 v4, v2, v3
	v_mul_f32_e32 v2, v2, v4
.LBB39_1055:
	s_or_b64 exec, exec, s[14:15]
	v_div_scale_f32 v3, s[14:15], v7, v7, -0.5
	v_div_scale_f32 v4, vcc, -0.5, v7, -0.5
	s_mov_b32 s14, 0x800000
	s_mov_b32 s15, 0x3f317217
	;; [unrolled: 1-line block ×3, first 2 shown]
	v_rcp_f32_e32 v5, v3
	v_fma_f32 v6, -v3, v5, 1.0
	v_fmac_f32_e32 v5, v6, v5
	v_mul_f32_e32 v6, v4, v5
	v_fma_f32 v8, -v3, v6, v4
	v_fmac_f32_e32 v6, v8, v5
	v_fma_f32 v3, -v3, v6, v4
	v_div_fmas_f32 v3, v3, v5, v6
	v_cmp_gt_f32_e32 vcc, s14, v7
	v_cndmask_b32_e64 v5, 0, 32, vcc
	v_ldexp_f32 v5, v7, v5
	v_log_f32_e32 v5, v5
	v_mov_b32_e32 v4, 0x41b17218
	v_cndmask_b32_e32 v4, 0, v4, vcc
	s_movk_i32 s14, 0x7fff
	v_mul_f32_e32 v8, 0x3f317217, v5
	v_fma_f32 v8, v5, s15, -v8
	v_fmac_f32_e32 v8, 0x3377d1cf, v5
	v_fmac_f32_e32 v8, 0x3f317217, v5
	v_cmp_lt_f32_e64 vcc, |v5|, s16
	v_cndmask_b32_e32 v5, v5, v8, vcc
	v_sub_f32_e32 v4, v5, v4
	v_mov_b32_e32 v6, 0x7fc0
	v_div_fixup_f32 v3, v3, v7, -0.5
	v_add_f32_e32 v3, v4, v3
	v_sub_f32_e32 v2, v3, v2
	v_add_f32_e32 v1, v1, v2
	v_bfe_u32 v2, v1, 16, 1
	v_cmp_o_f32_e32 vcc, v1, v1
	v_add3_u32 v1, v1, v2, s14
	v_cndmask_b32_sdwa v3, v6, v1, vcc dst_sel:DWORD dst_unused:UNUSED_PAD src0_sel:DWORD src1_sel:WORD_1
                                        ; implicit-def: $vgpr1
.LBB39_1056:
	s_andn2_saveexec_b64 s[12:13], s[12:13]
; %bb.1057:
	v_add_f32_e32 v1, 0x40101cb7, v1
	v_bfe_u32 v2, v1, 16, 1
	s_movk_i32 s14, 0x7fff
	v_add3_u32 v2, v1, v2, s14
	v_cmp_o_f32_e32 vcc, v1, v1
	v_mov_b32_e32 v1, 0x7fc0
	v_cndmask_b32_sdwa v3, v1, v2, vcc dst_sel:DWORD dst_unused:UNUSED_PAD src0_sel:DWORD src1_sel:WORD_1
; %bb.1058:
	s_or_b64 exec, exec, s[12:13]
.LBB39_1059:
	s_or_b64 exec, exec, s[0:1]
                                        ; implicit-def: $vgpr7
.LBB39_1060:
	s_andn2_saveexec_b64 s[0:1], s[10:11]
; %bb.1061:
	v_xor_b32_e32 v1, 0x80000000, v7
	v_and_b32_e32 v1, 0x80000000, v1
	v_or_b32_e32 v1, 0x7f800000, v1
	v_lshrrev_b32_e32 v3, 16, v1
; %bb.1062:
	s_or_b64 exec, exec, s[0:1]
	s_waitcnt lgkmcnt(0)
	v_mov_b32_e32 v2, s25
	s_and_b32 s18, s73, 0xff
	v_add_co_u32_e32 v1, vcc, s24, v0
	s_cmp_lt_i32 s18, 11
	v_addc_co_u32_e32 v2, vcc, 0, v2, vcc
	s_cbranch_scc1 .LBB39_1082
; %bb.1063:
	s_and_b32 s19, 0xffff, s18
	s_mov_b64 s[12:13], -1
	s_cmp_gt_i32 s19, 25
	s_mov_b64 s[0:1], s[52:53]
	s_cbranch_scc0 .LBB39_1100
; %bb.1064:
	s_mov_b64 s[10:11], -1
	s_cmp_gt_i32 s19, 28
	s_mov_b64 s[0:1], s[52:53]
	s_cbranch_scc0 .LBB39_1084
; %bb.1065:
	s_cmp_gt_i32 s19, 43
	s_mov_b64 s[0:1], s[52:53]
	s_cbranch_scc0 .LBB39_1076
; %bb.1066:
	;; [unrolled: 4-line block ×3, first 2 shown]
	s_cmp_eq_u32 s19, 46
	s_mov_b64 s[0:1], -1
	s_cbranch_scc0 .LBB39_1069
; %bb.1068:
	v_and_b32_e32 v0, 0xffff, v3
	global_store_dword v[1:2], v0, off
	s_mov_b64 s[0:1], 0
.LBB39_1069:
	s_mov_b64 s[10:11], 0
.LBB39_1070:
	s_and_b64 vcc, exec, s[10:11]
	s_cbranch_vccz .LBB39_1075
; %bb.1071:
	s_cmp_eq_u32 s19, 44
	s_mov_b64 s[0:1], -1
	s_cbranch_scc0 .LBB39_1075
; %bb.1072:
	v_and_b32_e32 v4, 0xffff, v3
	v_bfe_u32 v0, v4, 7, 8
	s_movk_i32 s0, 0xff
	v_cmp_ne_u32_e32 vcc, s0, v0
	v_mov_b32_e32 v5, 0xff
	s_and_saveexec_b64 s[10:11], vcc
	s_cbranch_execz .LBB39_1074
; %bb.1073:
	v_lshlrev_b32_e32 v6, 16, v4
	s_mov_b32 s0, 0x3f0000
	v_lshrrev_b32_e32 v5, 7, v4
	v_and_b32_e32 v4, 64, v4
	v_and_or_b32 v0, v6, s0, v0
	v_cmp_ne_u32_e32 vcc, 0, v4
	v_cmp_ne_u32_e64 s[0:1], 0, v0
	s_and_b64 s[0:1], vcc, s[0:1]
	v_cndmask_b32_e64 v0, 0, 1, s[0:1]
	v_add_u32_e32 v5, v5, v0
.LBB39_1074:
	s_or_b64 exec, exec, s[10:11]
	s_mov_b64 s[0:1], 0
	global_store_byte v[1:2], v5, off
.LBB39_1075:
	s_mov_b64 s[10:11], 0
.LBB39_1076:
	s_and_b64 vcc, exec, s[10:11]
	s_cbranch_vccz .LBB39_1083
; %bb.1077:
	s_cmp_eq_u32 s19, 29
	s_mov_b64 s[0:1], -1
	s_cbranch_scc0 .LBB39_1083
; %bb.1078:
	v_lshlrev_b32_e32 v0, 16, v3
	v_trunc_f32_e32 v0, v0
	v_mul_f32_e32 v4, 0x2f800000, v0
	v_floor_f32_e32 v4, v4
	v_fmac_f32_e32 v0, 0xcf800000, v4
	v_cvt_u32_f32_e32 v5, v4
	v_cvt_u32_f32_e32 v4, v0
	s_mov_b64 s[0:1], 0
	s_mov_b64 s[10:11], 0
	global_store_dwordx2 v[1:2], v[4:5], off
	s_branch .LBB39_1084
.LBB39_1079:
	s_or_b64 exec, exec, s[8:9]
	s_and_saveexec_b64 s[0:1], s[52:53]
	s_cbranch_execnz .LBB39_1142
.LBB39_1080:
	s_or_b64 exec, exec, s[0:1]
	s_and_saveexec_b64 s[0:1], s[12:13]
	s_xor_b64 s[0:1], exec, s[0:1]
	s_cbranch_execz .LBB39_1143
.LBB39_1081:
	s_waitcnt vmcnt(0)
	v_and_b32_e32 v0, 0x7fff, v3
	v_cmp_ne_u16_e32 vcc, 0, v0
	v_cndmask_b32_e64 v0, 0, 1, vcc
	global_store_byte v[1:2], v0, off
	s_or_b64 exec, exec, s[0:1]
	s_and_saveexec_b64 s[0:1], s[10:11]
	s_xor_b64 s[0:1], exec, s[0:1]
	s_cbranch_execz .LBB39_1181
	s_branch .LBB39_1144
.LBB39_1082:
	s_mov_b64 s[12:13], 0
	s_mov_b64 s[10:11], -1
	s_mov_b64 s[0:1], s[52:53]
	s_branch .LBB39_1141
.LBB39_1083:
	s_mov_b64 s[10:11], 0
.LBB39_1084:
	s_and_b64 vcc, exec, s[10:11]
	s_cbranch_vccz .LBB39_1099
; %bb.1085:
	s_cmp_lt_i32 s19, 27
	s_mov_b64 s[10:11], -1
	s_cbranch_scc1 .LBB39_1091
; %bb.1086:
	s_cmp_gt_i32 s19, 27
	s_cbranch_scc0 .LBB39_1088
; %bb.1087:
	v_lshlrev_b32_e32 v0, 16, v3
	v_cvt_u32_f32_e32 v0, v0
	s_mov_b64 s[10:11], 0
	global_store_dword v[1:2], v0, off
.LBB39_1088:
	s_andn2_b64 vcc, exec, s[10:11]
	s_cbranch_vccnz .LBB39_1090
; %bb.1089:
	v_lshlrev_b32_e32 v0, 16, v3
	v_cvt_u32_f32_e32 v0, v0
	global_store_short v[1:2], v0, off
.LBB39_1090:
	s_mov_b64 s[10:11], 0
.LBB39_1091:
	s_andn2_b64 vcc, exec, s[10:11]
	s_cbranch_vccnz .LBB39_1099
; %bb.1092:
	v_lshlrev_b32_e32 v5, 16, v3
	v_and_b32_e32 v4, 0x7fffffff, v5
	s_mov_b32 s10, 0x43800000
	v_cmp_gt_u32_e32 vcc, s10, v4
	v_mov_b32_e32 v6, 0x80
	s_and_saveexec_b64 s[10:11], vcc
	s_cbranch_execz .LBB39_1098
; %bb.1093:
	s_mov_b32 s12, 0x3bffffff
	v_and_b32_e32 v0, 0xffff, v3
	v_cmp_lt_u32_e32 vcc, s12, v4
	s_mov_b64 s[12:13], 0
                                        ; implicit-def: $vgpr4
	s_and_saveexec_b64 s[14:15], vcc
	s_xor_b64 s[14:15], exec, s[14:15]
	s_cbranch_execz .LBB39_1252
; %bb.1094:
	v_bfe_u32 v4, v0, 4, 1
	s_mov_b32 s16, 0x487ffff
	v_add3_u32 v4, v5, v4, s16
	s_mov_b64 s[12:13], exec
	v_lshrrev_b32_e32 v4, 20, v4
                                        ; implicit-def: $vgpr5
	s_andn2_saveexec_b64 s[14:15], s[14:15]
	s_cbranch_execnz .LBB39_1253
.LBB39_1095:
	s_or_b64 exec, exec, s[14:15]
	v_mov_b32_e32 v6, 0
	s_and_saveexec_b64 s[14:15], s[12:13]
.LBB39_1096:
	v_lshrrev_b32_e32 v0, 8, v0
	s_movk_i32 s12, 0x80
	v_and_or_b32 v6, v0, s12, v4
.LBB39_1097:
	s_or_b64 exec, exec, s[14:15]
.LBB39_1098:
	s_or_b64 exec, exec, s[10:11]
	global_store_byte v[1:2], v6, off
.LBB39_1099:
	s_mov_b64 s[12:13], 0
.LBB39_1100:
	s_mov_b64 s[10:11], 0
	s_and_b64 vcc, exec, s[12:13]
	s_cbranch_vccz .LBB39_1140
; %bb.1101:
	s_cmp_gt_i32 s19, 22
	s_mov_b64 s[12:13], -1
	s_cbranch_scc0 .LBB39_1133
; %bb.1102:
	s_cmp_lt_i32 s19, 24
	s_cbranch_scc1 .LBB39_1122
; %bb.1103:
	s_cmp_gt_i32 s19, 24
	s_cbranch_scc0 .LBB39_1111
; %bb.1104:
	v_lshlrev_b32_e32 v5, 16, v3
	v_and_b32_e32 v4, 0x7fffffff, v5
	s_mov_b32 s12, 0x47800000
	v_cmp_gt_u32_e32 vcc, s12, v4
	v_mov_b32_e32 v6, 0x80
	s_and_saveexec_b64 s[12:13], vcc
	s_cbranch_execz .LBB39_1110
; %bb.1105:
	s_mov_b32 s14, 0x37ffffff
	v_and_b32_e32 v0, 0xffff, v3
	v_cmp_lt_u32_e32 vcc, s14, v4
	s_mov_b64 s[14:15], 0
                                        ; implicit-def: $vgpr4
	s_and_saveexec_b64 s[16:17], vcc
	s_xor_b64 s[16:17], exec, s[16:17]
	s_cbranch_execz .LBB39_1400
; %bb.1106:
	v_bfe_u32 v4, v0, 5, 1
	s_mov_b32 s20, 0x88fffff
	v_add3_u32 v4, v5, v4, s20
	s_mov_b64 s[14:15], exec
	v_lshrrev_b32_e32 v4, 21, v4
                                        ; implicit-def: $vgpr5
	s_andn2_saveexec_b64 s[16:17], s[16:17]
	s_cbranch_execnz .LBB39_1401
.LBB39_1107:
	s_or_b64 exec, exec, s[16:17]
	v_mov_b32_e32 v6, 0
	s_and_saveexec_b64 s[16:17], s[14:15]
.LBB39_1108:
	v_lshrrev_b32_e32 v0, 8, v0
	s_movk_i32 s14, 0x80
	v_and_or_b32 v6, v0, s14, v4
.LBB39_1109:
	s_or_b64 exec, exec, s[16:17]
.LBB39_1110:
	s_or_b64 exec, exec, s[12:13]
	s_mov_b64 s[12:13], 0
	global_store_byte v[1:2], v6, off
.LBB39_1111:
	s_and_b64 vcc, exec, s[12:13]
	s_cbranch_vccz .LBB39_1121
; %bb.1112:
	v_lshlrev_b32_e32 v5, 16, v3
	v_and_b32_e32 v6, 0x7fffffff, v5
	s_mov_b32 s12, 0x43f00000
	v_and_b32_e32 v0, 0xffff, v3
	v_cmp_gt_u32_e32 vcc, s12, v6
                                        ; implicit-def: $vgpr4
	s_and_saveexec_b64 s[12:13], vcc
	s_xor_b64 s[12:13], exec, s[12:13]
	s_cbranch_execz .LBB39_1118
; %bb.1113:
	s_mov_b32 s14, 0x3c7fffff
	v_cmp_lt_u32_e32 vcc, s14, v6
                                        ; implicit-def: $vgpr4
	s_and_saveexec_b64 s[14:15], vcc
	s_xor_b64 s[14:15], exec, s[14:15]
; %bb.1114:
	v_bfe_u32 v4, v0, 4, 1
	s_mov_b32 s16, 0x407ffff
	v_add3_u32 v4, v5, v4, s16
	v_lshrrev_b32_e32 v5, 20, v4
	v_and_b32_e32 v4, 0xff00000, v4
	s_mov_b32 s16, 0x7f00000
	v_mov_b32_e32 v6, 0x7e
	v_cmp_ne_u32_e32 vcc, s16, v4
	v_cndmask_b32_e32 v4, v6, v5, vcc
                                        ; implicit-def: $vgpr5
; %bb.1115:
	s_andn2_saveexec_b64 s[14:15], s[14:15]
; %bb.1116:
	s_mov_b32 s16, 0x46800000
	v_add_f32_e64 v4, |v5|, s16
; %bb.1117:
	s_or_b64 exec, exec, s[14:15]
                                        ; implicit-def: $vgpr6
.LBB39_1118:
	s_andn2_saveexec_b64 s[12:13], s[12:13]
; %bb.1119:
	s_mov_b32 s14, 0x7f800000
	v_mov_b32_e32 v4, 0x7e
	v_mov_b32_e32 v5, 0x7f
	v_cmp_lt_u32_e32 vcc, s14, v6
	v_cndmask_b32_e32 v4, v4, v5, vcc
; %bb.1120:
	s_or_b64 exec, exec, s[12:13]
	v_lshrrev_b32_e32 v0, 8, v0
	s_movk_i32 s12, 0x80
	v_and_or_b32 v0, v0, s12, v4
	global_store_byte v[1:2], v0, off
.LBB39_1121:
	s_mov_b64 s[12:13], 0
.LBB39_1122:
	s_andn2_b64 vcc, exec, s[12:13]
	s_cbranch_vccnz .LBB39_1132
; %bb.1123:
	v_lshlrev_b32_e32 v5, 16, v3
	v_and_b32_e32 v6, 0x7fffffff, v5
	s_mov_b32 s12, 0x47800000
	v_and_b32_e32 v0, 0xffff, v3
	v_cmp_gt_u32_e32 vcc, s12, v6
                                        ; implicit-def: $vgpr4
	s_and_saveexec_b64 s[12:13], vcc
	s_xor_b64 s[12:13], exec, s[12:13]
	s_cbranch_execz .LBB39_1129
; %bb.1124:
	s_mov_b32 s14, 0x387fffff
	v_cmp_lt_u32_e32 vcc, s14, v6
                                        ; implicit-def: $vgpr4
	s_and_saveexec_b64 s[14:15], vcc
	s_xor_b64 s[14:15], exec, s[14:15]
; %bb.1125:
	v_bfe_u32 v4, v0, 5, 1
	s_mov_b32 s16, 0x80fffff
	v_add3_u32 v4, v5, v4, s16
	v_lshrrev_b32_e32 v4, 21, v4
                                        ; implicit-def: $vgpr5
; %bb.1126:
	s_andn2_saveexec_b64 s[14:15], s[14:15]
; %bb.1127:
	s_mov_b32 s16, 0x43000000
	v_add_f32_e64 v4, |v5|, s16
; %bb.1128:
	s_or_b64 exec, exec, s[14:15]
                                        ; implicit-def: $vgpr6
.LBB39_1129:
	s_andn2_saveexec_b64 s[12:13], s[12:13]
; %bb.1130:
	s_mov_b32 s14, 0x7f800000
	v_mov_b32_e32 v4, 0x7c
	v_mov_b32_e32 v5, 0x7f
	v_cmp_lt_u32_e32 vcc, s14, v6
	v_cndmask_b32_e32 v4, v4, v5, vcc
; %bb.1131:
	s_or_b64 exec, exec, s[12:13]
	v_lshrrev_b32_e32 v0, 8, v0
	s_movk_i32 s12, 0x80
	v_and_or_b32 v0, v0, s12, v4
	global_store_byte v[1:2], v0, off
.LBB39_1132:
	s_mov_b64 s[12:13], 0
.LBB39_1133:
	s_andn2_b64 vcc, exec, s[12:13]
	s_mov_b64 s[12:13], 0
	s_cbranch_vccnz .LBB39_1141
; %bb.1134:
	s_cmp_gt_i32 s19, 14
	s_mov_b64 s[14:15], -1
	s_cbranch_scc0 .LBB39_1138
; %bb.1135:
	s_cmp_eq_u32 s19, 15
	s_mov_b64 s[0:1], -1
	s_cbranch_scc0 .LBB39_1137
; %bb.1136:
	global_store_short v[1:2], v3, off
	s_mov_b64 s[0:1], 0
.LBB39_1137:
	s_mov_b64 s[14:15], 0
.LBB39_1138:
	s_and_b64 vcc, exec, s[14:15]
	s_cbranch_vccz .LBB39_1141
; %bb.1139:
	s_cmp_lg_u32 s19, 11
	s_cselect_b64 s[14:15], -1, 0
	s_andn2_b64 s[0:1], s[0:1], exec
	s_and_b64 s[14:15], s[14:15], exec
	s_mov_b64 s[12:13], -1
	s_or_b64 s[0:1], s[0:1], s[14:15]
	s_branch .LBB39_1141
.LBB39_1140:
	s_mov_b64 s[12:13], 0
.LBB39_1141:
	s_andn2_b64 s[14:15], s[52:53], exec
	s_and_b64 s[0:1], s[0:1], exec
	s_and_b64 s[10:11], s[10:11], exec
	;; [unrolled: 1-line block ×3, first 2 shown]
	s_or_b64 s[52:53], s[14:15], s[0:1]
	s_or_b64 exec, exec, s[8:9]
	s_and_saveexec_b64 s[0:1], s[52:53]
	s_cbranch_execz .LBB39_1080
.LBB39_1142:
	s_or_b64 s[2:3], s[2:3], exec
	s_andn2_b64 s[12:13], s[12:13], exec
	s_trap 2
	s_or_b64 exec, exec, s[0:1]
	s_and_saveexec_b64 s[0:1], s[12:13]
	s_xor_b64 s[0:1], exec, s[0:1]
	s_cbranch_execnz .LBB39_1081
.LBB39_1143:
	s_or_b64 exec, exec, s[0:1]
	s_and_saveexec_b64 s[0:1], s[10:11]
	s_xor_b64 s[0:1], exec, s[0:1]
	s_cbranch_execz .LBB39_1181
.LBB39_1144:
	s_sext_i32_i16 s10, s18
	s_cmp_lt_i32 s10, 5
	s_mov_b64 s[8:9], -1
	s_cbranch_scc1 .LBB39_1165
; %bb.1145:
	s_cmp_lt_i32 s10, 8
	s_cbranch_scc1 .LBB39_1155
; %bb.1146:
	s_cmp_lt_i32 s10, 9
	s_cbranch_scc1 .LBB39_1152
; %bb.1147:
	s_cmp_gt_i32 s10, 9
	s_cbranch_scc0 .LBB39_1149
; %bb.1148:
	s_waitcnt vmcnt(0)
	v_lshlrev_b32_e32 v0, 16, v3
	v_cvt_f64_f32_e32 v[4:5], v0
	v_mov_b32_e32 v6, 0
	v_mov_b32_e32 v7, v6
	s_mov_b64 s[8:9], 0
	global_store_dwordx4 v[1:2], v[4:7], off
.LBB39_1149:
	s_andn2_b64 vcc, exec, s[8:9]
	s_cbranch_vccnz .LBB39_1151
; %bb.1150:
	s_waitcnt vmcnt(0)
	v_lshlrev_b32_e32 v4, 16, v3
	v_mov_b32_e32 v5, 0
	global_store_dwordx2 v[1:2], v[4:5], off
.LBB39_1151:
	s_mov_b64 s[8:9], 0
.LBB39_1152:
	s_andn2_b64 vcc, exec, s[8:9]
	s_cbranch_vccnz .LBB39_1154
; %bb.1153:
	s_waitcnt vmcnt(0)
	v_lshlrev_b32_e32 v0, 16, v3
	v_cvt_f16_f32_e32 v0, v0
	global_store_dword v[1:2], v0, off
.LBB39_1154:
	s_mov_b64 s[8:9], 0
.LBB39_1155:
	s_andn2_b64 vcc, exec, s[8:9]
	s_cbranch_vccnz .LBB39_1164
; %bb.1156:
	s_sext_i32_i16 s10, s18
	s_cmp_lt_i32 s10, 6
	s_mov_b64 s[8:9], -1
	s_cbranch_scc1 .LBB39_1162
; %bb.1157:
	s_cmp_gt_i32 s10, 6
	s_cbranch_scc0 .LBB39_1159
; %bb.1158:
	s_waitcnt vmcnt(0)
	v_lshlrev_b32_e32 v0, 16, v3
	v_cvt_f64_f32_e32 v[4:5], v0
	s_mov_b64 s[8:9], 0
	global_store_dwordx2 v[1:2], v[4:5], off
.LBB39_1159:
	s_andn2_b64 vcc, exec, s[8:9]
	s_cbranch_vccnz .LBB39_1161
; %bb.1160:
	s_waitcnt vmcnt(0)
	v_lshlrev_b32_e32 v0, 16, v3
	global_store_dword v[1:2], v0, off
.LBB39_1161:
	s_mov_b64 s[8:9], 0
.LBB39_1162:
	s_andn2_b64 vcc, exec, s[8:9]
	s_cbranch_vccnz .LBB39_1164
; %bb.1163:
	s_waitcnt vmcnt(0)
	v_lshlrev_b32_e32 v0, 16, v3
	v_cvt_f16_f32_e32 v0, v0
	global_store_short v[1:2], v0, off
.LBB39_1164:
	s_mov_b64 s[8:9], 0
.LBB39_1165:
	s_andn2_b64 vcc, exec, s[8:9]
	s_cbranch_vccnz .LBB39_1181
; %bb.1166:
	s_sext_i32_i16 s10, s18
	s_cmp_lt_i32 s10, 2
	s_mov_b64 s[8:9], -1
	s_cbranch_scc1 .LBB39_1176
; %bb.1167:
	s_cmp_lt_i32 s10, 3
	s_cbranch_scc1 .LBB39_1173
; %bb.1168:
	s_cmp_gt_i32 s10, 3
	s_cbranch_scc0 .LBB39_1170
; %bb.1169:
	s_waitcnt vmcnt(0)
	v_lshlrev_b32_e32 v0, 16, v3
	v_trunc_f32_e32 v0, v0
	s_mov_b32 s8, 0x2f800000
	v_mul_f32_e64 v4, |v0|, s8
	v_floor_f32_e32 v4, v4
	s_mov_b32 s8, 0xcf800000
	v_cvt_u32_f32_e32 v5, v4
	v_fma_f32 v4, v4, s8, |v0|
	v_cvt_u32_f32_e32 v4, v4
	v_ashrrev_i32_e32 v0, 31, v0
	v_xor_b32_e32 v5, v5, v0
	s_mov_b64 s[8:9], 0
	v_xor_b32_e32 v4, v4, v0
	v_sub_co_u32_e32 v4, vcc, v4, v0
	v_subb_co_u32_e32 v5, vcc, v5, v0, vcc
	global_store_dwordx2 v[1:2], v[4:5], off
.LBB39_1170:
	s_andn2_b64 vcc, exec, s[8:9]
	s_cbranch_vccnz .LBB39_1172
; %bb.1171:
	s_waitcnt vmcnt(0)
	v_lshlrev_b32_e32 v0, 16, v3
	v_cvt_i32_f32_e32 v0, v0
	global_store_dword v[1:2], v0, off
.LBB39_1172:
	s_mov_b64 s[8:9], 0
.LBB39_1173:
	s_andn2_b64 vcc, exec, s[8:9]
	s_cbranch_vccnz .LBB39_1175
; %bb.1174:
	s_waitcnt vmcnt(0)
	v_lshlrev_b32_e32 v0, 16, v3
	v_cvt_i32_f32_e32 v0, v0
	global_store_short v[1:2], v0, off
.LBB39_1175:
	s_mov_b64 s[8:9], 0
.LBB39_1176:
	s_andn2_b64 vcc, exec, s[8:9]
	s_cbranch_vccnz .LBB39_1181
; %bb.1177:
	s_sext_i32_i16 s8, s18
	s_cmp_gt_i32 s8, 0
	s_mov_b64 s[8:9], -1
	s_cbranch_scc0 .LBB39_1179
; %bb.1178:
	s_waitcnt vmcnt(0)
	v_lshlrev_b32_e32 v0, 16, v3
	v_cvt_i32_f32_e32 v0, v0
	s_mov_b64 s[8:9], 0
	global_store_byte v[1:2], v0, off
.LBB39_1179:
	s_andn2_b64 vcc, exec, s[8:9]
	s_cbranch_vccnz .LBB39_1181
; %bb.1180:
	s_waitcnt vmcnt(0)
	v_lshlrev_b32_e32 v0, 16, v3
	v_trunc_f32_e32 v0, v0
	s_mov_b32 s8, 0x2f800000
	v_mul_f32_e64 v3, |v0|, s8
	v_floor_f32_e32 v3, v3
	s_mov_b32 s8, 0xcf800000
	v_fma_f32 v3, v3, s8, |v0|
	v_cvt_u32_f32_e32 v3, v3
	v_ashrrev_i32_e32 v0, 31, v0
	v_xor_b32_e32 v3, v3, v0
	v_sub_u32_e32 v0, v3, v0
	global_store_byte v[1:2], v0, off
.LBB39_1181:
	s_or_b64 exec, exec, s[0:1]
	s_waitcnt lgkmcnt(0)
	s_and_b64 s[28:29], s[2:3], exec
                                        ; implicit-def: $vgpr15
                                        ; implicit-def: $vgpr8
.LBB39_1182:
	s_or_saveexec_b64 s[30:31], s[42:43]
	s_mov_b64 s[0:1], 0
                                        ; implicit-def: $vgpr0_vgpr1
                                        ; implicit-def: $sgpr14
                                        ; implicit-def: $vgpr7
	s_xor_b64 exec, exec, s[30:31]
	s_cbranch_execz .LBB39_1927
; %bb.1183:
	v_cndmask_b32_e64 v0, 0, 1, s[40:41]
	v_cmp_ne_u32_e64 s[0:1], 1, v0
	s_andn2_b64 vcc, exec, s[40:41]
	s_cbranch_vccnz .LBB39_1189
; %bb.1184:
	s_cmp_lg_u32 s33, 0
	s_mov_b32 s36, 0
	s_cbranch_scc0 .LBB39_1190
; %bb.1185:
	s_min_u32 s37, s72, 15
	s_add_i32 s37, s37, 1
	s_cmp_eq_u32 s72, 2
	s_cbranch_scc1 .LBB39_1191
; %bb.1186:
	s_and_b32 s36, s37, 28
	s_add_u32 s2, s34, 0xc4
	s_addc_u32 s3, s35, 0
	v_mov_b32_e32 v13, 0
	s_mov_b32 s38, 0
	s_mov_b64 s[6:7], s[34:35]
	v_mov_b32_e32 v6, 0
	v_mov_b32_e32 v0, v8
.LBB39_1187:                            ; =>This Inner Loop Header: Depth=1
	s_load_dwordx8 s[16:23], s[6:7], 0x4
	s_load_dwordx4 s[24:27], s[6:7], 0x24
	s_load_dwordx8 s[8:15], s[2:3], 0x0
	s_add_u32 s6, s6, 48
	s_addc_u32 s7, s7, 0
	s_waitcnt lgkmcnt(0)
	v_mul_hi_u32 v1, s17, v0
	s_add_i32 s38, s38, 4
	s_add_u32 s2, s2, 32
	s_addc_u32 s3, s3, 0
	v_add_u32_e32 v1, v0, v1
	v_lshrrev_b32_e32 v1, s18, v1
	v_mul_lo_u32 v2, v1, s16
	s_waitcnt vmcnt(0)
	v_mul_hi_u32 v3, s20, v1
	s_cmp_lg_u32 s36, s38
	v_sub_u32_e32 v0, v0, v2
	v_add_u32_e32 v2, v1, v3
	v_mul_lo_u32 v3, v0, s8
	v_mul_lo_u32 v4, v0, s9
	v_lshrrev_b32_e32 v0, s21, v2
	v_mul_lo_u32 v2, v0, s19
	v_mul_hi_u32 v5, s23, v0
	v_sub_u32_e32 v1, v1, v2
	v_add_u32_e32 v2, v0, v5
	v_lshrrev_b32_e32 v2, s24, v2
	v_mul_hi_u32 v7, s26, v2
	v_mul_lo_u32 v9, v2, s22
	v_mul_lo_u32 v5, v1, s10
	;; [unrolled: 1-line block ×3, first 2 shown]
	v_sub_u32_e32 v9, v0, v9
	v_add_u32_e32 v0, v2, v7
	v_lshrrev_b32_e32 v0, s27, v0
	v_mul_lo_u32 v7, v0, s25
	v_mul_lo_u32 v10, v9, s12
	;; [unrolled: 1-line block ×3, first 2 shown]
	v_add3_u32 v3, v3, v6, v5
	v_sub_u32_e32 v2, v2, v7
	v_mul_lo_u32 v7, v2, s14
	v_mul_lo_u32 v2, v2, s15
	v_add3_u32 v1, v4, v13, v1
	v_add3_u32 v6, v10, v3, v7
	;; [unrolled: 1-line block ×3, first 2 shown]
	s_cbranch_scc1 .LBB39_1187
; %bb.1188:
	s_and_b32 s8, s37, 3
	s_cmp_eq_u32 s8, 0
	s_cbranch_scc0 .LBB39_1192
	s_branch .LBB39_1194
.LBB39_1189:
                                        ; implicit-def: $vgpr6
                                        ; implicit-def: $vgpr13
	s_branch .LBB39_1195
.LBB39_1190:
	v_mov_b32_e32 v6, 0
	v_mov_b32_e32 v13, 0
	s_branch .LBB39_1194
.LBB39_1191:
	v_mov_b32_e32 v6, 0
	v_mov_b32_e32 v13, 0
	;; [unrolled: 1-line block ×3, first 2 shown]
	s_and_b32 s8, s37, 3
	s_cmp_eq_u32 s8, 0
	s_cbranch_scc1 .LBB39_1194
.LBB39_1192:
	s_lshl_b32 s2, s36, 3
	s_add_u32 s2, s34, s2
	s_addc_u32 s3, s35, 0
	s_add_u32 s2, s2, 0xc4
	s_addc_u32 s3, s3, 0
	s_mul_i32 s6, s36, 12
	s_add_u32 s6, s34, s6
	s_addc_u32 s7, s35, 0
.LBB39_1193:                            ; =>This Inner Loop Header: Depth=1
	s_load_dwordx2 s[10:11], s[6:7], 0x4
	s_load_dword s9, s[6:7], 0xc
	s_load_dwordx2 s[12:13], s[2:3], 0x0
	s_add_u32 s6, s6, 12
	s_addc_u32 s7, s7, 0
	s_waitcnt lgkmcnt(0)
	v_mul_hi_u32 v1, s11, v0
	s_add_u32 s2, s2, 8
	s_addc_u32 s3, s3, 0
	s_add_i32 s8, s8, -1
	v_add_u32_e32 v1, v0, v1
	v_lshrrev_b32_e32 v1, s9, v1
	v_mul_lo_u32 v2, v1, s10
	s_cmp_lg_u32 s8, 0
	v_sub_u32_e32 v0, v0, v2
	v_mad_u64_u32 v[6:7], s[10:11], v0, s12, v[6:7]
	v_mad_u64_u32 v[13:14], s[10:11], v0, s13, v[13:14]
	v_mov_b32_e32 v0, v1
	s_cbranch_scc1 .LBB39_1193
.LBB39_1194:
	s_cbranch_execnz .LBB39_1197
.LBB39_1195:
	s_load_dwordx4 s[8:11], s[34:35], 0x4
	s_load_dwordx2 s[2:3], s[34:35], 0xc4
	s_cmp_lt_u32 s33, 2
	s_waitcnt lgkmcnt(0)
	v_mul_hi_u32 v0, s9, v8
	v_add_u32_e32 v0, v8, v0
	v_lshrrev_b32_e32 v0, s10, v0
	v_mul_lo_u32 v1, v0, s8
	v_sub_u32_e32 v1, v8, v1
	v_mul_lo_u32 v6, v1, s2
	v_mul_lo_u32 v13, v1, s3
	s_cbranch_scc1 .LBB39_1197
; %bb.1196:
	s_load_dwordx4 s[8:11], s[34:35], 0x10
	s_load_dwordx2 s[2:3], s[34:35], 0xcc
	s_waitcnt lgkmcnt(0)
	v_mul_hi_u32 v1, s9, v0
	v_add_u32_e32 v1, v0, v1
	v_lshrrev_b32_e32 v1, s10, v1
	v_mul_lo_u32 v1, v1, s8
	v_sub_u32_e32 v0, v0, v1
	v_mad_u64_u32 v[6:7], s[6:7], v0, s2, v[6:7]
	v_mad_u64_u32 v[13:14], s[2:3], v0, s3, v[13:14]
.LBB39_1197:
	s_and_b64 vcc, exec, s[0:1]
	v_add_u32_e32 v0, 0x80, v8
	s_cbranch_vccnz .LBB39_1203
; %bb.1198:
	s_cmp_lg_u32 s33, 0
	s_mov_b32 s36, 0
	s_cbranch_scc0 .LBB39_1204
; %bb.1199:
	s_min_u32 s37, s72, 15
	s_add_i32 s37, s37, 1
	s_cmp_eq_u32 s72, 2
	s_cbranch_scc1 .LBB39_1205
; %bb.1200:
	s_and_b32 s36, s37, 28
	s_add_u32 s2, s34, 0xc4
	s_addc_u32 s3, s35, 0
	v_mov_b32_e32 v11, 0
	s_mov_b32 s38, 0
	s_mov_b64 s[6:7], s[34:35]
	s_waitcnt vmcnt(0)
	v_mov_b32_e32 v4, 0
	v_mov_b32_e32 v1, v0
.LBB39_1201:                            ; =>This Inner Loop Header: Depth=1
	s_load_dwordx8 s[16:23], s[6:7], 0x4
	s_load_dwordx4 s[24:27], s[6:7], 0x24
	s_load_dwordx8 s[8:15], s[2:3], 0x0
	s_add_u32 s6, s6, 48
	s_addc_u32 s7, s7, 0
	s_waitcnt lgkmcnt(0)
	v_mul_hi_u32 v2, s17, v1
	s_add_i32 s38, s38, 4
	s_add_u32 s2, s2, 32
	s_addc_u32 s3, s3, 0
	v_add_u32_e32 v2, v1, v2
	v_lshrrev_b32_e32 v2, s18, v2
	v_mul_lo_u32 v3, v2, s16
	v_mul_hi_u32 v5, s20, v2
	s_cmp_lg_u32 s36, s38
	v_sub_u32_e32 v1, v1, v3
	v_add_u32_e32 v3, v2, v5
	v_mul_lo_u32 v5, v1, s8
	v_mul_lo_u32 v7, v1, s9
	v_lshrrev_b32_e32 v1, s21, v3
	v_mul_lo_u32 v3, v1, s19
	v_mul_hi_u32 v9, s23, v1
	v_sub_u32_e32 v2, v2, v3
	v_add_u32_e32 v3, v1, v9
	v_lshrrev_b32_e32 v3, s24, v3
	v_mul_hi_u32 v10, s26, v3
	v_mul_lo_u32 v12, v3, s22
	v_mul_lo_u32 v9, v2, s10
	;; [unrolled: 1-line block ×3, first 2 shown]
	v_sub_u32_e32 v12, v1, v12
	v_add_u32_e32 v1, v3, v10
	v_lshrrev_b32_e32 v1, s27, v1
	v_mul_lo_u32 v10, v1, s25
	v_mul_lo_u32 v14, v12, s12
	;; [unrolled: 1-line block ×3, first 2 shown]
	v_add3_u32 v4, v5, v4, v9
	v_sub_u32_e32 v3, v3, v10
	v_mul_lo_u32 v10, v3, s14
	v_mul_lo_u32 v3, v3, s15
	v_add3_u32 v2, v7, v11, v2
	v_add3_u32 v4, v14, v4, v10
	;; [unrolled: 1-line block ×3, first 2 shown]
	s_cbranch_scc1 .LBB39_1201
; %bb.1202:
	s_and_b32 s8, s37, 3
	s_cmp_eq_u32 s8, 0
	s_cbranch_scc0 .LBB39_1206
	s_branch .LBB39_1208
.LBB39_1203:
                                        ; implicit-def: $vgpr4
                                        ; implicit-def: $vgpr11
	s_branch .LBB39_1209
.LBB39_1204:
	s_waitcnt vmcnt(0)
	v_mov_b32_e32 v4, 0
	v_mov_b32_e32 v11, 0
	s_branch .LBB39_1208
.LBB39_1205:
	s_waitcnt vmcnt(0)
	v_mov_b32_e32 v4, 0
	v_mov_b32_e32 v11, 0
	;; [unrolled: 1-line block ×3, first 2 shown]
	s_and_b32 s8, s37, 3
	s_cmp_eq_u32 s8, 0
	s_cbranch_scc1 .LBB39_1208
.LBB39_1206:
	s_lshl_b32 s2, s36, 3
	s_add_u32 s2, s34, s2
	s_addc_u32 s3, s35, 0
	s_add_u32 s2, s2, 0xc4
	s_addc_u32 s3, s3, 0
	s_mul_i32 s6, s36, 12
	s_add_u32 s6, s34, s6
	s_addc_u32 s7, s35, 0
.LBB39_1207:                            ; =>This Inner Loop Header: Depth=1
	s_load_dwordx2 s[10:11], s[6:7], 0x4
	s_load_dword s9, s[6:7], 0xc
	s_load_dwordx2 s[12:13], s[2:3], 0x0
	s_add_u32 s6, s6, 12
	s_addc_u32 s7, s7, 0
	s_waitcnt lgkmcnt(0)
	v_mul_hi_u32 v2, s11, v1
	s_add_u32 s2, s2, 8
	s_addc_u32 s3, s3, 0
	s_add_i32 s8, s8, -1
	v_add_u32_e32 v2, v1, v2
	v_lshrrev_b32_e32 v2, s9, v2
	v_mul_lo_u32 v3, v2, s10
	s_cmp_lg_u32 s8, 0
	v_sub_u32_e32 v1, v1, v3
	v_mad_u64_u32 v[4:5], s[10:11], v1, s12, v[4:5]
	v_mad_u64_u32 v[11:12], s[10:11], v1, s13, v[11:12]
	v_mov_b32_e32 v1, v2
	s_cbranch_scc1 .LBB39_1207
.LBB39_1208:
	s_cbranch_execnz .LBB39_1211
.LBB39_1209:
	s_load_dwordx4 s[8:11], s[34:35], 0x4
	s_load_dwordx2 s[2:3], s[34:35], 0xc4
	s_cmp_lt_u32 s33, 2
	s_waitcnt lgkmcnt(0)
	v_mul_hi_u32 v1, s9, v0
	v_add_u32_e32 v1, v0, v1
	v_lshrrev_b32_e32 v1, s10, v1
	v_mul_lo_u32 v2, v1, s8
	v_sub_u32_e32 v0, v0, v2
	s_waitcnt vmcnt(0)
	v_mul_lo_u32 v4, v0, s2
	v_mul_lo_u32 v11, v0, s3
	s_cbranch_scc1 .LBB39_1211
; %bb.1210:
	s_load_dwordx4 s[8:11], s[34:35], 0x10
	s_load_dwordx2 s[2:3], s[34:35], 0xcc
	s_waitcnt lgkmcnt(0)
	v_mul_hi_u32 v0, s9, v1
	v_add_u32_e32 v0, v1, v0
	v_lshrrev_b32_e32 v0, s10, v0
	v_mul_lo_u32 v0, v0, s8
	v_sub_u32_e32 v0, v1, v0
	v_mad_u64_u32 v[4:5], s[6:7], v0, s2, v[4:5]
	v_mad_u64_u32 v[11:12], s[2:3], v0, s3, v[11:12]
.LBB39_1211:
	s_and_b64 vcc, exec, s[0:1]
	v_add_u32_e32 v0, 0x100, v8
	s_cbranch_vccnz .LBB39_1217
; %bb.1212:
	s_cmp_lg_u32 s33, 0
	s_mov_b32 s36, 0
	s_cbranch_scc0 .LBB39_1218
; %bb.1213:
	s_min_u32 s37, s72, 15
	s_add_i32 s37, s37, 1
	s_cmp_eq_u32 s72, 2
	s_cbranch_scc1 .LBB39_1219
; %bb.1214:
	s_and_b32 s36, s37, 28
	s_add_u32 s2, s34, 0xc4
	s_addc_u32 s3, s35, 0
	v_mov_b32_e32 v9, 0
	s_mov_b32 s38, 0
	s_mov_b64 s[6:7], s[34:35]
	v_mov_b32_e32 v2, 0
	v_mov_b32_e32 v1, v0
.LBB39_1215:                            ; =>This Inner Loop Header: Depth=1
	s_load_dwordx8 s[16:23], s[6:7], 0x4
	s_load_dwordx4 s[24:27], s[6:7], 0x24
	s_load_dwordx8 s[8:15], s[2:3], 0x0
	s_add_u32 s6, s6, 48
	s_addc_u32 s7, s7, 0
	s_waitcnt vmcnt(0) lgkmcnt(0)
	v_mul_hi_u32 v3, s17, v1
	s_add_i32 s38, s38, 4
	s_add_u32 s2, s2, 32
	s_addc_u32 s3, s3, 0
	v_add_u32_e32 v3, v1, v3
	v_lshrrev_b32_e32 v3, s18, v3
	v_mul_lo_u32 v5, v3, s16
	v_mul_hi_u32 v7, s20, v3
	s_cmp_lg_u32 s36, s38
	v_sub_u32_e32 v1, v1, v5
	v_add_u32_e32 v5, v3, v7
	v_mul_lo_u32 v7, v1, s8
	v_mul_lo_u32 v8, v1, s9
	v_lshrrev_b32_e32 v1, s21, v5
	v_mul_lo_u32 v5, v1, s19
	v_mul_hi_u32 v10, s23, v1
	v_sub_u32_e32 v3, v3, v5
	v_add_u32_e32 v5, v1, v10
	v_lshrrev_b32_e32 v5, s24, v5
	v_mul_hi_u32 v12, s26, v5
	v_mul_lo_u32 v14, v5, s22
	v_mul_lo_u32 v10, v3, s10
	;; [unrolled: 1-line block ×3, first 2 shown]
	v_sub_u32_e32 v14, v1, v14
	v_add_u32_e32 v1, v5, v12
	v_lshrrev_b32_e32 v1, s27, v1
	v_mul_lo_u32 v12, v1, s25
	v_mul_lo_u32 v16, v14, s12
	v_mul_lo_u32 v14, v14, s13
	v_add3_u32 v2, v7, v2, v10
	v_sub_u32_e32 v5, v5, v12
	v_mul_lo_u32 v12, v5, s14
	v_mul_lo_u32 v5, v5, s15
	v_add3_u32 v3, v8, v9, v3
	v_add3_u32 v2, v16, v2, v12
	;; [unrolled: 1-line block ×3, first 2 shown]
	s_cbranch_scc1 .LBB39_1215
; %bb.1216:
	s_and_b32 s8, s37, 3
	s_cmp_eq_u32 s8, 0
	s_cbranch_scc0 .LBB39_1220
	s_branch .LBB39_1222
.LBB39_1217:
                                        ; implicit-def: $vgpr2
                                        ; implicit-def: $vgpr9
	s_branch .LBB39_1223
.LBB39_1218:
	v_mov_b32_e32 v2, 0
	v_mov_b32_e32 v9, 0
	s_branch .LBB39_1222
.LBB39_1219:
	v_mov_b32_e32 v2, 0
	v_mov_b32_e32 v9, 0
	;; [unrolled: 1-line block ×3, first 2 shown]
	s_and_b32 s8, s37, 3
	s_cmp_eq_u32 s8, 0
	s_cbranch_scc1 .LBB39_1222
.LBB39_1220:
	s_lshl_b32 s2, s36, 3
	s_add_u32 s2, s34, s2
	s_addc_u32 s3, s35, 0
	s_add_u32 s2, s2, 0xc4
	s_addc_u32 s3, s3, 0
	s_mul_i32 s6, s36, 12
	s_add_u32 s6, s34, s6
	s_addc_u32 s7, s35, 0
.LBB39_1221:                            ; =>This Inner Loop Header: Depth=1
	s_load_dwordx2 s[10:11], s[6:7], 0x4
	s_load_dword s9, s[6:7], 0xc
	s_load_dwordx2 s[12:13], s[2:3], 0x0
	s_add_u32 s6, s6, 12
	s_addc_u32 s7, s7, 0
	s_waitcnt vmcnt(0) lgkmcnt(0)
	v_mul_hi_u32 v3, s11, v1
	s_add_u32 s2, s2, 8
	s_addc_u32 s3, s3, 0
	s_add_i32 s8, s8, -1
	v_add_u32_e32 v3, v1, v3
	v_lshrrev_b32_e32 v5, s9, v3
	v_mul_lo_u32 v3, v5, s10
	s_cmp_lg_u32 s8, 0
	v_sub_u32_e32 v1, v1, v3
	v_mad_u64_u32 v[2:3], s[10:11], v1, s12, v[2:3]
	v_mad_u64_u32 v[9:10], s[10:11], v1, s13, v[9:10]
	v_mov_b32_e32 v1, v5
	s_cbranch_scc1 .LBB39_1221
.LBB39_1222:
	s_cbranch_execnz .LBB39_1225
.LBB39_1223:
	s_load_dwordx4 s[8:11], s[34:35], 0x4
	s_load_dwordx2 s[2:3], s[34:35], 0xc4
	s_cmp_lt_u32 s33, 2
	s_waitcnt lgkmcnt(0)
	v_mul_hi_u32 v1, s9, v0
	v_add_u32_e32 v1, v0, v1
	v_lshrrev_b32_e32 v1, s10, v1
	v_mul_lo_u32 v2, v1, s8
	v_sub_u32_e32 v0, v0, v2
	v_mul_lo_u32 v2, v0, s2
	v_mul_lo_u32 v9, v0, s3
	s_cbranch_scc1 .LBB39_1225
; %bb.1224:
	s_load_dwordx4 s[8:11], s[34:35], 0x10
	s_load_dwordx2 s[2:3], s[34:35], 0xcc
	s_waitcnt lgkmcnt(0)
	v_mul_hi_u32 v0, s9, v1
	v_add_u32_e32 v0, v1, v0
	v_lshrrev_b32_e32 v0, s10, v0
	v_mul_lo_u32 v0, v0, s8
	v_sub_u32_e32 v0, v1, v0
	s_waitcnt vmcnt(0)
	v_mad_u64_u32 v[2:3], s[6:7], v0, s2, v[2:3]
	v_mad_u64_u32 v[9:10], s[2:3], v0, s3, v[9:10]
.LBB39_1225:
	s_and_b64 vcc, exec, s[0:1]
	s_cbranch_vccnz .LBB39_1231
; %bb.1226:
	s_cmp_lg_u32 s33, 0
	s_mov_b32 s26, 0
	s_cbranch_scc0 .LBB39_1232
; %bb.1227:
	s_min_u32 s27, s72, 15
	s_add_i32 s27, s27, 1
	s_cmp_eq_u32 s72, 2
	s_cbranch_scc1 .LBB39_1233
; %bb.1228:
	s_and_b32 s26, s27, 28
	s_add_u32 s6, s34, 0xc4
	s_addc_u32 s7, s35, 0
	v_mov_b32_e32 v7, 0
	s_mov_b32 s36, 0
	s_mov_b64 s[24:25], s[34:35]
	v_mov_b32_e32 v0, 0
	v_mov_b32_e32 v1, v15
.LBB39_1229:                            ; =>This Inner Loop Header: Depth=1
	s_load_dwordx8 s[16:23], s[24:25], 0x4
	s_load_dwordx4 s[0:3], s[24:25], 0x24
	s_load_dwordx8 s[8:15], s[6:7], 0x0
	s_add_u32 s24, s24, 48
	s_addc_u32 s25, s25, 0
	s_waitcnt vmcnt(0) lgkmcnt(0)
	v_mul_hi_u32 v3, s17, v1
	s_add_i32 s36, s36, 4
	s_add_u32 s6, s6, 32
	s_addc_u32 s7, s7, 0
	v_add_u32_e32 v3, v1, v3
	v_lshrrev_b32_e32 v3, s18, v3
	v_mul_lo_u32 v5, v3, s16
	v_mul_hi_u32 v8, s20, v3
	s_cmp_lg_u32 s26, s36
	v_sub_u32_e32 v1, v1, v5
	v_add_u32_e32 v5, v3, v8
	v_mul_lo_u32 v8, v1, s8
	v_mul_lo_u32 v10, v1, s9
	v_lshrrev_b32_e32 v1, s21, v5
	v_mul_lo_u32 v5, v1, s19
	v_mul_hi_u32 v12, s23, v1
	v_sub_u32_e32 v3, v3, v5
	v_add_u32_e32 v5, v1, v12
	v_lshrrev_b32_e32 v5, s0, v5
	v_mul_hi_u32 v14, s2, v5
	v_mul_lo_u32 v16, v5, s22
	v_mul_lo_u32 v12, v3, s10
	;; [unrolled: 1-line block ×3, first 2 shown]
	v_sub_u32_e32 v16, v1, v16
	v_add_u32_e32 v1, v5, v14
	v_lshrrev_b32_e32 v1, s3, v1
	v_mul_lo_u32 v14, v1, s1
	v_mul_lo_u32 v17, v16, s12
	;; [unrolled: 1-line block ×3, first 2 shown]
	v_add3_u32 v0, v8, v0, v12
	v_sub_u32_e32 v5, v5, v14
	v_mul_lo_u32 v14, v5, s14
	v_mul_lo_u32 v5, v5, s15
	v_add3_u32 v3, v10, v7, v3
	v_add3_u32 v0, v17, v0, v14
	;; [unrolled: 1-line block ×3, first 2 shown]
	s_cbranch_scc1 .LBB39_1229
; %bb.1230:
	s_and_b32 s6, s27, 3
	s_cmp_eq_u32 s6, 0
	s_cbranch_scc0 .LBB39_1234
	s_branch .LBB39_1236
.LBB39_1231:
                                        ; implicit-def: $vgpr0
                                        ; implicit-def: $vgpr7
	s_branch .LBB39_1237
.LBB39_1232:
	v_mov_b32_e32 v0, 0
	v_mov_b32_e32 v7, 0
	s_branch .LBB39_1236
.LBB39_1233:
	v_mov_b32_e32 v0, 0
	v_mov_b32_e32 v7, 0
	;; [unrolled: 1-line block ×3, first 2 shown]
	s_and_b32 s6, s27, 3
	s_cmp_eq_u32 s6, 0
	s_cbranch_scc1 .LBB39_1236
.LBB39_1234:
	s_lshl_b32 s0, s26, 3
	s_add_u32 s0, s34, s0
	s_addc_u32 s1, s35, 0
	s_add_u32 s0, s0, 0xc4
	s_addc_u32 s1, s1, 0
	s_mul_i32 s2, s26, 12
	s_add_u32 s2, s34, s2
	s_addc_u32 s3, s35, 0
.LBB39_1235:                            ; =>This Inner Loop Header: Depth=1
	s_load_dwordx2 s[8:9], s[2:3], 0x4
	s_load_dword s7, s[2:3], 0xc
	s_load_dwordx2 s[10:11], s[0:1], 0x0
	s_add_u32 s2, s2, 12
	s_addc_u32 s3, s3, 0
	s_waitcnt vmcnt(0) lgkmcnt(0)
	v_mul_hi_u32 v3, s9, v1
	s_add_u32 s0, s0, 8
	s_addc_u32 s1, s1, 0
	s_add_i32 s6, s6, -1
	v_add_u32_e32 v3, v1, v3
	v_lshrrev_b32_e32 v3, s7, v3
	v_mul_lo_u32 v5, v3, s8
	s_cmp_lg_u32 s6, 0
	v_sub_u32_e32 v5, v1, v5
	v_mad_u64_u32 v[0:1], s[8:9], v5, s10, v[0:1]
	v_mad_u64_u32 v[7:8], s[8:9], v5, s11, v[7:8]
	v_mov_b32_e32 v1, v3
	s_cbranch_scc1 .LBB39_1235
.LBB39_1236:
	s_cbranch_execnz .LBB39_1239
.LBB39_1237:
	s_load_dwordx4 s[0:3], s[34:35], 0x4
	s_load_dwordx2 s[6:7], s[34:35], 0xc4
	s_cmp_lt_u32 s33, 2
	s_waitcnt lgkmcnt(0)
	v_mul_hi_u32 v0, s1, v15
	v_add_u32_e32 v0, v15, v0
	v_lshrrev_b32_e32 v1, s2, v0
	v_mul_lo_u32 v0, v1, s0
	s_waitcnt vmcnt(0)
	v_sub_u32_e32 v3, v15, v0
	v_mul_lo_u32 v0, v3, s6
	v_mul_lo_u32 v7, v3, s7
	s_cbranch_scc1 .LBB39_1239
; %bb.1238:
	s_load_dwordx4 s[0:3], s[34:35], 0x10
	s_load_dwordx2 s[6:7], s[34:35], 0xcc
	s_waitcnt lgkmcnt(0)
	v_mul_hi_u32 v3, s1, v1
	v_add_u32_e32 v3, v1, v3
	v_lshrrev_b32_e32 v3, s2, v3
	v_mul_lo_u32 v3, v3, s0
	v_sub_u32_e32 v3, v1, v3
	v_mad_u64_u32 v[0:1], s[0:1], v3, s6, v[0:1]
	v_mad_u64_u32 v[7:8], s[0:1], v3, s7, v[7:8]
.LBB39_1239:
	s_load_dwordx4 s[8:11], s[34:35], 0x148
	s_load_dword s18, s[4:5], 0x160
	s_waitcnt lgkmcnt(0)
	v_mov_b32_e32 v1, s11
	s_bfe_u32 s14, s18, 0x80010
	v_add_co_u32_e32 v12, vcc, s10, v13
	s_cmp_lt_i32 s14, 11
	v_addc_co_u32_e32 v13, vcc, 0, v1, vcc
	s_cbranch_scc1 .LBB39_1246
; %bb.1240:
	s_and_b32 s15, 0xffff, s14
	s_cmp_gt_i32 s15, 25
	s_mov_b64 s[4:5], 0
	s_cbranch_scc0 .LBB39_1248
; %bb.1241:
	s_cmp_gt_i32 s15, 28
	s_cbranch_scc0 .LBB39_1249
; %bb.1242:
	s_cmp_gt_i32 s15, 43
	s_cbranch_scc0 .LBB39_1250
; %bb.1243:
	s_cmp_gt_i32 s15, 45
	s_cbranch_scc0 .LBB39_1251
; %bb.1244:
	s_cmp_eq_u32 s15, 46
	s_mov_b64 s[2:3], 0
	s_cbranch_scc0 .LBB39_1254
; %bb.1245:
	global_load_dword v1, v[12:13], off
	s_mov_b64 s[0:1], 0
	s_mov_b64 s[6:7], -1
	s_branch .LBB39_1255
.LBB39_1246:
	s_mov_b64 s[6:7], 0
                                        ; implicit-def: $vgpr1
	s_mov_b64 s[2:3], s[28:29]
	s_cbranch_execnz .LBB39_1317
.LBB39_1247:
	s_andn2_b64 vcc, exec, s[6:7]
	s_cbranch_vccz .LBB39_1362
	s_branch .LBB39_1924
.LBB39_1248:
	s_mov_b64 s[6:7], 0
	s_mov_b64 s[0:1], 0
                                        ; implicit-def: $vgpr1
	s_cbranch_execnz .LBB39_1282
	s_branch .LBB39_1313
.LBB39_1249:
	s_mov_b64 s[6:7], 0
	s_mov_b64 s[0:1], 0
                                        ; implicit-def: $vgpr1
	s_cbranch_execz .LBB39_1281
	s_branch .LBB39_1264
.LBB39_1250:
	s_mov_b64 s[6:7], 0
	s_mov_b64 s[0:1], 0
                                        ; implicit-def: $vgpr1
	s_cbranch_execnz .LBB39_1260
	s_branch .LBB39_1263
.LBB39_1251:
	s_mov_b64 s[2:3], -1
	s_mov_b64 s[6:7], 0
	s_mov_b64 s[0:1], 0
                                        ; implicit-def: $vgpr1
	s_branch .LBB39_1255
.LBB39_1252:
	s_andn2_saveexec_b64 s[14:15], s[14:15]
	s_cbranch_execz .LBB39_1095
.LBB39_1253:
	s_mov_b32 s16, 0x46000000
	v_add_f32_e64 v4, |v5|, s16
	v_and_b32_e32 v4, 0xff, v4
	v_cmp_ne_u32_e32 vcc, 0, v4
	s_andn2_b64 s[12:13], s[12:13], exec
	s_and_b64 s[16:17], vcc, exec
	s_or_b64 s[12:13], s[12:13], s[16:17]
	s_or_b64 exec, exec, s[14:15]
	v_mov_b32_e32 v6, 0
	s_and_saveexec_b64 s[14:15], s[12:13]
	s_cbranch_execnz .LBB39_1096
	s_branch .LBB39_1097
.LBB39_1254:
	s_mov_b64 s[0:1], -1
                                        ; implicit-def: $vgpr1
	s_mov_b64 s[6:7], 0
.LBB39_1255:
	s_and_b64 vcc, exec, s[2:3]
	s_cbranch_vccz .LBB39_1258
; %bb.1256:
	s_cmp_eq_u32 s15, 44
	s_cbranch_scc0 .LBB39_1259
; %bb.1257:
	global_load_ubyte v1, v[12:13], off
	s_movk_i32 s2, 0xff
	s_waitcnt vmcnt(1)
	v_mov_b32_e32 v3, 0x7f800001
	v_mov_b32_e32 v5, 0x400000
	;; [unrolled: 1-line block ×3, first 2 shown]
	s_mov_b64 s[0:1], 0
	s_mov_b64 s[6:7], -1
	s_waitcnt vmcnt(0)
	v_lshlrev_b32_e32 v10, 23, v1
	v_cmp_ne_u32_e32 vcc, s2, v1
	v_cndmask_b32_e32 v3, v3, v10, vcc
	v_cmp_ne_u32_e32 vcc, 0, v1
	v_cndmask_b32_e32 v1, v5, v3, vcc
	v_add_u32_e32 v3, 0x7fff, v1
	v_cmp_o_f32_e32 vcc, v1, v1
	v_cndmask_b32_sdwa v1, v8, v3, vcc dst_sel:DWORD dst_unused:UNUSED_PAD src0_sel:DWORD src1_sel:WORD_1
.LBB39_1258:
	s_branch .LBB39_1263
.LBB39_1259:
	s_mov_b64 s[0:1], -1
                                        ; implicit-def: $vgpr1
	s_branch .LBB39_1263
.LBB39_1260:
	s_cmp_eq_u32 s15, 29
	s_cbranch_scc0 .LBB39_1262
; %bb.1261:
	global_load_dwordx2 v[14:15], v[12:13], off
	s_movk_i32 s2, 0x7fff
	s_mov_b64 s[0:1], 0
	s_mov_b64 s[6:7], -1
	s_waitcnt vmcnt(0)
	v_ffbh_u32_e32 v1, v15
	v_min_u32_e32 v1, 32, v1
	v_lshlrev_b64 v[14:15], v1, v[14:15]
	v_sub_u32_e32 v1, 32, v1
	v_min_u32_e32 v3, 1, v14
	v_or_b32_e32 v3, v15, v3
	v_cvt_f32_u32_e32 v3, v3
	v_ldexp_f32 v1, v3, v1
	v_bfe_u32 v3, v1, 16, 1
	v_add3_u32 v1, v1, v3, s2
	v_lshrrev_b32_e32 v1, 16, v1
	s_branch .LBB39_1263
.LBB39_1262:
	s_mov_b64 s[0:1], -1
                                        ; implicit-def: $vgpr1
.LBB39_1263:
	s_branch .LBB39_1281
.LBB39_1264:
	s_cmp_lt_i32 s15, 27
	s_cbranch_scc1 .LBB39_1267
; %bb.1265:
	s_cmp_gt_i32 s15, 27
	s_cbranch_scc0 .LBB39_1268
; %bb.1266:
	global_load_dword v1, v[12:13], off
	s_movk_i32 s2, 0x7fff
	s_waitcnt vmcnt(0)
	v_cvt_f32_u32_e32 v1, v1
	v_bfe_u32 v3, v1, 16, 1
	v_add3_u32 v1, v1, v3, s2
	v_lshrrev_b32_e32 v1, 16, v1
	s_mov_b64 s[2:3], 0
	s_branch .LBB39_1269
.LBB39_1267:
	s_mov_b64 s[2:3], -1
                                        ; implicit-def: $vgpr1
	s_branch .LBB39_1272
.LBB39_1268:
	s_mov_b64 s[2:3], -1
                                        ; implicit-def: $vgpr1
.LBB39_1269:
	s_andn2_b64 vcc, exec, s[2:3]
	s_cbranch_vccnz .LBB39_1271
; %bb.1270:
	global_load_ushort v1, v[12:13], off
	s_movk_i32 s2, 0x7fff
	s_waitcnt vmcnt(0)
	v_cvt_f32_u32_e32 v1, v1
	v_bfe_u32 v3, v1, 16, 1
	v_add3_u32 v1, v1, v3, s2
	v_lshrrev_b32_e32 v1, 16, v1
.LBB39_1271:
	s_mov_b64 s[2:3], 0
.LBB39_1272:
	s_andn2_b64 vcc, exec, s[2:3]
	s_cbranch_vccnz .LBB39_1280
; %bb.1273:
	global_load_ubyte v1, v[12:13], off
	s_movk_i32 s2, 0x7f
	s_waitcnt vmcnt(0)
	v_cmp_lt_i16_e32 vcc, s2, v1
	s_mov_b64 s[2:3], 0
	s_and_saveexec_b64 s[6:7], vcc
	s_xor_b64 s[6:7], exec, s[6:7]
	s_cbranch_execz .LBB39_1293
; %bb.1274:
	s_movk_i32 s2, 0x80
	v_cmp_eq_u16_e32 vcc, s2, v1
	s_mov_b64 s[2:3], -1
	s_and_saveexec_b64 s[12:13], vcc
; %bb.1275:
	s_xor_b64 s[2:3], exec, -1
; %bb.1276:
	s_or_b64 exec, exec, s[12:13]
	s_and_b64 s[2:3], s[2:3], exec
	s_or_saveexec_b64 s[6:7], s[6:7]
	v_mov_b32_e32 v3, 0x7f800001
	s_xor_b64 exec, exec, s[6:7]
	s_cbranch_execnz .LBB39_1294
.LBB39_1277:
	s_or_b64 exec, exec, s[6:7]
	s_and_saveexec_b64 s[6:7], s[2:3]
	s_cbranch_execz .LBB39_1279
.LBB39_1278:
	v_lshlrev_b32_e32 v3, 24, v1
	v_and_b32_e32 v1, 0xffff, v1
	v_and_b32_e32 v5, 7, v1
	v_ffbh_u32_e32 v10, v5
	v_min_u32_e32 v10, 32, v10
	v_subrev_u32_e32 v14, 28, v10
	v_bfe_u32 v8, v1, 3, 4
	v_lshlrev_b32_e32 v1, v14, v1
	v_sub_u32_e32 v10, 29, v10
	v_and_b32_e32 v1, 7, v1
	v_cmp_eq_u32_e32 vcc, 0, v8
	v_cndmask_b32_e32 v8, v8, v10, vcc
	v_cndmask_b32_e32 v1, v5, v1, vcc
	v_mov_b32_e32 v5, 0x3b800000
	v_lshlrev_b32_e32 v1, 20, v1
	v_and_b32_e32 v3, 0x80000000, v3
	v_lshl_add_u32 v5, v8, 23, v5
	v_or3_b32 v3, v3, v5, v1
.LBB39_1279:
	s_or_b64 exec, exec, s[6:7]
	v_bfe_u32 v1, v3, 16, 1
	s_movk_i32 s2, 0x7fff
	v_add3_u32 v1, v3, v1, s2
	v_cmp_o_f32_e32 vcc, v3, v3
	v_mov_b32_e32 v3, 0x7fc0
	v_cndmask_b32_sdwa v1, v3, v1, vcc dst_sel:DWORD dst_unused:UNUSED_PAD src0_sel:DWORD src1_sel:WORD_1
.LBB39_1280:
	s_mov_b64 s[6:7], -1
.LBB39_1281:
	s_branch .LBB39_1313
.LBB39_1282:
	s_cmp_gt_i32 s15, 22
	s_cbranch_scc0 .LBB39_1292
; %bb.1283:
	s_cmp_lt_i32 s15, 24
	s_cbranch_scc1 .LBB39_1295
; %bb.1284:
	s_cmp_gt_i32 s15, 24
	s_cbranch_scc0 .LBB39_1296
; %bb.1285:
	global_load_ubyte v1, v[12:13], off
	s_movk_i32 s2, 0x7f
	s_waitcnt vmcnt(0)
	v_cmp_lt_i16_e32 vcc, s2, v1
	s_mov_b64 s[2:3], 0
	s_and_saveexec_b64 s[4:5], vcc
	s_xor_b64 s[4:5], exec, s[4:5]
	s_cbranch_execz .LBB39_1307
; %bb.1286:
	s_movk_i32 s2, 0x80
	v_cmp_eq_u16_e32 vcc, s2, v1
	s_mov_b64 s[2:3], -1
	s_and_saveexec_b64 s[6:7], vcc
; %bb.1287:
	s_xor_b64 s[2:3], exec, -1
; %bb.1288:
	s_or_b64 exec, exec, s[6:7]
	s_and_b64 s[2:3], s[2:3], exec
	s_or_saveexec_b64 s[4:5], s[4:5]
	v_mov_b32_e32 v3, 0x7f800001
	s_xor_b64 exec, exec, s[4:5]
	s_cbranch_execnz .LBB39_1308
.LBB39_1289:
	s_or_b64 exec, exec, s[4:5]
	s_and_saveexec_b64 s[4:5], s[2:3]
	s_cbranch_execz .LBB39_1291
.LBB39_1290:
	v_lshlrev_b32_e32 v3, 24, v1
	v_and_b32_e32 v1, 0xffff, v1
	v_and_b32_e32 v5, 3, v1
	v_ffbh_u32_e32 v10, v5
	v_min_u32_e32 v10, 32, v10
	v_subrev_u32_e32 v14, 29, v10
	v_bfe_u32 v8, v1, 2, 5
	v_lshlrev_b32_e32 v1, v14, v1
	v_sub_u32_e32 v10, 30, v10
	v_and_b32_e32 v1, 3, v1
	v_cmp_eq_u32_e32 vcc, 0, v8
	v_cndmask_b32_e32 v8, v8, v10, vcc
	v_cndmask_b32_e32 v1, v5, v1, vcc
	v_mov_b32_e32 v5, 0x37800000
	v_lshlrev_b32_e32 v1, 21, v1
	v_and_b32_e32 v3, 0x80000000, v3
	v_lshl_add_u32 v5, v8, 23, v5
	v_or3_b32 v3, v3, v5, v1
.LBB39_1291:
	s_or_b64 exec, exec, s[4:5]
	v_bfe_u32 v1, v3, 16, 1
	s_movk_i32 s2, 0x7fff
	v_add3_u32 v1, v3, v1, s2
	v_cmp_o_f32_e32 vcc, v3, v3
	v_mov_b32_e32 v3, 0x7fc0
	v_cndmask_b32_sdwa v1, v3, v1, vcc dst_sel:DWORD dst_unused:UNUSED_PAD src0_sel:DWORD src1_sel:WORD_1
	s_mov_b64 s[2:3], 0
	s_branch .LBB39_1297
.LBB39_1292:
                                        ; implicit-def: $vgpr1
	s_mov_b64 s[4:5], 0
	s_branch .LBB39_1303
.LBB39_1293:
	s_or_saveexec_b64 s[6:7], s[6:7]
	v_mov_b32_e32 v3, 0x7f800001
	s_xor_b64 exec, exec, s[6:7]
	s_cbranch_execz .LBB39_1277
.LBB39_1294:
	v_cmp_ne_u16_e32 vcc, 0, v1
	s_andn2_b64 s[2:3], s[2:3], exec
	s_and_b64 s[12:13], vcc, exec
	v_mov_b32_e32 v3, 0
	s_or_b64 s[2:3], s[2:3], s[12:13]
	s_or_b64 exec, exec, s[6:7]
	s_and_saveexec_b64 s[6:7], s[2:3]
	s_cbranch_execnz .LBB39_1278
	s_branch .LBB39_1279
.LBB39_1295:
	s_mov_b64 s[2:3], -1
                                        ; implicit-def: $vgpr1
	s_branch .LBB39_1300
.LBB39_1296:
	s_mov_b64 s[2:3], -1
                                        ; implicit-def: $vgpr1
.LBB39_1297:
	s_and_b64 vcc, exec, s[2:3]
	s_cbranch_vccz .LBB39_1299
; %bb.1298:
	global_load_ubyte v1, v[12:13], off
	s_mov_b32 s2, 0x7f800000
	s_brev_b32 s3, 1
	s_movk_i32 s4, 0x7fff
	s_waitcnt vmcnt(0)
	v_lshlrev_b32_e32 v1, 24, v1
	v_and_b32_e32 v3, 0x7f000000, v1
	v_ffbh_u32_e32 v5, v3
	v_min_u32_e32 v5, 32, v5
	v_sub_u32_e64 v5, v5, 4 clamp
	v_lshlrev_b32_e32 v10, v5, v3
	v_lshlrev_b32_e32 v5, 23, v5
	v_lshrrev_b32_e32 v10, 4, v10
	v_add_u32_e32 v8, 0x1000000, v3
	v_sub_u32_e32 v5, v10, v5
	v_ashrrev_i32_e32 v8, 8, v8
	v_add_u32_e32 v5, 0x3c000000, v5
	v_and_or_b32 v5, v8, s2, v5
	v_cmp_ne_u32_e32 vcc, 0, v3
	v_cndmask_b32_e32 v3, 0, v5, vcc
	v_and_or_b32 v1, v1, s3, v3
	v_bfe_u32 v3, v3, 16, 1
	v_add3_u32 v3, v1, v3, s4
	v_cmp_o_f32_e32 vcc, v1, v1
	v_mov_b32_e32 v1, 0x7fc0
	v_cndmask_b32_sdwa v1, v1, v3, vcc dst_sel:DWORD dst_unused:UNUSED_PAD src0_sel:DWORD src1_sel:WORD_1
.LBB39_1299:
	s_mov_b64 s[2:3], 0
.LBB39_1300:
	s_andn2_b64 vcc, exec, s[2:3]
	s_cbranch_vccnz .LBB39_1302
; %bb.1301:
	global_load_ubyte v1, v[12:13], off
	s_movk_i32 s2, 0x7f00
	s_brev_b32 s3, 16
	s_brev_b32 s4, 1
	s_movk_i32 s5, 0x7fff
	s_waitcnt vmcnt(0)
	v_lshlrev_b16_e32 v3, 8, v1
	v_lshlrev_b32_e32 v1, 25, v1
	v_lshrrev_b32_e32 v5, 4, v1
	v_and_or_b32 v8, v3, s2, 0.5
	v_or_b32_e32 v5, 0x70000000, v5
	v_add_f32_e32 v8, -0.5, v8
	v_mul_f32_e32 v5, 0x7800000, v5
	v_cmp_gt_u32_e32 vcc, s3, v1
	v_bfe_i32 v3, v3, 0, 16
	v_cndmask_b32_e32 v1, v5, v8, vcc
	v_and_or_b32 v3, v3, s4, v1
	v_bfe_u32 v1, v1, 16, 1
	v_add3_u32 v1, v3, v1, s5
	v_cmp_o_f32_e32 vcc, v3, v3
	v_mov_b32_e32 v3, 0x7fc0
	v_cndmask_b32_sdwa v1, v3, v1, vcc dst_sel:DWORD dst_unused:UNUSED_PAD src0_sel:DWORD src1_sel:WORD_1
.LBB39_1302:
	s_mov_b64 s[6:7], -1
	s_mov_b64 s[4:5], 0
	s_cbranch_execnz .LBB39_1313
.LBB39_1303:
	s_cmp_gt_i32 s15, 14
	s_cbranch_scc0 .LBB39_1306
; %bb.1304:
	s_cmp_eq_u32 s15, 15
	s_cbranch_scc0 .LBB39_1309
; %bb.1305:
	global_load_ushort v1, v[12:13], off
	s_mov_b64 s[0:1], 0
	s_mov_b64 s[6:7], -1
	s_branch .LBB39_1310
.LBB39_1306:
	s_mov_b64 s[2:3], -1
                                        ; implicit-def: $vgpr1
	s_branch .LBB39_1311
.LBB39_1307:
	s_or_saveexec_b64 s[4:5], s[4:5]
	v_mov_b32_e32 v3, 0x7f800001
	s_xor_b64 exec, exec, s[4:5]
	s_cbranch_execz .LBB39_1289
.LBB39_1308:
	v_cmp_ne_u16_e32 vcc, 0, v1
	s_andn2_b64 s[2:3], s[2:3], exec
	s_and_b64 s[6:7], vcc, exec
	v_mov_b32_e32 v3, 0
	s_or_b64 s[2:3], s[2:3], s[6:7]
	s_or_b64 exec, exec, s[4:5]
	s_and_saveexec_b64 s[4:5], s[2:3]
	s_cbranch_execnz .LBB39_1290
	s_branch .LBB39_1291
.LBB39_1309:
	s_mov_b64 s[0:1], -1
                                        ; implicit-def: $vgpr1
.LBB39_1310:
	s_mov_b64 s[2:3], 0
.LBB39_1311:
	s_and_b64 vcc, exec, s[2:3]
	s_cbranch_vccz .LBB39_1313
; %bb.1312:
	s_cmp_lg_u32 s15, 11
	s_mov_b64 s[4:5], -1
	s_cselect_b64 s[0:1], -1, 0
.LBB39_1313:
	s_and_b64 vcc, exec, s[0:1]
	s_mov_b64 s[2:3], s[28:29]
	s_cbranch_vccnz .LBB39_1398
; %bb.1314:
	s_andn2_b64 vcc, exec, s[4:5]
	s_cbranch_vccnz .LBB39_1316
.LBB39_1315:
	global_load_ubyte v1, v[12:13], off
	s_mov_b64 s[6:7], -1
	s_waitcnt vmcnt(0)
	v_cmp_ne_u16_e32 vcc, 0, v1
	v_cndmask_b32_e64 v1, 0, 1.0, vcc
	v_lshrrev_b32_e32 v1, 16, v1
.LBB39_1316:
	s_branch .LBB39_1247
.LBB39_1317:
	s_and_b32 s4, 0xffff, s14
	s_cmp_lt_i32 s4, 5
	s_cbranch_scc1 .LBB39_1322
; %bb.1318:
	s_cmp_lt_i32 s4, 8
	s_cbranch_scc1 .LBB39_1323
; %bb.1319:
	;; [unrolled: 3-line block ×3, first 2 shown]
	s_cmp_gt_i32 s4, 9
	s_cbranch_scc0 .LBB39_1325
; %bb.1321:
	global_load_dwordx2 v[14:15], v[12:13], off
	s_movk_i32 s0, 0x7fff
	s_waitcnt vmcnt(1)
	v_mov_b32_e32 v3, 0x7fc0
	s_waitcnt vmcnt(0)
	v_cvt_f32_f64_e32 v1, v[14:15]
	v_bfe_u32 v5, v1, 16, 1
	v_cmp_o_f32_e32 vcc, v1, v1
	v_add3_u32 v1, v1, v5, s0
	v_cndmask_b32_sdwa v1, v3, v1, vcc dst_sel:DWORD dst_unused:UNUSED_PAD src0_sel:DWORD src1_sel:WORD_1
	s_mov_b64 s[0:1], 0
	s_branch .LBB39_1326
.LBB39_1322:
                                        ; implicit-def: $vgpr1
	s_branch .LBB39_1343
.LBB39_1323:
                                        ; implicit-def: $vgpr1
	s_branch .LBB39_1332
.LBB39_1324:
	s_mov_b64 s[0:1], -1
                                        ; implicit-def: $vgpr1
	s_branch .LBB39_1329
.LBB39_1325:
	s_mov_b64 s[0:1], -1
                                        ; implicit-def: $vgpr1
.LBB39_1326:
	s_andn2_b64 vcc, exec, s[0:1]
	s_cbranch_vccnz .LBB39_1328
; %bb.1327:
	global_load_dword v1, v[12:13], off
	s_movk_i32 s0, 0x7fff
	s_waitcnt vmcnt(1)
	v_mov_b32_e32 v3, 0x7fc0
	s_waitcnt vmcnt(0)
	v_bfe_u32 v5, v1, 16, 1
	v_cmp_o_f32_e32 vcc, v1, v1
	v_add3_u32 v1, v1, v5, s0
	v_cndmask_b32_sdwa v1, v3, v1, vcc dst_sel:DWORD dst_unused:UNUSED_PAD src0_sel:DWORD src1_sel:WORD_1
.LBB39_1328:
	s_mov_b64 s[0:1], 0
.LBB39_1329:
	s_andn2_b64 vcc, exec, s[0:1]
	s_cbranch_vccnz .LBB39_1331
; %bb.1330:
	global_load_dword v1, v[12:13], off
	s_movk_i32 s0, 0x7fff
	v_mov_b32_e32 v5, 0x7fc0
	s_waitcnt vmcnt(0)
	v_cvt_f32_f16_e32 v3, v1
	v_cmp_o_f16_e32 vcc, v1, v1
	v_bfe_u32 v1, v3, 16, 1
	v_add3_u32 v1, v3, v1, s0
	v_cndmask_b32_sdwa v1, v5, v1, vcc dst_sel:DWORD dst_unused:UNUSED_PAD src0_sel:DWORD src1_sel:WORD_1
.LBB39_1331:
	s_cbranch_execnz .LBB39_1342
.LBB39_1332:
	s_cmp_lt_i32 s4, 6
	s_cbranch_scc1 .LBB39_1335
; %bb.1333:
	s_cmp_gt_i32 s4, 6
	s_cbranch_scc0 .LBB39_1336
; %bb.1334:
	global_load_dwordx2 v[14:15], v[12:13], off
	s_movk_i32 s0, 0x7fff
	s_waitcnt vmcnt(1)
	v_mov_b32_e32 v3, 0x7fc0
	s_waitcnt vmcnt(0)
	v_cvt_f32_f64_e32 v1, v[14:15]
	v_bfe_u32 v5, v1, 16, 1
	v_cmp_o_f32_e32 vcc, v1, v1
	v_add3_u32 v1, v1, v5, s0
	v_cndmask_b32_sdwa v1, v3, v1, vcc dst_sel:DWORD dst_unused:UNUSED_PAD src0_sel:DWORD src1_sel:WORD_1
	s_mov_b64 s[0:1], 0
	s_branch .LBB39_1337
.LBB39_1335:
	s_mov_b64 s[0:1], -1
                                        ; implicit-def: $vgpr1
	s_branch .LBB39_1340
.LBB39_1336:
	s_mov_b64 s[0:1], -1
                                        ; implicit-def: $vgpr1
.LBB39_1337:
	s_andn2_b64 vcc, exec, s[0:1]
	s_cbranch_vccnz .LBB39_1339
; %bb.1338:
	global_load_dword v1, v[12:13], off
	s_movk_i32 s0, 0x7fff
	s_waitcnt vmcnt(1)
	v_mov_b32_e32 v3, 0x7fc0
	s_waitcnt vmcnt(0)
	v_bfe_u32 v5, v1, 16, 1
	v_cmp_o_f32_e32 vcc, v1, v1
	v_add3_u32 v1, v1, v5, s0
	v_cndmask_b32_sdwa v1, v3, v1, vcc dst_sel:DWORD dst_unused:UNUSED_PAD src0_sel:DWORD src1_sel:WORD_1
.LBB39_1339:
	s_mov_b64 s[0:1], 0
.LBB39_1340:
	s_andn2_b64 vcc, exec, s[0:1]
	s_cbranch_vccnz .LBB39_1342
; %bb.1341:
	global_load_ushort v1, v[12:13], off
	s_movk_i32 s0, 0x7fff
	v_mov_b32_e32 v5, 0x7fc0
	s_waitcnt vmcnt(0)
	v_cvt_f32_f16_e32 v3, v1
	v_cmp_o_f16_e32 vcc, v1, v1
	v_bfe_u32 v1, v3, 16, 1
	v_add3_u32 v1, v3, v1, s0
	v_cndmask_b32_sdwa v1, v5, v1, vcc dst_sel:DWORD dst_unused:UNUSED_PAD src0_sel:DWORD src1_sel:WORD_1
.LBB39_1342:
	s_cbranch_execnz .LBB39_1361
.LBB39_1343:
	s_cmp_lt_i32 s4, 2
	s_cbranch_scc1 .LBB39_1347
; %bb.1344:
	s_cmp_lt_i32 s4, 3
	s_cbranch_scc1 .LBB39_1348
; %bb.1345:
	s_cmp_gt_i32 s4, 3
	s_cbranch_scc0 .LBB39_1349
; %bb.1346:
	global_load_dwordx2 v[14:15], v[12:13], off
	s_movk_i32 s0, 0x7fff
	s_waitcnt vmcnt(0)
	v_xor_b32_e32 v3, v14, v15
	v_ffbh_i32_e32 v1, v15
	v_ashrrev_i32_e32 v3, 31, v3
	v_add_u32_e32 v1, -1, v1
	v_add_u32_e32 v3, 32, v3
	v_min_u32_e32 v1, v1, v3
	v_lshlrev_b64 v[14:15], v1, v[14:15]
	v_sub_u32_e32 v1, 32, v1
	v_min_u32_e32 v3, 1, v14
	v_or_b32_e32 v3, v15, v3
	v_cvt_f32_i32_e32 v3, v3
	v_ldexp_f32 v1, v3, v1
	v_bfe_u32 v3, v1, 16, 1
	v_add3_u32 v1, v1, v3, s0
	v_lshrrev_b32_e32 v1, 16, v1
	s_mov_b64 s[0:1], 0
	s_branch .LBB39_1350
.LBB39_1347:
                                        ; implicit-def: $vgpr1
	s_branch .LBB39_1356
.LBB39_1348:
	s_mov_b64 s[0:1], -1
                                        ; implicit-def: $vgpr1
	s_branch .LBB39_1353
.LBB39_1349:
	s_mov_b64 s[0:1], -1
                                        ; implicit-def: $vgpr1
.LBB39_1350:
	s_andn2_b64 vcc, exec, s[0:1]
	s_cbranch_vccnz .LBB39_1352
; %bb.1351:
	global_load_dword v1, v[12:13], off
	s_movk_i32 s0, 0x7fff
	s_waitcnt vmcnt(0)
	v_cvt_f32_i32_e32 v1, v1
	v_bfe_u32 v3, v1, 16, 1
	v_add3_u32 v1, v1, v3, s0
	v_lshrrev_b32_e32 v1, 16, v1
.LBB39_1352:
	s_mov_b64 s[0:1], 0
.LBB39_1353:
	s_andn2_b64 vcc, exec, s[0:1]
	s_cbranch_vccnz .LBB39_1355
; %bb.1354:
	global_load_sshort v1, v[12:13], off
	s_movk_i32 s0, 0x7fff
	s_waitcnt vmcnt(0)
	v_cvt_f32_i32_e32 v1, v1
	v_bfe_u32 v3, v1, 16, 1
	v_add3_u32 v1, v1, v3, s0
	v_lshrrev_b32_e32 v1, 16, v1
.LBB39_1355:
	s_cbranch_execnz .LBB39_1361
.LBB39_1356:
	s_cmp_gt_i32 s4, 0
	s_cbranch_scc0 .LBB39_1358
; %bb.1357:
	global_load_sbyte v1, v[12:13], off
	s_movk_i32 s0, 0x7fff
	s_waitcnt vmcnt(0)
	v_cvt_f32_i32_e32 v1, v1
	v_bfe_u32 v3, v1, 16, 1
	v_add3_u32 v1, v1, v3, s0
	v_lshrrev_b32_e32 v1, 16, v1
	s_mov_b64 s[0:1], 0
	s_branch .LBB39_1359
.LBB39_1358:
	s_mov_b64 s[0:1], -1
                                        ; implicit-def: $vgpr1
.LBB39_1359:
	s_andn2_b64 vcc, exec, s[0:1]
	s_cbranch_vccnz .LBB39_1361
; %bb.1360:
	global_load_ubyte v1, v[12:13], off
	s_movk_i32 s0, 0x7fff
	s_waitcnt vmcnt(0)
	v_cvt_f32_ubyte0_e32 v1, v1
	v_bfe_u32 v3, v1, 16, 1
	v_add3_u32 v1, v1, v3, s0
	v_lshrrev_b32_e32 v1, 16, v1
.LBB39_1361:
.LBB39_1362:
	s_waitcnt vmcnt(0)
	v_lshlrev_b32_e32 v3, 16, v1
	v_cmp_neq_f32_e32 vcc, 0, v3
                                        ; implicit-def: $vgpr1
	s_and_saveexec_b64 s[0:1], vcc
	s_xor_b64 s[4:5], exec, s[0:1]
	s_cbranch_execz .LBB39_1384
; %bb.1363:
	v_mov_b32_e32 v5, 0
	v_cmp_gt_f32_e32 vcc, 0, v3
	s_mov_b64 s[12:13], -1
	s_and_saveexec_b64 s[6:7], vcc
	s_cbranch_execz .LBB39_1371
; %bb.1364:
	v_trunc_f32_e32 v1, v3
	v_cmp_neq_f32_e32 vcc, v1, v3
	s_mov_b64 s[14:15], 0
	v_mov_b32_e32 v5, 0
	s_and_saveexec_b64 s[12:13], vcc
	s_cbranch_execz .LBB39_1370
; %bb.1365:
	v_cvt_f64_f32_e32 v[12:13], v3
	s_mov_b32 s0, 0
	s_mov_b32 s15, 0xc00921fb
	;; [unrolled: 1-line block ×3, first 2 shown]
	v_trunc_f64_e32 v[14:15], v[12:13]
	s_mov_b32 s1, 0x7ff00000
	v_cmp_neq_f64_e64 vcc, |v[12:13]|, s[0:1]
	v_bfrev_b32_e32 v1, 1
	s_mov_b32 s16, 0
	s_mov_b32 s17, 0x41d00000
                                        ; implicit-def: $vgpr16_vgpr17
	v_add_f64 v[14:15], v[12:13], -v[14:15]
	v_mul_f64 v[14:15], |v[14:15]|, s[14:15]
	v_cndmask_b32_e32 v13, v1, v15, vcc
	v_cndmask_b32_e32 v12, 0, v14, vcc
	v_cmp_nlt_f64_e64 s[16:17], |v[12:13]|, s[16:17]
                                        ; implicit-def: $vgpr1
                                        ; implicit-def: $vgpr14_vgpr15
	s_and_saveexec_b64 s[20:21], s[16:17]
	s_xor_b64 s[16:17], exec, s[20:21]
	s_cbranch_execz .LBB39_1367
; %bb.1366:
	v_trig_preop_f64 v[14:15], |v[12:13]|, 0
	s_mov_b32 s20, 0
	s_mov_b32 s21, 0x7b000000
	s_movk_i32 s15, 0xff80
	v_ldexp_f64 v[18:19], |v[12:13]|, s15
	v_cmp_ge_f64_e64 vcc, |v[12:13]|, s[20:21]
	v_trig_preop_f64 v[16:17], |v[12:13]|, 1
	v_and_b32_e32 v1, 0x7fffffff, v13
	v_trig_preop_f64 v[26:27], |v[12:13]|, 2
	v_mov_b32_e32 v36, 0
	v_mov_b32_e32 v5, 0x3ff00000
	s_mov_b32 s15, 0x3ff921fb
	v_cndmask_b32_e32 v19, v1, v19, vcc
	v_cndmask_b32_e32 v18, v12, v18, vcc
	v_mov_b32_e32 v1, 0x40100000
	v_mul_f64 v[20:21], v[14:15], v[18:19]
	v_mul_f64 v[22:23], v[16:17], v[18:19]
	;; [unrolled: 1-line block ×3, first 2 shown]
	v_fma_f64 v[14:15], v[14:15], v[18:19], -v[20:21]
	v_fma_f64 v[16:17], v[16:17], v[18:19], -v[22:23]
	;; [unrolled: 1-line block ×3, first 2 shown]
	v_add_f64 v[24:25], v[22:23], v[14:15]
	v_add_f64 v[28:29], v[24:25], -v[22:23]
	v_add_f64 v[34:35], v[20:21], v[24:25]
	v_add_f64 v[30:31], v[24:25], -v[28:29]
	v_add_f64 v[14:15], v[14:15], -v[28:29]
	v_add_f64 v[28:29], v[32:33], v[16:17]
	v_add_f64 v[20:21], v[34:35], -v[20:21]
	v_add_f64 v[22:23], v[22:23], -v[30:31]
	v_ldexp_f64 v[30:31], v[34:35], -2
	v_add_f64 v[38:39], v[28:29], -v[32:33]
	v_add_f64 v[20:21], v[24:25], -v[20:21]
	v_add_f64 v[14:15], v[14:15], v[22:23]
	v_fract_f64_e32 v[22:23], v[30:31]
	v_cmp_neq_f64_e64 vcc, |v[30:31]|, s[0:1]
	v_add_f64 v[16:17], v[16:17], -v[38:39]
	v_add_f64 v[24:25], v[28:29], v[14:15]
	v_ldexp_f64 v[22:23], v[22:23], 2
	v_add_f64 v[30:31], v[20:21], v[24:25]
	v_cndmask_b32_e32 v23, 0, v23, vcc
	v_cndmask_b32_e32 v22, 0, v22, vcc
	v_add_f64 v[40:41], v[24:25], -v[28:29]
	v_add_f64 v[34:35], v[30:31], v[22:23]
	v_add_f64 v[20:21], v[30:31], -v[20:21]
	v_add_f64 v[42:43], v[24:25], -v[40:41]
	;; [unrolled: 1-line block ×3, first 2 shown]
	v_cmp_gt_f64_e32 vcc, 0, v[34:35]
	v_add_f64 v[34:35], v[28:29], -v[38:39]
	v_add_f64 v[20:21], v[24:25], -v[20:21]
	;; [unrolled: 1-line block ×3, first 2 shown]
	v_cndmask_b32_e32 v37, 0, v1, vcc
	v_add_f64 v[22:23], v[22:23], v[36:37]
	v_add_f64 v[34:35], v[32:33], -v[34:35]
	v_add_f64 v[14:15], v[14:15], v[28:29]
	v_add_f64 v[44:45], v[30:31], v[22:23]
	;; [unrolled: 1-line block ×3, first 2 shown]
	v_cvt_i32_f64_e32 v1, v[44:45]
	v_add_f64 v[14:15], v[16:17], v[14:15]
	v_cvt_f64_i32_e32 v[37:38], v1
	v_add_f64 v[22:23], v[22:23], -v[37:38]
	v_add_f64 v[14:15], v[18:19], v[14:15]
	v_add_f64 v[16:17], v[30:31], v[22:23]
	;; [unrolled: 1-line block ×3, first 2 shown]
	v_add_f64 v[18:19], v[16:17], -v[22:23]
	v_cmp_le_f64_e32 vcc, 0.5, v[16:17]
	v_add_f64 v[18:19], v[30:31], -v[18:19]
	v_cndmask_b32_e32 v37, 0, v5, vcc
	v_add_f64 v[16:17], v[16:17], -v[36:37]
	v_addc_co_u32_e64 v1, s[0:1], 0, v1, vcc
	s_mov_b32 s0, 0x33145c07
	s_mov_b32 s1, 0x3c91a626
	v_add_f64 v[14:15], v[14:15], v[18:19]
	v_add_f64 v[18:19], v[16:17], v[14:15]
	v_mul_f64 v[20:21], v[18:19], s[14:15]
	v_add_f64 v[16:17], v[18:19], -v[16:17]
	v_fma_f64 v[22:23], v[18:19], s[14:15], -v[20:21]
	v_add_f64 v[14:15], v[14:15], -v[16:17]
	v_fma_f64 v[16:17], v[18:19], s[0:1], v[22:23]
	v_fma_f64 v[16:17], v[14:15], s[14:15], v[16:17]
	v_add_f64 v[14:15], v[20:21], v[16:17]
	v_add_f64 v[18:19], v[14:15], -v[20:21]
	v_add_f64 v[16:17], v[16:17], -v[18:19]
.LBB39_1367:
	s_andn2_saveexec_b64 s[0:1], s[16:17]
	s_cbranch_execz .LBB39_1369
; %bb.1368:
	s_mov_b32 s14, 0x6dc9c883
	s_mov_b32 s15, 0x3fe45f30
	v_mul_f64 v[14:15], |v[12:13]|, s[14:15]
	s_mov_b32 s14, 0x54442d18
	s_mov_b32 s15, 0xbff921fb
	;; [unrolled: 1-line block ×4, first 2 shown]
	v_rndne_f64_e32 v[18:19], v[14:15]
	v_fma_f64 v[14:15], v[18:19], s[14:15], |v[12:13]|
	v_mul_f64 v[16:17], v[18:19], s[16:17]
	s_mov_b32 s14, 0x252049c0
	s_mov_b32 s15, 0xb97b839a
	v_cvt_i32_f64_e32 v1, v[18:19]
	v_fma_f64 v[24:25], v[18:19], s[16:17], v[14:15]
	v_add_f64 v[20:21], v[14:15], v[16:17]
	s_mov_b32 s17, 0x3c91a626
	v_add_f64 v[22:23], v[14:15], -v[20:21]
	v_add_f64 v[20:21], v[20:21], -v[24:25]
	v_add_f64 v[14:15], v[22:23], v[16:17]
	v_fma_f64 v[16:17], v[18:19], s[16:17], v[16:17]
	v_add_f64 v[14:15], v[20:21], v[14:15]
	v_add_f64 v[14:15], v[14:15], -v[16:17]
	v_fma_f64 v[16:17], v[18:19], s[14:15], v[14:15]
	v_add_f64 v[14:15], v[24:25], v[16:17]
	v_add_f64 v[20:21], v[14:15], -v[24:25]
	v_add_f64 v[16:17], v[16:17], -v[20:21]
.LBB39_1369:
	s_or_b64 exec, exec, s[0:1]
	v_mul_f64 v[18:19], v[14:15], v[14:15]
	v_add_f64 v[20:21], v[16:17], v[16:17]
	s_mov_b32 s0, 0xc751c08c
	s_mov_b32 s1, 0x3ef5e089
	v_and_b32_e32 v1, 1, v1
	v_cmp_eq_u32_e32 vcc, 0, v1
	v_and_b32_e32 v5, 0x80000000, v13
	v_mov_b32_e32 v8, 0x7ff80000
	v_fma_f64 v[22:23], v[14:15], v[14:15], -v[18:19]
	s_mov_b32 s16, 0x54442d18
	s_mov_b32 s17, 0xc00921fb
	s_mov_b64 s[14:15], exec
	v_sub_f32_e32 v3, 1.0, v3
	v_fma_f64 v[20:21], v[14:15], v[20:21], v[22:23]
	v_add_f64 v[18:19], v[18:19], v[20:21]
	v_mov_b32_e32 v20, 0xa9a29f71
	v_mov_b32_e32 v21, 0xbf078809
	v_fma_f64 v[20:21], v[18:19], s[0:1], v[20:21]
	s_mov_b32 s0, 0x90a8aae0
	s_mov_b32 s1, 0x3f17746f
	v_fma_f64 v[20:21], v[18:19], v[20:21], s[0:1]
	s_mov_b32 s0, 0xa6fbf144
	s_mov_b32 s1, 0xbefbb44d
	;; [unrolled: 3-line block ×12, first 2 shown]
	v_fma_f64 v[20:21], v[18:19], v[20:21], s[0:1]
	s_movk_i32 s0, 0x1f8
	v_cmp_class_f64_e64 s[0:1], v[12:13], s0
	v_mul_f64 v[18:19], v[18:19], v[20:21]
	v_mul_f64 v[20:21], v[14:15], v[18:19]
	v_add_f64 v[22:23], v[14:15], v[20:21]
	v_fma_f64 v[18:19], v[14:15], v[18:19], -v[20:21]
	v_add_f64 v[14:15], v[22:23], -v[14:15]
	v_add_f64 v[16:17], v[16:17], v[18:19]
	v_add_f64 v[14:15], v[20:21], -v[14:15]
	v_add_f64 v[14:15], v[16:17], v[14:15]
	v_add_f64 v[16:17], v[22:23], v[14:15]
	v_rcp_f64_e32 v[18:19], v[16:17]
	v_fma_f64 v[20:21], -v[16:17], v[18:19], 1.0
	v_fma_f64 v[18:19], v[20:21], v[18:19], v[18:19]
	v_fma_f64 v[20:21], -v[16:17], v[18:19], 1.0
	v_fma_f64 v[18:19], v[20:21], v[18:19], v[18:19]
	v_add_f64 v[20:21], v[16:17], -v[22:23]
	v_mul_f64 v[22:23], v[16:17], v[18:19]
	v_add_f64 v[14:15], v[14:15], -v[20:21]
	v_fma_f64 v[20:21], v[18:19], v[16:17], -v[22:23]
	v_fma_f64 v[14:15], v[18:19], v[14:15], v[20:21]
	v_add_f64 v[20:21], v[22:23], v[14:15]
	v_add_f64 v[24:25], -v[20:21], 1.0
	v_add_f64 v[22:23], v[20:21], -v[22:23]
	v_add_f64 v[26:27], -v[24:25], 1.0
	v_add_f64 v[14:15], v[22:23], -v[14:15]
	v_add_f64 v[20:21], v[26:27], -v[20:21]
	v_add_f64 v[14:15], v[14:15], v[20:21]
	v_add_f64 v[14:15], v[24:25], v[14:15]
	v_mul_f64 v[14:15], v[18:19], v[14:15]
	v_add_f64 v[14:15], v[18:19], v[14:15]
	v_xor_b32_e32 v10, 0x80000000, v15
	v_cndmask_b32_e32 v1, v14, v16, vcc
	v_cndmask_b32_e32 v10, v10, v17, vcc
	v_cndmask_b32_e64 v12, 0, v1, s[0:1]
	v_xor_b32_e32 v1, v10, v5
	v_cndmask_b32_e64 v13, v8, v1, s[0:1]
	v_div_scale_f64 v[14:15], s[0:1], v[12:13], v[12:13], s[16:17]
	v_div_scale_f64 v[20:21], vcc, s[16:17], v[12:13], s[16:17]
	v_rcp_f64_e32 v[16:17], v[14:15]
	v_fma_f64 v[18:19], -v[14:15], v[16:17], 1.0
	v_fma_f64 v[16:17], v[16:17], v[18:19], v[16:17]
	v_fma_f64 v[18:19], -v[14:15], v[16:17], 1.0
	v_fma_f64 v[16:17], v[16:17], v[18:19], v[16:17]
	v_mul_f64 v[18:19], v[20:21], v[16:17]
	v_fma_f64 v[14:15], -v[14:15], v[18:19], v[20:21]
	v_div_fmas_f64 v[14:15], v[14:15], v[16:17], v[18:19]
	v_div_fixup_f64 v[12:13], v[14:15], v[12:13], s[16:17]
	v_cvt_f32_f64_e32 v5, v[12:13]
.LBB39_1370:
	s_or_b64 exec, exec, s[12:13]
	s_orn2_b64 s[12:13], s[14:15], exec
.LBB39_1371:
	s_or_b64 exec, exec, s[6:7]
	v_mov_b32_e32 v1, 0x7fc0
	s_and_saveexec_b64 s[0:1], s[12:13]
	s_cbranch_execz .LBB39_1383
; %bb.1372:
	s_mov_b32 s14, 0x41200000
	v_cmp_gt_f32_e32 vcc, s14, v3
	s_and_saveexec_b64 s[6:7], vcc
	s_cbranch_execz .LBB39_1376
; %bb.1373:
	s_mov_b64 s[12:13], 0
.LBB39_1374:                            ; =>This Inner Loop Header: Depth=1
	v_div_scale_f32 v1, s[16:17], v3, v3, 1.0
	v_div_scale_f32 v8, vcc, 1.0, v3, 1.0
	v_rcp_f32_e32 v10, v1
	v_fma_f32 v12, -v1, v10, 1.0
	v_fmac_f32_e32 v10, v12, v10
	v_mul_f32_e32 v12, v8, v10
	v_fma_f32 v13, -v1, v12, v8
	v_fmac_f32_e32 v12, v13, v10
	v_fma_f32 v1, -v1, v12, v8
	v_div_fmas_f32 v1, v1, v10, v12
	v_div_fixup_f32 v1, v1, v3, 1.0
	v_add_f32_e32 v3, 1.0, v3
	v_cmp_ngt_f32_e32 vcc, s14, v3
	s_or_b64 s[12:13], vcc, s[12:13]
	v_sub_f32_e32 v5, v5, v1
	s_andn2_b64 exec, exec, s[12:13]
	s_cbranch_execnz .LBB39_1374
; %bb.1375:
	s_or_b64 exec, exec, s[12:13]
.LBB39_1376:
	s_or_b64 exec, exec, s[6:7]
	s_mov_b32 s6, 0x41200000
	v_cmp_neq_f32_e32 vcc, s6, v3
                                        ; implicit-def: $vgpr1
	s_and_saveexec_b64 s[6:7], vcc
	s_xor_b64 s[6:7], exec, s[6:7]
	s_cbranch_execz .LBB39_1380
; %bb.1377:
	v_cvt_f64_f32_e32 v[12:13], v3
	s_mov_b32 s12, 0x85d8a000
	s_mov_b32 s13, 0x43763457
	v_mov_b32_e32 v1, 0
	v_cmp_gt_f64_e32 vcc, s[12:13], v[12:13]
	s_and_saveexec_b64 s[12:13], vcc
	s_cbranch_execz .LBB39_1379
; %bb.1378:
	v_mul_f32_e32 v1, v3, v3
	v_div_scale_f32 v8, s[14:15], v1, v1, 1.0
	v_div_scale_f32 v10, vcc, 1.0, v1, 1.0
	v_mov_b32_e32 v15, 0x3b820821
	v_rcp_f32_e32 v12, v8
	v_fma_f32 v13, -v8, v12, 1.0
	v_fmac_f32_e32 v12, v13, v12
	v_mul_f32_e32 v13, v10, v12
	v_fma_f32 v14, -v8, v13, v10
	v_fmac_f32_e32 v13, v14, v12
	v_fma_f32 v8, -v8, v13, v10
	v_div_fmas_f32 v8, v8, v12, v13
	v_mov_b32_e32 v10, 0x3daaaaab
	v_mov_b32_e32 v12, 0xbcaccacd
	v_mov_b32_e32 v13, 0x3bf83e10
	v_mov_b32_e32 v14, 0xbb888889
	v_div_fixup_f32 v1, v8, v1, 1.0
	v_fma_f32 v8, 0, v1, v10
	v_fmac_f32_e32 v12, v1, v8
	v_fmac_f32_e32 v13, v1, v12
	;; [unrolled: 1-line block ×4, first 2 shown]
	v_mov_b32_e32 v8, 0xbc088889
	v_fmac_f32_e32 v8, v1, v15
	v_fmac_f32_e32 v10, v1, v8
	v_mul_f32_e32 v1, v1, v10
.LBB39_1379:
	s_or_b64 exec, exec, s[12:13]
	v_div_scale_f32 v8, s[12:13], v3, v3, -0.5
	v_div_scale_f32 v10, vcc, -0.5, v3, -0.5
	s_mov_b32 s12, 0x800000
	s_mov_b32 s13, 0x3f317217
	;; [unrolled: 1-line block ×3, first 2 shown]
	v_rcp_f32_e32 v12, v8
	v_fma_f32 v13, -v8, v12, 1.0
	v_fmac_f32_e32 v12, v13, v12
	v_mul_f32_e32 v13, v10, v12
	v_fma_f32 v14, -v8, v13, v10
	v_fmac_f32_e32 v13, v14, v12
	v_fma_f32 v8, -v8, v13, v10
	v_div_fmas_f32 v8, v8, v12, v13
	v_cmp_gt_f32_e32 vcc, s12, v3
	v_cndmask_b32_e64 v12, 0, 32, vcc
	v_ldexp_f32 v12, v3, v12
	v_log_f32_e32 v12, v12
	v_mov_b32_e32 v10, 0x41b17218
	v_cndmask_b32_e32 v10, 0, v10, vcc
	s_movk_i32 s12, 0x7fff
	v_mul_f32_e32 v14, 0x3f317217, v12
	v_fma_f32 v14, v12, s13, -v14
	v_fmac_f32_e32 v14, 0x3377d1cf, v12
	v_fmac_f32_e32 v14, 0x3f317217, v12
	v_cmp_lt_f32_e64 vcc, |v12|, s14
	v_cndmask_b32_e32 v12, v12, v14, vcc
	v_sub_f32_e32 v10, v12, v10
	v_mov_b32_e32 v13, 0x7fc0
	v_div_fixup_f32 v3, v8, v3, -0.5
	v_add_f32_e32 v3, v10, v3
	v_sub_f32_e32 v1, v3, v1
	v_add_f32_e32 v1, v5, v1
	v_bfe_u32 v3, v1, 16, 1
	v_cmp_o_f32_e32 vcc, v1, v1
	v_add3_u32 v1, v1, v3, s12
	v_cndmask_b32_sdwa v1, v13, v1, vcc dst_sel:DWORD dst_unused:UNUSED_PAD src0_sel:DWORD src1_sel:WORD_1
                                        ; implicit-def: $vgpr5
.LBB39_1380:
	s_andn2_saveexec_b64 s[6:7], s[6:7]
; %bb.1381:
	v_add_f32_e32 v1, 0x40101cb7, v5
	v_bfe_u32 v3, v1, 16, 1
	s_movk_i32 s12, 0x7fff
	v_add3_u32 v3, v1, v3, s12
	v_cmp_o_f32_e32 vcc, v1, v1
	v_mov_b32_e32 v1, 0x7fc0
	v_cndmask_b32_sdwa v1, v1, v3, vcc dst_sel:DWORD dst_unused:UNUSED_PAD src0_sel:DWORD src1_sel:WORD_1
; %bb.1382:
	s_or_b64 exec, exec, s[6:7]
.LBB39_1383:
	s_or_b64 exec, exec, s[0:1]
                                        ; implicit-def: $vgpr3
.LBB39_1384:
	s_andn2_saveexec_b64 s[0:1], s[4:5]
; %bb.1385:
	v_xor_b32_e32 v1, 0x80000000, v3
	v_and_b32_e32 v1, 0x80000000, v1
	v_or_b32_e32 v1, 0x7f800000, v1
	v_lshrrev_b32_e32 v1, 16, v1
; %bb.1386:
	s_or_b64 exec, exec, s[0:1]
	s_lshr_b32 s0, s18, 16
	v_mov_b32_e32 v3, s11
	s_and_b32 s19, s0, 0xff
	v_add_co_u32_e32 v10, vcc, s10, v11
	s_cmp_lt_i32 s19, 11
	v_addc_co_u32_e32 v11, vcc, 0, v3, vcc
	s_cbranch_scc1 .LBB39_1393
; %bb.1387:
	s_and_b32 s16, 0xffff, s19
	s_cmp_gt_i32 s16, 25
	s_mov_b64 s[4:5], 0
	s_cbranch_scc0 .LBB39_1395
; %bb.1388:
	s_cmp_gt_i32 s16, 28
	s_cbranch_scc0 .LBB39_1396
; %bb.1389:
	s_cmp_gt_i32 s16, 43
	;; [unrolled: 3-line block ×3, first 2 shown]
	s_cbranch_scc0 .LBB39_1399
; %bb.1391:
	s_cmp_eq_u32 s16, 46
	s_mov_b64 s[12:13], 0
	s_cbranch_scc0 .LBB39_1402
; %bb.1392:
	global_load_dword v3, v[10:11], off
	s_mov_b64 s[0:1], 0
	s_mov_b64 s[6:7], -1
	s_branch .LBB39_1403
.LBB39_1393:
	s_mov_b64 s[6:7], 0
                                        ; implicit-def: $vgpr3
	s_cbranch_execnz .LBB39_1468
.LBB39_1394:
	s_andn2_b64 vcc, exec, s[6:7]
	s_cbranch_vccnz .LBB39_1924
	s_branch .LBB39_1515
.LBB39_1395:
	s_mov_b64 s[6:7], 0
	s_mov_b64 s[0:1], 0
                                        ; implicit-def: $vgpr3
	s_cbranch_execnz .LBB39_1432
	s_branch .LBB39_1464
.LBB39_1396:
	s_mov_b64 s[12:13], -1
	s_mov_b64 s[6:7], 0
	s_mov_b64 s[0:1], 0
                                        ; implicit-def: $vgpr3
	s_branch .LBB39_1413
.LBB39_1397:
	s_mov_b64 s[12:13], -1
	s_mov_b64 s[6:7], 0
	s_mov_b64 s[0:1], 0
                                        ; implicit-def: $vgpr3
	s_branch .LBB39_1408
.LBB39_1398:
	s_or_b64 s[2:3], s[28:29], exec
	s_trap 2
	s_cbranch_execz .LBB39_1315
	s_branch .LBB39_1316
.LBB39_1399:
	s_mov_b64 s[12:13], -1
	s_mov_b64 s[6:7], 0
	s_mov_b64 s[0:1], 0
                                        ; implicit-def: $vgpr3
	s_branch .LBB39_1403
.LBB39_1400:
	s_andn2_saveexec_b64 s[16:17], s[16:17]
	s_cbranch_execz .LBB39_1107
.LBB39_1401:
	s_mov_b32 s20, 0x42800000
	v_add_f32_e64 v4, |v5|, s20
	v_and_b32_e32 v4, 0xff, v4
	v_cmp_ne_u32_e32 vcc, 0, v4
	s_andn2_b64 s[14:15], s[14:15], exec
	s_and_b64 s[20:21], vcc, exec
	s_or_b64 s[14:15], s[14:15], s[20:21]
	s_or_b64 exec, exec, s[16:17]
	v_mov_b32_e32 v6, 0
	s_and_saveexec_b64 s[16:17], s[14:15]
	s_cbranch_execnz .LBB39_1108
	s_branch .LBB39_1109
.LBB39_1402:
	s_mov_b64 s[0:1], -1
                                        ; implicit-def: $vgpr3
	s_mov_b64 s[6:7], 0
.LBB39_1403:
	s_and_b64 vcc, exec, s[12:13]
	s_cbranch_vccz .LBB39_1407
; %bb.1404:
	s_cmp_eq_u32 s16, 44
	s_cbranch_scc0 .LBB39_1406
; %bb.1405:
	global_load_ubyte v3, v[10:11], off
	s_movk_i32 s6, 0xff
	v_mov_b32_e32 v5, 0x7f800001
	v_mov_b32_e32 v8, 0x400000
	;; [unrolled: 1-line block ×3, first 2 shown]
	s_mov_b64 s[0:1], 0
	s_waitcnt vmcnt(0)
	v_lshlrev_b32_e32 v13, 23, v3
	v_cmp_ne_u32_e32 vcc, s6, v3
	v_cndmask_b32_e32 v5, v5, v13, vcc
	v_cmp_ne_u32_e32 vcc, 0, v3
	v_cndmask_b32_e32 v3, v8, v5, vcc
	v_add_u32_e32 v5, 0x7fff, v3
	v_cmp_o_f32_e32 vcc, v3, v3
	v_cndmask_b32_sdwa v3, v12, v5, vcc dst_sel:DWORD dst_unused:UNUSED_PAD src0_sel:DWORD src1_sel:WORD_1
	s_mov_b64 s[6:7], -1
	s_branch .LBB39_1407
.LBB39_1406:
	s_mov_b64 s[0:1], -1
                                        ; implicit-def: $vgpr3
.LBB39_1407:
	s_mov_b64 s[12:13], 0
.LBB39_1408:
	s_and_b64 vcc, exec, s[12:13]
	s_cbranch_vccz .LBB39_1412
; %bb.1409:
	s_cmp_eq_u32 s16, 29
	s_cbranch_scc0 .LBB39_1411
; %bb.1410:
	global_load_dwordx2 v[12:13], v[10:11], off
	s_movk_i32 s6, 0x7fff
	s_mov_b64 s[0:1], 0
	s_mov_b64 s[12:13], 0
	s_waitcnt vmcnt(0)
	v_ffbh_u32_e32 v3, v13
	v_min_u32_e32 v3, 32, v3
	v_lshlrev_b64 v[12:13], v3, v[12:13]
	v_sub_u32_e32 v3, 32, v3
	v_min_u32_e32 v5, 1, v12
	v_or_b32_e32 v5, v13, v5
	v_cvt_f32_u32_e32 v5, v5
	v_ldexp_f32 v3, v5, v3
	v_bfe_u32 v5, v3, 16, 1
	v_add3_u32 v3, v3, v5, s6
	v_lshrrev_b32_e32 v3, 16, v3
	s_mov_b64 s[6:7], -1
	s_branch .LBB39_1413
.LBB39_1411:
	s_mov_b64 s[0:1], -1
                                        ; implicit-def: $vgpr3
.LBB39_1412:
	s_mov_b64 s[12:13], 0
.LBB39_1413:
	s_and_b64 vcc, exec, s[12:13]
	s_cbranch_vccz .LBB39_1431
; %bb.1414:
	s_cmp_lt_i32 s16, 27
	s_cbranch_scc1 .LBB39_1417
; %bb.1415:
	s_cmp_gt_i32 s16, 27
	s_cbranch_scc0 .LBB39_1418
; %bb.1416:
	global_load_dword v3, v[10:11], off
	s_movk_i32 s6, 0x7fff
	s_waitcnt vmcnt(0)
	v_cvt_f32_u32_e32 v3, v3
	v_bfe_u32 v5, v3, 16, 1
	v_add3_u32 v3, v3, v5, s6
	v_lshrrev_b32_e32 v3, 16, v3
	s_mov_b64 s[6:7], 0
	s_branch .LBB39_1419
.LBB39_1417:
	s_mov_b64 s[6:7], -1
                                        ; implicit-def: $vgpr3
	s_branch .LBB39_1422
.LBB39_1418:
	s_mov_b64 s[6:7], -1
                                        ; implicit-def: $vgpr3
.LBB39_1419:
	s_andn2_b64 vcc, exec, s[6:7]
	s_cbranch_vccnz .LBB39_1421
; %bb.1420:
	global_load_ushort v3, v[10:11], off
	s_movk_i32 s6, 0x7fff
	s_waitcnt vmcnt(0)
	v_cvt_f32_u32_e32 v3, v3
	v_bfe_u32 v5, v3, 16, 1
	v_add3_u32 v3, v3, v5, s6
	v_lshrrev_b32_e32 v3, 16, v3
.LBB39_1421:
	s_mov_b64 s[6:7], 0
.LBB39_1422:
	s_andn2_b64 vcc, exec, s[6:7]
	s_cbranch_vccnz .LBB39_1430
; %bb.1423:
	global_load_ubyte v3, v[10:11], off
	s_movk_i32 s6, 0x7f
	s_waitcnt vmcnt(0)
	v_cmp_lt_i16_e32 vcc, s6, v3
	s_mov_b64 s[6:7], 0
	s_and_saveexec_b64 s[12:13], vcc
	s_xor_b64 s[12:13], exec, s[12:13]
	s_cbranch_execz .LBB39_1443
; %bb.1424:
	s_movk_i32 s6, 0x80
	v_cmp_eq_u16_e32 vcc, s6, v3
	s_mov_b64 s[6:7], -1
	s_and_saveexec_b64 s[14:15], vcc
; %bb.1425:
	s_xor_b64 s[6:7], exec, -1
; %bb.1426:
	s_or_b64 exec, exec, s[14:15]
	s_and_b64 s[6:7], s[6:7], exec
	s_or_saveexec_b64 s[12:13], s[12:13]
	v_mov_b32_e32 v5, 0x7f800001
	s_xor_b64 exec, exec, s[12:13]
	s_cbranch_execnz .LBB39_1444
.LBB39_1427:
	s_or_b64 exec, exec, s[12:13]
	s_and_saveexec_b64 s[12:13], s[6:7]
	s_cbranch_execz .LBB39_1429
.LBB39_1428:
	v_lshlrev_b32_e32 v5, 24, v3
	v_and_b32_e32 v3, 0xffff, v3
	v_and_b32_e32 v8, 7, v3
	v_ffbh_u32_e32 v13, v8
	v_min_u32_e32 v13, 32, v13
	v_subrev_u32_e32 v14, 28, v13
	v_bfe_u32 v12, v3, 3, 4
	v_lshlrev_b32_e32 v3, v14, v3
	v_sub_u32_e32 v13, 29, v13
	v_and_b32_e32 v3, 7, v3
	v_cmp_eq_u32_e32 vcc, 0, v12
	v_cndmask_b32_e32 v12, v12, v13, vcc
	v_cndmask_b32_e32 v3, v8, v3, vcc
	v_mov_b32_e32 v8, 0x3b800000
	v_lshlrev_b32_e32 v3, 20, v3
	v_and_b32_e32 v5, 0x80000000, v5
	v_lshl_add_u32 v8, v12, 23, v8
	v_or3_b32 v5, v5, v8, v3
.LBB39_1429:
	s_or_b64 exec, exec, s[12:13]
	v_bfe_u32 v3, v5, 16, 1
	s_movk_i32 s6, 0x7fff
	v_add3_u32 v3, v5, v3, s6
	v_cmp_o_f32_e32 vcc, v5, v5
	v_mov_b32_e32 v5, 0x7fc0
	v_cndmask_b32_sdwa v3, v5, v3, vcc dst_sel:DWORD dst_unused:UNUSED_PAD src0_sel:DWORD src1_sel:WORD_1
.LBB39_1430:
	s_mov_b64 s[6:7], -1
.LBB39_1431:
	s_branch .LBB39_1464
.LBB39_1432:
	s_cmp_gt_i32 s16, 22
	s_cbranch_scc0 .LBB39_1442
; %bb.1433:
	s_cmp_lt_i32 s16, 24
	s_cbranch_scc1 .LBB39_1445
; %bb.1434:
	s_cmp_gt_i32 s16, 24
	s_cbranch_scc0 .LBB39_1446
; %bb.1435:
	global_load_ubyte v3, v[10:11], off
	s_movk_i32 s4, 0x7f
	s_waitcnt vmcnt(0)
	v_cmp_lt_i16_e32 vcc, s4, v3
	s_mov_b64 s[4:5], 0
	s_and_saveexec_b64 s[6:7], vcc
	s_xor_b64 s[6:7], exec, s[6:7]
	s_cbranch_execz .LBB39_1458
; %bb.1436:
	s_movk_i32 s4, 0x80
	v_cmp_eq_u16_e32 vcc, s4, v3
	s_mov_b64 s[4:5], -1
	s_and_saveexec_b64 s[12:13], vcc
; %bb.1437:
	s_xor_b64 s[4:5], exec, -1
; %bb.1438:
	s_or_b64 exec, exec, s[12:13]
	s_and_b64 s[4:5], s[4:5], exec
	s_or_saveexec_b64 s[6:7], s[6:7]
	v_mov_b32_e32 v5, 0x7f800001
	s_xor_b64 exec, exec, s[6:7]
	s_cbranch_execnz .LBB39_1459
.LBB39_1439:
	s_or_b64 exec, exec, s[6:7]
	s_and_saveexec_b64 s[6:7], s[4:5]
	s_cbranch_execz .LBB39_1441
.LBB39_1440:
	v_lshlrev_b32_e32 v5, 24, v3
	v_and_b32_e32 v3, 0xffff, v3
	v_and_b32_e32 v8, 3, v3
	v_ffbh_u32_e32 v13, v8
	v_min_u32_e32 v13, 32, v13
	v_subrev_u32_e32 v14, 29, v13
	v_bfe_u32 v12, v3, 2, 5
	v_lshlrev_b32_e32 v3, v14, v3
	v_sub_u32_e32 v13, 30, v13
	v_and_b32_e32 v3, 3, v3
	v_cmp_eq_u32_e32 vcc, 0, v12
	v_cndmask_b32_e32 v12, v12, v13, vcc
	v_cndmask_b32_e32 v3, v8, v3, vcc
	v_mov_b32_e32 v8, 0x37800000
	v_lshlrev_b32_e32 v3, 21, v3
	v_and_b32_e32 v5, 0x80000000, v5
	v_lshl_add_u32 v8, v12, 23, v8
	v_or3_b32 v5, v5, v8, v3
.LBB39_1441:
	s_or_b64 exec, exec, s[6:7]
	v_bfe_u32 v3, v5, 16, 1
	s_movk_i32 s4, 0x7fff
	v_add3_u32 v3, v5, v3, s4
	v_cmp_o_f32_e32 vcc, v5, v5
	v_mov_b32_e32 v5, 0x7fc0
	v_cndmask_b32_sdwa v3, v5, v3, vcc dst_sel:DWORD dst_unused:UNUSED_PAD src0_sel:DWORD src1_sel:WORD_1
	s_mov_b64 s[4:5], 0
	s_branch .LBB39_1447
.LBB39_1442:
	s_mov_b64 s[4:5], -1
                                        ; implicit-def: $vgpr3
	s_branch .LBB39_1453
.LBB39_1443:
	s_or_saveexec_b64 s[12:13], s[12:13]
	v_mov_b32_e32 v5, 0x7f800001
	s_xor_b64 exec, exec, s[12:13]
	s_cbranch_execz .LBB39_1427
.LBB39_1444:
	v_cmp_ne_u16_e32 vcc, 0, v3
	s_andn2_b64 s[6:7], s[6:7], exec
	s_and_b64 s[14:15], vcc, exec
	v_mov_b32_e32 v5, 0
	s_or_b64 s[6:7], s[6:7], s[14:15]
	s_or_b64 exec, exec, s[12:13]
	s_and_saveexec_b64 s[12:13], s[6:7]
	s_cbranch_execnz .LBB39_1428
	s_branch .LBB39_1429
.LBB39_1445:
	s_mov_b64 s[4:5], -1
                                        ; implicit-def: $vgpr3
	s_branch .LBB39_1450
.LBB39_1446:
	s_mov_b64 s[4:5], -1
                                        ; implicit-def: $vgpr3
.LBB39_1447:
	s_and_b64 vcc, exec, s[4:5]
	s_cbranch_vccz .LBB39_1449
; %bb.1448:
	global_load_ubyte v3, v[10:11], off
	s_mov_b32 s4, 0x7f800000
	s_brev_b32 s5, 1
	s_movk_i32 s6, 0x7fff
	s_waitcnt vmcnt(0)
	v_lshlrev_b32_e32 v3, 24, v3
	v_and_b32_e32 v5, 0x7f000000, v3
	v_ffbh_u32_e32 v8, v5
	v_min_u32_e32 v8, 32, v8
	v_sub_u32_e64 v8, v8, 4 clamp
	v_lshlrev_b32_e32 v13, v8, v5
	v_lshlrev_b32_e32 v8, 23, v8
	v_lshrrev_b32_e32 v13, 4, v13
	v_add_u32_e32 v12, 0x1000000, v5
	v_sub_u32_e32 v8, v13, v8
	v_ashrrev_i32_e32 v12, 8, v12
	v_add_u32_e32 v8, 0x3c000000, v8
	v_and_or_b32 v8, v12, s4, v8
	v_cmp_ne_u32_e32 vcc, 0, v5
	v_cndmask_b32_e32 v5, 0, v8, vcc
	v_and_or_b32 v3, v3, s5, v5
	v_bfe_u32 v5, v5, 16, 1
	v_add3_u32 v5, v3, v5, s6
	v_cmp_o_f32_e32 vcc, v3, v3
	v_mov_b32_e32 v3, 0x7fc0
	v_cndmask_b32_sdwa v3, v3, v5, vcc dst_sel:DWORD dst_unused:UNUSED_PAD src0_sel:DWORD src1_sel:WORD_1
.LBB39_1449:
	s_mov_b64 s[4:5], 0
.LBB39_1450:
	s_andn2_b64 vcc, exec, s[4:5]
	s_cbranch_vccnz .LBB39_1452
; %bb.1451:
	global_load_ubyte v3, v[10:11], off
	s_movk_i32 s4, 0x7f00
	s_brev_b32 s5, 16
	s_brev_b32 s6, 1
	s_movk_i32 s7, 0x7fff
	s_waitcnt vmcnt(0)
	v_lshlrev_b16_e32 v5, 8, v3
	v_lshlrev_b32_e32 v3, 25, v3
	v_lshrrev_b32_e32 v8, 4, v3
	v_and_or_b32 v12, v5, s4, 0.5
	v_or_b32_e32 v8, 0x70000000, v8
	v_add_f32_e32 v12, -0.5, v12
	v_mul_f32_e32 v8, 0x7800000, v8
	v_cmp_gt_u32_e32 vcc, s5, v3
	v_bfe_i32 v5, v5, 0, 16
	v_cndmask_b32_e32 v3, v8, v12, vcc
	v_and_or_b32 v5, v5, s6, v3
	v_bfe_u32 v3, v3, 16, 1
	v_add3_u32 v3, v5, v3, s7
	v_cmp_o_f32_e32 vcc, v5, v5
	v_mov_b32_e32 v5, 0x7fc0
	v_cndmask_b32_sdwa v3, v5, v3, vcc dst_sel:DWORD dst_unused:UNUSED_PAD src0_sel:DWORD src1_sel:WORD_1
.LBB39_1452:
	s_mov_b64 s[4:5], 0
	s_mov_b64 s[6:7], -1
.LBB39_1453:
	s_andn2_b64 vcc, exec, s[4:5]
	s_mov_b64 s[4:5], 0
	s_cbranch_vccnz .LBB39_1464
; %bb.1454:
	s_cmp_gt_i32 s16, 14
	s_cbranch_scc0 .LBB39_1457
; %bb.1455:
	s_cmp_eq_u32 s16, 15
	s_cbranch_scc0 .LBB39_1460
; %bb.1456:
	global_load_ushort v3, v[10:11], off
	s_mov_b64 s[0:1], 0
	s_mov_b64 s[6:7], -1
	s_branch .LBB39_1461
.LBB39_1457:
	s_mov_b64 s[12:13], -1
                                        ; implicit-def: $vgpr3
	s_branch .LBB39_1462
.LBB39_1458:
	s_or_saveexec_b64 s[6:7], s[6:7]
	v_mov_b32_e32 v5, 0x7f800001
	s_xor_b64 exec, exec, s[6:7]
	s_cbranch_execz .LBB39_1439
.LBB39_1459:
	v_cmp_ne_u16_e32 vcc, 0, v3
	s_andn2_b64 s[4:5], s[4:5], exec
	s_and_b64 s[12:13], vcc, exec
	v_mov_b32_e32 v5, 0
	s_or_b64 s[4:5], s[4:5], s[12:13]
	s_or_b64 exec, exec, s[6:7]
	s_and_saveexec_b64 s[6:7], s[4:5]
	s_cbranch_execnz .LBB39_1440
	s_branch .LBB39_1441
.LBB39_1460:
	s_mov_b64 s[0:1], -1
                                        ; implicit-def: $vgpr3
.LBB39_1461:
	s_mov_b64 s[12:13], 0
.LBB39_1462:
	s_and_b64 vcc, exec, s[12:13]
	s_cbranch_vccz .LBB39_1464
; %bb.1463:
	s_cmp_lg_u32 s16, 11
	s_mov_b64 s[4:5], -1
	s_cselect_b64 s[0:1], -1, 0
.LBB39_1464:
	s_and_b64 vcc, exec, s[0:1]
	s_cbranch_vccnz .LBB39_1551
; %bb.1465:
	s_andn2_b64 vcc, exec, s[4:5]
	s_cbranch_vccnz .LBB39_1467
.LBB39_1466:
	global_load_ubyte v3, v[10:11], off
	s_mov_b64 s[6:7], -1
	s_waitcnt vmcnt(0)
	v_cmp_ne_u16_e32 vcc, 0, v3
	v_cndmask_b32_e64 v3, 0, 1.0, vcc
	v_lshrrev_b32_e32 v3, 16, v3
.LBB39_1467:
	s_branch .LBB39_1394
.LBB39_1468:
	s_and_b32 s4, 0xffff, s19
	s_cmp_lt_i32 s4, 5
	s_cbranch_scc1 .LBB39_1473
; %bb.1469:
	s_cmp_lt_i32 s4, 8
	s_cbranch_scc1 .LBB39_1474
; %bb.1470:
	;; [unrolled: 3-line block ×3, first 2 shown]
	s_cmp_gt_i32 s4, 9
	s_cbranch_scc0 .LBB39_1476
; %bb.1472:
	global_load_dwordx2 v[12:13], v[10:11], off
	s_movk_i32 s0, 0x7fff
	v_mov_b32_e32 v5, 0x7fc0
	s_waitcnt vmcnt(0)
	v_cvt_f32_f64_e32 v3, v[12:13]
	v_bfe_u32 v8, v3, 16, 1
	v_cmp_o_f32_e32 vcc, v3, v3
	v_add3_u32 v3, v3, v8, s0
	v_cndmask_b32_sdwa v3, v5, v3, vcc dst_sel:DWORD dst_unused:UNUSED_PAD src0_sel:DWORD src1_sel:WORD_1
	s_mov_b64 s[0:1], 0
	s_branch .LBB39_1477
.LBB39_1473:
                                        ; implicit-def: $vgpr3
	s_branch .LBB39_1495
.LBB39_1474:
	s_mov_b64 s[0:1], -1
                                        ; implicit-def: $vgpr3
	s_branch .LBB39_1483
.LBB39_1475:
	s_mov_b64 s[0:1], -1
                                        ; implicit-def: $vgpr3
	s_branch .LBB39_1480
.LBB39_1476:
	s_mov_b64 s[0:1], -1
                                        ; implicit-def: $vgpr3
.LBB39_1477:
	s_andn2_b64 vcc, exec, s[0:1]
	s_cbranch_vccnz .LBB39_1479
; %bb.1478:
	global_load_dword v3, v[10:11], off
	s_movk_i32 s0, 0x7fff
	v_mov_b32_e32 v5, 0x7fc0
	s_waitcnt vmcnt(0)
	v_bfe_u32 v8, v3, 16, 1
	v_cmp_o_f32_e32 vcc, v3, v3
	v_add3_u32 v3, v3, v8, s0
	v_cndmask_b32_sdwa v3, v5, v3, vcc dst_sel:DWORD dst_unused:UNUSED_PAD src0_sel:DWORD src1_sel:WORD_1
.LBB39_1479:
	s_mov_b64 s[0:1], 0
.LBB39_1480:
	s_andn2_b64 vcc, exec, s[0:1]
	s_cbranch_vccnz .LBB39_1482
; %bb.1481:
	global_load_dword v3, v[10:11], off
	s_movk_i32 s0, 0x7fff
	v_mov_b32_e32 v8, 0x7fc0
	s_waitcnt vmcnt(0)
	v_cvt_f32_f16_e32 v5, v3
	v_cmp_o_f16_e32 vcc, v3, v3
	v_bfe_u32 v3, v5, 16, 1
	v_add3_u32 v3, v5, v3, s0
	v_cndmask_b32_sdwa v3, v8, v3, vcc dst_sel:DWORD dst_unused:UNUSED_PAD src0_sel:DWORD src1_sel:WORD_1
.LBB39_1482:
	s_mov_b64 s[0:1], 0
.LBB39_1483:
	s_andn2_b64 vcc, exec, s[0:1]
	s_cbranch_vccnz .LBB39_1494
; %bb.1484:
	s_cmp_lt_i32 s4, 6
	s_cbranch_scc1 .LBB39_1487
; %bb.1485:
	s_cmp_gt_i32 s4, 6
	s_cbranch_scc0 .LBB39_1488
; %bb.1486:
	global_load_dwordx2 v[12:13], v[10:11], off
	s_movk_i32 s0, 0x7fff
	v_mov_b32_e32 v5, 0x7fc0
	s_waitcnt vmcnt(0)
	v_cvt_f32_f64_e32 v3, v[12:13]
	v_bfe_u32 v8, v3, 16, 1
	v_cmp_o_f32_e32 vcc, v3, v3
	v_add3_u32 v3, v3, v8, s0
	v_cndmask_b32_sdwa v3, v5, v3, vcc dst_sel:DWORD dst_unused:UNUSED_PAD src0_sel:DWORD src1_sel:WORD_1
	s_mov_b64 s[0:1], 0
	s_branch .LBB39_1489
.LBB39_1487:
	s_mov_b64 s[0:1], -1
                                        ; implicit-def: $vgpr3
	s_branch .LBB39_1492
.LBB39_1488:
	s_mov_b64 s[0:1], -1
                                        ; implicit-def: $vgpr3
.LBB39_1489:
	s_andn2_b64 vcc, exec, s[0:1]
	s_cbranch_vccnz .LBB39_1491
; %bb.1490:
	global_load_dword v3, v[10:11], off
	s_movk_i32 s0, 0x7fff
	v_mov_b32_e32 v5, 0x7fc0
	s_waitcnt vmcnt(0)
	v_bfe_u32 v8, v3, 16, 1
	v_cmp_o_f32_e32 vcc, v3, v3
	v_add3_u32 v3, v3, v8, s0
	v_cndmask_b32_sdwa v3, v5, v3, vcc dst_sel:DWORD dst_unused:UNUSED_PAD src0_sel:DWORD src1_sel:WORD_1
.LBB39_1491:
	s_mov_b64 s[0:1], 0
.LBB39_1492:
	s_andn2_b64 vcc, exec, s[0:1]
	s_cbranch_vccnz .LBB39_1494
; %bb.1493:
	global_load_ushort v3, v[10:11], off
	s_movk_i32 s0, 0x7fff
	v_mov_b32_e32 v8, 0x7fc0
	s_waitcnt vmcnt(0)
	v_cvt_f32_f16_e32 v5, v3
	v_cmp_o_f16_e32 vcc, v3, v3
	v_bfe_u32 v3, v5, 16, 1
	v_add3_u32 v3, v5, v3, s0
	v_cndmask_b32_sdwa v3, v8, v3, vcc dst_sel:DWORD dst_unused:UNUSED_PAD src0_sel:DWORD src1_sel:WORD_1
.LBB39_1494:
	s_cbranch_execnz .LBB39_1514
.LBB39_1495:
	s_cmp_lt_i32 s4, 2
	s_cbranch_scc1 .LBB39_1499
; %bb.1496:
	s_cmp_lt_i32 s4, 3
	s_cbranch_scc1 .LBB39_1500
; %bb.1497:
	s_cmp_gt_i32 s4, 3
	s_cbranch_scc0 .LBB39_1501
; %bb.1498:
	global_load_dwordx2 v[12:13], v[10:11], off
	s_movk_i32 s0, 0x7fff
	s_waitcnt vmcnt(0)
	v_xor_b32_e32 v5, v12, v13
	v_ffbh_i32_e32 v3, v13
	v_ashrrev_i32_e32 v5, 31, v5
	v_add_u32_e32 v3, -1, v3
	v_add_u32_e32 v5, 32, v5
	v_min_u32_e32 v3, v3, v5
	v_lshlrev_b64 v[12:13], v3, v[12:13]
	v_sub_u32_e32 v3, 32, v3
	v_min_u32_e32 v5, 1, v12
	v_or_b32_e32 v5, v13, v5
	v_cvt_f32_i32_e32 v5, v5
	v_ldexp_f32 v3, v5, v3
	v_bfe_u32 v5, v3, 16, 1
	v_add3_u32 v3, v3, v5, s0
	v_lshrrev_b32_e32 v3, 16, v3
	s_mov_b64 s[0:1], 0
	s_branch .LBB39_1502
.LBB39_1499:
	s_mov_b64 s[0:1], -1
                                        ; implicit-def: $vgpr3
	s_branch .LBB39_1508
.LBB39_1500:
	s_mov_b64 s[0:1], -1
                                        ; implicit-def: $vgpr3
	s_branch .LBB39_1505
.LBB39_1501:
	s_mov_b64 s[0:1], -1
                                        ; implicit-def: $vgpr3
.LBB39_1502:
	s_andn2_b64 vcc, exec, s[0:1]
	s_cbranch_vccnz .LBB39_1504
; %bb.1503:
	global_load_dword v3, v[10:11], off
	s_movk_i32 s0, 0x7fff
	s_waitcnt vmcnt(0)
	v_cvt_f32_i32_e32 v3, v3
	v_bfe_u32 v5, v3, 16, 1
	v_add3_u32 v3, v3, v5, s0
	v_lshrrev_b32_e32 v3, 16, v3
.LBB39_1504:
	s_mov_b64 s[0:1], 0
.LBB39_1505:
	s_andn2_b64 vcc, exec, s[0:1]
	s_cbranch_vccnz .LBB39_1507
; %bb.1506:
	global_load_sshort v3, v[10:11], off
	s_movk_i32 s0, 0x7fff
	s_waitcnt vmcnt(0)
	v_cvt_f32_i32_e32 v3, v3
	v_bfe_u32 v5, v3, 16, 1
	v_add3_u32 v3, v3, v5, s0
	v_lshrrev_b32_e32 v3, 16, v3
.LBB39_1507:
	s_mov_b64 s[0:1], 0
.LBB39_1508:
	s_andn2_b64 vcc, exec, s[0:1]
	s_cbranch_vccnz .LBB39_1514
; %bb.1509:
	s_cmp_gt_i32 s4, 0
	s_cbranch_scc0 .LBB39_1511
; %bb.1510:
	global_load_sbyte v3, v[10:11], off
	s_movk_i32 s0, 0x7fff
	s_waitcnt vmcnt(0)
	v_cvt_f32_i32_e32 v3, v3
	v_bfe_u32 v5, v3, 16, 1
	v_add3_u32 v3, v3, v5, s0
	v_lshrrev_b32_e32 v3, 16, v3
	s_mov_b64 s[0:1], 0
	s_branch .LBB39_1512
.LBB39_1511:
	s_mov_b64 s[0:1], -1
                                        ; implicit-def: $vgpr3
.LBB39_1512:
	s_andn2_b64 vcc, exec, s[0:1]
	s_cbranch_vccnz .LBB39_1514
; %bb.1513:
	global_load_ubyte v3, v[10:11], off
	s_movk_i32 s0, 0x7fff
	s_waitcnt vmcnt(0)
	v_cvt_f32_ubyte0_e32 v3, v3
	v_bfe_u32 v5, v3, 16, 1
	v_add3_u32 v3, v3, v5, s0
	v_lshrrev_b32_e32 v3, 16, v3
.LBB39_1514:
.LBB39_1515:
	s_waitcnt vmcnt(0)
	v_lshlrev_b32_e32 v3, 16, v3
	v_cmp_neq_f32_e32 vcc, 0, v3
                                        ; implicit-def: $vgpr14
	s_and_saveexec_b64 s[0:1], vcc
	s_xor_b64 s[4:5], exec, s[0:1]
	s_cbranch_execz .LBB39_1537
; %bb.1516:
	v_mov_b32_e32 v5, 0
	v_cmp_gt_f32_e32 vcc, 0, v3
	s_mov_b64 s[12:13], -1
	s_and_saveexec_b64 s[6:7], vcc
	s_cbranch_execz .LBB39_1524
; %bb.1517:
	v_trunc_f32_e32 v5, v3
	v_cmp_neq_f32_e32 vcc, v5, v3
	s_mov_b64 s[14:15], 0
	v_mov_b32_e32 v5, 0
	s_and_saveexec_b64 s[12:13], vcc
	s_cbranch_execz .LBB39_1523
; %bb.1518:
	v_cvt_f64_f32_e32 v[10:11], v3
	s_mov_b32 s0, 0
	s_mov_b32 s15, 0xc00921fb
	;; [unrolled: 1-line block ×3, first 2 shown]
	v_trunc_f64_e32 v[12:13], v[10:11]
	s_mov_b32 s1, 0x7ff00000
	v_cmp_neq_f64_e64 vcc, |v[10:11]|, s[0:1]
	v_bfrev_b32_e32 v5, 1
	s_mov_b32 s16, 0
	s_mov_b32 s17, 0x41d00000
                                        ; implicit-def: $vgpr14_vgpr15
	v_add_f64 v[12:13], v[10:11], -v[12:13]
	v_mul_f64 v[12:13], |v[12:13]|, s[14:15]
	v_cndmask_b32_e32 v11, v5, v13, vcc
	v_cndmask_b32_e32 v10, 0, v12, vcc
	v_cmp_nlt_f64_e64 s[16:17], |v[10:11]|, s[16:17]
                                        ; implicit-def: $vgpr5
                                        ; implicit-def: $vgpr12_vgpr13
	s_and_saveexec_b64 s[20:21], s[16:17]
	s_xor_b64 s[16:17], exec, s[20:21]
	s_cbranch_execz .LBB39_1520
; %bb.1519:
	v_trig_preop_f64 v[12:13], |v[10:11]|, 0
	s_mov_b32 s20, 0
	s_mov_b32 s21, 0x7b000000
	s_movk_i32 s15, 0xff80
	v_ldexp_f64 v[16:17], |v[10:11]|, s15
	v_cmp_ge_f64_e64 vcc, |v[10:11]|, s[20:21]
	v_trig_preop_f64 v[14:15], |v[10:11]|, 1
	v_and_b32_e32 v5, 0x7fffffff, v11
	v_trig_preop_f64 v[24:25], |v[10:11]|, 2
	v_mov_b32_e32 v34, 0
	v_mov_b32_e32 v8, 0x3ff00000
	s_mov_b32 s15, 0x3ff921fb
	v_cndmask_b32_e32 v17, v5, v17, vcc
	v_cndmask_b32_e32 v16, v10, v16, vcc
	v_mov_b32_e32 v5, 0x40100000
	v_mul_f64 v[18:19], v[12:13], v[16:17]
	v_mul_f64 v[20:21], v[14:15], v[16:17]
	;; [unrolled: 1-line block ×3, first 2 shown]
	v_fma_f64 v[12:13], v[12:13], v[16:17], -v[18:19]
	v_fma_f64 v[14:15], v[14:15], v[16:17], -v[20:21]
	;; [unrolled: 1-line block ×3, first 2 shown]
	v_add_f64 v[22:23], v[20:21], v[12:13]
	v_add_f64 v[26:27], v[22:23], -v[20:21]
	v_add_f64 v[32:33], v[18:19], v[22:23]
	v_add_f64 v[28:29], v[22:23], -v[26:27]
	v_add_f64 v[12:13], v[12:13], -v[26:27]
	v_add_f64 v[26:27], v[30:31], v[14:15]
	v_add_f64 v[18:19], v[32:33], -v[18:19]
	v_add_f64 v[20:21], v[20:21], -v[28:29]
	v_ldexp_f64 v[28:29], v[32:33], -2
	v_add_f64 v[36:37], v[26:27], -v[30:31]
	v_add_f64 v[18:19], v[22:23], -v[18:19]
	v_add_f64 v[12:13], v[12:13], v[20:21]
	v_fract_f64_e32 v[20:21], v[28:29]
	v_cmp_neq_f64_e64 vcc, |v[28:29]|, s[0:1]
	v_add_f64 v[14:15], v[14:15], -v[36:37]
	v_add_f64 v[22:23], v[26:27], v[12:13]
	v_ldexp_f64 v[20:21], v[20:21], 2
	v_add_f64 v[28:29], v[18:19], v[22:23]
	v_cndmask_b32_e32 v21, 0, v21, vcc
	v_cndmask_b32_e32 v20, 0, v20, vcc
	v_add_f64 v[38:39], v[22:23], -v[26:27]
	v_add_f64 v[32:33], v[28:29], v[20:21]
	v_add_f64 v[18:19], v[28:29], -v[18:19]
	v_add_f64 v[40:41], v[22:23], -v[38:39]
	;; [unrolled: 1-line block ×3, first 2 shown]
	v_cmp_gt_f64_e32 vcc, 0, v[32:33]
	v_add_f64 v[32:33], v[26:27], -v[36:37]
	v_add_f64 v[18:19], v[22:23], -v[18:19]
	;; [unrolled: 1-line block ×3, first 2 shown]
	v_cndmask_b32_e32 v35, 0, v5, vcc
	v_add_f64 v[20:21], v[20:21], v[34:35]
	v_add_f64 v[32:33], v[30:31], -v[32:33]
	v_add_f64 v[12:13], v[12:13], v[26:27]
	v_add_f64 v[42:43], v[28:29], v[20:21]
	;; [unrolled: 1-line block ×3, first 2 shown]
	v_cvt_i32_f64_e32 v5, v[42:43]
	v_add_f64 v[12:13], v[14:15], v[12:13]
	v_cvt_f64_i32_e32 v[35:36], v5
	v_add_f64 v[20:21], v[20:21], -v[35:36]
	v_add_f64 v[12:13], v[16:17], v[12:13]
	v_add_f64 v[14:15], v[28:29], v[20:21]
	;; [unrolled: 1-line block ×3, first 2 shown]
	v_add_f64 v[16:17], v[14:15], -v[20:21]
	v_cmp_le_f64_e32 vcc, 0.5, v[14:15]
	v_add_f64 v[16:17], v[28:29], -v[16:17]
	v_cndmask_b32_e32 v35, 0, v8, vcc
	v_add_f64 v[14:15], v[14:15], -v[34:35]
	v_addc_co_u32_e64 v5, s[0:1], 0, v5, vcc
	s_mov_b32 s0, 0x33145c07
	s_mov_b32 s1, 0x3c91a626
	v_add_f64 v[12:13], v[12:13], v[16:17]
	v_add_f64 v[16:17], v[14:15], v[12:13]
	v_mul_f64 v[18:19], v[16:17], s[14:15]
	v_add_f64 v[14:15], v[16:17], -v[14:15]
	v_fma_f64 v[20:21], v[16:17], s[14:15], -v[18:19]
	v_add_f64 v[12:13], v[12:13], -v[14:15]
	v_fma_f64 v[14:15], v[16:17], s[0:1], v[20:21]
	v_fma_f64 v[14:15], v[12:13], s[14:15], v[14:15]
	v_add_f64 v[12:13], v[18:19], v[14:15]
	v_add_f64 v[16:17], v[12:13], -v[18:19]
	v_add_f64 v[14:15], v[14:15], -v[16:17]
.LBB39_1520:
	s_andn2_saveexec_b64 s[0:1], s[16:17]
	s_cbranch_execz .LBB39_1522
; %bb.1521:
	s_mov_b32 s14, 0x6dc9c883
	s_mov_b32 s15, 0x3fe45f30
	v_mul_f64 v[12:13], |v[10:11]|, s[14:15]
	s_mov_b32 s14, 0x54442d18
	s_mov_b32 s15, 0xbff921fb
	;; [unrolled: 1-line block ×4, first 2 shown]
	v_rndne_f64_e32 v[16:17], v[12:13]
	v_fma_f64 v[12:13], v[16:17], s[14:15], |v[10:11]|
	v_mul_f64 v[14:15], v[16:17], s[16:17]
	s_mov_b32 s14, 0x252049c0
	s_mov_b32 s15, 0xb97b839a
	v_cvt_i32_f64_e32 v5, v[16:17]
	v_fma_f64 v[22:23], v[16:17], s[16:17], v[12:13]
	v_add_f64 v[18:19], v[12:13], v[14:15]
	s_mov_b32 s17, 0x3c91a626
	v_add_f64 v[20:21], v[12:13], -v[18:19]
	v_add_f64 v[18:19], v[18:19], -v[22:23]
	v_add_f64 v[12:13], v[20:21], v[14:15]
	v_fma_f64 v[14:15], v[16:17], s[16:17], v[14:15]
	v_add_f64 v[12:13], v[18:19], v[12:13]
	v_add_f64 v[12:13], v[12:13], -v[14:15]
	v_fma_f64 v[14:15], v[16:17], s[14:15], v[12:13]
	v_add_f64 v[12:13], v[22:23], v[14:15]
	v_add_f64 v[18:19], v[12:13], -v[22:23]
	v_add_f64 v[14:15], v[14:15], -v[18:19]
.LBB39_1522:
	s_or_b64 exec, exec, s[0:1]
	v_mul_f64 v[16:17], v[12:13], v[12:13]
	v_add_f64 v[18:19], v[14:15], v[14:15]
	s_mov_b32 s0, 0xc751c08c
	s_mov_b32 s1, 0x3ef5e089
	v_and_b32_e32 v5, 1, v5
	v_cmp_eq_u32_e32 vcc, 0, v5
	v_and_b32_e32 v8, 0x80000000, v11
	s_mov_b32 s16, 0x54442d18
	v_fma_f64 v[20:21], v[12:13], v[12:13], -v[16:17]
	s_mov_b32 s17, 0xc00921fb
	s_mov_b64 s[14:15], exec
	v_sub_f32_e32 v3, 1.0, v3
	v_fma_f64 v[18:19], v[12:13], v[18:19], v[20:21]
	v_add_f64 v[16:17], v[16:17], v[18:19]
	v_mov_b32_e32 v18, 0xa9a29f71
	v_mov_b32_e32 v19, 0xbf078809
	v_fma_f64 v[18:19], v[16:17], s[0:1], v[18:19]
	s_mov_b32 s0, 0x90a8aae0
	s_mov_b32 s1, 0x3f17746f
	v_fma_f64 v[18:19], v[16:17], v[18:19], s[0:1]
	s_mov_b32 s0, 0xa6fbf144
	s_mov_b32 s1, 0xbefbb44d
	;; [unrolled: 3-line block ×12, first 2 shown]
	v_fma_f64 v[18:19], v[16:17], v[18:19], s[0:1]
	s_movk_i32 s0, 0x1f8
	v_cmp_class_f64_e64 s[0:1], v[10:11], s0
	v_mov_b32_e32 v11, 0x7ff80000
	v_mul_f64 v[16:17], v[16:17], v[18:19]
	v_mul_f64 v[18:19], v[12:13], v[16:17]
	v_add_f64 v[20:21], v[12:13], v[18:19]
	v_fma_f64 v[16:17], v[12:13], v[16:17], -v[18:19]
	v_add_f64 v[12:13], v[20:21], -v[12:13]
	v_add_f64 v[14:15], v[14:15], v[16:17]
	v_add_f64 v[12:13], v[18:19], -v[12:13]
	v_add_f64 v[12:13], v[14:15], v[12:13]
	v_add_f64 v[14:15], v[20:21], v[12:13]
	v_rcp_f64_e32 v[16:17], v[14:15]
	v_fma_f64 v[18:19], -v[14:15], v[16:17], 1.0
	v_fma_f64 v[16:17], v[18:19], v[16:17], v[16:17]
	v_fma_f64 v[18:19], -v[14:15], v[16:17], 1.0
	v_fma_f64 v[16:17], v[18:19], v[16:17], v[16:17]
	v_add_f64 v[18:19], v[14:15], -v[20:21]
	v_mul_f64 v[20:21], v[14:15], v[16:17]
	v_add_f64 v[12:13], v[12:13], -v[18:19]
	v_fma_f64 v[18:19], v[16:17], v[14:15], -v[20:21]
	v_fma_f64 v[12:13], v[16:17], v[12:13], v[18:19]
	v_add_f64 v[18:19], v[20:21], v[12:13]
	v_add_f64 v[22:23], -v[18:19], 1.0
	v_add_f64 v[20:21], v[18:19], -v[20:21]
	v_add_f64 v[24:25], -v[22:23], 1.0
	v_add_f64 v[12:13], v[20:21], -v[12:13]
	v_add_f64 v[18:19], v[24:25], -v[18:19]
	v_add_f64 v[12:13], v[12:13], v[18:19]
	v_add_f64 v[12:13], v[22:23], v[12:13]
	v_mul_f64 v[12:13], v[16:17], v[12:13]
	v_add_f64 v[12:13], v[16:17], v[12:13]
	v_xor_b32_e32 v10, 0x80000000, v13
	v_cndmask_b32_e32 v5, v12, v14, vcc
	v_cndmask_b32_e32 v12, v10, v15, vcc
	v_cndmask_b32_e64 v10, 0, v5, s[0:1]
	v_xor_b32_e32 v5, v12, v8
	v_cndmask_b32_e64 v11, v11, v5, s[0:1]
	v_div_scale_f64 v[12:13], s[0:1], v[10:11], v[10:11], s[16:17]
	v_div_scale_f64 v[18:19], vcc, s[16:17], v[10:11], s[16:17]
	v_rcp_f64_e32 v[14:15], v[12:13]
	v_fma_f64 v[16:17], -v[12:13], v[14:15], 1.0
	v_fma_f64 v[14:15], v[14:15], v[16:17], v[14:15]
	v_fma_f64 v[16:17], -v[12:13], v[14:15], 1.0
	v_fma_f64 v[14:15], v[14:15], v[16:17], v[14:15]
	v_mul_f64 v[16:17], v[18:19], v[14:15]
	v_fma_f64 v[12:13], -v[12:13], v[16:17], v[18:19]
	v_div_fmas_f64 v[12:13], v[12:13], v[14:15], v[16:17]
	v_div_fixup_f64 v[10:11], v[12:13], v[10:11], s[16:17]
	v_cvt_f32_f64_e32 v5, v[10:11]
.LBB39_1523:
	s_or_b64 exec, exec, s[12:13]
	s_orn2_b64 s[12:13], s[14:15], exec
.LBB39_1524:
	s_or_b64 exec, exec, s[6:7]
	v_mov_b32_e32 v14, 0x7fc0
	s_and_saveexec_b64 s[0:1], s[12:13]
	s_cbranch_execz .LBB39_1536
; %bb.1525:
	s_mov_b32 s14, 0x41200000
	v_cmp_gt_f32_e32 vcc, s14, v3
	s_and_saveexec_b64 s[6:7], vcc
	s_cbranch_execz .LBB39_1529
; %bb.1526:
	s_mov_b64 s[12:13], 0
.LBB39_1527:                            ; =>This Inner Loop Header: Depth=1
	v_div_scale_f32 v8, s[16:17], v3, v3, 1.0
	v_div_scale_f32 v10, vcc, 1.0, v3, 1.0
	v_rcp_f32_e32 v11, v8
	v_fma_f32 v12, -v8, v11, 1.0
	v_fmac_f32_e32 v11, v12, v11
	v_mul_f32_e32 v12, v10, v11
	v_fma_f32 v13, -v8, v12, v10
	v_fmac_f32_e32 v12, v13, v11
	v_fma_f32 v8, -v8, v12, v10
	v_div_fmas_f32 v8, v8, v11, v12
	v_div_fixup_f32 v8, v8, v3, 1.0
	v_add_f32_e32 v3, 1.0, v3
	v_cmp_ngt_f32_e32 vcc, s14, v3
	s_or_b64 s[12:13], vcc, s[12:13]
	v_sub_f32_e32 v5, v5, v8
	s_andn2_b64 exec, exec, s[12:13]
	s_cbranch_execnz .LBB39_1527
; %bb.1528:
	s_or_b64 exec, exec, s[12:13]
.LBB39_1529:
	s_or_b64 exec, exec, s[6:7]
	s_mov_b32 s6, 0x41200000
	v_cmp_neq_f32_e32 vcc, s6, v3
                                        ; implicit-def: $vgpr14
	s_and_saveexec_b64 s[6:7], vcc
	s_xor_b64 s[6:7], exec, s[6:7]
	s_cbranch_execz .LBB39_1533
; %bb.1530:
	v_cvt_f64_f32_e32 v[10:11], v3
	s_mov_b32 s12, 0x85d8a000
	s_mov_b32 s13, 0x43763457
	v_mov_b32_e32 v8, 0
	v_cmp_gt_f64_e32 vcc, s[12:13], v[10:11]
	s_and_saveexec_b64 s[12:13], vcc
	s_cbranch_execz .LBB39_1532
; %bb.1531:
	v_mul_f32_e32 v8, v3, v3
	v_div_scale_f32 v10, s[14:15], v8, v8, 1.0
	v_div_scale_f32 v11, vcc, 1.0, v8, 1.0
	v_mov_b32_e32 v15, 0x3b820821
	v_rcp_f32_e32 v12, v10
	v_fma_f32 v13, -v10, v12, 1.0
	v_fmac_f32_e32 v12, v13, v12
	v_mul_f32_e32 v13, v11, v12
	v_fma_f32 v14, -v10, v13, v11
	v_fmac_f32_e32 v13, v14, v12
	v_fma_f32 v10, -v10, v13, v11
	v_div_fmas_f32 v10, v10, v12, v13
	v_mov_b32_e32 v11, 0x3daaaaab
	v_mov_b32_e32 v12, 0xbcaccacd
	;; [unrolled: 1-line block ×4, first 2 shown]
	v_div_fixup_f32 v8, v10, v8, 1.0
	v_fma_f32 v10, 0, v8, v11
	v_fmac_f32_e32 v12, v8, v10
	v_fmac_f32_e32 v13, v8, v12
	;; [unrolled: 1-line block ×4, first 2 shown]
	v_mov_b32_e32 v10, 0xbc088889
	v_fmac_f32_e32 v10, v8, v15
	v_fmac_f32_e32 v11, v8, v10
	v_mul_f32_e32 v8, v8, v11
.LBB39_1532:
	s_or_b64 exec, exec, s[12:13]
	v_div_scale_f32 v10, s[12:13], v3, v3, -0.5
	v_div_scale_f32 v11, vcc, -0.5, v3, -0.5
	s_mov_b32 s12, 0x800000
	s_mov_b32 s13, 0x3f317217
	s_mov_b32 s14, 0x7f800000
	v_rcp_f32_e32 v12, v10
	v_fma_f32 v13, -v10, v12, 1.0
	v_fmac_f32_e32 v12, v13, v12
	v_mul_f32_e32 v13, v11, v12
	v_fma_f32 v14, -v10, v13, v11
	v_fmac_f32_e32 v13, v14, v12
	v_fma_f32 v10, -v10, v13, v11
	v_div_fmas_f32 v10, v10, v12, v13
	v_cmp_gt_f32_e32 vcc, s12, v3
	v_cndmask_b32_e64 v12, 0, 32, vcc
	v_ldexp_f32 v12, v3, v12
	v_log_f32_e32 v12, v12
	v_mov_b32_e32 v11, 0x41b17218
	v_cndmask_b32_e32 v11, 0, v11, vcc
	s_movk_i32 s12, 0x7fff
	v_mul_f32_e32 v14, 0x3f317217, v12
	v_fma_f32 v14, v12, s13, -v14
	v_fmac_f32_e32 v14, 0x3377d1cf, v12
	v_fmac_f32_e32 v14, 0x3f317217, v12
	v_cmp_lt_f32_e64 vcc, |v12|, s14
	v_cndmask_b32_e32 v12, v12, v14, vcc
	v_sub_f32_e32 v11, v12, v11
	v_mov_b32_e32 v13, 0x7fc0
	v_div_fixup_f32 v3, v10, v3, -0.5
	v_add_f32_e32 v3, v11, v3
	v_sub_f32_e32 v3, v3, v8
	v_add_f32_e32 v3, v5, v3
	v_bfe_u32 v5, v3, 16, 1
	v_cmp_o_f32_e32 vcc, v3, v3
	v_add3_u32 v3, v3, v5, s12
	v_cndmask_b32_sdwa v14, v13, v3, vcc dst_sel:DWORD dst_unused:UNUSED_PAD src0_sel:DWORD src1_sel:WORD_1
                                        ; implicit-def: $vgpr5
.LBB39_1533:
	s_andn2_saveexec_b64 s[6:7], s[6:7]
; %bb.1534:
	v_add_f32_e32 v3, 0x40101cb7, v5
	v_bfe_u32 v5, v3, 16, 1
	s_movk_i32 s12, 0x7fff
	v_add3_u32 v5, v3, v5, s12
	v_cmp_o_f32_e32 vcc, v3, v3
	v_mov_b32_e32 v3, 0x7fc0
	v_cndmask_b32_sdwa v14, v3, v5, vcc dst_sel:DWORD dst_unused:UNUSED_PAD src0_sel:DWORD src1_sel:WORD_1
; %bb.1535:
	s_or_b64 exec, exec, s[6:7]
.LBB39_1536:
	s_or_b64 exec, exec, s[0:1]
                                        ; implicit-def: $vgpr3
.LBB39_1537:
	s_andn2_saveexec_b64 s[0:1], s[4:5]
; %bb.1538:
	v_xor_b32_e32 v3, 0x80000000, v3
	v_and_b32_e32 v3, 0x80000000, v3
	v_or_b32_e32 v3, 0x7f800000, v3
	v_lshrrev_b32_e32 v14, 16, v3
; %bb.1539:
	s_or_b64 exec, exec, s[0:1]
	v_mov_b32_e32 v3, s11
	v_add_co_u32_e32 v8, vcc, s10, v9
	s_cmp_lt_i32 s19, 11
	v_addc_co_u32_e32 v9, vcc, 0, v3, vcc
	s_cbranch_scc1 .LBB39_1546
; %bb.1540:
	s_and_b32 s16, 0xffff, s19
	s_cmp_gt_i32 s16, 25
	s_mov_b64 s[4:5], 0
	s_cbranch_scc0 .LBB39_1548
; %bb.1541:
	s_cmp_gt_i32 s16, 28
	s_cbranch_scc0 .LBB39_1549
; %bb.1542:
	s_cmp_gt_i32 s16, 43
	s_cbranch_scc0 .LBB39_1550
; %bb.1543:
	s_cmp_gt_i32 s16, 45
	s_cbranch_scc0 .LBB39_1552
; %bb.1544:
	s_cmp_eq_u32 s16, 46
	s_mov_b64 s[12:13], 0
	s_cbranch_scc0 .LBB39_1553
; %bb.1545:
	global_load_dword v3, v[8:9], off
	s_mov_b64 s[0:1], 0
	s_mov_b64 s[6:7], -1
	s_branch .LBB39_1554
.LBB39_1546:
	s_mov_b64 s[6:7], 0
                                        ; implicit-def: $vgpr3
	s_cbranch_execnz .LBB39_1620
.LBB39_1547:
	s_andn2_b64 vcc, exec, s[6:7]
	s_cbranch_vccnz .LBB39_1924
	s_branch .LBB39_1668
.LBB39_1548:
	s_mov_b64 s[12:13], -1
	s_mov_b64 s[6:7], 0
	s_mov_b64 s[0:1], 0
                                        ; implicit-def: $vgpr3
	s_branch .LBB39_1583
.LBB39_1549:
	s_mov_b64 s[12:13], -1
	s_mov_b64 s[6:7], 0
	s_mov_b64 s[0:1], 0
                                        ; implicit-def: $vgpr3
	s_branch .LBB39_1564
.LBB39_1550:
	s_mov_b64 s[12:13], -1
	s_mov_b64 s[6:7], 0
	s_mov_b64 s[0:1], 0
                                        ; implicit-def: $vgpr3
	s_branch .LBB39_1559
.LBB39_1551:
	s_trap 2
	s_or_b64 s[2:3], s[2:3], exec
	s_cbranch_execz .LBB39_1466
	s_branch .LBB39_1467
.LBB39_1552:
	s_mov_b64 s[12:13], -1
	s_mov_b64 s[6:7], 0
	s_mov_b64 s[0:1], 0
                                        ; implicit-def: $vgpr3
	s_branch .LBB39_1554
.LBB39_1553:
	s_mov_b64 s[0:1], -1
                                        ; implicit-def: $vgpr3
	s_mov_b64 s[6:7], 0
.LBB39_1554:
	s_and_b64 vcc, exec, s[12:13]
	s_cbranch_vccz .LBB39_1558
; %bb.1555:
	s_cmp_eq_u32 s16, 44
	s_cbranch_scc0 .LBB39_1557
; %bb.1556:
	global_load_ubyte v3, v[8:9], off
	s_movk_i32 s6, 0xff
	v_mov_b32_e32 v5, 0x7f800001
	v_mov_b32_e32 v10, 0x400000
	v_mov_b32_e32 v11, 0x7fc0
	s_mov_b64 s[0:1], 0
	s_waitcnt vmcnt(0)
	v_lshlrev_b32_e32 v12, 23, v3
	v_cmp_ne_u32_e32 vcc, s6, v3
	v_cndmask_b32_e32 v5, v5, v12, vcc
	v_cmp_ne_u32_e32 vcc, 0, v3
	v_cndmask_b32_e32 v3, v10, v5, vcc
	v_add_u32_e32 v5, 0x7fff, v3
	v_cmp_o_f32_e32 vcc, v3, v3
	v_cndmask_b32_sdwa v3, v11, v5, vcc dst_sel:DWORD dst_unused:UNUSED_PAD src0_sel:DWORD src1_sel:WORD_1
	s_mov_b64 s[6:7], -1
	s_branch .LBB39_1558
.LBB39_1557:
	s_mov_b64 s[0:1], -1
                                        ; implicit-def: $vgpr3
.LBB39_1558:
	s_mov_b64 s[12:13], 0
.LBB39_1559:
	s_and_b64 vcc, exec, s[12:13]
	s_cbranch_vccz .LBB39_1563
; %bb.1560:
	s_cmp_eq_u32 s16, 29
	s_cbranch_scc0 .LBB39_1562
; %bb.1561:
	global_load_dwordx2 v[10:11], v[8:9], off
	s_movk_i32 s6, 0x7fff
	s_mov_b64 s[0:1], 0
	s_mov_b64 s[12:13], 0
	s_waitcnt vmcnt(0)
	v_ffbh_u32_e32 v3, v11
	v_min_u32_e32 v3, 32, v3
	v_lshlrev_b64 v[10:11], v3, v[10:11]
	v_sub_u32_e32 v3, 32, v3
	v_min_u32_e32 v5, 1, v10
	v_or_b32_e32 v5, v11, v5
	v_cvt_f32_u32_e32 v5, v5
	v_ldexp_f32 v3, v5, v3
	v_bfe_u32 v5, v3, 16, 1
	v_add3_u32 v3, v3, v5, s6
	v_lshrrev_b32_e32 v3, 16, v3
	s_mov_b64 s[6:7], -1
	s_branch .LBB39_1564
.LBB39_1562:
	s_mov_b64 s[0:1], -1
                                        ; implicit-def: $vgpr3
.LBB39_1563:
	s_mov_b64 s[12:13], 0
.LBB39_1564:
	s_and_b64 vcc, exec, s[12:13]
	s_cbranch_vccz .LBB39_1582
; %bb.1565:
	s_cmp_lt_i32 s16, 27
	s_cbranch_scc1 .LBB39_1568
; %bb.1566:
	s_cmp_gt_i32 s16, 27
	s_cbranch_scc0 .LBB39_1569
; %bb.1567:
	global_load_dword v3, v[8:9], off
	s_movk_i32 s6, 0x7fff
	s_waitcnt vmcnt(0)
	v_cvt_f32_u32_e32 v3, v3
	v_bfe_u32 v5, v3, 16, 1
	v_add3_u32 v3, v3, v5, s6
	v_lshrrev_b32_e32 v3, 16, v3
	s_mov_b64 s[6:7], 0
	s_branch .LBB39_1570
.LBB39_1568:
	s_mov_b64 s[6:7], -1
                                        ; implicit-def: $vgpr3
	s_branch .LBB39_1573
.LBB39_1569:
	s_mov_b64 s[6:7], -1
                                        ; implicit-def: $vgpr3
.LBB39_1570:
	s_andn2_b64 vcc, exec, s[6:7]
	s_cbranch_vccnz .LBB39_1572
; %bb.1571:
	global_load_ushort v3, v[8:9], off
	s_movk_i32 s6, 0x7fff
	s_waitcnt vmcnt(0)
	v_cvt_f32_u32_e32 v3, v3
	v_bfe_u32 v5, v3, 16, 1
	v_add3_u32 v3, v3, v5, s6
	v_lshrrev_b32_e32 v3, 16, v3
.LBB39_1572:
	s_mov_b64 s[6:7], 0
.LBB39_1573:
	s_andn2_b64 vcc, exec, s[6:7]
	s_cbranch_vccnz .LBB39_1581
; %bb.1574:
	global_load_ubyte v3, v[8:9], off
	s_movk_i32 s6, 0x7f
	s_waitcnt vmcnt(0)
	v_cmp_lt_i16_e32 vcc, s6, v3
	s_mov_b64 s[6:7], 0
	s_and_saveexec_b64 s[12:13], vcc
	s_xor_b64 s[12:13], exec, s[12:13]
	s_cbranch_execz .LBB39_1595
; %bb.1575:
	s_movk_i32 s6, 0x80
	v_cmp_eq_u16_e32 vcc, s6, v3
	s_mov_b64 s[6:7], -1
	s_and_saveexec_b64 s[14:15], vcc
; %bb.1576:
	s_xor_b64 s[6:7], exec, -1
; %bb.1577:
	s_or_b64 exec, exec, s[14:15]
	s_and_b64 s[6:7], s[6:7], exec
	s_or_saveexec_b64 s[12:13], s[12:13]
	v_mov_b32_e32 v5, 0x7f800001
	s_xor_b64 exec, exec, s[12:13]
	s_cbranch_execnz .LBB39_1596
.LBB39_1578:
	s_or_b64 exec, exec, s[12:13]
	s_and_saveexec_b64 s[12:13], s[6:7]
	s_cbranch_execz .LBB39_1580
.LBB39_1579:
	v_lshlrev_b32_e32 v5, 24, v3
	v_and_b32_e32 v3, 0xffff, v3
	v_and_b32_e32 v10, 7, v3
	v_ffbh_u32_e32 v12, v10
	v_min_u32_e32 v12, 32, v12
	v_subrev_u32_e32 v13, 28, v12
	v_bfe_u32 v11, v3, 3, 4
	v_lshlrev_b32_e32 v3, v13, v3
	v_sub_u32_e32 v12, 29, v12
	v_and_b32_e32 v3, 7, v3
	v_cmp_eq_u32_e32 vcc, 0, v11
	v_cndmask_b32_e32 v11, v11, v12, vcc
	v_cndmask_b32_e32 v3, v10, v3, vcc
	v_mov_b32_e32 v10, 0x3b800000
	v_lshlrev_b32_e32 v3, 20, v3
	v_and_b32_e32 v5, 0x80000000, v5
	v_lshl_add_u32 v10, v11, 23, v10
	v_or3_b32 v5, v5, v10, v3
.LBB39_1580:
	s_or_b64 exec, exec, s[12:13]
	v_bfe_u32 v3, v5, 16, 1
	s_movk_i32 s6, 0x7fff
	v_add3_u32 v3, v5, v3, s6
	v_cmp_o_f32_e32 vcc, v5, v5
	v_mov_b32_e32 v5, 0x7fc0
	v_cndmask_b32_sdwa v3, v5, v3, vcc dst_sel:DWORD dst_unused:UNUSED_PAD src0_sel:DWORD src1_sel:WORD_1
.LBB39_1581:
	s_mov_b64 s[6:7], -1
.LBB39_1582:
	s_mov_b64 s[12:13], 0
.LBB39_1583:
	s_and_b64 vcc, exec, s[12:13]
	s_cbranch_vccz .LBB39_1616
; %bb.1584:
	s_cmp_gt_i32 s16, 22
	s_cbranch_scc0 .LBB39_1594
; %bb.1585:
	s_cmp_lt_i32 s16, 24
	s_cbranch_scc1 .LBB39_1597
; %bb.1586:
	s_cmp_gt_i32 s16, 24
	s_cbranch_scc0 .LBB39_1598
; %bb.1587:
	global_load_ubyte v3, v[8:9], off
	s_movk_i32 s4, 0x7f
	s_waitcnt vmcnt(0)
	v_cmp_lt_i16_e32 vcc, s4, v3
	s_mov_b64 s[4:5], 0
	s_and_saveexec_b64 s[6:7], vcc
	s_xor_b64 s[6:7], exec, s[6:7]
	s_cbranch_execz .LBB39_1610
; %bb.1588:
	s_movk_i32 s4, 0x80
	v_cmp_eq_u16_e32 vcc, s4, v3
	s_mov_b64 s[4:5], -1
	s_and_saveexec_b64 s[12:13], vcc
; %bb.1589:
	s_xor_b64 s[4:5], exec, -1
; %bb.1590:
	s_or_b64 exec, exec, s[12:13]
	s_and_b64 s[4:5], s[4:5], exec
	s_or_saveexec_b64 s[6:7], s[6:7]
	v_mov_b32_e32 v5, 0x7f800001
	s_xor_b64 exec, exec, s[6:7]
	s_cbranch_execnz .LBB39_1611
.LBB39_1591:
	s_or_b64 exec, exec, s[6:7]
	s_and_saveexec_b64 s[6:7], s[4:5]
	s_cbranch_execz .LBB39_1593
.LBB39_1592:
	v_lshlrev_b32_e32 v5, 24, v3
	v_and_b32_e32 v3, 0xffff, v3
	v_and_b32_e32 v10, 3, v3
	v_ffbh_u32_e32 v12, v10
	v_min_u32_e32 v12, 32, v12
	v_subrev_u32_e32 v13, 29, v12
	v_bfe_u32 v11, v3, 2, 5
	v_lshlrev_b32_e32 v3, v13, v3
	v_sub_u32_e32 v12, 30, v12
	v_and_b32_e32 v3, 3, v3
	v_cmp_eq_u32_e32 vcc, 0, v11
	v_cndmask_b32_e32 v11, v11, v12, vcc
	v_cndmask_b32_e32 v3, v10, v3, vcc
	v_mov_b32_e32 v10, 0x37800000
	v_lshlrev_b32_e32 v3, 21, v3
	v_and_b32_e32 v5, 0x80000000, v5
	v_lshl_add_u32 v10, v11, 23, v10
	v_or3_b32 v5, v5, v10, v3
.LBB39_1593:
	s_or_b64 exec, exec, s[6:7]
	v_bfe_u32 v3, v5, 16, 1
	s_movk_i32 s4, 0x7fff
	v_add3_u32 v3, v5, v3, s4
	v_cmp_o_f32_e32 vcc, v5, v5
	v_mov_b32_e32 v5, 0x7fc0
	v_cndmask_b32_sdwa v3, v5, v3, vcc dst_sel:DWORD dst_unused:UNUSED_PAD src0_sel:DWORD src1_sel:WORD_1
	s_mov_b64 s[4:5], 0
	s_branch .LBB39_1599
.LBB39_1594:
	s_mov_b64 s[4:5], -1
                                        ; implicit-def: $vgpr3
	s_branch .LBB39_1605
.LBB39_1595:
	s_or_saveexec_b64 s[12:13], s[12:13]
	v_mov_b32_e32 v5, 0x7f800001
	s_xor_b64 exec, exec, s[12:13]
	s_cbranch_execz .LBB39_1578
.LBB39_1596:
	v_cmp_ne_u16_e32 vcc, 0, v3
	s_andn2_b64 s[6:7], s[6:7], exec
	s_and_b64 s[14:15], vcc, exec
	v_mov_b32_e32 v5, 0
	s_or_b64 s[6:7], s[6:7], s[14:15]
	s_or_b64 exec, exec, s[12:13]
	s_and_saveexec_b64 s[12:13], s[6:7]
	s_cbranch_execnz .LBB39_1579
	s_branch .LBB39_1580
.LBB39_1597:
	s_mov_b64 s[4:5], -1
                                        ; implicit-def: $vgpr3
	s_branch .LBB39_1602
.LBB39_1598:
	s_mov_b64 s[4:5], -1
                                        ; implicit-def: $vgpr3
.LBB39_1599:
	s_and_b64 vcc, exec, s[4:5]
	s_cbranch_vccz .LBB39_1601
; %bb.1600:
	global_load_ubyte v3, v[8:9], off
	s_mov_b32 s4, 0x7f800000
	s_brev_b32 s5, 1
	s_movk_i32 s6, 0x7fff
	s_waitcnt vmcnt(0)
	v_lshlrev_b32_e32 v3, 24, v3
	v_and_b32_e32 v5, 0x7f000000, v3
	v_ffbh_u32_e32 v10, v5
	v_min_u32_e32 v10, 32, v10
	v_sub_u32_e64 v10, v10, 4 clamp
	v_lshlrev_b32_e32 v12, v10, v5
	v_lshlrev_b32_e32 v10, 23, v10
	v_lshrrev_b32_e32 v12, 4, v12
	v_add_u32_e32 v11, 0x1000000, v5
	v_sub_u32_e32 v10, v12, v10
	v_ashrrev_i32_e32 v11, 8, v11
	v_add_u32_e32 v10, 0x3c000000, v10
	v_and_or_b32 v10, v11, s4, v10
	v_cmp_ne_u32_e32 vcc, 0, v5
	v_cndmask_b32_e32 v5, 0, v10, vcc
	v_and_or_b32 v3, v3, s5, v5
	v_bfe_u32 v5, v5, 16, 1
	v_add3_u32 v5, v3, v5, s6
	v_cmp_o_f32_e32 vcc, v3, v3
	v_mov_b32_e32 v3, 0x7fc0
	v_cndmask_b32_sdwa v3, v3, v5, vcc dst_sel:DWORD dst_unused:UNUSED_PAD src0_sel:DWORD src1_sel:WORD_1
.LBB39_1601:
	s_mov_b64 s[4:5], 0
.LBB39_1602:
	s_andn2_b64 vcc, exec, s[4:5]
	s_cbranch_vccnz .LBB39_1604
; %bb.1603:
	global_load_ubyte v3, v[8:9], off
	s_movk_i32 s4, 0x7f00
	s_brev_b32 s5, 16
	s_brev_b32 s6, 1
	s_movk_i32 s7, 0x7fff
	s_waitcnt vmcnt(0)
	v_lshlrev_b16_e32 v5, 8, v3
	v_lshlrev_b32_e32 v3, 25, v3
	v_lshrrev_b32_e32 v10, 4, v3
	v_and_or_b32 v11, v5, s4, 0.5
	v_or_b32_e32 v10, 0x70000000, v10
	v_add_f32_e32 v11, -0.5, v11
	v_mul_f32_e32 v10, 0x7800000, v10
	v_cmp_gt_u32_e32 vcc, s5, v3
	v_bfe_i32 v5, v5, 0, 16
	v_cndmask_b32_e32 v3, v10, v11, vcc
	v_and_or_b32 v5, v5, s6, v3
	v_bfe_u32 v3, v3, 16, 1
	v_add3_u32 v3, v5, v3, s7
	v_cmp_o_f32_e32 vcc, v5, v5
	v_mov_b32_e32 v5, 0x7fc0
	v_cndmask_b32_sdwa v3, v5, v3, vcc dst_sel:DWORD dst_unused:UNUSED_PAD src0_sel:DWORD src1_sel:WORD_1
.LBB39_1604:
	s_mov_b64 s[4:5], 0
	s_mov_b64 s[6:7], -1
.LBB39_1605:
	s_andn2_b64 vcc, exec, s[4:5]
	s_mov_b64 s[4:5], 0
	s_cbranch_vccnz .LBB39_1616
; %bb.1606:
	s_cmp_gt_i32 s16, 14
	s_cbranch_scc0 .LBB39_1609
; %bb.1607:
	s_cmp_eq_u32 s16, 15
	s_cbranch_scc0 .LBB39_1612
; %bb.1608:
	global_load_ushort v3, v[8:9], off
	s_mov_b64 s[0:1], 0
	s_mov_b64 s[6:7], -1
	s_branch .LBB39_1613
.LBB39_1609:
	s_mov_b64 s[12:13], -1
                                        ; implicit-def: $vgpr3
	s_branch .LBB39_1614
.LBB39_1610:
	s_or_saveexec_b64 s[6:7], s[6:7]
	v_mov_b32_e32 v5, 0x7f800001
	s_xor_b64 exec, exec, s[6:7]
	s_cbranch_execz .LBB39_1591
.LBB39_1611:
	v_cmp_ne_u16_e32 vcc, 0, v3
	s_andn2_b64 s[4:5], s[4:5], exec
	s_and_b64 s[12:13], vcc, exec
	v_mov_b32_e32 v5, 0
	s_or_b64 s[4:5], s[4:5], s[12:13]
	s_or_b64 exec, exec, s[6:7]
	s_and_saveexec_b64 s[6:7], s[4:5]
	s_cbranch_execnz .LBB39_1592
	s_branch .LBB39_1593
.LBB39_1612:
	s_mov_b64 s[0:1], -1
                                        ; implicit-def: $vgpr3
.LBB39_1613:
	s_mov_b64 s[12:13], 0
.LBB39_1614:
	s_and_b64 vcc, exec, s[12:13]
	s_cbranch_vccz .LBB39_1616
; %bb.1615:
	s_cmp_lg_u32 s16, 11
	s_mov_b64 s[4:5], -1
	s_cselect_b64 s[0:1], -1, 0
.LBB39_1616:
	s_and_b64 vcc, exec, s[0:1]
	s_cbranch_vccnz .LBB39_1703
; %bb.1617:
	s_andn2_b64 vcc, exec, s[4:5]
	s_cbranch_vccnz .LBB39_1619
.LBB39_1618:
	global_load_ubyte v3, v[8:9], off
	s_mov_b64 s[6:7], -1
	s_waitcnt vmcnt(0)
	v_cmp_ne_u16_e32 vcc, 0, v3
	v_cndmask_b32_e64 v3, 0, 1.0, vcc
	v_lshrrev_b32_e32 v3, 16, v3
.LBB39_1619:
	s_branch .LBB39_1547
.LBB39_1620:
	s_and_b32 s4, 0xffff, s19
	s_cmp_lt_i32 s4, 5
	s_cbranch_scc1 .LBB39_1625
; %bb.1621:
	s_cmp_lt_i32 s4, 8
	s_cbranch_scc1 .LBB39_1626
; %bb.1622:
	;; [unrolled: 3-line block ×3, first 2 shown]
	s_cmp_gt_i32 s4, 9
	s_cbranch_scc0 .LBB39_1628
; %bb.1624:
	global_load_dwordx2 v[10:11], v[8:9], off
	s_movk_i32 s0, 0x7fff
	v_mov_b32_e32 v5, 0x7fc0
	s_waitcnt vmcnt(0)
	v_cvt_f32_f64_e32 v3, v[10:11]
	v_bfe_u32 v10, v3, 16, 1
	v_cmp_o_f32_e32 vcc, v3, v3
	v_add3_u32 v3, v3, v10, s0
	v_cndmask_b32_sdwa v3, v5, v3, vcc dst_sel:DWORD dst_unused:UNUSED_PAD src0_sel:DWORD src1_sel:WORD_1
	s_mov_b64 s[0:1], 0
	s_branch .LBB39_1629
.LBB39_1625:
	s_mov_b64 s[0:1], -1
                                        ; implicit-def: $vgpr3
	s_branch .LBB39_1647
.LBB39_1626:
	s_mov_b64 s[0:1], -1
                                        ; implicit-def: $vgpr3
	s_branch .LBB39_1635
.LBB39_1627:
	s_mov_b64 s[0:1], -1
                                        ; implicit-def: $vgpr3
	s_branch .LBB39_1632
.LBB39_1628:
	s_mov_b64 s[0:1], -1
                                        ; implicit-def: $vgpr3
.LBB39_1629:
	s_andn2_b64 vcc, exec, s[0:1]
	s_cbranch_vccnz .LBB39_1631
; %bb.1630:
	global_load_dword v3, v[8:9], off
	s_movk_i32 s0, 0x7fff
	v_mov_b32_e32 v5, 0x7fc0
	s_waitcnt vmcnt(0)
	v_bfe_u32 v10, v3, 16, 1
	v_cmp_o_f32_e32 vcc, v3, v3
	v_add3_u32 v3, v3, v10, s0
	v_cndmask_b32_sdwa v3, v5, v3, vcc dst_sel:DWORD dst_unused:UNUSED_PAD src0_sel:DWORD src1_sel:WORD_1
.LBB39_1631:
	s_mov_b64 s[0:1], 0
.LBB39_1632:
	s_andn2_b64 vcc, exec, s[0:1]
	s_cbranch_vccnz .LBB39_1634
; %bb.1633:
	global_load_dword v3, v[8:9], off
	s_movk_i32 s0, 0x7fff
	v_mov_b32_e32 v10, 0x7fc0
	s_waitcnt vmcnt(0)
	v_cvt_f32_f16_e32 v5, v3
	v_cmp_o_f16_e32 vcc, v3, v3
	v_bfe_u32 v3, v5, 16, 1
	v_add3_u32 v3, v5, v3, s0
	v_cndmask_b32_sdwa v3, v10, v3, vcc dst_sel:DWORD dst_unused:UNUSED_PAD src0_sel:DWORD src1_sel:WORD_1
.LBB39_1634:
	s_mov_b64 s[0:1], 0
.LBB39_1635:
	s_andn2_b64 vcc, exec, s[0:1]
	s_cbranch_vccnz .LBB39_1646
; %bb.1636:
	s_cmp_lt_i32 s4, 6
	s_cbranch_scc1 .LBB39_1639
; %bb.1637:
	s_cmp_gt_i32 s4, 6
	s_cbranch_scc0 .LBB39_1640
; %bb.1638:
	global_load_dwordx2 v[10:11], v[8:9], off
	s_movk_i32 s0, 0x7fff
	v_mov_b32_e32 v5, 0x7fc0
	s_waitcnt vmcnt(0)
	v_cvt_f32_f64_e32 v3, v[10:11]
	v_bfe_u32 v10, v3, 16, 1
	v_cmp_o_f32_e32 vcc, v3, v3
	v_add3_u32 v3, v3, v10, s0
	v_cndmask_b32_sdwa v3, v5, v3, vcc dst_sel:DWORD dst_unused:UNUSED_PAD src0_sel:DWORD src1_sel:WORD_1
	s_mov_b64 s[0:1], 0
	s_branch .LBB39_1641
.LBB39_1639:
	s_mov_b64 s[0:1], -1
                                        ; implicit-def: $vgpr3
	s_branch .LBB39_1644
.LBB39_1640:
	s_mov_b64 s[0:1], -1
                                        ; implicit-def: $vgpr3
.LBB39_1641:
	s_andn2_b64 vcc, exec, s[0:1]
	s_cbranch_vccnz .LBB39_1643
; %bb.1642:
	global_load_dword v3, v[8:9], off
	s_movk_i32 s0, 0x7fff
	v_mov_b32_e32 v5, 0x7fc0
	s_waitcnt vmcnt(0)
	v_bfe_u32 v10, v3, 16, 1
	v_cmp_o_f32_e32 vcc, v3, v3
	v_add3_u32 v3, v3, v10, s0
	v_cndmask_b32_sdwa v3, v5, v3, vcc dst_sel:DWORD dst_unused:UNUSED_PAD src0_sel:DWORD src1_sel:WORD_1
.LBB39_1643:
	s_mov_b64 s[0:1], 0
.LBB39_1644:
	s_andn2_b64 vcc, exec, s[0:1]
	s_cbranch_vccnz .LBB39_1646
; %bb.1645:
	global_load_ushort v3, v[8:9], off
	s_movk_i32 s0, 0x7fff
	v_mov_b32_e32 v10, 0x7fc0
	s_waitcnt vmcnt(0)
	v_cvt_f32_f16_e32 v5, v3
	v_cmp_o_f16_e32 vcc, v3, v3
	v_bfe_u32 v3, v5, 16, 1
	v_add3_u32 v3, v5, v3, s0
	v_cndmask_b32_sdwa v3, v10, v3, vcc dst_sel:DWORD dst_unused:UNUSED_PAD src0_sel:DWORD src1_sel:WORD_1
.LBB39_1646:
	s_mov_b64 s[0:1], 0
.LBB39_1647:
	s_andn2_b64 vcc, exec, s[0:1]
	s_cbranch_vccnz .LBB39_1667
; %bb.1648:
	s_cmp_lt_i32 s4, 2
	s_cbranch_scc1 .LBB39_1652
; %bb.1649:
	s_cmp_lt_i32 s4, 3
	s_cbranch_scc1 .LBB39_1653
; %bb.1650:
	s_cmp_gt_i32 s4, 3
	s_cbranch_scc0 .LBB39_1654
; %bb.1651:
	global_load_dwordx2 v[10:11], v[8:9], off
	s_movk_i32 s0, 0x7fff
	s_waitcnt vmcnt(0)
	v_xor_b32_e32 v5, v10, v11
	v_ffbh_i32_e32 v3, v11
	v_ashrrev_i32_e32 v5, 31, v5
	v_add_u32_e32 v3, -1, v3
	v_add_u32_e32 v5, 32, v5
	v_min_u32_e32 v3, v3, v5
	v_lshlrev_b64 v[10:11], v3, v[10:11]
	v_sub_u32_e32 v3, 32, v3
	v_min_u32_e32 v5, 1, v10
	v_or_b32_e32 v5, v11, v5
	v_cvt_f32_i32_e32 v5, v5
	v_ldexp_f32 v3, v5, v3
	v_bfe_u32 v5, v3, 16, 1
	v_add3_u32 v3, v3, v5, s0
	v_lshrrev_b32_e32 v3, 16, v3
	s_mov_b64 s[0:1], 0
	s_branch .LBB39_1655
.LBB39_1652:
	s_mov_b64 s[0:1], -1
                                        ; implicit-def: $vgpr3
	s_branch .LBB39_1661
.LBB39_1653:
	s_mov_b64 s[0:1], -1
                                        ; implicit-def: $vgpr3
	s_branch .LBB39_1658
.LBB39_1654:
	s_mov_b64 s[0:1], -1
                                        ; implicit-def: $vgpr3
.LBB39_1655:
	s_andn2_b64 vcc, exec, s[0:1]
	s_cbranch_vccnz .LBB39_1657
; %bb.1656:
	global_load_dword v3, v[8:9], off
	s_movk_i32 s0, 0x7fff
	s_waitcnt vmcnt(0)
	v_cvt_f32_i32_e32 v3, v3
	v_bfe_u32 v5, v3, 16, 1
	v_add3_u32 v3, v3, v5, s0
	v_lshrrev_b32_e32 v3, 16, v3
.LBB39_1657:
	s_mov_b64 s[0:1], 0
.LBB39_1658:
	s_andn2_b64 vcc, exec, s[0:1]
	s_cbranch_vccnz .LBB39_1660
; %bb.1659:
	global_load_sshort v3, v[8:9], off
	s_movk_i32 s0, 0x7fff
	s_waitcnt vmcnt(0)
	v_cvt_f32_i32_e32 v3, v3
	v_bfe_u32 v5, v3, 16, 1
	v_add3_u32 v3, v3, v5, s0
	v_lshrrev_b32_e32 v3, 16, v3
.LBB39_1660:
	s_mov_b64 s[0:1], 0
.LBB39_1661:
	s_andn2_b64 vcc, exec, s[0:1]
	s_cbranch_vccnz .LBB39_1667
; %bb.1662:
	s_cmp_gt_i32 s4, 0
	s_cbranch_scc0 .LBB39_1664
; %bb.1663:
	global_load_sbyte v3, v[8:9], off
	s_movk_i32 s0, 0x7fff
	s_waitcnt vmcnt(0)
	v_cvt_f32_i32_e32 v3, v3
	v_bfe_u32 v5, v3, 16, 1
	v_add3_u32 v3, v3, v5, s0
	v_lshrrev_b32_e32 v3, 16, v3
	s_mov_b64 s[0:1], 0
	s_branch .LBB39_1665
.LBB39_1664:
	s_mov_b64 s[0:1], -1
                                        ; implicit-def: $vgpr3
.LBB39_1665:
	s_andn2_b64 vcc, exec, s[0:1]
	s_cbranch_vccnz .LBB39_1667
; %bb.1666:
	global_load_ubyte v3, v[8:9], off
	s_movk_i32 s0, 0x7fff
	s_waitcnt vmcnt(0)
	v_cvt_f32_ubyte0_e32 v3, v3
	v_bfe_u32 v5, v3, 16, 1
	v_add3_u32 v3, v3, v5, s0
	v_lshrrev_b32_e32 v3, 16, v3
.LBB39_1667:
.LBB39_1668:
	s_waitcnt vmcnt(0)
	v_lshlrev_b32_e32 v3, 16, v3
	v_cmp_neq_f32_e32 vcc, 0, v3
                                        ; implicit-def: $vgpr13
	s_and_saveexec_b64 s[0:1], vcc
	s_xor_b64 s[4:5], exec, s[0:1]
	s_cbranch_execz .LBB39_1690
; %bb.1669:
	v_mov_b32_e32 v5, 0
	v_cmp_gt_f32_e32 vcc, 0, v3
	s_mov_b64 s[12:13], -1
	s_and_saveexec_b64 s[6:7], vcc
	s_cbranch_execz .LBB39_1677
; %bb.1670:
	v_trunc_f32_e32 v5, v3
	v_cmp_neq_f32_e32 vcc, v5, v3
	s_mov_b64 s[14:15], 0
	v_mov_b32_e32 v5, 0
	s_and_saveexec_b64 s[12:13], vcc
	s_cbranch_execz .LBB39_1676
; %bb.1671:
	v_cvt_f64_f32_e32 v[8:9], v3
	s_mov_b32 s16, 0
	s_mov_b32 s1, 0xc00921fb
	;; [unrolled: 1-line block ×3, first 2 shown]
	v_trunc_f64_e32 v[10:11], v[8:9]
	s_mov_b32 s17, 0x7ff00000
	v_cmp_neq_f64_e64 vcc, |v[8:9]|, s[16:17]
	v_bfrev_b32_e32 v5, 1
	s_mov_b32 s14, 0
	s_mov_b32 s15, 0x41d00000
                                        ; implicit-def: $vgpr12_vgpr13
	v_add_f64 v[10:11], v[8:9], -v[10:11]
	v_mul_f64 v[10:11], |v[10:11]|, s[0:1]
	v_cndmask_b32_e32 v9, v5, v11, vcc
	v_cndmask_b32_e32 v8, 0, v10, vcc
	v_cmp_nlt_f64_e64 s[14:15], |v[8:9]|, s[14:15]
                                        ; implicit-def: $vgpr5
                                        ; implicit-def: $vgpr10_vgpr11
	s_and_saveexec_b64 s[20:21], s[14:15]
	s_xor_b64 s[14:15], exec, s[20:21]
	s_cbranch_execz .LBB39_1673
; %bb.1672:
	v_trig_preop_f64 v[10:11], |v[8:9]|, 0
	s_mov_b32 s20, 0
	s_mov_b32 s21, 0x7b000000
	s_movk_i32 s1, 0xff80
	v_ldexp_f64 v[15:16], |v[8:9]|, s1
	v_cmp_ge_f64_e64 vcc, |v[8:9]|, s[20:21]
	v_trig_preop_f64 v[12:13], |v[8:9]|, 1
	v_and_b32_e32 v5, 0x7fffffff, v9
	v_trig_preop_f64 v[23:24], |v[8:9]|, 2
	v_mov_b32_e32 v33, 0
	s_mov_b32 s1, 0x3ff921fb
	v_cndmask_b32_e32 v16, v5, v16, vcc
	v_cndmask_b32_e32 v15, v8, v15, vcc
	v_mov_b32_e32 v5, 0x40100000
	v_mul_f64 v[17:18], v[10:11], v[15:16]
	v_mul_f64 v[19:20], v[12:13], v[15:16]
	;; [unrolled: 1-line block ×3, first 2 shown]
	v_fma_f64 v[10:11], v[10:11], v[15:16], -v[17:18]
	v_fma_f64 v[12:13], v[12:13], v[15:16], -v[19:20]
	;; [unrolled: 1-line block ×3, first 2 shown]
	v_add_f64 v[21:22], v[19:20], v[10:11]
	v_add_f64 v[25:26], v[21:22], -v[19:20]
	v_add_f64 v[31:32], v[17:18], v[21:22]
	v_add_f64 v[27:28], v[21:22], -v[25:26]
	v_add_f64 v[10:11], v[10:11], -v[25:26]
	v_add_f64 v[25:26], v[29:30], v[12:13]
	v_add_f64 v[17:18], v[31:32], -v[17:18]
	v_add_f64 v[19:20], v[19:20], -v[27:28]
	v_ldexp_f64 v[27:28], v[31:32], -2
	v_add_f64 v[35:36], v[25:26], -v[29:30]
	v_add_f64 v[17:18], v[21:22], -v[17:18]
	v_add_f64 v[10:11], v[10:11], v[19:20]
	v_fract_f64_e32 v[19:20], v[27:28]
	v_cmp_neq_f64_e64 vcc, |v[27:28]|, s[16:17]
	v_add_f64 v[12:13], v[12:13], -v[35:36]
	s_mov_b32 s16, 0x33145c07
	s_mov_b32 s17, 0x3c91a626
	v_add_f64 v[21:22], v[25:26], v[10:11]
	v_ldexp_f64 v[19:20], v[19:20], 2
	v_add_f64 v[27:28], v[17:18], v[21:22]
	v_cndmask_b32_e32 v20, 0, v20, vcc
	v_cndmask_b32_e32 v19, 0, v19, vcc
	v_add_f64 v[37:38], v[21:22], -v[25:26]
	v_add_f64 v[31:32], v[27:28], v[19:20]
	v_add_f64 v[17:18], v[27:28], -v[17:18]
	v_add_f64 v[39:40], v[21:22], -v[37:38]
	;; [unrolled: 1-line block ×3, first 2 shown]
	v_cmp_gt_f64_e32 vcc, 0, v[31:32]
	v_add_f64 v[31:32], v[25:26], -v[35:36]
	v_add_f64 v[17:18], v[21:22], -v[17:18]
	;; [unrolled: 1-line block ×3, first 2 shown]
	v_cndmask_b32_e32 v34, 0, v5, vcc
	v_add_f64 v[19:20], v[19:20], v[33:34]
	v_add_f64 v[31:32], v[29:30], -v[31:32]
	v_add_f64 v[10:11], v[10:11], v[25:26]
	v_add_f64 v[41:42], v[27:28], v[19:20]
	;; [unrolled: 1-line block ×3, first 2 shown]
	v_cvt_i32_f64_e32 v5, v[41:42]
	v_add_f64 v[10:11], v[12:13], v[10:11]
	v_cvt_f64_i32_e32 v[34:35], v5
	v_add_f64 v[19:20], v[19:20], -v[34:35]
	v_add_f64 v[10:11], v[15:16], v[10:11]
	v_add_f64 v[12:13], v[27:28], v[19:20]
	;; [unrolled: 1-line block ×3, first 2 shown]
	v_mov_b32_e32 v17, 0x3ff00000
	v_add_f64 v[15:16], v[12:13], -v[19:20]
	v_cmp_le_f64_e32 vcc, 0.5, v[12:13]
	v_add_f64 v[15:16], v[27:28], -v[15:16]
	v_cndmask_b32_e32 v34, 0, v17, vcc
	v_add_f64 v[12:13], v[12:13], -v[33:34]
	v_addc_co_u32_e32 v5, vcc, 0, v5, vcc
	v_add_f64 v[10:11], v[10:11], v[15:16]
	v_add_f64 v[15:16], v[12:13], v[10:11]
	v_mul_f64 v[17:18], v[15:16], s[0:1]
	v_add_f64 v[12:13], v[15:16], -v[12:13]
	v_fma_f64 v[19:20], v[15:16], s[0:1], -v[17:18]
	v_add_f64 v[10:11], v[10:11], -v[12:13]
	v_fma_f64 v[12:13], v[15:16], s[16:17], v[19:20]
	v_fma_f64 v[12:13], v[10:11], s[0:1], v[12:13]
	v_add_f64 v[10:11], v[17:18], v[12:13]
	v_add_f64 v[15:16], v[10:11], -v[17:18]
	v_add_f64 v[12:13], v[12:13], -v[15:16]
.LBB39_1673:
	s_andn2_saveexec_b64 s[0:1], s[14:15]
	s_cbranch_execz .LBB39_1675
; %bb.1674:
	s_mov_b32 s14, 0x6dc9c883
	s_mov_b32 s15, 0x3fe45f30
	v_mul_f64 v[10:11], |v[8:9]|, s[14:15]
	s_mov_b32 s14, 0x54442d18
	s_mov_b32 s15, 0xbff921fb
	;; [unrolled: 1-line block ×4, first 2 shown]
	v_rndne_f64_e32 v[15:16], v[10:11]
	v_fma_f64 v[10:11], v[15:16], s[14:15], |v[8:9]|
	v_mul_f64 v[12:13], v[15:16], s[16:17]
	s_mov_b32 s14, 0x252049c0
	s_mov_b32 s15, 0xb97b839a
	v_cvt_i32_f64_e32 v5, v[15:16]
	v_fma_f64 v[21:22], v[15:16], s[16:17], v[10:11]
	v_add_f64 v[17:18], v[10:11], v[12:13]
	s_mov_b32 s17, 0x3c91a626
	v_add_f64 v[19:20], v[10:11], -v[17:18]
	v_add_f64 v[17:18], v[17:18], -v[21:22]
	v_add_f64 v[10:11], v[19:20], v[12:13]
	v_fma_f64 v[12:13], v[15:16], s[16:17], v[12:13]
	v_add_f64 v[10:11], v[17:18], v[10:11]
	v_add_f64 v[10:11], v[10:11], -v[12:13]
	v_fma_f64 v[12:13], v[15:16], s[14:15], v[10:11]
	v_add_f64 v[10:11], v[21:22], v[12:13]
	v_add_f64 v[17:18], v[10:11], -v[21:22]
	v_add_f64 v[12:13], v[12:13], -v[17:18]
.LBB39_1675:
	s_or_b64 exec, exec, s[0:1]
	v_mul_f64 v[15:16], v[10:11], v[10:11]
	v_add_f64 v[17:18], v[12:13], v[12:13]
	s_mov_b32 s0, 0xc751c08c
	s_mov_b32 s1, 0x3ef5e089
	v_and_b32_e32 v5, 1, v5
	v_cmp_eq_u32_e32 vcc, 0, v5
	s_mov_b32 s16, 0x54442d18
	s_mov_b32 s17, 0xc00921fb
	v_fma_f64 v[19:20], v[10:11], v[10:11], -v[15:16]
	s_mov_b64 s[14:15], exec
	v_sub_f32_e32 v3, 1.0, v3
	v_fma_f64 v[17:18], v[10:11], v[17:18], v[19:20]
	v_add_f64 v[15:16], v[15:16], v[17:18]
	v_mov_b32_e32 v17, 0xa9a29f71
	v_mov_b32_e32 v18, 0xbf078809
	v_fma_f64 v[17:18], v[15:16], s[0:1], v[17:18]
	s_mov_b32 s0, 0x90a8aae0
	s_mov_b32 s1, 0x3f17746f
	v_fma_f64 v[17:18], v[15:16], v[17:18], s[0:1]
	s_mov_b32 s0, 0xa6fbf144
	s_mov_b32 s1, 0xbefbb44d
	;; [unrolled: 3-line block ×12, first 2 shown]
	v_fma_f64 v[17:18], v[15:16], v[17:18], s[0:1]
	s_movk_i32 s0, 0x1f8
	v_cmp_class_f64_e64 s[0:1], v[8:9], s0
	v_mul_f64 v[15:16], v[15:16], v[17:18]
	v_mul_f64 v[17:18], v[10:11], v[15:16]
	v_add_f64 v[19:20], v[10:11], v[17:18]
	v_fma_f64 v[15:16], v[10:11], v[15:16], -v[17:18]
	v_add_f64 v[10:11], v[19:20], -v[10:11]
	v_add_f64 v[12:13], v[12:13], v[15:16]
	v_add_f64 v[10:11], v[17:18], -v[10:11]
	v_add_f64 v[10:11], v[12:13], v[10:11]
	v_add_f64 v[12:13], v[19:20], v[10:11]
	v_rcp_f64_e32 v[15:16], v[12:13]
	v_fma_f64 v[17:18], -v[12:13], v[15:16], 1.0
	v_fma_f64 v[15:16], v[17:18], v[15:16], v[15:16]
	v_fma_f64 v[17:18], -v[12:13], v[15:16], 1.0
	v_fma_f64 v[15:16], v[17:18], v[15:16], v[15:16]
	v_add_f64 v[17:18], v[12:13], -v[19:20]
	v_mul_f64 v[19:20], v[12:13], v[15:16]
	v_add_f64 v[10:11], v[10:11], -v[17:18]
	v_fma_f64 v[17:18], v[15:16], v[12:13], -v[19:20]
	v_fma_f64 v[10:11], v[15:16], v[10:11], v[17:18]
	v_add_f64 v[17:18], v[19:20], v[10:11]
	v_add_f64 v[21:22], -v[17:18], 1.0
	v_add_f64 v[19:20], v[17:18], -v[19:20]
	v_add_f64 v[23:24], -v[21:22], 1.0
	v_add_f64 v[10:11], v[19:20], -v[10:11]
	v_add_f64 v[17:18], v[23:24], -v[17:18]
	v_add_f64 v[10:11], v[10:11], v[17:18]
	v_add_f64 v[10:11], v[21:22], v[10:11]
	v_mul_f64 v[10:11], v[15:16], v[10:11]
	v_add_f64 v[10:11], v[15:16], v[10:11]
	v_and_b32_e32 v15, 0x80000000, v9
	v_mov_b32_e32 v9, 0x7ff80000
	v_xor_b32_e32 v8, 0x80000000, v11
	v_cndmask_b32_e32 v5, v10, v12, vcc
	v_cndmask_b32_e32 v10, v8, v13, vcc
	v_cndmask_b32_e64 v8, 0, v5, s[0:1]
	v_xor_b32_e32 v5, v10, v15
	v_cndmask_b32_e64 v9, v9, v5, s[0:1]
	v_div_scale_f64 v[10:11], s[0:1], v[8:9], v[8:9], s[16:17]
	v_div_scale_f64 v[17:18], vcc, s[16:17], v[8:9], s[16:17]
	v_rcp_f64_e32 v[12:13], v[10:11]
	v_fma_f64 v[15:16], -v[10:11], v[12:13], 1.0
	v_fma_f64 v[12:13], v[12:13], v[15:16], v[12:13]
	v_fma_f64 v[15:16], -v[10:11], v[12:13], 1.0
	v_fma_f64 v[12:13], v[12:13], v[15:16], v[12:13]
	v_mul_f64 v[15:16], v[17:18], v[12:13]
	v_fma_f64 v[10:11], -v[10:11], v[15:16], v[17:18]
	v_div_fmas_f64 v[10:11], v[10:11], v[12:13], v[15:16]
	v_div_fixup_f64 v[8:9], v[10:11], v[8:9], s[16:17]
	v_cvt_f32_f64_e32 v5, v[8:9]
.LBB39_1676:
	s_or_b64 exec, exec, s[12:13]
	s_orn2_b64 s[12:13], s[14:15], exec
.LBB39_1677:
	s_or_b64 exec, exec, s[6:7]
	v_mov_b32_e32 v13, 0x7fc0
	s_and_saveexec_b64 s[0:1], s[12:13]
	s_cbranch_execz .LBB39_1689
; %bb.1678:
	s_mov_b32 s14, 0x41200000
	v_cmp_gt_f32_e32 vcc, s14, v3
	s_and_saveexec_b64 s[6:7], vcc
	s_cbranch_execz .LBB39_1682
; %bb.1679:
	s_mov_b64 s[12:13], 0
.LBB39_1680:                            ; =>This Inner Loop Header: Depth=1
	v_div_scale_f32 v8, s[16:17], v3, v3, 1.0
	v_div_scale_f32 v9, vcc, 1.0, v3, 1.0
	v_rcp_f32_e32 v10, v8
	v_fma_f32 v11, -v8, v10, 1.0
	v_fmac_f32_e32 v10, v11, v10
	v_mul_f32_e32 v11, v9, v10
	v_fma_f32 v12, -v8, v11, v9
	v_fmac_f32_e32 v11, v12, v10
	v_fma_f32 v8, -v8, v11, v9
	v_div_fmas_f32 v8, v8, v10, v11
	v_div_fixup_f32 v8, v8, v3, 1.0
	v_add_f32_e32 v3, 1.0, v3
	v_cmp_ngt_f32_e32 vcc, s14, v3
	s_or_b64 s[12:13], vcc, s[12:13]
	v_sub_f32_e32 v5, v5, v8
	s_andn2_b64 exec, exec, s[12:13]
	s_cbranch_execnz .LBB39_1680
; %bb.1681:
	s_or_b64 exec, exec, s[12:13]
.LBB39_1682:
	s_or_b64 exec, exec, s[6:7]
	s_mov_b32 s6, 0x41200000
	v_cmp_neq_f32_e32 vcc, s6, v3
                                        ; implicit-def: $vgpr13
	s_and_saveexec_b64 s[6:7], vcc
	s_xor_b64 s[6:7], exec, s[6:7]
	s_cbranch_execz .LBB39_1686
; %bb.1683:
	v_cvt_f64_f32_e32 v[8:9], v3
	s_mov_b32 s12, 0x85d8a000
	s_mov_b32 s13, 0x43763457
	v_cmp_gt_f64_e32 vcc, s[12:13], v[8:9]
	v_mov_b32_e32 v8, 0
	s_and_saveexec_b64 s[12:13], vcc
	s_cbranch_execz .LBB39_1685
; %bb.1684:
	v_mul_f32_e32 v8, v3, v3
	v_div_scale_f32 v9, s[14:15], v8, v8, 1.0
	v_div_scale_f32 v10, vcc, 1.0, v8, 1.0
	v_mov_b32_e32 v15, 0x3b820821
	v_rcp_f32_e32 v11, v9
	v_fma_f32 v12, -v9, v11, 1.0
	v_fmac_f32_e32 v11, v12, v11
	v_mul_f32_e32 v12, v10, v11
	v_fma_f32 v13, -v9, v12, v10
	v_fmac_f32_e32 v12, v13, v11
	v_fma_f32 v9, -v9, v12, v10
	v_div_fmas_f32 v9, v9, v11, v12
	v_mov_b32_e32 v10, 0x3daaaaab
	v_mov_b32_e32 v11, 0xbcaccacd
	;; [unrolled: 1-line block ×4, first 2 shown]
	v_div_fixup_f32 v8, v9, v8, 1.0
	v_fma_f32 v9, 0, v8, v10
	v_fmac_f32_e32 v11, v8, v9
	v_fmac_f32_e32 v12, v8, v11
	;; [unrolled: 1-line block ×4, first 2 shown]
	v_mov_b32_e32 v9, 0xbc088889
	v_fmac_f32_e32 v9, v8, v15
	v_fmac_f32_e32 v10, v8, v9
	v_mul_f32_e32 v8, v8, v10
.LBB39_1685:
	s_or_b64 exec, exec, s[12:13]
	v_div_scale_f32 v9, s[12:13], v3, v3, -0.5
	v_div_scale_f32 v10, vcc, -0.5, v3, -0.5
	s_mov_b32 s12, 0x800000
	s_mov_b32 s13, 0x3f317217
	;; [unrolled: 1-line block ×3, first 2 shown]
	v_rcp_f32_e32 v11, v9
	v_fma_f32 v12, -v9, v11, 1.0
	v_fmac_f32_e32 v11, v12, v11
	v_mul_f32_e32 v12, v10, v11
	v_fma_f32 v13, -v9, v12, v10
	v_fmac_f32_e32 v12, v13, v11
	v_fma_f32 v9, -v9, v12, v10
	v_div_fmas_f32 v9, v9, v11, v12
	v_cmp_gt_f32_e32 vcc, s12, v3
	v_cndmask_b32_e64 v11, 0, 32, vcc
	v_ldexp_f32 v11, v3, v11
	v_log_f32_e32 v11, v11
	v_mov_b32_e32 v10, 0x41b17218
	v_cndmask_b32_e32 v10, 0, v10, vcc
	s_movk_i32 s12, 0x7fff
	v_mul_f32_e32 v13, 0x3f317217, v11
	v_fma_f32 v13, v11, s13, -v13
	v_fmac_f32_e32 v13, 0x3377d1cf, v11
	v_fmac_f32_e32 v13, 0x3f317217, v11
	v_cmp_lt_f32_e64 vcc, |v11|, s14
	v_cndmask_b32_e32 v11, v11, v13, vcc
	v_sub_f32_e32 v10, v11, v10
	v_mov_b32_e32 v12, 0x7fc0
	v_div_fixup_f32 v3, v9, v3, -0.5
	v_add_f32_e32 v3, v10, v3
	v_sub_f32_e32 v3, v3, v8
	v_add_f32_e32 v3, v5, v3
	v_bfe_u32 v5, v3, 16, 1
	v_cmp_o_f32_e32 vcc, v3, v3
	v_add3_u32 v3, v3, v5, s12
	v_cndmask_b32_sdwa v13, v12, v3, vcc dst_sel:DWORD dst_unused:UNUSED_PAD src0_sel:DWORD src1_sel:WORD_1
                                        ; implicit-def: $vgpr5
.LBB39_1686:
	s_andn2_saveexec_b64 s[6:7], s[6:7]
; %bb.1687:
	v_add_f32_e32 v3, 0x40101cb7, v5
	v_bfe_u32 v5, v3, 16, 1
	s_movk_i32 s12, 0x7fff
	v_add3_u32 v5, v3, v5, s12
	v_cmp_o_f32_e32 vcc, v3, v3
	v_mov_b32_e32 v3, 0x7fc0
	v_cndmask_b32_sdwa v13, v3, v5, vcc dst_sel:DWORD dst_unused:UNUSED_PAD src0_sel:DWORD src1_sel:WORD_1
; %bb.1688:
	s_or_b64 exec, exec, s[6:7]
.LBB39_1689:
	s_or_b64 exec, exec, s[0:1]
                                        ; implicit-def: $vgpr3
.LBB39_1690:
	s_andn2_saveexec_b64 s[0:1], s[4:5]
; %bb.1691:
	v_xor_b32_e32 v3, 0x80000000, v3
	v_and_b32_e32 v3, 0x80000000, v3
	v_or_b32_e32 v3, 0x7f800000, v3
	v_lshrrev_b32_e32 v13, 16, v3
; %bb.1692:
	s_or_b64 exec, exec, s[0:1]
	v_mov_b32_e32 v3, s11
	v_add_co_u32_e32 v7, vcc, s10, v7
	s_cmp_lt_i32 s19, 11
	v_addc_co_u32_e32 v8, vcc, 0, v3, vcc
	s_cbranch_scc1 .LBB39_1699
; %bb.1693:
	s_and_b32 s14, 0xffff, s19
	s_cmp_gt_i32 s14, 25
	s_mov_b64 s[4:5], 0
	s_cbranch_scc0 .LBB39_1700
; %bb.1694:
	s_cmp_gt_i32 s14, 28
	s_cbranch_scc0 .LBB39_1701
; %bb.1695:
	s_cmp_gt_i32 s14, 43
	;; [unrolled: 3-line block ×3, first 2 shown]
	s_cbranch_scc0 .LBB39_1704
; %bb.1697:
	s_cmp_eq_u32 s14, 46
	s_mov_b64 s[10:11], 0
	s_cbranch_scc0 .LBB39_1705
; %bb.1698:
	global_load_dword v3, v[7:8], off
	s_mov_b64 s[0:1], 0
	s_mov_b64 s[6:7], -1
	s_branch .LBB39_1706
.LBB39_1699:
	s_mov_b64 s[0:1], -1
	s_mov_b64 s[6:7], 0
                                        ; implicit-def: $vgpr3
	s_branch .LBB39_1772
.LBB39_1700:
	s_mov_b64 s[10:11], -1
	s_mov_b64 s[6:7], 0
	s_mov_b64 s[0:1], 0
                                        ; implicit-def: $vgpr3
	s_branch .LBB39_1735
.LBB39_1701:
	s_mov_b64 s[10:11], -1
	s_mov_b64 s[6:7], 0
	s_mov_b64 s[0:1], 0
                                        ; implicit-def: $vgpr3
	s_branch .LBB39_1716
.LBB39_1702:
	s_mov_b64 s[10:11], -1
	s_mov_b64 s[6:7], 0
	s_mov_b64 s[0:1], 0
                                        ; implicit-def: $vgpr3
	s_branch .LBB39_1711
.LBB39_1703:
	s_trap 2
	s_or_b64 s[2:3], s[2:3], exec
	s_cbranch_execz .LBB39_1618
	s_branch .LBB39_1619
.LBB39_1704:
	s_mov_b64 s[10:11], -1
	s_mov_b64 s[6:7], 0
	s_mov_b64 s[0:1], 0
                                        ; implicit-def: $vgpr3
	s_branch .LBB39_1706
.LBB39_1705:
	s_mov_b64 s[0:1], -1
                                        ; implicit-def: $vgpr3
	s_mov_b64 s[6:7], 0
.LBB39_1706:
	s_and_b64 vcc, exec, s[10:11]
	s_cbranch_vccz .LBB39_1710
; %bb.1707:
	s_cmp_eq_u32 s14, 44
	s_cbranch_scc0 .LBB39_1709
; %bb.1708:
	global_load_ubyte v3, v[7:8], off
	s_movk_i32 s6, 0xff
	v_mov_b32_e32 v5, 0x7f800001
	v_mov_b32_e32 v9, 0x400000
	;; [unrolled: 1-line block ×3, first 2 shown]
	s_mov_b64 s[0:1], 0
	s_waitcnt vmcnt(0)
	v_lshlrev_b32_e32 v11, 23, v3
	v_cmp_ne_u32_e32 vcc, s6, v3
	v_cndmask_b32_e32 v5, v5, v11, vcc
	v_cmp_ne_u32_e32 vcc, 0, v3
	v_cndmask_b32_e32 v3, v9, v5, vcc
	v_add_u32_e32 v5, 0x7fff, v3
	v_cmp_o_f32_e32 vcc, v3, v3
	v_cndmask_b32_sdwa v3, v10, v5, vcc dst_sel:DWORD dst_unused:UNUSED_PAD src0_sel:DWORD src1_sel:WORD_1
	s_mov_b64 s[6:7], -1
	s_branch .LBB39_1710
.LBB39_1709:
	s_mov_b64 s[0:1], -1
                                        ; implicit-def: $vgpr3
.LBB39_1710:
	s_mov_b64 s[10:11], 0
.LBB39_1711:
	s_and_b64 vcc, exec, s[10:11]
	s_cbranch_vccz .LBB39_1715
; %bb.1712:
	s_cmp_eq_u32 s14, 29
	s_cbranch_scc0 .LBB39_1714
; %bb.1713:
	global_load_dwordx2 v[9:10], v[7:8], off
	s_movk_i32 s6, 0x7fff
	s_mov_b64 s[0:1], 0
	s_mov_b64 s[10:11], 0
	s_waitcnt vmcnt(0)
	v_ffbh_u32_e32 v3, v10
	v_min_u32_e32 v3, 32, v3
	v_lshlrev_b64 v[9:10], v3, v[9:10]
	v_sub_u32_e32 v3, 32, v3
	v_min_u32_e32 v5, 1, v9
	v_or_b32_e32 v5, v10, v5
	v_cvt_f32_u32_e32 v5, v5
	v_ldexp_f32 v3, v5, v3
	v_bfe_u32 v5, v3, 16, 1
	v_add3_u32 v3, v3, v5, s6
	v_lshrrev_b32_e32 v3, 16, v3
	s_mov_b64 s[6:7], -1
	s_branch .LBB39_1716
.LBB39_1714:
	s_mov_b64 s[0:1], -1
                                        ; implicit-def: $vgpr3
.LBB39_1715:
	s_mov_b64 s[10:11], 0
.LBB39_1716:
	s_and_b64 vcc, exec, s[10:11]
	s_cbranch_vccz .LBB39_1734
; %bb.1717:
	s_cmp_lt_i32 s14, 27
	s_cbranch_scc1 .LBB39_1720
; %bb.1718:
	s_cmp_gt_i32 s14, 27
	s_cbranch_scc0 .LBB39_1721
; %bb.1719:
	global_load_dword v3, v[7:8], off
	s_movk_i32 s6, 0x7fff
	s_waitcnt vmcnt(0)
	v_cvt_f32_u32_e32 v3, v3
	v_bfe_u32 v5, v3, 16, 1
	v_add3_u32 v3, v3, v5, s6
	v_lshrrev_b32_e32 v3, 16, v3
	s_mov_b64 s[6:7], 0
	s_branch .LBB39_1722
.LBB39_1720:
	s_mov_b64 s[6:7], -1
                                        ; implicit-def: $vgpr3
	s_branch .LBB39_1725
.LBB39_1721:
	s_mov_b64 s[6:7], -1
                                        ; implicit-def: $vgpr3
.LBB39_1722:
	s_andn2_b64 vcc, exec, s[6:7]
	s_cbranch_vccnz .LBB39_1724
; %bb.1723:
	global_load_ushort v3, v[7:8], off
	s_movk_i32 s6, 0x7fff
	s_waitcnt vmcnt(0)
	v_cvt_f32_u32_e32 v3, v3
	v_bfe_u32 v5, v3, 16, 1
	v_add3_u32 v3, v3, v5, s6
	v_lshrrev_b32_e32 v3, 16, v3
.LBB39_1724:
	s_mov_b64 s[6:7], 0
.LBB39_1725:
	s_andn2_b64 vcc, exec, s[6:7]
	s_cbranch_vccnz .LBB39_1733
; %bb.1726:
	global_load_ubyte v3, v[7:8], off
	s_movk_i32 s6, 0x7f
	s_waitcnt vmcnt(0)
	v_cmp_lt_i16_e32 vcc, s6, v3
	s_mov_b64 s[6:7], 0
	s_and_saveexec_b64 s[10:11], vcc
	s_xor_b64 s[10:11], exec, s[10:11]
	s_cbranch_execz .LBB39_1747
; %bb.1727:
	s_movk_i32 s6, 0x80
	v_cmp_eq_u16_e32 vcc, s6, v3
	s_mov_b64 s[6:7], -1
	s_and_saveexec_b64 s[12:13], vcc
; %bb.1728:
	s_xor_b64 s[6:7], exec, -1
; %bb.1729:
	s_or_b64 exec, exec, s[12:13]
	s_and_b64 s[6:7], s[6:7], exec
	s_or_saveexec_b64 s[10:11], s[10:11]
	v_mov_b32_e32 v5, 0x7f800001
	s_xor_b64 exec, exec, s[10:11]
	s_cbranch_execnz .LBB39_1748
.LBB39_1730:
	s_or_b64 exec, exec, s[10:11]
	s_and_saveexec_b64 s[10:11], s[6:7]
	s_cbranch_execz .LBB39_1732
.LBB39_1731:
	v_lshlrev_b32_e32 v5, 24, v3
	v_and_b32_e32 v3, 0xffff, v3
	v_and_b32_e32 v9, 7, v3
	v_ffbh_u32_e32 v11, v9
	v_min_u32_e32 v11, 32, v11
	v_subrev_u32_e32 v12, 28, v11
	v_bfe_u32 v10, v3, 3, 4
	v_lshlrev_b32_e32 v3, v12, v3
	v_sub_u32_e32 v11, 29, v11
	v_and_b32_e32 v3, 7, v3
	v_cmp_eq_u32_e32 vcc, 0, v10
	v_cndmask_b32_e32 v10, v10, v11, vcc
	v_cndmask_b32_e32 v3, v9, v3, vcc
	v_mov_b32_e32 v9, 0x3b800000
	v_lshlrev_b32_e32 v3, 20, v3
	v_and_b32_e32 v5, 0x80000000, v5
	v_lshl_add_u32 v9, v10, 23, v9
	v_or3_b32 v5, v5, v9, v3
.LBB39_1732:
	s_or_b64 exec, exec, s[10:11]
	v_bfe_u32 v3, v5, 16, 1
	s_movk_i32 s6, 0x7fff
	v_add3_u32 v3, v5, v3, s6
	v_cmp_o_f32_e32 vcc, v5, v5
	v_mov_b32_e32 v5, 0x7fc0
	v_cndmask_b32_sdwa v3, v5, v3, vcc dst_sel:DWORD dst_unused:UNUSED_PAD src0_sel:DWORD src1_sel:WORD_1
.LBB39_1733:
	s_mov_b64 s[6:7], -1
.LBB39_1734:
	s_mov_b64 s[10:11], 0
.LBB39_1735:
	s_and_b64 vcc, exec, s[10:11]
	s_cbranch_vccz .LBB39_1768
; %bb.1736:
	s_cmp_gt_i32 s14, 22
	s_cbranch_scc0 .LBB39_1746
; %bb.1737:
	s_cmp_lt_i32 s14, 24
	s_cbranch_scc1 .LBB39_1749
; %bb.1738:
	s_cmp_gt_i32 s14, 24
	s_cbranch_scc0 .LBB39_1750
; %bb.1739:
	global_load_ubyte v3, v[7:8], off
	s_movk_i32 s4, 0x7f
	s_waitcnt vmcnt(0)
	v_cmp_lt_i16_e32 vcc, s4, v3
	s_mov_b64 s[4:5], 0
	s_and_saveexec_b64 s[6:7], vcc
	s_xor_b64 s[6:7], exec, s[6:7]
	s_cbranch_execz .LBB39_1762
; %bb.1740:
	s_movk_i32 s4, 0x80
	v_cmp_eq_u16_e32 vcc, s4, v3
	s_mov_b64 s[4:5], -1
	s_and_saveexec_b64 s[10:11], vcc
; %bb.1741:
	s_xor_b64 s[4:5], exec, -1
; %bb.1742:
	s_or_b64 exec, exec, s[10:11]
	s_and_b64 s[4:5], s[4:5], exec
	s_or_saveexec_b64 s[6:7], s[6:7]
	v_mov_b32_e32 v5, 0x7f800001
	s_xor_b64 exec, exec, s[6:7]
	s_cbranch_execnz .LBB39_1763
.LBB39_1743:
	s_or_b64 exec, exec, s[6:7]
	s_and_saveexec_b64 s[6:7], s[4:5]
	s_cbranch_execz .LBB39_1745
.LBB39_1744:
	v_lshlrev_b32_e32 v5, 24, v3
	v_and_b32_e32 v3, 0xffff, v3
	v_and_b32_e32 v9, 3, v3
	v_ffbh_u32_e32 v11, v9
	v_min_u32_e32 v11, 32, v11
	v_subrev_u32_e32 v12, 29, v11
	v_bfe_u32 v10, v3, 2, 5
	v_lshlrev_b32_e32 v3, v12, v3
	v_sub_u32_e32 v11, 30, v11
	v_and_b32_e32 v3, 3, v3
	v_cmp_eq_u32_e32 vcc, 0, v10
	v_cndmask_b32_e32 v10, v10, v11, vcc
	v_cndmask_b32_e32 v3, v9, v3, vcc
	v_mov_b32_e32 v9, 0x37800000
	v_lshlrev_b32_e32 v3, 21, v3
	v_and_b32_e32 v5, 0x80000000, v5
	v_lshl_add_u32 v9, v10, 23, v9
	v_or3_b32 v5, v5, v9, v3
.LBB39_1745:
	s_or_b64 exec, exec, s[6:7]
	v_bfe_u32 v3, v5, 16, 1
	s_movk_i32 s4, 0x7fff
	v_add3_u32 v3, v5, v3, s4
	v_cmp_o_f32_e32 vcc, v5, v5
	v_mov_b32_e32 v5, 0x7fc0
	v_cndmask_b32_sdwa v3, v5, v3, vcc dst_sel:DWORD dst_unused:UNUSED_PAD src0_sel:DWORD src1_sel:WORD_1
	s_mov_b64 s[4:5], 0
	s_branch .LBB39_1751
.LBB39_1746:
	s_mov_b64 s[4:5], -1
                                        ; implicit-def: $vgpr3
	s_branch .LBB39_1757
.LBB39_1747:
	s_or_saveexec_b64 s[10:11], s[10:11]
	v_mov_b32_e32 v5, 0x7f800001
	s_xor_b64 exec, exec, s[10:11]
	s_cbranch_execz .LBB39_1730
.LBB39_1748:
	v_cmp_ne_u16_e32 vcc, 0, v3
	s_andn2_b64 s[6:7], s[6:7], exec
	s_and_b64 s[12:13], vcc, exec
	v_mov_b32_e32 v5, 0
	s_or_b64 s[6:7], s[6:7], s[12:13]
	s_or_b64 exec, exec, s[10:11]
	s_and_saveexec_b64 s[10:11], s[6:7]
	s_cbranch_execnz .LBB39_1731
	s_branch .LBB39_1732
.LBB39_1749:
	s_mov_b64 s[4:5], -1
                                        ; implicit-def: $vgpr3
	s_branch .LBB39_1754
.LBB39_1750:
	s_mov_b64 s[4:5], -1
                                        ; implicit-def: $vgpr3
.LBB39_1751:
	s_and_b64 vcc, exec, s[4:5]
	s_cbranch_vccz .LBB39_1753
; %bb.1752:
	global_load_ubyte v3, v[7:8], off
	s_mov_b32 s4, 0x7f800000
	s_brev_b32 s5, 1
	s_movk_i32 s6, 0x7fff
	s_waitcnt vmcnt(0)
	v_lshlrev_b32_e32 v3, 24, v3
	v_and_b32_e32 v5, 0x7f000000, v3
	v_ffbh_u32_e32 v9, v5
	v_min_u32_e32 v9, 32, v9
	v_sub_u32_e64 v9, v9, 4 clamp
	v_lshlrev_b32_e32 v11, v9, v5
	v_lshlrev_b32_e32 v9, 23, v9
	v_lshrrev_b32_e32 v11, 4, v11
	v_add_u32_e32 v10, 0x1000000, v5
	v_sub_u32_e32 v9, v11, v9
	v_ashrrev_i32_e32 v10, 8, v10
	v_add_u32_e32 v9, 0x3c000000, v9
	v_and_or_b32 v9, v10, s4, v9
	v_cmp_ne_u32_e32 vcc, 0, v5
	v_cndmask_b32_e32 v5, 0, v9, vcc
	v_and_or_b32 v3, v3, s5, v5
	v_bfe_u32 v5, v5, 16, 1
	v_add3_u32 v5, v3, v5, s6
	v_cmp_o_f32_e32 vcc, v3, v3
	v_mov_b32_e32 v3, 0x7fc0
	v_cndmask_b32_sdwa v3, v3, v5, vcc dst_sel:DWORD dst_unused:UNUSED_PAD src0_sel:DWORD src1_sel:WORD_1
.LBB39_1753:
	s_mov_b64 s[4:5], 0
.LBB39_1754:
	s_andn2_b64 vcc, exec, s[4:5]
	s_cbranch_vccnz .LBB39_1756
; %bb.1755:
	global_load_ubyte v3, v[7:8], off
	s_movk_i32 s4, 0x7f00
	s_brev_b32 s5, 16
	s_brev_b32 s6, 1
	s_movk_i32 s7, 0x7fff
	s_waitcnt vmcnt(0)
	v_lshlrev_b16_e32 v5, 8, v3
	v_lshlrev_b32_e32 v3, 25, v3
	v_lshrrev_b32_e32 v9, 4, v3
	v_and_or_b32 v10, v5, s4, 0.5
	v_or_b32_e32 v9, 0x70000000, v9
	v_add_f32_e32 v10, -0.5, v10
	v_mul_f32_e32 v9, 0x7800000, v9
	v_cmp_gt_u32_e32 vcc, s5, v3
	v_bfe_i32 v5, v5, 0, 16
	v_cndmask_b32_e32 v3, v9, v10, vcc
	v_and_or_b32 v5, v5, s6, v3
	v_bfe_u32 v3, v3, 16, 1
	v_add3_u32 v3, v5, v3, s7
	v_cmp_o_f32_e32 vcc, v5, v5
	v_mov_b32_e32 v5, 0x7fc0
	v_cndmask_b32_sdwa v3, v5, v3, vcc dst_sel:DWORD dst_unused:UNUSED_PAD src0_sel:DWORD src1_sel:WORD_1
.LBB39_1756:
	s_mov_b64 s[4:5], 0
	s_mov_b64 s[6:7], -1
.LBB39_1757:
	s_andn2_b64 vcc, exec, s[4:5]
	s_mov_b64 s[4:5], 0
	s_cbranch_vccnz .LBB39_1768
; %bb.1758:
	s_cmp_gt_i32 s14, 14
	s_cbranch_scc0 .LBB39_1761
; %bb.1759:
	s_cmp_eq_u32 s14, 15
	s_cbranch_scc0 .LBB39_1764
; %bb.1760:
	global_load_ushort v3, v[7:8], off
	s_mov_b64 s[0:1], 0
	s_mov_b64 s[6:7], -1
	s_branch .LBB39_1765
.LBB39_1761:
	s_mov_b64 s[10:11], -1
                                        ; implicit-def: $vgpr3
	s_branch .LBB39_1766
.LBB39_1762:
	s_or_saveexec_b64 s[6:7], s[6:7]
	v_mov_b32_e32 v5, 0x7f800001
	s_xor_b64 exec, exec, s[6:7]
	s_cbranch_execz .LBB39_1743
.LBB39_1763:
	v_cmp_ne_u16_e32 vcc, 0, v3
	s_andn2_b64 s[4:5], s[4:5], exec
	s_and_b64 s[10:11], vcc, exec
	v_mov_b32_e32 v5, 0
	s_or_b64 s[4:5], s[4:5], s[10:11]
	s_or_b64 exec, exec, s[6:7]
	s_and_saveexec_b64 s[6:7], s[4:5]
	s_cbranch_execnz .LBB39_1744
	s_branch .LBB39_1745
.LBB39_1764:
	s_mov_b64 s[0:1], -1
                                        ; implicit-def: $vgpr3
.LBB39_1765:
	s_mov_b64 s[10:11], 0
.LBB39_1766:
	s_and_b64 vcc, exec, s[10:11]
	s_cbranch_vccz .LBB39_1768
; %bb.1767:
	s_cmp_lg_u32 s14, 11
	s_mov_b64 s[4:5], -1
	s_cselect_b64 s[0:1], -1, 0
.LBB39_1768:
	s_and_b64 vcc, exec, s[0:1]
	s_cbranch_vccnz .LBB39_2327
; %bb.1769:
	s_andn2_b64 vcc, exec, s[4:5]
	s_cbranch_vccnz .LBB39_1771
.LBB39_1770:
	global_load_ubyte v3, v[7:8], off
	s_mov_b64 s[6:7], -1
	s_waitcnt vmcnt(0)
	v_cmp_ne_u16_e32 vcc, 0, v3
	v_cndmask_b32_e64 v3, 0, 1.0, vcc
	v_lshrrev_b32_e32 v3, 16, v3
.LBB39_1771:
	s_mov_b64 s[0:1], 0
.LBB39_1772:
	s_and_b64 vcc, exec, s[0:1]
	s_cbranch_vccz .LBB39_1821
; %bb.1773:
	s_and_b32 s4, 0xffff, s19
	s_cmp_lt_i32 s4, 5
	s_cbranch_scc1 .LBB39_1778
; %bb.1774:
	s_cmp_lt_i32 s4, 8
	s_cbranch_scc1 .LBB39_1779
; %bb.1775:
	;; [unrolled: 3-line block ×3, first 2 shown]
	s_cmp_gt_i32 s4, 9
	s_cbranch_scc0 .LBB39_1781
; %bb.1777:
	global_load_dwordx2 v[9:10], v[7:8], off
	s_movk_i32 s0, 0x7fff
	v_mov_b32_e32 v5, 0x7fc0
	s_waitcnt vmcnt(0)
	v_cvt_f32_f64_e32 v3, v[9:10]
	v_bfe_u32 v9, v3, 16, 1
	v_cmp_o_f32_e32 vcc, v3, v3
	v_add3_u32 v3, v3, v9, s0
	v_cndmask_b32_sdwa v3, v5, v3, vcc dst_sel:DWORD dst_unused:UNUSED_PAD src0_sel:DWORD src1_sel:WORD_1
	s_mov_b64 s[0:1], 0
	s_branch .LBB39_1782
.LBB39_1778:
	s_mov_b64 s[0:1], -1
                                        ; implicit-def: $vgpr3
	s_branch .LBB39_1800
.LBB39_1779:
	s_mov_b64 s[0:1], -1
                                        ; implicit-def: $vgpr3
	s_branch .LBB39_1788
.LBB39_1780:
	s_mov_b64 s[0:1], -1
                                        ; implicit-def: $vgpr3
	s_branch .LBB39_1785
.LBB39_1781:
	s_mov_b64 s[0:1], -1
                                        ; implicit-def: $vgpr3
.LBB39_1782:
	s_andn2_b64 vcc, exec, s[0:1]
	s_cbranch_vccnz .LBB39_1784
; %bb.1783:
	global_load_dword v3, v[7:8], off
	s_movk_i32 s0, 0x7fff
	v_mov_b32_e32 v5, 0x7fc0
	s_waitcnt vmcnt(0)
	v_bfe_u32 v9, v3, 16, 1
	v_cmp_o_f32_e32 vcc, v3, v3
	v_add3_u32 v3, v3, v9, s0
	v_cndmask_b32_sdwa v3, v5, v3, vcc dst_sel:DWORD dst_unused:UNUSED_PAD src0_sel:DWORD src1_sel:WORD_1
.LBB39_1784:
	s_mov_b64 s[0:1], 0
.LBB39_1785:
	s_andn2_b64 vcc, exec, s[0:1]
	s_cbranch_vccnz .LBB39_1787
; %bb.1786:
	global_load_dword v3, v[7:8], off
	s_movk_i32 s0, 0x7fff
	v_mov_b32_e32 v9, 0x7fc0
	s_waitcnt vmcnt(0)
	v_cvt_f32_f16_e32 v5, v3
	v_cmp_o_f16_e32 vcc, v3, v3
	v_bfe_u32 v3, v5, 16, 1
	v_add3_u32 v3, v5, v3, s0
	v_cndmask_b32_sdwa v3, v9, v3, vcc dst_sel:DWORD dst_unused:UNUSED_PAD src0_sel:DWORD src1_sel:WORD_1
.LBB39_1787:
	s_mov_b64 s[0:1], 0
.LBB39_1788:
	s_andn2_b64 vcc, exec, s[0:1]
	s_cbranch_vccnz .LBB39_1799
; %bb.1789:
	s_cmp_lt_i32 s4, 6
	s_cbranch_scc1 .LBB39_1792
; %bb.1790:
	s_cmp_gt_i32 s4, 6
	s_cbranch_scc0 .LBB39_1793
; %bb.1791:
	global_load_dwordx2 v[9:10], v[7:8], off
	s_movk_i32 s0, 0x7fff
	v_mov_b32_e32 v5, 0x7fc0
	s_waitcnt vmcnt(0)
	v_cvt_f32_f64_e32 v3, v[9:10]
	v_bfe_u32 v9, v3, 16, 1
	v_cmp_o_f32_e32 vcc, v3, v3
	v_add3_u32 v3, v3, v9, s0
	v_cndmask_b32_sdwa v3, v5, v3, vcc dst_sel:DWORD dst_unused:UNUSED_PAD src0_sel:DWORD src1_sel:WORD_1
	s_mov_b64 s[0:1], 0
	s_branch .LBB39_1794
.LBB39_1792:
	s_mov_b64 s[0:1], -1
                                        ; implicit-def: $vgpr3
	s_branch .LBB39_1797
.LBB39_1793:
	s_mov_b64 s[0:1], -1
                                        ; implicit-def: $vgpr3
.LBB39_1794:
	s_andn2_b64 vcc, exec, s[0:1]
	s_cbranch_vccnz .LBB39_1796
; %bb.1795:
	global_load_dword v3, v[7:8], off
	s_movk_i32 s0, 0x7fff
	v_mov_b32_e32 v5, 0x7fc0
	s_waitcnt vmcnt(0)
	v_bfe_u32 v9, v3, 16, 1
	v_cmp_o_f32_e32 vcc, v3, v3
	v_add3_u32 v3, v3, v9, s0
	v_cndmask_b32_sdwa v3, v5, v3, vcc dst_sel:DWORD dst_unused:UNUSED_PAD src0_sel:DWORD src1_sel:WORD_1
.LBB39_1796:
	s_mov_b64 s[0:1], 0
.LBB39_1797:
	s_andn2_b64 vcc, exec, s[0:1]
	s_cbranch_vccnz .LBB39_1799
; %bb.1798:
	global_load_ushort v3, v[7:8], off
	s_movk_i32 s0, 0x7fff
	v_mov_b32_e32 v9, 0x7fc0
	s_waitcnt vmcnt(0)
	v_cvt_f32_f16_e32 v5, v3
	v_cmp_o_f16_e32 vcc, v3, v3
	v_bfe_u32 v3, v5, 16, 1
	v_add3_u32 v3, v5, v3, s0
	v_cndmask_b32_sdwa v3, v9, v3, vcc dst_sel:DWORD dst_unused:UNUSED_PAD src0_sel:DWORD src1_sel:WORD_1
.LBB39_1799:
	s_mov_b64 s[0:1], 0
.LBB39_1800:
	s_andn2_b64 vcc, exec, s[0:1]
	s_cbranch_vccnz .LBB39_1820
; %bb.1801:
	s_cmp_lt_i32 s4, 2
	s_cbranch_scc1 .LBB39_1805
; %bb.1802:
	s_cmp_lt_i32 s4, 3
	s_cbranch_scc1 .LBB39_1806
; %bb.1803:
	s_cmp_gt_i32 s4, 3
	s_cbranch_scc0 .LBB39_1807
; %bb.1804:
	global_load_dwordx2 v[9:10], v[7:8], off
	s_movk_i32 s0, 0x7fff
	s_waitcnt vmcnt(0)
	v_xor_b32_e32 v5, v9, v10
	v_ffbh_i32_e32 v3, v10
	v_ashrrev_i32_e32 v5, 31, v5
	v_add_u32_e32 v3, -1, v3
	v_add_u32_e32 v5, 32, v5
	v_min_u32_e32 v3, v3, v5
	v_lshlrev_b64 v[9:10], v3, v[9:10]
	v_sub_u32_e32 v3, 32, v3
	v_min_u32_e32 v5, 1, v9
	v_or_b32_e32 v5, v10, v5
	v_cvt_f32_i32_e32 v5, v5
	v_ldexp_f32 v3, v5, v3
	v_bfe_u32 v5, v3, 16, 1
	v_add3_u32 v3, v3, v5, s0
	v_lshrrev_b32_e32 v3, 16, v3
	s_mov_b64 s[0:1], 0
	s_branch .LBB39_1808
.LBB39_1805:
	s_mov_b64 s[0:1], -1
                                        ; implicit-def: $vgpr3
	s_branch .LBB39_1814
.LBB39_1806:
	s_mov_b64 s[0:1], -1
                                        ; implicit-def: $vgpr3
	s_branch .LBB39_1811
.LBB39_1807:
	s_mov_b64 s[0:1], -1
                                        ; implicit-def: $vgpr3
.LBB39_1808:
	s_andn2_b64 vcc, exec, s[0:1]
	s_cbranch_vccnz .LBB39_1810
; %bb.1809:
	global_load_dword v3, v[7:8], off
	s_movk_i32 s0, 0x7fff
	s_waitcnt vmcnt(0)
	v_cvt_f32_i32_e32 v3, v3
	v_bfe_u32 v5, v3, 16, 1
	v_add3_u32 v3, v3, v5, s0
	v_lshrrev_b32_e32 v3, 16, v3
.LBB39_1810:
	s_mov_b64 s[0:1], 0
.LBB39_1811:
	s_andn2_b64 vcc, exec, s[0:1]
	s_cbranch_vccnz .LBB39_1813
; %bb.1812:
	global_load_sshort v3, v[7:8], off
	s_movk_i32 s0, 0x7fff
	s_waitcnt vmcnt(0)
	v_cvt_f32_i32_e32 v3, v3
	v_bfe_u32 v5, v3, 16, 1
	v_add3_u32 v3, v3, v5, s0
	v_lshrrev_b32_e32 v3, 16, v3
.LBB39_1813:
	s_mov_b64 s[0:1], 0
.LBB39_1814:
	s_andn2_b64 vcc, exec, s[0:1]
	s_cbranch_vccnz .LBB39_1820
; %bb.1815:
	s_cmp_gt_i32 s4, 0
	s_cbranch_scc0 .LBB39_1817
; %bb.1816:
	global_load_sbyte v3, v[7:8], off
	s_movk_i32 s0, 0x7fff
	s_waitcnt vmcnt(0)
	v_cvt_f32_i32_e32 v3, v3
	v_bfe_u32 v5, v3, 16, 1
	v_add3_u32 v3, v3, v5, s0
	v_lshrrev_b32_e32 v3, 16, v3
	s_mov_b64 s[0:1], 0
	s_branch .LBB39_1818
.LBB39_1817:
	s_mov_b64 s[0:1], -1
                                        ; implicit-def: $vgpr3
.LBB39_1818:
	s_andn2_b64 vcc, exec, s[0:1]
	s_cbranch_vccnz .LBB39_1820
; %bb.1819:
	global_load_ubyte v3, v[7:8], off
	s_movk_i32 s0, 0x7fff
	s_waitcnt vmcnt(0)
	v_cvt_f32_ubyte0_e32 v3, v3
	v_bfe_u32 v5, v3, 16, 1
	v_add3_u32 v3, v3, v5, s0
	v_lshrrev_b32_e32 v3, 16, v3
.LBB39_1820:
	s_mov_b64 s[6:7], -1
.LBB39_1821:
	s_andn2_b64 vcc, exec, s[6:7]
	s_cbranch_vccnz .LBB39_1924
; %bb.1822:
	s_waitcnt vmcnt(0)
	v_lshlrev_b32_e32 v3, 16, v3
	v_cmp_neq_f32_e32 vcc, 0, v3
                                        ; implicit-def: $vgpr7
	s_and_saveexec_b64 s[0:1], vcc
	s_xor_b64 s[4:5], exec, s[0:1]
	s_cbranch_execz .LBB39_1844
; %bb.1823:
	v_mov_b32_e32 v5, 0
	v_cmp_gt_f32_e32 vcc, 0, v3
	s_mov_b64 s[10:11], -1
	s_and_saveexec_b64 s[6:7], vcc
	s_cbranch_execz .LBB39_1831
; %bb.1824:
	v_trunc_f32_e32 v5, v3
	v_cmp_neq_f32_e32 vcc, v5, v3
	s_mov_b64 s[12:13], 0
	v_mov_b32_e32 v5, 0
	s_and_saveexec_b64 s[10:11], vcc
	s_cbranch_execz .LBB39_1830
; %bb.1825:
	v_cvt_f64_f32_e32 v[7:8], v3
	s_mov_b32 s14, 0
	s_mov_b32 s1, 0xc00921fb
	;; [unrolled: 1-line block ×3, first 2 shown]
	v_trunc_f64_e32 v[9:10], v[7:8]
	s_mov_b32 s15, 0x7ff00000
	v_cmp_neq_f64_e64 vcc, |v[7:8]|, s[14:15]
	v_bfrev_b32_e32 v5, 1
	s_mov_b32 s12, 0
	s_mov_b32 s13, 0x41d00000
                                        ; implicit-def: $vgpr11_vgpr12
	v_add_f64 v[9:10], v[7:8], -v[9:10]
	v_mul_f64 v[9:10], |v[9:10]|, s[0:1]
	v_cndmask_b32_e32 v8, v5, v10, vcc
	v_cndmask_b32_e32 v7, 0, v9, vcc
	v_cmp_nlt_f64_e64 s[12:13], |v[7:8]|, s[12:13]
                                        ; implicit-def: $vgpr5
                                        ; implicit-def: $vgpr9_vgpr10
	s_and_saveexec_b64 s[16:17], s[12:13]
	s_xor_b64 s[12:13], exec, s[16:17]
	s_cbranch_execz .LBB39_1827
; %bb.1826:
	v_trig_preop_f64 v[9:10], |v[7:8]|, 0
	s_mov_b32 s16, 0
	s_mov_b32 s17, 0x7b000000
	s_movk_i32 s1, 0xff80
	v_ldexp_f64 v[15:16], |v[7:8]|, s1
	v_cmp_ge_f64_e64 vcc, |v[7:8]|, s[16:17]
	v_trig_preop_f64 v[11:12], |v[7:8]|, 1
	v_and_b32_e32 v5, 0x7fffffff, v8
	v_trig_preop_f64 v[23:24], |v[7:8]|, 2
	v_mov_b32_e32 v33, 0
	s_mov_b32 s1, 0x3ff921fb
	v_cndmask_b32_e32 v16, v5, v16, vcc
	v_cndmask_b32_e32 v15, v7, v15, vcc
	v_mov_b32_e32 v5, 0x40100000
	v_mul_f64 v[17:18], v[9:10], v[15:16]
	v_mul_f64 v[19:20], v[11:12], v[15:16]
	;; [unrolled: 1-line block ×3, first 2 shown]
	v_fma_f64 v[9:10], v[9:10], v[15:16], -v[17:18]
	v_fma_f64 v[11:12], v[11:12], v[15:16], -v[19:20]
	;; [unrolled: 1-line block ×3, first 2 shown]
	v_add_f64 v[21:22], v[19:20], v[9:10]
	v_add_f64 v[25:26], v[21:22], -v[19:20]
	v_add_f64 v[31:32], v[17:18], v[21:22]
	v_add_f64 v[27:28], v[21:22], -v[25:26]
	v_add_f64 v[9:10], v[9:10], -v[25:26]
	v_add_f64 v[25:26], v[29:30], v[11:12]
	v_add_f64 v[17:18], v[31:32], -v[17:18]
	v_add_f64 v[19:20], v[19:20], -v[27:28]
	v_ldexp_f64 v[27:28], v[31:32], -2
	v_add_f64 v[35:36], v[25:26], -v[29:30]
	v_add_f64 v[17:18], v[21:22], -v[17:18]
	v_add_f64 v[9:10], v[9:10], v[19:20]
	v_fract_f64_e32 v[19:20], v[27:28]
	v_cmp_neq_f64_e64 vcc, |v[27:28]|, s[14:15]
	v_add_f64 v[11:12], v[11:12], -v[35:36]
	s_mov_b32 s14, 0x33145c07
	s_mov_b32 s15, 0x3c91a626
	v_add_f64 v[21:22], v[25:26], v[9:10]
	v_ldexp_f64 v[19:20], v[19:20], 2
	v_add_f64 v[27:28], v[17:18], v[21:22]
	v_cndmask_b32_e32 v20, 0, v20, vcc
	v_cndmask_b32_e32 v19, 0, v19, vcc
	v_add_f64 v[37:38], v[21:22], -v[25:26]
	v_add_f64 v[31:32], v[27:28], v[19:20]
	v_add_f64 v[17:18], v[27:28], -v[17:18]
	v_add_f64 v[39:40], v[21:22], -v[37:38]
	;; [unrolled: 1-line block ×3, first 2 shown]
	v_cmp_gt_f64_e32 vcc, 0, v[31:32]
	v_add_f64 v[31:32], v[25:26], -v[35:36]
	v_add_f64 v[17:18], v[21:22], -v[17:18]
	v_add_f64 v[25:26], v[25:26], -v[39:40]
	v_cndmask_b32_e32 v34, 0, v5, vcc
	v_add_f64 v[19:20], v[19:20], v[33:34]
	v_add_f64 v[31:32], v[29:30], -v[31:32]
	v_add_f64 v[9:10], v[9:10], v[25:26]
	v_add_f64 v[41:42], v[27:28], v[19:20]
	v_add_f64 v[11:12], v[11:12], v[31:32]
	v_cvt_i32_f64_e32 v5, v[41:42]
	v_add_f64 v[9:10], v[11:12], v[9:10]
	v_cvt_f64_i32_e32 v[34:35], v5
	v_add_f64 v[19:20], v[19:20], -v[34:35]
	v_add_f64 v[9:10], v[15:16], v[9:10]
	v_add_f64 v[11:12], v[27:28], v[19:20]
	;; [unrolled: 1-line block ×3, first 2 shown]
	v_mov_b32_e32 v17, 0x3ff00000
	v_add_f64 v[15:16], v[11:12], -v[19:20]
	v_cmp_le_f64_e32 vcc, 0.5, v[11:12]
	v_add_f64 v[15:16], v[27:28], -v[15:16]
	v_cndmask_b32_e32 v34, 0, v17, vcc
	v_add_f64 v[11:12], v[11:12], -v[33:34]
	v_addc_co_u32_e32 v5, vcc, 0, v5, vcc
	v_add_f64 v[9:10], v[9:10], v[15:16]
	v_add_f64 v[15:16], v[11:12], v[9:10]
	v_mul_f64 v[17:18], v[15:16], s[0:1]
	v_add_f64 v[11:12], v[15:16], -v[11:12]
	v_fma_f64 v[19:20], v[15:16], s[0:1], -v[17:18]
	v_add_f64 v[9:10], v[9:10], -v[11:12]
	v_fma_f64 v[11:12], v[15:16], s[14:15], v[19:20]
	v_fma_f64 v[11:12], v[9:10], s[0:1], v[11:12]
	v_add_f64 v[9:10], v[17:18], v[11:12]
	v_add_f64 v[15:16], v[9:10], -v[17:18]
	v_add_f64 v[11:12], v[11:12], -v[15:16]
.LBB39_1827:
	s_andn2_saveexec_b64 s[0:1], s[12:13]
	s_cbranch_execz .LBB39_1829
; %bb.1828:
	s_mov_b32 s12, 0x6dc9c883
	s_mov_b32 s13, 0x3fe45f30
	v_mul_f64 v[9:10], |v[7:8]|, s[12:13]
	s_mov_b32 s12, 0x54442d18
	s_mov_b32 s13, 0xbff921fb
	;; [unrolled: 1-line block ×4, first 2 shown]
	v_rndne_f64_e32 v[15:16], v[9:10]
	v_fma_f64 v[9:10], v[15:16], s[12:13], |v[7:8]|
	v_mul_f64 v[11:12], v[15:16], s[14:15]
	s_mov_b32 s12, 0x252049c0
	s_mov_b32 s13, 0xb97b839a
	v_cvt_i32_f64_e32 v5, v[15:16]
	v_fma_f64 v[21:22], v[15:16], s[14:15], v[9:10]
	v_add_f64 v[17:18], v[9:10], v[11:12]
	s_mov_b32 s15, 0x3c91a626
	v_add_f64 v[19:20], v[9:10], -v[17:18]
	v_add_f64 v[17:18], v[17:18], -v[21:22]
	v_add_f64 v[9:10], v[19:20], v[11:12]
	v_fma_f64 v[11:12], v[15:16], s[14:15], v[11:12]
	v_add_f64 v[9:10], v[17:18], v[9:10]
	v_add_f64 v[9:10], v[9:10], -v[11:12]
	v_fma_f64 v[11:12], v[15:16], s[12:13], v[9:10]
	v_add_f64 v[9:10], v[21:22], v[11:12]
	v_add_f64 v[17:18], v[9:10], -v[21:22]
	v_add_f64 v[11:12], v[11:12], -v[17:18]
.LBB39_1829:
	s_or_b64 exec, exec, s[0:1]
	v_mul_f64 v[15:16], v[9:10], v[9:10]
	v_add_f64 v[17:18], v[11:12], v[11:12]
	s_mov_b32 s0, 0xc751c08c
	s_mov_b32 s1, 0x3ef5e089
	v_and_b32_e32 v5, 1, v5
	v_cmp_eq_u32_e32 vcc, 0, v5
	s_mov_b32 s14, 0x54442d18
	s_mov_b32 s15, 0xc00921fb
	v_fma_f64 v[19:20], v[9:10], v[9:10], -v[15:16]
	s_mov_b64 s[12:13], exec
	v_sub_f32_e32 v3, 1.0, v3
	v_fma_f64 v[17:18], v[9:10], v[17:18], v[19:20]
	v_add_f64 v[15:16], v[15:16], v[17:18]
	v_mov_b32_e32 v17, 0xa9a29f71
	v_mov_b32_e32 v18, 0xbf078809
	v_fma_f64 v[17:18], v[15:16], s[0:1], v[17:18]
	s_mov_b32 s0, 0x90a8aae0
	s_mov_b32 s1, 0x3f17746f
	v_fma_f64 v[17:18], v[15:16], v[17:18], s[0:1]
	s_mov_b32 s0, 0xa6fbf144
	s_mov_b32 s1, 0xbefbb44d
	;; [unrolled: 3-line block ×12, first 2 shown]
	v_fma_f64 v[17:18], v[15:16], v[17:18], s[0:1]
	s_movk_i32 s0, 0x1f8
	v_cmp_class_f64_e64 s[0:1], v[7:8], s0
	v_mul_f64 v[15:16], v[15:16], v[17:18]
	v_mul_f64 v[17:18], v[9:10], v[15:16]
	v_add_f64 v[19:20], v[9:10], v[17:18]
	v_fma_f64 v[15:16], v[9:10], v[15:16], -v[17:18]
	v_add_f64 v[9:10], v[19:20], -v[9:10]
	v_add_f64 v[11:12], v[11:12], v[15:16]
	v_add_f64 v[9:10], v[17:18], -v[9:10]
	v_add_f64 v[9:10], v[11:12], v[9:10]
	v_add_f64 v[11:12], v[19:20], v[9:10]
	v_rcp_f64_e32 v[15:16], v[11:12]
	v_fma_f64 v[17:18], -v[11:12], v[15:16], 1.0
	v_fma_f64 v[15:16], v[17:18], v[15:16], v[15:16]
	v_fma_f64 v[17:18], -v[11:12], v[15:16], 1.0
	v_fma_f64 v[15:16], v[17:18], v[15:16], v[15:16]
	v_add_f64 v[17:18], v[11:12], -v[19:20]
	v_mul_f64 v[19:20], v[11:12], v[15:16]
	v_add_f64 v[9:10], v[9:10], -v[17:18]
	v_fma_f64 v[17:18], v[15:16], v[11:12], -v[19:20]
	v_fma_f64 v[9:10], v[15:16], v[9:10], v[17:18]
	v_add_f64 v[17:18], v[19:20], v[9:10]
	v_add_f64 v[21:22], -v[17:18], 1.0
	v_add_f64 v[19:20], v[17:18], -v[19:20]
	v_add_f64 v[23:24], -v[21:22], 1.0
	v_add_f64 v[9:10], v[19:20], -v[9:10]
	v_add_f64 v[17:18], v[23:24], -v[17:18]
	v_add_f64 v[9:10], v[9:10], v[17:18]
	v_add_f64 v[9:10], v[21:22], v[9:10]
	v_mul_f64 v[9:10], v[15:16], v[9:10]
	v_add_f64 v[9:10], v[15:16], v[9:10]
	v_and_b32_e32 v15, 0x80000000, v8
	v_mov_b32_e32 v8, 0x7ff80000
	v_xor_b32_e32 v7, 0x80000000, v10
	v_cndmask_b32_e32 v5, v9, v11, vcc
	v_cndmask_b32_e32 v9, v7, v12, vcc
	v_cndmask_b32_e64 v7, 0, v5, s[0:1]
	v_xor_b32_e32 v5, v9, v15
	v_cndmask_b32_e64 v8, v8, v5, s[0:1]
	v_div_scale_f64 v[9:10], s[0:1], v[7:8], v[7:8], s[14:15]
	v_div_scale_f64 v[17:18], vcc, s[14:15], v[7:8], s[14:15]
	v_rcp_f64_e32 v[11:12], v[9:10]
	v_fma_f64 v[15:16], -v[9:10], v[11:12], 1.0
	v_fma_f64 v[11:12], v[11:12], v[15:16], v[11:12]
	v_fma_f64 v[15:16], -v[9:10], v[11:12], 1.0
	v_fma_f64 v[11:12], v[11:12], v[15:16], v[11:12]
	v_mul_f64 v[15:16], v[17:18], v[11:12]
	v_fma_f64 v[9:10], -v[9:10], v[15:16], v[17:18]
	v_div_fmas_f64 v[9:10], v[9:10], v[11:12], v[15:16]
	v_div_fixup_f64 v[7:8], v[9:10], v[7:8], s[14:15]
	v_cvt_f32_f64_e32 v5, v[7:8]
.LBB39_1830:
	s_or_b64 exec, exec, s[10:11]
	s_orn2_b64 s[10:11], s[12:13], exec
.LBB39_1831:
	s_or_b64 exec, exec, s[6:7]
	v_mov_b32_e32 v7, 0x7fc0
	s_and_saveexec_b64 s[0:1], s[10:11]
	s_cbranch_execz .LBB39_1843
; %bb.1832:
	s_mov_b32 s12, 0x41200000
	v_cmp_gt_f32_e32 vcc, s12, v3
	s_and_saveexec_b64 s[6:7], vcc
	s_cbranch_execz .LBB39_1836
; %bb.1833:
	s_mov_b64 s[10:11], 0
.LBB39_1834:                            ; =>This Inner Loop Header: Depth=1
	v_div_scale_f32 v7, s[14:15], v3, v3, 1.0
	v_div_scale_f32 v8, vcc, 1.0, v3, 1.0
	v_rcp_f32_e32 v9, v7
	v_fma_f32 v10, -v7, v9, 1.0
	v_fmac_f32_e32 v9, v10, v9
	v_mul_f32_e32 v10, v8, v9
	v_fma_f32 v11, -v7, v10, v8
	v_fmac_f32_e32 v10, v11, v9
	v_fma_f32 v7, -v7, v10, v8
	v_div_fmas_f32 v7, v7, v9, v10
	v_div_fixup_f32 v7, v7, v3, 1.0
	v_add_f32_e32 v3, 1.0, v3
	v_cmp_ngt_f32_e32 vcc, s12, v3
	s_or_b64 s[10:11], vcc, s[10:11]
	v_sub_f32_e32 v5, v5, v7
	s_andn2_b64 exec, exec, s[10:11]
	s_cbranch_execnz .LBB39_1834
; %bb.1835:
	s_or_b64 exec, exec, s[10:11]
.LBB39_1836:
	s_or_b64 exec, exec, s[6:7]
	s_mov_b32 s6, 0x41200000
	v_cmp_neq_f32_e32 vcc, s6, v3
                                        ; implicit-def: $vgpr7
	s_and_saveexec_b64 s[6:7], vcc
	s_xor_b64 s[6:7], exec, s[6:7]
	s_cbranch_execz .LBB39_1840
; %bb.1837:
	v_cvt_f64_f32_e32 v[7:8], v3
	s_mov_b32 s10, 0x85d8a000
	s_mov_b32 s11, 0x43763457
	v_cmp_gt_f64_e32 vcc, s[10:11], v[7:8]
	v_mov_b32_e32 v7, 0
	s_and_saveexec_b64 s[10:11], vcc
	s_cbranch_execz .LBB39_1839
; %bb.1838:
	v_mul_f32_e32 v7, v3, v3
	v_div_scale_f32 v8, s[12:13], v7, v7, 1.0
	v_div_scale_f32 v9, vcc, 1.0, v7, 1.0
	v_mov_b32_e32 v15, 0x3b820821
	v_rcp_f32_e32 v10, v8
	v_fma_f32 v11, -v8, v10, 1.0
	v_fmac_f32_e32 v10, v11, v10
	v_mul_f32_e32 v11, v9, v10
	v_fma_f32 v12, -v8, v11, v9
	v_fmac_f32_e32 v11, v12, v10
	v_fma_f32 v8, -v8, v11, v9
	v_div_fmas_f32 v8, v8, v10, v11
	v_mov_b32_e32 v9, 0x3daaaaab
	v_mov_b32_e32 v10, 0xbcaccacd
	;; [unrolled: 1-line block ×4, first 2 shown]
	v_div_fixup_f32 v7, v8, v7, 1.0
	v_fma_f32 v8, 0, v7, v9
	v_fmac_f32_e32 v10, v7, v8
	v_fmac_f32_e32 v11, v7, v10
	;; [unrolled: 1-line block ×4, first 2 shown]
	v_mov_b32_e32 v8, 0xbc088889
	v_fmac_f32_e32 v8, v7, v15
	v_fmac_f32_e32 v9, v7, v8
	v_mul_f32_e32 v7, v7, v9
.LBB39_1839:
	s_or_b64 exec, exec, s[10:11]
	v_div_scale_f32 v8, s[10:11], v3, v3, -0.5
	v_div_scale_f32 v9, vcc, -0.5, v3, -0.5
	s_mov_b32 s10, 0x800000
	s_mov_b32 s11, 0x3f317217
	s_mov_b32 s12, 0x7f800000
	v_rcp_f32_e32 v10, v8
	v_fma_f32 v11, -v8, v10, 1.0
	v_fmac_f32_e32 v10, v11, v10
	v_mul_f32_e32 v11, v9, v10
	v_fma_f32 v12, -v8, v11, v9
	v_fmac_f32_e32 v11, v12, v10
	v_fma_f32 v8, -v8, v11, v9
	v_div_fmas_f32 v8, v8, v10, v11
	v_cmp_gt_f32_e32 vcc, s10, v3
	v_cndmask_b32_e64 v10, 0, 32, vcc
	v_ldexp_f32 v10, v3, v10
	v_log_f32_e32 v10, v10
	v_mov_b32_e32 v9, 0x41b17218
	v_cndmask_b32_e32 v9, 0, v9, vcc
	s_movk_i32 s10, 0x7fff
	v_mul_f32_e32 v12, 0x3f317217, v10
	v_fma_f32 v12, v10, s11, -v12
	v_fmac_f32_e32 v12, 0x3377d1cf, v10
	v_fmac_f32_e32 v12, 0x3f317217, v10
	v_cmp_lt_f32_e64 vcc, |v10|, s12
	v_cndmask_b32_e32 v10, v10, v12, vcc
	v_sub_f32_e32 v9, v10, v9
	v_mov_b32_e32 v11, 0x7fc0
	v_div_fixup_f32 v3, v8, v3, -0.5
	v_add_f32_e32 v3, v9, v3
	v_sub_f32_e32 v3, v3, v7
	v_add_f32_e32 v3, v5, v3
	v_bfe_u32 v5, v3, 16, 1
	v_cmp_o_f32_e32 vcc, v3, v3
	v_add3_u32 v3, v3, v5, s10
	v_cndmask_b32_sdwa v7, v11, v3, vcc dst_sel:DWORD dst_unused:UNUSED_PAD src0_sel:DWORD src1_sel:WORD_1
                                        ; implicit-def: $vgpr5
.LBB39_1840:
	s_andn2_saveexec_b64 s[6:7], s[6:7]
; %bb.1841:
	v_add_f32_e32 v3, 0x40101cb7, v5
	v_bfe_u32 v5, v3, 16, 1
	s_movk_i32 s10, 0x7fff
	v_add3_u32 v5, v3, v5, s10
	v_cmp_o_f32_e32 vcc, v3, v3
	v_mov_b32_e32 v3, 0x7fc0
	v_cndmask_b32_sdwa v7, v3, v5, vcc dst_sel:DWORD dst_unused:UNUSED_PAD src0_sel:DWORD src1_sel:WORD_1
; %bb.1842:
	s_or_b64 exec, exec, s[6:7]
.LBB39_1843:
	s_or_b64 exec, exec, s[0:1]
                                        ; implicit-def: $vgpr3
.LBB39_1844:
	s_andn2_saveexec_b64 s[0:1], s[4:5]
; %bb.1845:
	v_xor_b32_e32 v3, 0x80000000, v3
	v_and_b32_e32 v3, 0x80000000, v3
	v_or_b32_e32 v3, 0x7f800000, v3
	v_lshrrev_b32_e32 v7, 16, v3
; %bb.1846:
	s_or_b64 exec, exec, s[0:1]
	s_bfe_u32 s14, s18, 0x80008
	v_mov_b32_e32 v3, s9
	v_add_co_u32_e32 v5, vcc, s8, v6
	s_cmp_lt_i32 s14, 11
	v_addc_co_u32_e32 v6, vcc, 0, v3, vcc
	s_cbranch_scc1 .LBB39_1970
; %bb.1847:
	s_and_b32 s15, 0xffff, s14
	s_mov_b64 s[10:11], -1
	s_mov_b64 s[4:5], 0
	s_cmp_gt_i32 s15, 25
	s_mov_b64 s[6:7], 0
	s_mov_b64 s[0:1], 0
	s_cbranch_scc0 .LBB39_1880
; %bb.1848:
	s_cmp_gt_i32 s15, 28
	s_cbranch_scc0 .LBB39_1863
; %bb.1849:
	s_cmp_gt_i32 s15, 43
	;; [unrolled: 3-line block ×3, first 2 shown]
	s_cbranch_scc0 .LBB39_1853
; %bb.1851:
	s_mov_b64 s[0:1], -1
	s_mov_b64 s[10:11], 0
	s_cmp_eq_u32 s15, 46
	s_cbranch_scc0 .LBB39_1853
; %bb.1852:
	v_and_b32_e32 v3, 0xffff, v1
	global_store_dword v[5:6], v3, off
	s_mov_b64 s[0:1], 0
	s_mov_b64 s[6:7], -1
.LBB39_1853:
	s_and_b64 vcc, exec, s[10:11]
	s_cbranch_vccz .LBB39_1858
; %bb.1854:
	s_cmp_eq_u32 s15, 44
	s_mov_b64 s[0:1], -1
	s_cbranch_scc0 .LBB39_1858
; %bb.1855:
	v_and_b32_e32 v8, 0xffff, v1
	v_bfe_u32 v3, v8, 7, 8
	s_movk_i32 s0, 0xff
	v_cmp_ne_u32_e32 vcc, s0, v3
	v_mov_b32_e32 v9, 0xff
	s_and_saveexec_b64 s[6:7], vcc
	s_cbranch_execz .LBB39_1857
; %bb.1856:
	v_lshlrev_b32_e32 v10, 16, v8
	s_mov_b32 s0, 0x3f0000
	v_lshrrev_b32_e32 v9, 7, v8
	v_and_b32_e32 v8, 64, v8
	v_and_or_b32 v3, v10, s0, v3
	v_cmp_ne_u32_e32 vcc, 0, v8
	v_cmp_ne_u32_e64 s[0:1], 0, v3
	s_and_b64 s[0:1], vcc, s[0:1]
	v_cndmask_b32_e64 v3, 0, 1, s[0:1]
	v_add_u32_e32 v9, v9, v3
.LBB39_1857:
	s_or_b64 exec, exec, s[6:7]
	s_mov_b64 s[0:1], 0
	s_mov_b64 s[6:7], -1
	global_store_byte v[5:6], v9, off
.LBB39_1858:
	s_mov_b64 s[10:11], 0
.LBB39_1859:
	s_and_b64 vcc, exec, s[10:11]
	s_cbranch_vccz .LBB39_1862
; %bb.1860:
	s_cmp_eq_u32 s15, 29
	s_mov_b64 s[0:1], -1
	s_cbranch_scc0 .LBB39_1862
; %bb.1861:
	v_lshlrev_b32_e32 v3, 16, v1
	v_trunc_f32_e32 v3, v3
	v_mul_f32_e32 v8, 0x2f800000, v3
	v_floor_f32_e32 v8, v8
	v_fmac_f32_e32 v3, 0xcf800000, v8
	v_cvt_u32_f32_e32 v9, v8
	v_cvt_u32_f32_e32 v8, v3
	s_mov_b64 s[0:1], 0
	s_mov_b64 s[6:7], -1
	global_store_dwordx2 v[5:6], v[8:9], off
.LBB39_1862:
	s_mov_b64 s[10:11], 0
.LBB39_1863:
	s_and_b64 vcc, exec, s[10:11]
	s_cbranch_vccz .LBB39_1879
; %bb.1864:
	s_cmp_lt_i32 s15, 27
	s_mov_b64 s[6:7], -1
	s_cbranch_scc1 .LBB39_1870
; %bb.1865:
	s_cmp_gt_i32 s15, 27
	s_cbranch_scc0 .LBB39_1867
; %bb.1866:
	v_lshlrev_b32_e32 v3, 16, v1
	v_cvt_u32_f32_e32 v3, v3
	s_mov_b64 s[6:7], 0
	global_store_dword v[5:6], v3, off
.LBB39_1867:
	s_andn2_b64 vcc, exec, s[6:7]
	s_cbranch_vccnz .LBB39_1869
; %bb.1868:
	v_lshlrev_b32_e32 v3, 16, v1
	v_cvt_u32_f32_e32 v3, v3
	global_store_short v[5:6], v3, off
.LBB39_1869:
	s_mov_b64 s[6:7], 0
.LBB39_1870:
	s_andn2_b64 vcc, exec, s[6:7]
	s_cbranch_vccnz .LBB39_1878
; %bb.1871:
	v_lshlrev_b32_e32 v9, 16, v1
	v_and_b32_e32 v8, 0x7fffffff, v9
	s_mov_b32 s6, 0x43800000
	v_cmp_gt_u32_e32 vcc, s6, v8
	v_mov_b32_e32 v10, 0x80
	s_and_saveexec_b64 s[6:7], vcc
	s_cbranch_execz .LBB39_1877
; %bb.1872:
	s_mov_b32 s10, 0x3bffffff
	v_and_b32_e32 v3, 0xffff, v1
	v_cmp_lt_u32_e32 vcc, s10, v8
	s_mov_b64 s[10:11], 0
                                        ; implicit-def: $vgpr8
	s_and_saveexec_b64 s[12:13], vcc
	s_xor_b64 s[12:13], exec, s[12:13]
	s_cbranch_execz .LBB39_2328
; %bb.1873:
	v_bfe_u32 v8, v3, 4, 1
	s_mov_b32 s16, 0x487ffff
	v_add3_u32 v8, v9, v8, s16
	s_mov_b64 s[10:11], exec
	v_lshrrev_b32_e32 v8, 20, v8
                                        ; implicit-def: $vgpr9
	s_andn2_saveexec_b64 s[12:13], s[12:13]
	s_cbranch_execnz .LBB39_2329
.LBB39_1874:
	s_or_b64 exec, exec, s[12:13]
	v_mov_b32_e32 v10, 0
	s_and_saveexec_b64 s[12:13], s[10:11]
.LBB39_1875:
	v_lshrrev_b32_e32 v3, 8, v3
	s_movk_i32 s10, 0x80
	v_and_or_b32 v10, v3, s10, v8
.LBB39_1876:
	s_or_b64 exec, exec, s[12:13]
.LBB39_1877:
	s_or_b64 exec, exec, s[6:7]
	global_store_byte v[5:6], v10, off
.LBB39_1878:
	s_mov_b64 s[6:7], -1
.LBB39_1879:
	s_mov_b64 s[10:11], 0
.LBB39_1880:
	s_and_b64 vcc, exec, s[10:11]
	s_cbranch_vccz .LBB39_1920
; %bb.1881:
	s_cmp_gt_i32 s15, 22
	s_mov_b64 s[4:5], -1
	s_cbranch_scc0 .LBB39_1913
; %bb.1882:
	s_cmp_lt_i32 s15, 24
	s_cbranch_scc1 .LBB39_1902
; %bb.1883:
	s_cmp_gt_i32 s15, 24
	s_cbranch_scc0 .LBB39_1891
; %bb.1884:
	v_lshlrev_b32_e32 v9, 16, v1
	v_and_b32_e32 v8, 0x7fffffff, v9
	s_mov_b32 s4, 0x47800000
	v_cmp_gt_u32_e32 vcc, s4, v8
	v_mov_b32_e32 v10, 0x80
	s_and_saveexec_b64 s[4:5], vcc
	s_cbranch_execz .LBB39_1890
; %bb.1885:
	s_mov_b32 s6, 0x37ffffff
	v_and_b32_e32 v3, 0xffff, v1
	v_cmp_lt_u32_e32 vcc, s6, v8
	s_mov_b64 s[6:7], 0
                                        ; implicit-def: $vgpr8
	s_and_saveexec_b64 s[10:11], vcc
	s_xor_b64 s[10:11], exec, s[10:11]
	s_cbranch_execz .LBB39_2331
; %bb.1886:
	v_bfe_u32 v8, v3, 5, 1
	s_mov_b32 s12, 0x88fffff
	v_add3_u32 v8, v9, v8, s12
	s_mov_b64 s[6:7], exec
	v_lshrrev_b32_e32 v8, 21, v8
                                        ; implicit-def: $vgpr9
	s_andn2_saveexec_b64 s[10:11], s[10:11]
	s_cbranch_execnz .LBB39_2332
.LBB39_1887:
	s_or_b64 exec, exec, s[10:11]
	v_mov_b32_e32 v10, 0
	s_and_saveexec_b64 s[10:11], s[6:7]
.LBB39_1888:
	v_lshrrev_b32_e32 v3, 8, v3
	s_movk_i32 s6, 0x80
	v_and_or_b32 v10, v3, s6, v8
.LBB39_1889:
	s_or_b64 exec, exec, s[10:11]
.LBB39_1890:
	s_or_b64 exec, exec, s[4:5]
	s_mov_b64 s[4:5], 0
	global_store_byte v[5:6], v10, off
.LBB39_1891:
	s_and_b64 vcc, exec, s[4:5]
	s_cbranch_vccz .LBB39_1901
; %bb.1892:
	v_lshlrev_b32_e32 v9, 16, v1
	v_and_b32_e32 v10, 0x7fffffff, v9
	s_mov_b32 s4, 0x43f00000
	v_and_b32_e32 v3, 0xffff, v1
	v_cmp_gt_u32_e32 vcc, s4, v10
                                        ; implicit-def: $vgpr8
	s_and_saveexec_b64 s[4:5], vcc
	s_xor_b64 s[4:5], exec, s[4:5]
	s_cbranch_execz .LBB39_1898
; %bb.1893:
	s_mov_b32 s6, 0x3c7fffff
	v_cmp_lt_u32_e32 vcc, s6, v10
                                        ; implicit-def: $vgpr8
	s_and_saveexec_b64 s[6:7], vcc
	s_xor_b64 s[6:7], exec, s[6:7]
; %bb.1894:
	v_bfe_u32 v8, v3, 4, 1
	s_mov_b32 s10, 0x407ffff
	v_add3_u32 v8, v9, v8, s10
	v_lshrrev_b32_e32 v9, 20, v8
	v_and_b32_e32 v8, 0xff00000, v8
	s_mov_b32 s10, 0x7f00000
	v_mov_b32_e32 v10, 0x7e
	v_cmp_ne_u32_e32 vcc, s10, v8
	v_cndmask_b32_e32 v8, v10, v9, vcc
                                        ; implicit-def: $vgpr9
; %bb.1895:
	s_andn2_saveexec_b64 s[6:7], s[6:7]
; %bb.1896:
	s_mov_b32 s10, 0x46800000
	v_add_f32_e64 v8, |v9|, s10
; %bb.1897:
	s_or_b64 exec, exec, s[6:7]
                                        ; implicit-def: $vgpr10
.LBB39_1898:
	s_andn2_saveexec_b64 s[4:5], s[4:5]
; %bb.1899:
	s_mov_b32 s6, 0x7f800000
	v_mov_b32_e32 v8, 0x7e
	v_mov_b32_e32 v9, 0x7f
	v_cmp_lt_u32_e32 vcc, s6, v10
	v_cndmask_b32_e32 v8, v8, v9, vcc
; %bb.1900:
	s_or_b64 exec, exec, s[4:5]
	v_lshrrev_b32_e32 v3, 8, v3
	s_movk_i32 s4, 0x80
	v_and_or_b32 v3, v3, s4, v8
	global_store_byte v[5:6], v3, off
.LBB39_1901:
	s_mov_b64 s[4:5], 0
.LBB39_1902:
	s_andn2_b64 vcc, exec, s[4:5]
	s_cbranch_vccnz .LBB39_1912
; %bb.1903:
	v_lshlrev_b32_e32 v9, 16, v1
	v_and_b32_e32 v10, 0x7fffffff, v9
	s_mov_b32 s4, 0x47800000
	v_and_b32_e32 v3, 0xffff, v1
	v_cmp_gt_u32_e32 vcc, s4, v10
                                        ; implicit-def: $vgpr8
	s_and_saveexec_b64 s[4:5], vcc
	s_xor_b64 s[4:5], exec, s[4:5]
	s_cbranch_execz .LBB39_1909
; %bb.1904:
	s_mov_b32 s6, 0x387fffff
	v_cmp_lt_u32_e32 vcc, s6, v10
                                        ; implicit-def: $vgpr8
	s_and_saveexec_b64 s[6:7], vcc
	s_xor_b64 s[6:7], exec, s[6:7]
; %bb.1905:
	v_bfe_u32 v8, v3, 5, 1
	s_mov_b32 s10, 0x80fffff
	v_add3_u32 v8, v9, v8, s10
	v_lshrrev_b32_e32 v8, 21, v8
                                        ; implicit-def: $vgpr9
; %bb.1906:
	s_andn2_saveexec_b64 s[6:7], s[6:7]
; %bb.1907:
	s_mov_b32 s10, 0x43000000
	v_add_f32_e64 v8, |v9|, s10
; %bb.1908:
	s_or_b64 exec, exec, s[6:7]
                                        ; implicit-def: $vgpr10
.LBB39_1909:
	s_andn2_saveexec_b64 s[4:5], s[4:5]
; %bb.1910:
	s_mov_b32 s6, 0x7f800000
	v_mov_b32_e32 v8, 0x7c
	v_mov_b32_e32 v9, 0x7f
	v_cmp_lt_u32_e32 vcc, s6, v10
	v_cndmask_b32_e32 v8, v8, v9, vcc
; %bb.1911:
	s_or_b64 exec, exec, s[4:5]
	v_lshrrev_b32_e32 v3, 8, v3
	s_movk_i32 s4, 0x80
	v_and_or_b32 v3, v3, s4, v8
	global_store_byte v[5:6], v3, off
.LBB39_1912:
	s_mov_b64 s[4:5], 0
	s_mov_b64 s[6:7], -1
.LBB39_1913:
	s_andn2_b64 vcc, exec, s[4:5]
	s_mov_b64 s[4:5], 0
	s_cbranch_vccnz .LBB39_1920
; %bb.1914:
	s_cmp_gt_i32 s15, 14
	s_mov_b64 s[10:11], -1
	s_cbranch_scc0 .LBB39_1918
; %bb.1915:
	s_cmp_eq_u32 s15, 15
	s_mov_b64 s[0:1], -1
	s_cbranch_scc0 .LBB39_1917
; %bb.1916:
	global_store_short v[5:6], v1, off
	s_mov_b64 s[0:1], 0
	s_mov_b64 s[6:7], -1
.LBB39_1917:
	s_mov_b64 s[10:11], 0
.LBB39_1918:
	s_and_b64 vcc, exec, s[10:11]
	s_cbranch_vccz .LBB39_1920
; %bb.1919:
	s_cmp_lg_u32 s15, 11
	s_mov_b64 s[4:5], -1
	s_cselect_b64 s[0:1], -1, 0
.LBB39_1920:
	s_and_b64 vcc, exec, s[0:1]
	s_cbranch_vccnz .LBB39_2330
; %bb.1921:
	s_andn2_b64 vcc, exec, s[4:5]
	s_cbranch_vccnz .LBB39_1923
.LBB39_1922:
	v_and_b32_e32 v3, 0x7fff, v1
	v_cmp_ne_u16_e32 vcc, 0, v3
	v_cndmask_b32_e64 v3, 0, 1, vcc
	s_mov_b64 s[6:7], -1
	global_store_byte v[5:6], v3, off
.LBB39_1923:
	s_mov_b64 s[0:1], 0
	s_branch .LBB39_1971
.LBB39_1924:
	s_mov_b64 s[0:1], 0
                                        ; implicit-def: $vgpr0_vgpr1
                                        ; implicit-def: $sgpr14
                                        ; implicit-def: $vgpr7
.LBB39_1925:
	s_mov_b64 s[4:5], 0
.LBB39_1926:
	s_and_b64 s[6:7], s[4:5], exec
	s_andn2_b64 s[4:5], s[28:29], exec
	s_and_b64 s[2:3], s[2:3], exec
	s_and_b64 s[0:1], s[0:1], exec
	s_or_b64 s[28:29], s[4:5], s[2:3]
.LBB39_1927:
	s_or_b64 exec, exec, s[30:31]
	s_and_saveexec_b64 s[2:3], s[28:29]
	s_cbranch_execz .LBB39_1930
; %bb.1928:
	; divergent unreachable
	s_or_b64 exec, exec, s[2:3]
	s_and_saveexec_b64 s[2:3], s[6:7]
	s_xor_b64 s[2:3], exec, s[2:3]
	s_cbranch_execnz .LBB39_1931
.LBB39_1929:
	s_or_b64 exec, exec, s[2:3]
	s_and_saveexec_b64 s[2:3], s[0:1]
	s_cbranch_execnz .LBB39_1932
	s_branch .LBB39_1969
.LBB39_1930:
	s_or_b64 exec, exec, s[2:3]
	s_and_saveexec_b64 s[2:3], s[6:7]
	s_xor_b64 s[2:3], exec, s[2:3]
	s_cbranch_execz .LBB39_1929
.LBB39_1931:
	v_and_b32_e32 v2, 0x7fff, v7
	v_cmp_ne_u16_e32 vcc, 0, v2
	v_cndmask_b32_e64 v2, 0, 1, vcc
	s_waitcnt vmcnt(0)
	global_store_byte v[0:1], v2, off
	s_or_b64 exec, exec, s[2:3]
	s_and_saveexec_b64 s[2:3], s[0:1]
	s_cbranch_execz .LBB39_1969
.LBB39_1932:
	s_sext_i32_i16 s2, s14
	s_cmp_lt_i32 s2, 5
	s_mov_b64 s[0:1], -1
	s_cbranch_scc1 .LBB39_1953
; %bb.1933:
	s_cmp_lt_i32 s2, 8
	s_cbranch_scc1 .LBB39_1943
; %bb.1934:
	s_cmp_lt_i32 s2, 9
	s_cbranch_scc1 .LBB39_1940
; %bb.1935:
	s_cmp_gt_i32 s2, 9
	s_cbranch_scc0 .LBB39_1937
; %bb.1936:
	v_lshlrev_b32_e32 v2, 16, v7
	s_waitcnt vmcnt(0)
	v_cvt_f64_f32_e32 v[2:3], v2
	v_mov_b32_e32 v4, 0
	v_mov_b32_e32 v5, v4
	s_mov_b64 s[0:1], 0
	global_store_dwordx4 v[0:1], v[2:5], off
.LBB39_1937:
	s_andn2_b64 vcc, exec, s[0:1]
	s_cbranch_vccnz .LBB39_1939
; %bb.1938:
	v_lshlrev_b32_e32 v2, 16, v7
	s_waitcnt vmcnt(0)
	v_mov_b32_e32 v3, 0
	global_store_dwordx2 v[0:1], v[2:3], off
.LBB39_1939:
	s_mov_b64 s[0:1], 0
.LBB39_1940:
	s_andn2_b64 vcc, exec, s[0:1]
	s_cbranch_vccnz .LBB39_1942
; %bb.1941:
	v_lshlrev_b32_e32 v2, 16, v7
	v_cvt_f16_f32_e32 v2, v2
	s_waitcnt vmcnt(0)
	global_store_dword v[0:1], v2, off
.LBB39_1942:
	s_mov_b64 s[0:1], 0
.LBB39_1943:
	s_andn2_b64 vcc, exec, s[0:1]
	s_cbranch_vccnz .LBB39_1952
; %bb.1944:
	s_sext_i32_i16 s2, s14
	s_cmp_lt_i32 s2, 6
	s_mov_b64 s[0:1], -1
	s_cbranch_scc1 .LBB39_1950
; %bb.1945:
	s_cmp_gt_i32 s2, 6
	s_cbranch_scc0 .LBB39_1947
; %bb.1946:
	v_lshlrev_b32_e32 v2, 16, v7
	s_waitcnt vmcnt(0)
	v_cvt_f64_f32_e32 v[2:3], v2
	s_mov_b64 s[0:1], 0
	global_store_dwordx2 v[0:1], v[2:3], off
.LBB39_1947:
	s_andn2_b64 vcc, exec, s[0:1]
	s_cbranch_vccnz .LBB39_1949
; %bb.1948:
	v_lshlrev_b32_e32 v2, 16, v7
	s_waitcnt vmcnt(0)
	global_store_dword v[0:1], v2, off
.LBB39_1949:
	s_mov_b64 s[0:1], 0
.LBB39_1950:
	s_andn2_b64 vcc, exec, s[0:1]
	s_cbranch_vccnz .LBB39_1952
; %bb.1951:
	v_lshlrev_b32_e32 v2, 16, v7
	v_cvt_f16_f32_e32 v2, v2
	s_waitcnt vmcnt(0)
	global_store_short v[0:1], v2, off
.LBB39_1952:
	s_mov_b64 s[0:1], 0
.LBB39_1953:
	s_andn2_b64 vcc, exec, s[0:1]
	s_cbranch_vccnz .LBB39_1969
; %bb.1954:
	s_sext_i32_i16 s2, s14
	s_cmp_lt_i32 s2, 2
	s_mov_b64 s[0:1], -1
	s_cbranch_scc1 .LBB39_1964
; %bb.1955:
	s_cmp_lt_i32 s2, 3
	s_cbranch_scc1 .LBB39_1961
; %bb.1956:
	s_cmp_gt_i32 s2, 3
	s_cbranch_scc0 .LBB39_1958
; %bb.1957:
	v_lshlrev_b32_e32 v2, 16, v7
	v_trunc_f32_e32 v2, v2
	s_mov_b32 s0, 0x2f800000
	s_waitcnt vmcnt(0)
	v_mul_f32_e64 v3, |v2|, s0
	v_floor_f32_e32 v3, v3
	s_mov_b32 s0, 0xcf800000
	v_cvt_u32_f32_e32 v4, v3
	v_fma_f32 v3, v3, s0, |v2|
	v_cvt_u32_f32_e32 v3, v3
	v_ashrrev_i32_e32 v5, 31, v2
	v_xor_b32_e32 v4, v4, v5
	s_mov_b64 s[0:1], 0
	v_xor_b32_e32 v2, v3, v5
	v_sub_co_u32_e32 v2, vcc, v2, v5
	v_subb_co_u32_e32 v3, vcc, v4, v5, vcc
	global_store_dwordx2 v[0:1], v[2:3], off
.LBB39_1958:
	s_andn2_b64 vcc, exec, s[0:1]
	s_cbranch_vccnz .LBB39_1960
; %bb.1959:
	v_lshlrev_b32_e32 v2, 16, v7
	v_cvt_i32_f32_e32 v2, v2
	s_waitcnt vmcnt(0)
	global_store_dword v[0:1], v2, off
.LBB39_1960:
	s_mov_b64 s[0:1], 0
.LBB39_1961:
	s_andn2_b64 vcc, exec, s[0:1]
	s_cbranch_vccnz .LBB39_1963
; %bb.1962:
	v_lshlrev_b32_e32 v2, 16, v7
	v_cvt_i32_f32_e32 v2, v2
	s_waitcnt vmcnt(0)
	global_store_short v[0:1], v2, off
.LBB39_1963:
	s_mov_b64 s[0:1], 0
.LBB39_1964:
	s_andn2_b64 vcc, exec, s[0:1]
	s_cbranch_vccnz .LBB39_1969
; %bb.1965:
	s_sext_i32_i16 s0, s14
	s_cmp_gt_i32 s0, 0
	s_mov_b64 s[0:1], -1
	s_cbranch_scc0 .LBB39_1967
; %bb.1966:
	v_lshlrev_b32_e32 v2, 16, v7
	v_cvt_i32_f32_e32 v2, v2
	s_mov_b64 s[0:1], 0
	s_waitcnt vmcnt(0)
	global_store_byte v[0:1], v2, off
.LBB39_1967:
	s_andn2_b64 vcc, exec, s[0:1]
	s_cbranch_vccnz .LBB39_1969
; %bb.1968:
	v_lshlrev_b32_e32 v2, 16, v7
	v_trunc_f32_e32 v2, v2
	s_mov_b32 s0, 0x2f800000
	s_waitcnt vmcnt(0)
	v_mul_f32_e64 v3, |v2|, s0
	v_floor_f32_e32 v3, v3
	s_mov_b32 s0, 0xcf800000
	v_fma_f32 v3, v3, s0, |v2|
	v_cvt_u32_f32_e32 v3, v3
	v_ashrrev_i32_e32 v2, 31, v2
	v_xor_b32_e32 v3, v3, v2
	v_sub_u32_e32 v2, v3, v2
	global_store_byte v[0:1], v2, off
	s_endpgm
.LBB39_1969:
	s_endpgm
.LBB39_1970:
	s_mov_b64 s[0:1], -1
	s_mov_b64 s[6:7], 0
.LBB39_1971:
	s_and_b64 vcc, exec, s[0:1]
	s_cbranch_vccz .LBB39_2010
; %bb.1972:
	s_and_b32 s4, 0xffff, s14
	s_cmp_lt_i32 s4, 5
	s_mov_b64 s[0:1], -1
	s_cbranch_scc1 .LBB39_1993
; %bb.1973:
	s_cmp_lt_i32 s4, 8
	s_cbranch_scc1 .LBB39_1983
; %bb.1974:
	s_cmp_lt_i32 s4, 9
	s_cbranch_scc1 .LBB39_1980
; %bb.1975:
	s_cmp_gt_i32 s4, 9
	s_cbranch_scc0 .LBB39_1977
; %bb.1976:
	v_lshlrev_b32_e32 v3, 16, v1
	v_cvt_f64_f32_e32 v[8:9], v3
	v_mov_b32_e32 v10, 0
	v_mov_b32_e32 v11, v10
	s_mov_b64 s[0:1], 0
	global_store_dwordx4 v[5:6], v[8:11], off
.LBB39_1977:
	s_andn2_b64 vcc, exec, s[0:1]
	s_cbranch_vccnz .LBB39_1979
; %bb.1978:
	v_lshlrev_b32_e32 v8, 16, v1
	v_mov_b32_e32 v9, 0
	global_store_dwordx2 v[5:6], v[8:9], off
.LBB39_1979:
	s_mov_b64 s[0:1], 0
.LBB39_1980:
	s_andn2_b64 vcc, exec, s[0:1]
	s_cbranch_vccnz .LBB39_1982
; %bb.1981:
	v_lshlrev_b32_e32 v3, 16, v1
	v_cvt_f16_f32_e32 v3, v3
	global_store_dword v[5:6], v3, off
.LBB39_1982:
	s_mov_b64 s[0:1], 0
.LBB39_1983:
	s_andn2_b64 vcc, exec, s[0:1]
	s_cbranch_vccnz .LBB39_1992
; %bb.1984:
	s_cmp_lt_i32 s4, 6
	s_mov_b64 s[0:1], -1
	s_cbranch_scc1 .LBB39_1990
; %bb.1985:
	s_cmp_gt_i32 s4, 6
	s_cbranch_scc0 .LBB39_1987
; %bb.1986:
	v_lshlrev_b32_e32 v3, 16, v1
	v_cvt_f64_f32_e32 v[8:9], v3
	s_mov_b64 s[0:1], 0
	global_store_dwordx2 v[5:6], v[8:9], off
.LBB39_1987:
	s_andn2_b64 vcc, exec, s[0:1]
	s_cbranch_vccnz .LBB39_1989
; %bb.1988:
	v_lshlrev_b32_e32 v3, 16, v1
	global_store_dword v[5:6], v3, off
.LBB39_1989:
	s_mov_b64 s[0:1], 0
.LBB39_1990:
	s_andn2_b64 vcc, exec, s[0:1]
	s_cbranch_vccnz .LBB39_1992
; %bb.1991:
	v_lshlrev_b32_e32 v3, 16, v1
	v_cvt_f16_f32_e32 v3, v3
	global_store_short v[5:6], v3, off
.LBB39_1992:
	s_mov_b64 s[0:1], 0
.LBB39_1993:
	s_andn2_b64 vcc, exec, s[0:1]
	s_cbranch_vccnz .LBB39_2009
; %bb.1994:
	s_cmp_lt_i32 s4, 2
	s_mov_b64 s[0:1], -1
	s_cbranch_scc1 .LBB39_2004
; %bb.1995:
	s_cmp_lt_i32 s4, 3
	s_cbranch_scc1 .LBB39_2001
; %bb.1996:
	s_cmp_gt_i32 s4, 3
	s_cbranch_scc0 .LBB39_1998
; %bb.1997:
	v_lshlrev_b32_e32 v3, 16, v1
	v_trunc_f32_e32 v3, v3
	s_mov_b32 s0, 0x2f800000
	v_mul_f32_e64 v8, |v3|, s0
	v_floor_f32_e32 v8, v8
	s_mov_b32 s0, 0xcf800000
	v_cvt_u32_f32_e32 v9, v8
	v_fma_f32 v8, v8, s0, |v3|
	v_cvt_u32_f32_e32 v8, v8
	v_ashrrev_i32_e32 v3, 31, v3
	v_xor_b32_e32 v9, v9, v3
	s_mov_b64 s[0:1], 0
	v_xor_b32_e32 v8, v8, v3
	v_sub_co_u32_e32 v8, vcc, v8, v3
	v_subb_co_u32_e32 v9, vcc, v9, v3, vcc
	global_store_dwordx2 v[5:6], v[8:9], off
.LBB39_1998:
	s_andn2_b64 vcc, exec, s[0:1]
	s_cbranch_vccnz .LBB39_2000
; %bb.1999:
	v_lshlrev_b32_e32 v3, 16, v1
	v_cvt_i32_f32_e32 v3, v3
	global_store_dword v[5:6], v3, off
.LBB39_2000:
	s_mov_b64 s[0:1], 0
.LBB39_2001:
	s_andn2_b64 vcc, exec, s[0:1]
	s_cbranch_vccnz .LBB39_2003
; %bb.2002:
	v_lshlrev_b32_e32 v3, 16, v1
	v_cvt_i32_f32_e32 v3, v3
	global_store_short v[5:6], v3, off
.LBB39_2003:
	s_mov_b64 s[0:1], 0
.LBB39_2004:
	s_andn2_b64 vcc, exec, s[0:1]
	s_cbranch_vccnz .LBB39_2009
; %bb.2005:
	s_mov_b64 s[0:1], -1
	s_cmp_gt_i32 s4, 0
	v_lshlrev_b32_e32 v1, 16, v1
	s_cbranch_scc0 .LBB39_2007
; %bb.2006:
	v_cvt_i32_f32_e32 v3, v1
	s_mov_b64 s[0:1], 0
	global_store_byte v[5:6], v3, off
.LBB39_2007:
	s_andn2_b64 vcc, exec, s[0:1]
	s_cbranch_vccnz .LBB39_2009
; %bb.2008:
	v_trunc_f32_e32 v1, v1
	s_mov_b32 s0, 0x2f800000
	v_mul_f32_e64 v3, |v1|, s0
	v_floor_f32_e32 v3, v3
	s_mov_b32 s0, 0xcf800000
	v_fma_f32 v3, v3, s0, |v1|
	v_cvt_u32_f32_e32 v3, v3
	v_ashrrev_i32_e32 v1, 31, v1
	v_xor_b32_e32 v3, v3, v1
	v_sub_u32_e32 v1, v3, v1
	global_store_byte v[5:6], v1, off
.LBB39_2009:
	s_mov_b64 s[6:7], -1
.LBB39_2010:
	s_andn2_b64 vcc, exec, s[6:7]
	s_cbranch_vccnz .LBB39_2325
; %bb.2011:
	s_lshr_b32 s0, s18, 8
	s_and_b32 s14, s0, 0xff
	v_mov_b32_e32 v1, s9
	v_add_co_u32_e32 v3, vcc, s8, v4
	s_cmp_lt_i32 s14, 11
	v_addc_co_u32_e32 v4, vcc, 0, v1, vcc
	s_cbranch_scc1 .LBB39_2089
; %bb.2012:
	s_and_b32 s15, 0xffff, s14
	s_mov_b64 s[10:11], -1
	s_mov_b64 s[4:5], 0
	s_cmp_gt_i32 s15, 25
	s_mov_b64 s[6:7], 0
	s_mov_b64 s[0:1], 0
	s_cbranch_scc0 .LBB39_2045
; %bb.2013:
	s_cmp_gt_i32 s15, 28
	s_cbranch_scc0 .LBB39_2028
; %bb.2014:
	s_cmp_gt_i32 s15, 43
	;; [unrolled: 3-line block ×3, first 2 shown]
	s_cbranch_scc0 .LBB39_2018
; %bb.2016:
	s_mov_b64 s[0:1], -1
	s_mov_b64 s[10:11], 0
	s_cmp_eq_u32 s15, 46
	s_cbranch_scc0 .LBB39_2018
; %bb.2017:
	v_and_b32_e32 v1, 0xffff, v14
	global_store_dword v[3:4], v1, off
	s_mov_b64 s[0:1], 0
	s_mov_b64 s[6:7], -1
.LBB39_2018:
	s_and_b64 vcc, exec, s[10:11]
	s_cbranch_vccz .LBB39_2023
; %bb.2019:
	s_cmp_eq_u32 s15, 44
	s_mov_b64 s[0:1], -1
	s_cbranch_scc0 .LBB39_2023
; %bb.2020:
	v_and_b32_e32 v5, 0xffff, v14
	v_bfe_u32 v1, v5, 7, 8
	s_movk_i32 s0, 0xff
	v_cmp_ne_u32_e32 vcc, s0, v1
	v_mov_b32_e32 v6, 0xff
	s_and_saveexec_b64 s[6:7], vcc
	s_cbranch_execz .LBB39_2022
; %bb.2021:
	v_lshlrev_b32_e32 v8, 16, v5
	s_mov_b32 s0, 0x3f0000
	v_lshrrev_b32_e32 v6, 7, v5
	v_and_b32_e32 v5, 64, v5
	v_and_or_b32 v1, v8, s0, v1
	v_cmp_ne_u32_e32 vcc, 0, v5
	v_cmp_ne_u32_e64 s[0:1], 0, v1
	s_and_b64 s[0:1], vcc, s[0:1]
	v_cndmask_b32_e64 v1, 0, 1, s[0:1]
	v_add_u32_e32 v6, v6, v1
.LBB39_2022:
	s_or_b64 exec, exec, s[6:7]
	s_mov_b64 s[0:1], 0
	s_mov_b64 s[6:7], -1
	global_store_byte v[3:4], v6, off
.LBB39_2023:
	s_mov_b64 s[10:11], 0
.LBB39_2024:
	s_and_b64 vcc, exec, s[10:11]
	s_cbranch_vccz .LBB39_2027
; %bb.2025:
	s_cmp_eq_u32 s15, 29
	s_mov_b64 s[0:1], -1
	s_cbranch_scc0 .LBB39_2027
; %bb.2026:
	v_lshlrev_b32_e32 v1, 16, v14
	v_trunc_f32_e32 v1, v1
	v_mul_f32_e32 v5, 0x2f800000, v1
	v_floor_f32_e32 v5, v5
	v_fmac_f32_e32 v1, 0xcf800000, v5
	v_cvt_u32_f32_e32 v6, v5
	v_cvt_u32_f32_e32 v5, v1
	s_mov_b64 s[0:1], 0
	s_mov_b64 s[6:7], -1
	global_store_dwordx2 v[3:4], v[5:6], off
.LBB39_2027:
	s_mov_b64 s[10:11], 0
.LBB39_2028:
	s_and_b64 vcc, exec, s[10:11]
	s_cbranch_vccz .LBB39_2044
; %bb.2029:
	s_cmp_lt_i32 s15, 27
	s_mov_b64 s[6:7], -1
	s_cbranch_scc1 .LBB39_2035
; %bb.2030:
	s_cmp_gt_i32 s15, 27
	s_cbranch_scc0 .LBB39_2032
; %bb.2031:
	v_lshlrev_b32_e32 v1, 16, v14
	v_cvt_u32_f32_e32 v1, v1
	s_mov_b64 s[6:7], 0
	global_store_dword v[3:4], v1, off
.LBB39_2032:
	s_andn2_b64 vcc, exec, s[6:7]
	s_cbranch_vccnz .LBB39_2034
; %bb.2033:
	v_lshlrev_b32_e32 v1, 16, v14
	v_cvt_u32_f32_e32 v1, v1
	global_store_short v[3:4], v1, off
.LBB39_2034:
	s_mov_b64 s[6:7], 0
.LBB39_2035:
	s_andn2_b64 vcc, exec, s[6:7]
	s_cbranch_vccnz .LBB39_2043
; %bb.2036:
	v_lshlrev_b32_e32 v6, 16, v14
	v_and_b32_e32 v5, 0x7fffffff, v6
	s_mov_b32 s6, 0x43800000
	v_cmp_gt_u32_e32 vcc, s6, v5
	v_mov_b32_e32 v8, 0x80
	s_and_saveexec_b64 s[6:7], vcc
	s_cbranch_execz .LBB39_2042
; %bb.2037:
	s_mov_b32 s10, 0x3bffffff
	v_and_b32_e32 v1, 0xffff, v14
	v_cmp_lt_u32_e32 vcc, s10, v5
	s_mov_b64 s[10:11], 0
                                        ; implicit-def: $vgpr5
	s_and_saveexec_b64 s[12:13], vcc
	s_xor_b64 s[12:13], exec, s[12:13]
	s_cbranch_execz .LBB39_2333
; %bb.2038:
	v_bfe_u32 v5, v1, 4, 1
	s_mov_b32 s16, 0x487ffff
	v_add3_u32 v5, v6, v5, s16
	s_mov_b64 s[10:11], exec
	v_lshrrev_b32_e32 v5, 20, v5
                                        ; implicit-def: $vgpr6
	s_andn2_saveexec_b64 s[12:13], s[12:13]
	s_cbranch_execnz .LBB39_2334
.LBB39_2039:
	s_or_b64 exec, exec, s[12:13]
	v_mov_b32_e32 v8, 0
	s_and_saveexec_b64 s[12:13], s[10:11]
.LBB39_2040:
	v_lshrrev_b32_e32 v1, 8, v1
	s_movk_i32 s10, 0x80
	v_and_or_b32 v8, v1, s10, v5
.LBB39_2041:
	s_or_b64 exec, exec, s[12:13]
.LBB39_2042:
	s_or_b64 exec, exec, s[6:7]
	global_store_byte v[3:4], v8, off
.LBB39_2043:
	s_mov_b64 s[6:7], -1
.LBB39_2044:
	s_mov_b64 s[10:11], 0
.LBB39_2045:
	s_and_b64 vcc, exec, s[10:11]
	s_cbranch_vccz .LBB39_2085
; %bb.2046:
	s_cmp_gt_i32 s15, 22
	s_mov_b64 s[4:5], -1
	s_cbranch_scc0 .LBB39_2078
; %bb.2047:
	s_cmp_lt_i32 s15, 24
	s_cbranch_scc1 .LBB39_2067
; %bb.2048:
	s_cmp_gt_i32 s15, 24
	s_cbranch_scc0 .LBB39_2056
; %bb.2049:
	v_lshlrev_b32_e32 v6, 16, v14
	v_and_b32_e32 v5, 0x7fffffff, v6
	s_mov_b32 s4, 0x47800000
	v_cmp_gt_u32_e32 vcc, s4, v5
	v_mov_b32_e32 v8, 0x80
	s_and_saveexec_b64 s[4:5], vcc
	s_cbranch_execz .LBB39_2055
; %bb.2050:
	s_mov_b32 s6, 0x37ffffff
	v_and_b32_e32 v1, 0xffff, v14
	v_cmp_lt_u32_e32 vcc, s6, v5
	s_mov_b64 s[6:7], 0
                                        ; implicit-def: $vgpr5
	s_and_saveexec_b64 s[10:11], vcc
	s_xor_b64 s[10:11], exec, s[10:11]
	s_cbranch_execz .LBB39_2336
; %bb.2051:
	v_bfe_u32 v5, v1, 5, 1
	s_mov_b32 s12, 0x88fffff
	v_add3_u32 v5, v6, v5, s12
	s_mov_b64 s[6:7], exec
	v_lshrrev_b32_e32 v5, 21, v5
                                        ; implicit-def: $vgpr6
	s_andn2_saveexec_b64 s[10:11], s[10:11]
	s_cbranch_execnz .LBB39_2337
.LBB39_2052:
	s_or_b64 exec, exec, s[10:11]
	v_mov_b32_e32 v8, 0
	s_and_saveexec_b64 s[10:11], s[6:7]
.LBB39_2053:
	v_lshrrev_b32_e32 v1, 8, v1
	s_movk_i32 s6, 0x80
	v_and_or_b32 v8, v1, s6, v5
.LBB39_2054:
	s_or_b64 exec, exec, s[10:11]
.LBB39_2055:
	s_or_b64 exec, exec, s[4:5]
	s_mov_b64 s[4:5], 0
	global_store_byte v[3:4], v8, off
.LBB39_2056:
	s_and_b64 vcc, exec, s[4:5]
	s_cbranch_vccz .LBB39_2066
; %bb.2057:
	v_lshlrev_b32_e32 v6, 16, v14
	v_and_b32_e32 v8, 0x7fffffff, v6
	s_mov_b32 s4, 0x43f00000
	v_and_b32_e32 v1, 0xffff, v14
	v_cmp_gt_u32_e32 vcc, s4, v8
                                        ; implicit-def: $vgpr5
	s_and_saveexec_b64 s[4:5], vcc
	s_xor_b64 s[4:5], exec, s[4:5]
	s_cbranch_execz .LBB39_2063
; %bb.2058:
	s_mov_b32 s6, 0x3c7fffff
	v_cmp_lt_u32_e32 vcc, s6, v8
                                        ; implicit-def: $vgpr5
	s_and_saveexec_b64 s[6:7], vcc
	s_xor_b64 s[6:7], exec, s[6:7]
; %bb.2059:
	v_bfe_u32 v5, v1, 4, 1
	s_mov_b32 s10, 0x407ffff
	v_add3_u32 v5, v6, v5, s10
	v_lshrrev_b32_e32 v6, 20, v5
	v_and_b32_e32 v5, 0xff00000, v5
	s_mov_b32 s10, 0x7f00000
	v_mov_b32_e32 v8, 0x7e
	v_cmp_ne_u32_e32 vcc, s10, v5
	v_cndmask_b32_e32 v5, v8, v6, vcc
                                        ; implicit-def: $vgpr6
; %bb.2060:
	s_andn2_saveexec_b64 s[6:7], s[6:7]
; %bb.2061:
	s_mov_b32 s10, 0x46800000
	v_add_f32_e64 v5, |v6|, s10
; %bb.2062:
	s_or_b64 exec, exec, s[6:7]
                                        ; implicit-def: $vgpr8
.LBB39_2063:
	s_andn2_saveexec_b64 s[4:5], s[4:5]
; %bb.2064:
	s_mov_b32 s6, 0x7f800000
	v_mov_b32_e32 v5, 0x7e
	v_mov_b32_e32 v6, 0x7f
	v_cmp_lt_u32_e32 vcc, s6, v8
	v_cndmask_b32_e32 v5, v5, v6, vcc
; %bb.2065:
	s_or_b64 exec, exec, s[4:5]
	v_lshrrev_b32_e32 v1, 8, v1
	s_movk_i32 s4, 0x80
	v_and_or_b32 v1, v1, s4, v5
	global_store_byte v[3:4], v1, off
.LBB39_2066:
	s_mov_b64 s[4:5], 0
.LBB39_2067:
	s_andn2_b64 vcc, exec, s[4:5]
	s_cbranch_vccnz .LBB39_2077
; %bb.2068:
	v_lshlrev_b32_e32 v6, 16, v14
	v_and_b32_e32 v8, 0x7fffffff, v6
	s_mov_b32 s4, 0x47800000
	v_and_b32_e32 v1, 0xffff, v14
	v_cmp_gt_u32_e32 vcc, s4, v8
                                        ; implicit-def: $vgpr5
	s_and_saveexec_b64 s[4:5], vcc
	s_xor_b64 s[4:5], exec, s[4:5]
	s_cbranch_execz .LBB39_2074
; %bb.2069:
	s_mov_b32 s6, 0x387fffff
	v_cmp_lt_u32_e32 vcc, s6, v8
                                        ; implicit-def: $vgpr5
	s_and_saveexec_b64 s[6:7], vcc
	s_xor_b64 s[6:7], exec, s[6:7]
; %bb.2070:
	v_bfe_u32 v5, v1, 5, 1
	s_mov_b32 s10, 0x80fffff
	v_add3_u32 v5, v6, v5, s10
	v_lshrrev_b32_e32 v5, 21, v5
                                        ; implicit-def: $vgpr6
; %bb.2071:
	s_andn2_saveexec_b64 s[6:7], s[6:7]
; %bb.2072:
	s_mov_b32 s10, 0x43000000
	v_add_f32_e64 v5, |v6|, s10
; %bb.2073:
	s_or_b64 exec, exec, s[6:7]
                                        ; implicit-def: $vgpr8
.LBB39_2074:
	s_andn2_saveexec_b64 s[4:5], s[4:5]
; %bb.2075:
	s_mov_b32 s6, 0x7f800000
	v_mov_b32_e32 v5, 0x7c
	v_mov_b32_e32 v6, 0x7f
	v_cmp_lt_u32_e32 vcc, s6, v8
	v_cndmask_b32_e32 v5, v5, v6, vcc
; %bb.2076:
	s_or_b64 exec, exec, s[4:5]
	v_lshrrev_b32_e32 v1, 8, v1
	s_movk_i32 s4, 0x80
	v_and_or_b32 v1, v1, s4, v5
	global_store_byte v[3:4], v1, off
.LBB39_2077:
	s_mov_b64 s[4:5], 0
	s_mov_b64 s[6:7], -1
.LBB39_2078:
	s_andn2_b64 vcc, exec, s[4:5]
	s_mov_b64 s[4:5], 0
	s_cbranch_vccnz .LBB39_2085
; %bb.2079:
	s_cmp_gt_i32 s15, 14
	s_mov_b64 s[10:11], -1
	s_cbranch_scc0 .LBB39_2083
; %bb.2080:
	s_cmp_eq_u32 s15, 15
	s_mov_b64 s[0:1], -1
	s_cbranch_scc0 .LBB39_2082
; %bb.2081:
	global_store_short v[3:4], v14, off
	s_mov_b64 s[0:1], 0
	s_mov_b64 s[6:7], -1
.LBB39_2082:
	s_mov_b64 s[10:11], 0
.LBB39_2083:
	s_and_b64 vcc, exec, s[10:11]
	s_cbranch_vccz .LBB39_2085
; %bb.2084:
	s_cmp_lg_u32 s15, 11
	s_mov_b64 s[4:5], -1
	s_cselect_b64 s[0:1], -1, 0
.LBB39_2085:
	s_and_b64 vcc, exec, s[0:1]
	s_cbranch_vccnz .LBB39_2335
; %bb.2086:
	s_andn2_b64 vcc, exec, s[4:5]
	s_cbranch_vccnz .LBB39_2088
.LBB39_2087:
	v_and_b32_e32 v1, 0x7fff, v14
	v_cmp_ne_u16_e32 vcc, 0, v1
	v_cndmask_b32_e64 v1, 0, 1, vcc
	s_mov_b64 s[6:7], -1
	global_store_byte v[3:4], v1, off
.LBB39_2088:
	s_mov_b64 s[0:1], 0
	s_branch .LBB39_2090
.LBB39_2089:
	s_mov_b64 s[0:1], -1
	s_mov_b64 s[6:7], 0
.LBB39_2090:
	s_and_b64 vcc, exec, s[0:1]
	s_cbranch_vccz .LBB39_2129
; %bb.2091:
	s_and_b32 s4, 0xffff, s14
	s_cmp_lt_i32 s4, 5
	s_mov_b64 s[0:1], -1
	s_cbranch_scc1 .LBB39_2112
; %bb.2092:
	s_cmp_lt_i32 s4, 8
	s_cbranch_scc1 .LBB39_2102
; %bb.2093:
	s_cmp_lt_i32 s4, 9
	s_cbranch_scc1 .LBB39_2099
; %bb.2094:
	s_cmp_gt_i32 s4, 9
	s_cbranch_scc0 .LBB39_2096
; %bb.2095:
	v_lshlrev_b32_e32 v1, 16, v14
	v_cvt_f64_f32_e32 v[8:9], v1
	v_mov_b32_e32 v10, 0
	v_mov_b32_e32 v11, v10
	s_mov_b64 s[0:1], 0
	global_store_dwordx4 v[3:4], v[8:11], off
.LBB39_2096:
	s_andn2_b64 vcc, exec, s[0:1]
	s_cbranch_vccnz .LBB39_2098
; %bb.2097:
	v_lshlrev_b32_e32 v5, 16, v14
	v_mov_b32_e32 v6, 0
	global_store_dwordx2 v[3:4], v[5:6], off
.LBB39_2098:
	s_mov_b64 s[0:1], 0
.LBB39_2099:
	s_andn2_b64 vcc, exec, s[0:1]
	s_cbranch_vccnz .LBB39_2101
; %bb.2100:
	v_lshlrev_b32_e32 v1, 16, v14
	v_cvt_f16_f32_e32 v1, v1
	global_store_dword v[3:4], v1, off
.LBB39_2101:
	s_mov_b64 s[0:1], 0
.LBB39_2102:
	s_andn2_b64 vcc, exec, s[0:1]
	s_cbranch_vccnz .LBB39_2111
; %bb.2103:
	s_cmp_lt_i32 s4, 6
	s_mov_b64 s[0:1], -1
	s_cbranch_scc1 .LBB39_2109
; %bb.2104:
	s_cmp_gt_i32 s4, 6
	s_cbranch_scc0 .LBB39_2106
; %bb.2105:
	v_lshlrev_b32_e32 v1, 16, v14
	v_cvt_f64_f32_e32 v[5:6], v1
	s_mov_b64 s[0:1], 0
	global_store_dwordx2 v[3:4], v[5:6], off
.LBB39_2106:
	s_andn2_b64 vcc, exec, s[0:1]
	s_cbranch_vccnz .LBB39_2108
; %bb.2107:
	v_lshlrev_b32_e32 v1, 16, v14
	global_store_dword v[3:4], v1, off
.LBB39_2108:
	s_mov_b64 s[0:1], 0
.LBB39_2109:
	s_andn2_b64 vcc, exec, s[0:1]
	s_cbranch_vccnz .LBB39_2111
; %bb.2110:
	v_lshlrev_b32_e32 v1, 16, v14
	v_cvt_f16_f32_e32 v1, v1
	global_store_short v[3:4], v1, off
.LBB39_2111:
	s_mov_b64 s[0:1], 0
.LBB39_2112:
	s_andn2_b64 vcc, exec, s[0:1]
	s_cbranch_vccnz .LBB39_2128
; %bb.2113:
	s_cmp_lt_i32 s4, 2
	s_mov_b64 s[0:1], -1
	s_cbranch_scc1 .LBB39_2123
; %bb.2114:
	s_cmp_lt_i32 s4, 3
	s_cbranch_scc1 .LBB39_2120
; %bb.2115:
	s_cmp_gt_i32 s4, 3
	s_cbranch_scc0 .LBB39_2117
; %bb.2116:
	v_lshlrev_b32_e32 v1, 16, v14
	v_trunc_f32_e32 v1, v1
	s_mov_b32 s0, 0x2f800000
	v_mul_f32_e64 v5, |v1|, s0
	v_floor_f32_e32 v5, v5
	s_mov_b32 s0, 0xcf800000
	v_cvt_u32_f32_e32 v6, v5
	v_fma_f32 v5, v5, s0, |v1|
	v_cvt_u32_f32_e32 v5, v5
	v_ashrrev_i32_e32 v1, 31, v1
	v_xor_b32_e32 v6, v6, v1
	s_mov_b64 s[0:1], 0
	v_xor_b32_e32 v5, v5, v1
	v_sub_co_u32_e32 v5, vcc, v5, v1
	v_subb_co_u32_e32 v6, vcc, v6, v1, vcc
	global_store_dwordx2 v[3:4], v[5:6], off
.LBB39_2117:
	s_andn2_b64 vcc, exec, s[0:1]
	s_cbranch_vccnz .LBB39_2119
; %bb.2118:
	v_lshlrev_b32_e32 v1, 16, v14
	v_cvt_i32_f32_e32 v1, v1
	global_store_dword v[3:4], v1, off
.LBB39_2119:
	s_mov_b64 s[0:1], 0
.LBB39_2120:
	s_andn2_b64 vcc, exec, s[0:1]
	s_cbranch_vccnz .LBB39_2122
; %bb.2121:
	v_lshlrev_b32_e32 v1, 16, v14
	v_cvt_i32_f32_e32 v1, v1
	global_store_short v[3:4], v1, off
.LBB39_2122:
	s_mov_b64 s[0:1], 0
.LBB39_2123:
	s_andn2_b64 vcc, exec, s[0:1]
	s_cbranch_vccnz .LBB39_2128
; %bb.2124:
	s_mov_b64 s[0:1], -1
	s_cmp_gt_i32 s4, 0
	v_lshlrev_b32_e32 v1, 16, v14
	s_cbranch_scc0 .LBB39_2126
; %bb.2125:
	v_cvt_i32_f32_e32 v5, v1
	s_mov_b64 s[0:1], 0
	global_store_byte v[3:4], v5, off
.LBB39_2126:
	s_andn2_b64 vcc, exec, s[0:1]
	s_cbranch_vccnz .LBB39_2128
; %bb.2127:
	v_trunc_f32_e32 v1, v1
	s_mov_b32 s0, 0x2f800000
	v_mul_f32_e64 v5, |v1|, s0
	v_floor_f32_e32 v5, v5
	s_mov_b32 s0, 0xcf800000
	v_fma_f32 v5, v5, s0, |v1|
	v_cvt_u32_f32_e32 v5, v5
	v_ashrrev_i32_e32 v1, 31, v1
	v_xor_b32_e32 v5, v5, v1
	v_sub_u32_e32 v1, v5, v1
	global_store_byte v[3:4], v1, off
.LBB39_2128:
	s_mov_b64 s[6:7], -1
.LBB39_2129:
	s_andn2_b64 vcc, exec, s[6:7]
	s_cbranch_vccnz .LBB39_2325
; %bb.2130:
	v_mov_b32_e32 v3, s9
	v_add_co_u32_e32 v1, vcc, s8, v2
	s_cmp_lt_i32 s14, 11
	v_addc_co_u32_e32 v2, vcc, 0, v3, vcc
	s_cbranch_scc1 .LBB39_2208
; %bb.2131:
	s_and_b32 s15, 0xffff, s14
	s_mov_b64 s[10:11], -1
	s_mov_b64 s[4:5], 0
	s_cmp_gt_i32 s15, 25
	s_mov_b64 s[6:7], 0
	s_mov_b64 s[0:1], 0
	s_cbranch_scc0 .LBB39_2164
; %bb.2132:
	s_cmp_gt_i32 s15, 28
	s_cbranch_scc0 .LBB39_2147
; %bb.2133:
	s_cmp_gt_i32 s15, 43
	;; [unrolled: 3-line block ×3, first 2 shown]
	s_cbranch_scc0 .LBB39_2137
; %bb.2135:
	s_mov_b64 s[0:1], -1
	s_mov_b64 s[10:11], 0
	s_cmp_eq_u32 s15, 46
	s_cbranch_scc0 .LBB39_2137
; %bb.2136:
	v_and_b32_e32 v3, 0xffff, v13
	global_store_dword v[1:2], v3, off
	s_mov_b64 s[0:1], 0
	s_mov_b64 s[6:7], -1
.LBB39_2137:
	s_and_b64 vcc, exec, s[10:11]
	s_cbranch_vccz .LBB39_2142
; %bb.2138:
	s_cmp_eq_u32 s15, 44
	s_mov_b64 s[0:1], -1
	s_cbranch_scc0 .LBB39_2142
; %bb.2139:
	v_and_b32_e32 v4, 0xffff, v13
	v_bfe_u32 v3, v4, 7, 8
	s_movk_i32 s0, 0xff
	v_cmp_ne_u32_e32 vcc, s0, v3
	v_mov_b32_e32 v5, 0xff
	s_and_saveexec_b64 s[6:7], vcc
	s_cbranch_execz .LBB39_2141
; %bb.2140:
	v_lshlrev_b32_e32 v6, 16, v4
	s_mov_b32 s0, 0x3f0000
	v_lshrrev_b32_e32 v5, 7, v4
	v_and_b32_e32 v4, 64, v4
	v_and_or_b32 v3, v6, s0, v3
	v_cmp_ne_u32_e32 vcc, 0, v4
	v_cmp_ne_u32_e64 s[0:1], 0, v3
	s_and_b64 s[0:1], vcc, s[0:1]
	v_cndmask_b32_e64 v3, 0, 1, s[0:1]
	v_add_u32_e32 v5, v5, v3
.LBB39_2141:
	s_or_b64 exec, exec, s[6:7]
	s_mov_b64 s[0:1], 0
	s_mov_b64 s[6:7], -1
	global_store_byte v[1:2], v5, off
.LBB39_2142:
	s_mov_b64 s[10:11], 0
.LBB39_2143:
	s_and_b64 vcc, exec, s[10:11]
	s_cbranch_vccz .LBB39_2146
; %bb.2144:
	s_cmp_eq_u32 s15, 29
	s_mov_b64 s[0:1], -1
	s_cbranch_scc0 .LBB39_2146
; %bb.2145:
	v_lshlrev_b32_e32 v3, 16, v13
	v_trunc_f32_e32 v3, v3
	v_mul_f32_e32 v4, 0x2f800000, v3
	v_floor_f32_e32 v5, v4
	v_fmac_f32_e32 v3, 0xcf800000, v5
	v_cvt_u32_f32_e32 v4, v5
	v_cvt_u32_f32_e32 v3, v3
	s_mov_b64 s[0:1], 0
	s_mov_b64 s[6:7], -1
	global_store_dwordx2 v[1:2], v[3:4], off
.LBB39_2146:
	s_mov_b64 s[10:11], 0
.LBB39_2147:
	s_and_b64 vcc, exec, s[10:11]
	s_cbranch_vccz .LBB39_2163
; %bb.2148:
	s_cmp_lt_i32 s15, 27
	s_mov_b64 s[6:7], -1
	s_cbranch_scc1 .LBB39_2154
; %bb.2149:
	s_cmp_gt_i32 s15, 27
	s_cbranch_scc0 .LBB39_2151
; %bb.2150:
	v_lshlrev_b32_e32 v3, 16, v13
	v_cvt_u32_f32_e32 v3, v3
	s_mov_b64 s[6:7], 0
	global_store_dword v[1:2], v3, off
.LBB39_2151:
	s_andn2_b64 vcc, exec, s[6:7]
	s_cbranch_vccnz .LBB39_2153
; %bb.2152:
	v_lshlrev_b32_e32 v3, 16, v13
	v_cvt_u32_f32_e32 v3, v3
	global_store_short v[1:2], v3, off
.LBB39_2153:
	s_mov_b64 s[6:7], 0
.LBB39_2154:
	s_andn2_b64 vcc, exec, s[6:7]
	s_cbranch_vccnz .LBB39_2162
; %bb.2155:
	v_lshlrev_b32_e32 v5, 16, v13
	v_and_b32_e32 v4, 0x7fffffff, v5
	s_mov_b32 s6, 0x43800000
	v_cmp_gt_u32_e32 vcc, s6, v4
	v_mov_b32_e32 v6, 0x80
	s_and_saveexec_b64 s[6:7], vcc
	s_cbranch_execz .LBB39_2161
; %bb.2156:
	s_mov_b32 s10, 0x3bffffff
	v_and_b32_e32 v3, 0xffff, v13
	v_cmp_lt_u32_e32 vcc, s10, v4
	s_mov_b64 s[10:11], 0
                                        ; implicit-def: $vgpr4
	s_and_saveexec_b64 s[12:13], vcc
	s_xor_b64 s[12:13], exec, s[12:13]
	s_cbranch_execz .LBB39_2338
; %bb.2157:
	v_bfe_u32 v4, v3, 4, 1
	s_mov_b32 s16, 0x487ffff
	v_add3_u32 v4, v5, v4, s16
	s_mov_b64 s[10:11], exec
	v_lshrrev_b32_e32 v4, 20, v4
                                        ; implicit-def: $vgpr5
	s_andn2_saveexec_b64 s[12:13], s[12:13]
	s_cbranch_execnz .LBB39_2339
.LBB39_2158:
	s_or_b64 exec, exec, s[12:13]
	v_mov_b32_e32 v6, 0
	s_and_saveexec_b64 s[12:13], s[10:11]
.LBB39_2159:
	v_lshrrev_b32_e32 v3, 8, v3
	s_movk_i32 s10, 0x80
	v_and_or_b32 v6, v3, s10, v4
.LBB39_2160:
	s_or_b64 exec, exec, s[12:13]
.LBB39_2161:
	s_or_b64 exec, exec, s[6:7]
	global_store_byte v[1:2], v6, off
.LBB39_2162:
	s_mov_b64 s[6:7], -1
.LBB39_2163:
	s_mov_b64 s[10:11], 0
.LBB39_2164:
	s_and_b64 vcc, exec, s[10:11]
	s_cbranch_vccz .LBB39_2204
; %bb.2165:
	s_cmp_gt_i32 s15, 22
	s_mov_b64 s[4:5], -1
	s_cbranch_scc0 .LBB39_2197
; %bb.2166:
	s_cmp_lt_i32 s15, 24
	s_cbranch_scc1 .LBB39_2186
; %bb.2167:
	s_cmp_gt_i32 s15, 24
	s_cbranch_scc0 .LBB39_2175
; %bb.2168:
	v_lshlrev_b32_e32 v5, 16, v13
	v_and_b32_e32 v4, 0x7fffffff, v5
	s_mov_b32 s4, 0x47800000
	v_cmp_gt_u32_e32 vcc, s4, v4
	v_mov_b32_e32 v6, 0x80
	s_and_saveexec_b64 s[4:5], vcc
	s_cbranch_execz .LBB39_2174
; %bb.2169:
	s_mov_b32 s6, 0x37ffffff
	v_and_b32_e32 v3, 0xffff, v13
	v_cmp_lt_u32_e32 vcc, s6, v4
	s_mov_b64 s[6:7], 0
                                        ; implicit-def: $vgpr4
	s_and_saveexec_b64 s[10:11], vcc
	s_xor_b64 s[10:11], exec, s[10:11]
	s_cbranch_execz .LBB39_2341
; %bb.2170:
	v_bfe_u32 v4, v3, 5, 1
	s_mov_b32 s12, 0x88fffff
	v_add3_u32 v4, v5, v4, s12
	s_mov_b64 s[6:7], exec
	v_lshrrev_b32_e32 v4, 21, v4
                                        ; implicit-def: $vgpr5
	s_andn2_saveexec_b64 s[10:11], s[10:11]
	s_cbranch_execnz .LBB39_2342
.LBB39_2171:
	s_or_b64 exec, exec, s[10:11]
	v_mov_b32_e32 v6, 0
	s_and_saveexec_b64 s[10:11], s[6:7]
.LBB39_2172:
	v_lshrrev_b32_e32 v3, 8, v3
	s_movk_i32 s6, 0x80
	v_and_or_b32 v6, v3, s6, v4
.LBB39_2173:
	s_or_b64 exec, exec, s[10:11]
.LBB39_2174:
	s_or_b64 exec, exec, s[4:5]
	s_mov_b64 s[4:5], 0
	global_store_byte v[1:2], v6, off
.LBB39_2175:
	s_and_b64 vcc, exec, s[4:5]
	s_cbranch_vccz .LBB39_2185
; %bb.2176:
	v_lshlrev_b32_e32 v5, 16, v13
	v_and_b32_e32 v6, 0x7fffffff, v5
	s_mov_b32 s4, 0x43f00000
	v_and_b32_e32 v3, 0xffff, v13
	v_cmp_gt_u32_e32 vcc, s4, v6
                                        ; implicit-def: $vgpr4
	s_and_saveexec_b64 s[4:5], vcc
	s_xor_b64 s[4:5], exec, s[4:5]
	s_cbranch_execz .LBB39_2182
; %bb.2177:
	s_mov_b32 s6, 0x3c7fffff
	v_cmp_lt_u32_e32 vcc, s6, v6
                                        ; implicit-def: $vgpr4
	s_and_saveexec_b64 s[6:7], vcc
	s_xor_b64 s[6:7], exec, s[6:7]
; %bb.2178:
	v_bfe_u32 v4, v3, 4, 1
	s_mov_b32 s10, 0x407ffff
	v_add3_u32 v4, v5, v4, s10
	v_lshrrev_b32_e32 v5, 20, v4
	v_and_b32_e32 v4, 0xff00000, v4
	s_mov_b32 s10, 0x7f00000
	v_mov_b32_e32 v6, 0x7e
	v_cmp_ne_u32_e32 vcc, s10, v4
	v_cndmask_b32_e32 v4, v6, v5, vcc
                                        ; implicit-def: $vgpr5
; %bb.2179:
	s_andn2_saveexec_b64 s[6:7], s[6:7]
; %bb.2180:
	s_mov_b32 s10, 0x46800000
	v_add_f32_e64 v4, |v5|, s10
; %bb.2181:
	s_or_b64 exec, exec, s[6:7]
                                        ; implicit-def: $vgpr6
.LBB39_2182:
	s_andn2_saveexec_b64 s[4:5], s[4:5]
; %bb.2183:
	s_mov_b32 s6, 0x7f800000
	v_mov_b32_e32 v4, 0x7e
	v_mov_b32_e32 v5, 0x7f
	v_cmp_lt_u32_e32 vcc, s6, v6
	v_cndmask_b32_e32 v4, v4, v5, vcc
; %bb.2184:
	s_or_b64 exec, exec, s[4:5]
	v_lshrrev_b32_e32 v3, 8, v3
	s_movk_i32 s4, 0x80
	v_and_or_b32 v3, v3, s4, v4
	global_store_byte v[1:2], v3, off
.LBB39_2185:
	s_mov_b64 s[4:5], 0
.LBB39_2186:
	s_andn2_b64 vcc, exec, s[4:5]
	s_cbranch_vccnz .LBB39_2196
; %bb.2187:
	v_lshlrev_b32_e32 v5, 16, v13
	v_and_b32_e32 v6, 0x7fffffff, v5
	s_mov_b32 s4, 0x47800000
	v_and_b32_e32 v3, 0xffff, v13
	v_cmp_gt_u32_e32 vcc, s4, v6
                                        ; implicit-def: $vgpr4
	s_and_saveexec_b64 s[4:5], vcc
	s_xor_b64 s[4:5], exec, s[4:5]
	s_cbranch_execz .LBB39_2193
; %bb.2188:
	s_mov_b32 s6, 0x387fffff
	v_cmp_lt_u32_e32 vcc, s6, v6
                                        ; implicit-def: $vgpr4
	s_and_saveexec_b64 s[6:7], vcc
	s_xor_b64 s[6:7], exec, s[6:7]
; %bb.2189:
	v_bfe_u32 v4, v3, 5, 1
	s_mov_b32 s10, 0x80fffff
	v_add3_u32 v4, v5, v4, s10
	v_lshrrev_b32_e32 v4, 21, v4
                                        ; implicit-def: $vgpr5
; %bb.2190:
	s_andn2_saveexec_b64 s[6:7], s[6:7]
; %bb.2191:
	s_mov_b32 s10, 0x43000000
	v_add_f32_e64 v4, |v5|, s10
; %bb.2192:
	s_or_b64 exec, exec, s[6:7]
                                        ; implicit-def: $vgpr6
.LBB39_2193:
	s_andn2_saveexec_b64 s[4:5], s[4:5]
; %bb.2194:
	s_mov_b32 s6, 0x7f800000
	v_mov_b32_e32 v4, 0x7c
	v_mov_b32_e32 v5, 0x7f
	v_cmp_lt_u32_e32 vcc, s6, v6
	v_cndmask_b32_e32 v4, v4, v5, vcc
; %bb.2195:
	s_or_b64 exec, exec, s[4:5]
	v_lshrrev_b32_e32 v3, 8, v3
	s_movk_i32 s4, 0x80
	v_and_or_b32 v3, v3, s4, v4
	global_store_byte v[1:2], v3, off
.LBB39_2196:
	s_mov_b64 s[4:5], 0
	s_mov_b64 s[6:7], -1
.LBB39_2197:
	s_andn2_b64 vcc, exec, s[4:5]
	s_mov_b64 s[4:5], 0
	s_cbranch_vccnz .LBB39_2204
; %bb.2198:
	s_cmp_gt_i32 s15, 14
	s_mov_b64 s[10:11], -1
	s_cbranch_scc0 .LBB39_2202
; %bb.2199:
	s_cmp_eq_u32 s15, 15
	s_mov_b64 s[0:1], -1
	s_cbranch_scc0 .LBB39_2201
; %bb.2200:
	global_store_short v[1:2], v13, off
	s_mov_b64 s[0:1], 0
	s_mov_b64 s[6:7], -1
.LBB39_2201:
	s_mov_b64 s[10:11], 0
.LBB39_2202:
	s_and_b64 vcc, exec, s[10:11]
	s_cbranch_vccz .LBB39_2204
; %bb.2203:
	s_cmp_lg_u32 s15, 11
	s_mov_b64 s[4:5], -1
	s_cselect_b64 s[0:1], -1, 0
.LBB39_2204:
	s_and_b64 vcc, exec, s[0:1]
	s_cbranch_vccnz .LBB39_2340
; %bb.2205:
	s_andn2_b64 vcc, exec, s[4:5]
	s_cbranch_vccnz .LBB39_2207
.LBB39_2206:
	v_and_b32_e32 v3, 0x7fff, v13
	v_cmp_ne_u16_e32 vcc, 0, v3
	v_cndmask_b32_e64 v3, 0, 1, vcc
	s_mov_b64 s[6:7], -1
	global_store_byte v[1:2], v3, off
.LBB39_2207:
	s_mov_b64 s[0:1], 0
	s_branch .LBB39_2209
.LBB39_2208:
	s_mov_b64 s[0:1], -1
	s_mov_b64 s[6:7], 0
.LBB39_2209:
	s_and_b64 vcc, exec, s[0:1]
	s_cbranch_vccz .LBB39_2248
; %bb.2210:
	s_and_b32 s4, 0xffff, s14
	s_cmp_lt_i32 s4, 5
	s_mov_b64 s[0:1], -1
	s_cbranch_scc1 .LBB39_2231
; %bb.2211:
	s_cmp_lt_i32 s4, 8
	s_cbranch_scc1 .LBB39_2221
; %bb.2212:
	s_cmp_lt_i32 s4, 9
	s_cbranch_scc1 .LBB39_2218
; %bb.2213:
	s_cmp_gt_i32 s4, 9
	s_cbranch_scc0 .LBB39_2215
; %bb.2214:
	v_lshlrev_b32_e32 v3, 16, v13
	v_cvt_f64_f32_e32 v[3:4], v3
	v_mov_b32_e32 v5, 0
	v_mov_b32_e32 v6, v5
	s_mov_b64 s[0:1], 0
	global_store_dwordx4 v[1:2], v[3:6], off
.LBB39_2215:
	s_andn2_b64 vcc, exec, s[0:1]
	s_cbranch_vccnz .LBB39_2217
; %bb.2216:
	v_lshlrev_b32_e32 v3, 16, v13
	v_mov_b32_e32 v4, 0
	global_store_dwordx2 v[1:2], v[3:4], off
.LBB39_2217:
	s_mov_b64 s[0:1], 0
.LBB39_2218:
	s_andn2_b64 vcc, exec, s[0:1]
	s_cbranch_vccnz .LBB39_2220
; %bb.2219:
	v_lshlrev_b32_e32 v3, 16, v13
	v_cvt_f16_f32_e32 v3, v3
	global_store_dword v[1:2], v3, off
.LBB39_2220:
	s_mov_b64 s[0:1], 0
.LBB39_2221:
	s_andn2_b64 vcc, exec, s[0:1]
	s_cbranch_vccnz .LBB39_2230
; %bb.2222:
	s_cmp_lt_i32 s4, 6
	s_mov_b64 s[0:1], -1
	s_cbranch_scc1 .LBB39_2228
; %bb.2223:
	s_cmp_gt_i32 s4, 6
	s_cbranch_scc0 .LBB39_2225
; %bb.2224:
	v_lshlrev_b32_e32 v3, 16, v13
	v_cvt_f64_f32_e32 v[3:4], v3
	s_mov_b64 s[0:1], 0
	global_store_dwordx2 v[1:2], v[3:4], off
.LBB39_2225:
	s_andn2_b64 vcc, exec, s[0:1]
	s_cbranch_vccnz .LBB39_2227
; %bb.2226:
	v_lshlrev_b32_e32 v3, 16, v13
	global_store_dword v[1:2], v3, off
.LBB39_2227:
	s_mov_b64 s[0:1], 0
.LBB39_2228:
	s_andn2_b64 vcc, exec, s[0:1]
	s_cbranch_vccnz .LBB39_2230
; %bb.2229:
	v_lshlrev_b32_e32 v3, 16, v13
	v_cvt_f16_f32_e32 v3, v3
	global_store_short v[1:2], v3, off
.LBB39_2230:
	s_mov_b64 s[0:1], 0
.LBB39_2231:
	s_andn2_b64 vcc, exec, s[0:1]
	s_cbranch_vccnz .LBB39_2247
; %bb.2232:
	s_cmp_lt_i32 s4, 2
	s_mov_b64 s[0:1], -1
	s_cbranch_scc1 .LBB39_2242
; %bb.2233:
	s_cmp_lt_i32 s4, 3
	s_cbranch_scc1 .LBB39_2239
; %bb.2234:
	s_cmp_gt_i32 s4, 3
	s_cbranch_scc0 .LBB39_2236
; %bb.2235:
	v_lshlrev_b32_e32 v3, 16, v13
	v_trunc_f32_e32 v3, v3
	s_mov_b32 s0, 0x2f800000
	v_mul_f32_e64 v4, |v3|, s0
	v_floor_f32_e32 v4, v4
	s_mov_b32 s0, 0xcf800000
	v_cvt_u32_f32_e32 v5, v4
	v_fma_f32 v4, v4, s0, |v3|
	v_cvt_u32_f32_e32 v4, v4
	v_ashrrev_i32_e32 v6, 31, v3
	v_xor_b32_e32 v5, v5, v6
	s_mov_b64 s[0:1], 0
	v_xor_b32_e32 v3, v4, v6
	v_sub_co_u32_e32 v3, vcc, v3, v6
	v_subb_co_u32_e32 v4, vcc, v5, v6, vcc
	global_store_dwordx2 v[1:2], v[3:4], off
.LBB39_2236:
	s_andn2_b64 vcc, exec, s[0:1]
	s_cbranch_vccnz .LBB39_2238
; %bb.2237:
	v_lshlrev_b32_e32 v3, 16, v13
	v_cvt_i32_f32_e32 v3, v3
	global_store_dword v[1:2], v3, off
.LBB39_2238:
	s_mov_b64 s[0:1], 0
.LBB39_2239:
	s_andn2_b64 vcc, exec, s[0:1]
	s_cbranch_vccnz .LBB39_2241
; %bb.2240:
	v_lshlrev_b32_e32 v3, 16, v13
	v_cvt_i32_f32_e32 v3, v3
	global_store_short v[1:2], v3, off
.LBB39_2241:
	s_mov_b64 s[0:1], 0
.LBB39_2242:
	s_andn2_b64 vcc, exec, s[0:1]
	s_cbranch_vccnz .LBB39_2247
; %bb.2243:
	s_cmp_gt_i32 s4, 0
	s_mov_b64 s[0:1], -1
	s_cbranch_scc0 .LBB39_2245
; %bb.2244:
	v_lshlrev_b32_e32 v3, 16, v13
	v_cvt_i32_f32_e32 v3, v3
	s_mov_b64 s[0:1], 0
	global_store_byte v[1:2], v3, off
.LBB39_2245:
	s_andn2_b64 vcc, exec, s[0:1]
	s_cbranch_vccnz .LBB39_2247
; %bb.2246:
	v_lshlrev_b32_e32 v3, 16, v13
	v_trunc_f32_e32 v3, v3
	s_mov_b32 s0, 0x2f800000
	v_mul_f32_e64 v4, |v3|, s0
	v_floor_f32_e32 v4, v4
	s_mov_b32 s0, 0xcf800000
	v_fma_f32 v4, v4, s0, |v3|
	v_cvt_u32_f32_e32 v4, v4
	v_ashrrev_i32_e32 v3, 31, v3
	v_xor_b32_e32 v4, v4, v3
	v_sub_u32_e32 v3, v4, v3
	global_store_byte v[1:2], v3, off
.LBB39_2247:
	s_mov_b64 s[6:7], -1
.LBB39_2248:
	s_andn2_b64 vcc, exec, s[6:7]
	s_cbranch_vccnz .LBB39_2325
; %bb.2249:
	v_mov_b32_e32 v1, s9
	v_add_co_u32_e32 v0, vcc, s8, v0
	s_cmp_lt_i32 s14, 11
	v_addc_co_u32_e32 v1, vcc, 0, v1, vcc
	s_cbranch_scc1 .LBB39_2326
; %bb.2250:
	s_and_b32 s12, 0xffff, s14
	s_mov_b64 s[6:7], -1
	s_mov_b64 s[4:5], 0
	s_cmp_gt_i32 s12, 25
	s_mov_b64 s[0:1], 0
	s_cbranch_scc0 .LBB39_2283
; %bb.2251:
	s_cmp_gt_i32 s12, 28
	s_cbranch_scc0 .LBB39_2267
; %bb.2252:
	s_cmp_gt_i32 s12, 43
	;; [unrolled: 3-line block ×3, first 2 shown]
	s_cbranch_scc0 .LBB39_2257
; %bb.2254:
	s_cmp_eq_u32 s12, 46
	s_mov_b64 s[0:1], -1
	s_cbranch_scc0 .LBB39_2256
; %bb.2255:
	v_and_b32_e32 v2, 0xffff, v7
	global_store_dword v[0:1], v2, off
	s_mov_b64 s[0:1], 0
.LBB39_2256:
	s_mov_b64 s[6:7], 0
.LBB39_2257:
	s_and_b64 vcc, exec, s[6:7]
	s_cbranch_vccz .LBB39_2262
; %bb.2258:
	s_cmp_eq_u32 s12, 44
	s_mov_b64 s[0:1], -1
	s_cbranch_scc0 .LBB39_2262
; %bb.2259:
	v_and_b32_e32 v3, 0xffff, v7
	v_bfe_u32 v2, v3, 7, 8
	s_movk_i32 s0, 0xff
	v_cmp_ne_u32_e32 vcc, s0, v2
	v_mov_b32_e32 v4, 0xff
	s_and_saveexec_b64 s[6:7], vcc
	s_cbranch_execz .LBB39_2261
; %bb.2260:
	v_lshlrev_b32_e32 v5, 16, v3
	s_mov_b32 s0, 0x3f0000
	v_lshrrev_b32_e32 v4, 7, v3
	v_and_b32_e32 v3, 64, v3
	v_and_or_b32 v2, v5, s0, v2
	v_cmp_ne_u32_e32 vcc, 0, v3
	v_cmp_ne_u32_e64 s[0:1], 0, v2
	s_and_b64 s[0:1], vcc, s[0:1]
	v_cndmask_b32_e64 v2, 0, 1, s[0:1]
	v_add_u32_e32 v4, v4, v2
.LBB39_2261:
	s_or_b64 exec, exec, s[6:7]
	s_mov_b64 s[0:1], 0
	global_store_byte v[0:1], v4, off
.LBB39_2262:
	s_mov_b64 s[6:7], 0
.LBB39_2263:
	s_and_b64 vcc, exec, s[6:7]
	s_cbranch_vccz .LBB39_2266
; %bb.2264:
	s_cmp_eq_u32 s12, 29
	s_mov_b64 s[0:1], -1
	s_cbranch_scc0 .LBB39_2266
; %bb.2265:
	v_lshlrev_b32_e32 v2, 16, v7
	v_trunc_f32_e32 v2, v2
	v_mul_f32_e32 v3, 0x2f800000, v2
	v_floor_f32_e32 v4, v3
	v_fmac_f32_e32 v2, 0xcf800000, v4
	v_cvt_u32_f32_e32 v3, v4
	v_cvt_u32_f32_e32 v2, v2
	s_mov_b64 s[0:1], 0
	global_store_dwordx2 v[0:1], v[2:3], off
.LBB39_2266:
	s_mov_b64 s[6:7], 0
.LBB39_2267:
	s_and_b64 vcc, exec, s[6:7]
	s_cbranch_vccz .LBB39_2282
; %bb.2268:
	s_cmp_lt_i32 s12, 27
	s_mov_b64 s[6:7], -1
	s_cbranch_scc1 .LBB39_2274
; %bb.2269:
	s_cmp_gt_i32 s12, 27
	s_cbranch_scc0 .LBB39_2271
; %bb.2270:
	v_lshlrev_b32_e32 v2, 16, v7
	v_cvt_u32_f32_e32 v2, v2
	s_mov_b64 s[6:7], 0
	global_store_dword v[0:1], v2, off
.LBB39_2271:
	s_andn2_b64 vcc, exec, s[6:7]
	s_cbranch_vccnz .LBB39_2273
; %bb.2272:
	v_lshlrev_b32_e32 v2, 16, v7
	v_cvt_u32_f32_e32 v2, v2
	global_store_short v[0:1], v2, off
.LBB39_2273:
	s_mov_b64 s[6:7], 0
.LBB39_2274:
	s_andn2_b64 vcc, exec, s[6:7]
	s_cbranch_vccnz .LBB39_2282
; %bb.2275:
	v_lshlrev_b32_e32 v4, 16, v7
	v_and_b32_e32 v3, 0x7fffffff, v4
	s_mov_b32 s6, 0x43800000
	v_cmp_gt_u32_e32 vcc, s6, v3
	v_mov_b32_e32 v5, 0x80
	s_and_saveexec_b64 s[6:7], vcc
	s_cbranch_execz .LBB39_2281
; %bb.2276:
	s_mov_b32 s8, 0x3bffffff
	v_and_b32_e32 v2, 0xffff, v7
	v_cmp_lt_u32_e32 vcc, s8, v3
	s_mov_b64 s[8:9], 0
                                        ; implicit-def: $vgpr3
	s_and_saveexec_b64 s[10:11], vcc
	s_xor_b64 s[10:11], exec, s[10:11]
	s_cbranch_execz .LBB39_2343
; %bb.2277:
	v_bfe_u32 v3, v2, 4, 1
	s_mov_b32 s13, 0x487ffff
	v_add3_u32 v3, v4, v3, s13
	s_mov_b64 s[8:9], exec
	v_lshrrev_b32_e32 v3, 20, v3
                                        ; implicit-def: $vgpr4
	s_andn2_saveexec_b64 s[10:11], s[10:11]
	s_cbranch_execnz .LBB39_2344
.LBB39_2278:
	s_or_b64 exec, exec, s[10:11]
	v_mov_b32_e32 v5, 0
	s_and_saveexec_b64 s[10:11], s[8:9]
.LBB39_2279:
	v_lshrrev_b32_e32 v2, 8, v2
	s_movk_i32 s8, 0x80
	v_and_or_b32 v5, v2, s8, v3
.LBB39_2280:
	s_or_b64 exec, exec, s[10:11]
.LBB39_2281:
	s_or_b64 exec, exec, s[6:7]
	global_store_byte v[0:1], v5, off
.LBB39_2282:
	s_mov_b64 s[6:7], 0
.LBB39_2283:
	s_and_b64 vcc, exec, s[6:7]
	s_cbranch_vccz .LBB39_2323
; %bb.2284:
	s_cmp_gt_i32 s12, 22
	s_mov_b64 s[4:5], -1
	s_cbranch_scc0 .LBB39_2316
; %bb.2285:
	s_cmp_lt_i32 s12, 24
	s_cbranch_scc1 .LBB39_2305
; %bb.2286:
	s_cmp_gt_i32 s12, 24
	s_cbranch_scc0 .LBB39_2294
; %bb.2287:
	v_lshlrev_b32_e32 v4, 16, v7
	v_and_b32_e32 v3, 0x7fffffff, v4
	s_mov_b32 s4, 0x47800000
	v_cmp_gt_u32_e32 vcc, s4, v3
	v_mov_b32_e32 v5, 0x80
	s_and_saveexec_b64 s[4:5], vcc
	s_cbranch_execz .LBB39_2293
; %bb.2288:
	s_mov_b32 s6, 0x37ffffff
	v_and_b32_e32 v2, 0xffff, v7
	v_cmp_lt_u32_e32 vcc, s6, v3
	s_mov_b64 s[6:7], 0
                                        ; implicit-def: $vgpr3
	s_and_saveexec_b64 s[8:9], vcc
	s_xor_b64 s[8:9], exec, s[8:9]
	s_cbranch_execz .LBB39_2346
; %bb.2289:
	v_bfe_u32 v3, v2, 5, 1
	s_mov_b32 s10, 0x88fffff
	v_add3_u32 v3, v4, v3, s10
	s_mov_b64 s[6:7], exec
	v_lshrrev_b32_e32 v3, 21, v3
                                        ; implicit-def: $vgpr4
	s_andn2_saveexec_b64 s[8:9], s[8:9]
	s_cbranch_execnz .LBB39_2347
.LBB39_2290:
	s_or_b64 exec, exec, s[8:9]
	v_mov_b32_e32 v5, 0
	s_and_saveexec_b64 s[8:9], s[6:7]
.LBB39_2291:
	v_lshrrev_b32_e32 v2, 8, v2
	s_movk_i32 s6, 0x80
	v_and_or_b32 v5, v2, s6, v3
.LBB39_2292:
	s_or_b64 exec, exec, s[8:9]
.LBB39_2293:
	s_or_b64 exec, exec, s[4:5]
	s_mov_b64 s[4:5], 0
	global_store_byte v[0:1], v5, off
.LBB39_2294:
	s_and_b64 vcc, exec, s[4:5]
	s_cbranch_vccz .LBB39_2304
; %bb.2295:
	v_lshlrev_b32_e32 v4, 16, v7
	v_and_b32_e32 v5, 0x7fffffff, v4
	s_mov_b32 s4, 0x43f00000
	v_and_b32_e32 v2, 0xffff, v7
	v_cmp_gt_u32_e32 vcc, s4, v5
                                        ; implicit-def: $vgpr3
	s_and_saveexec_b64 s[4:5], vcc
	s_xor_b64 s[4:5], exec, s[4:5]
	s_cbranch_execz .LBB39_2301
; %bb.2296:
	s_mov_b32 s6, 0x3c7fffff
	v_cmp_lt_u32_e32 vcc, s6, v5
                                        ; implicit-def: $vgpr3
	s_and_saveexec_b64 s[6:7], vcc
	s_xor_b64 s[6:7], exec, s[6:7]
; %bb.2297:
	v_bfe_u32 v3, v2, 4, 1
	s_mov_b32 s8, 0x407ffff
	v_add3_u32 v3, v4, v3, s8
	v_lshrrev_b32_e32 v4, 20, v3
	v_and_b32_e32 v3, 0xff00000, v3
	s_mov_b32 s8, 0x7f00000
	v_mov_b32_e32 v5, 0x7e
	v_cmp_ne_u32_e32 vcc, s8, v3
	v_cndmask_b32_e32 v3, v5, v4, vcc
                                        ; implicit-def: $vgpr4
; %bb.2298:
	s_andn2_saveexec_b64 s[6:7], s[6:7]
; %bb.2299:
	s_mov_b32 s8, 0x46800000
	v_add_f32_e64 v3, |v4|, s8
; %bb.2300:
	s_or_b64 exec, exec, s[6:7]
                                        ; implicit-def: $vgpr5
.LBB39_2301:
	s_andn2_saveexec_b64 s[4:5], s[4:5]
; %bb.2302:
	s_mov_b32 s6, 0x7f800000
	v_mov_b32_e32 v3, 0x7e
	v_mov_b32_e32 v4, 0x7f
	v_cmp_lt_u32_e32 vcc, s6, v5
	v_cndmask_b32_e32 v3, v3, v4, vcc
; %bb.2303:
	s_or_b64 exec, exec, s[4:5]
	v_lshrrev_b32_e32 v2, 8, v2
	s_movk_i32 s4, 0x80
	v_and_or_b32 v2, v2, s4, v3
	global_store_byte v[0:1], v2, off
.LBB39_2304:
	s_mov_b64 s[4:5], 0
.LBB39_2305:
	s_andn2_b64 vcc, exec, s[4:5]
	s_cbranch_vccnz .LBB39_2315
; %bb.2306:
	v_lshlrev_b32_e32 v4, 16, v7
	v_and_b32_e32 v5, 0x7fffffff, v4
	s_mov_b32 s4, 0x47800000
	v_and_b32_e32 v2, 0xffff, v7
	v_cmp_gt_u32_e32 vcc, s4, v5
                                        ; implicit-def: $vgpr3
	s_and_saveexec_b64 s[4:5], vcc
	s_xor_b64 s[4:5], exec, s[4:5]
	s_cbranch_execz .LBB39_2312
; %bb.2307:
	s_mov_b32 s6, 0x387fffff
	v_cmp_lt_u32_e32 vcc, s6, v5
                                        ; implicit-def: $vgpr3
	s_and_saveexec_b64 s[6:7], vcc
	s_xor_b64 s[6:7], exec, s[6:7]
; %bb.2308:
	v_bfe_u32 v3, v2, 5, 1
	s_mov_b32 s8, 0x80fffff
	v_add3_u32 v3, v4, v3, s8
	v_lshrrev_b32_e32 v3, 21, v3
                                        ; implicit-def: $vgpr4
; %bb.2309:
	s_andn2_saveexec_b64 s[6:7], s[6:7]
; %bb.2310:
	s_mov_b32 s8, 0x43000000
	v_add_f32_e64 v3, |v4|, s8
; %bb.2311:
	s_or_b64 exec, exec, s[6:7]
                                        ; implicit-def: $vgpr5
.LBB39_2312:
	s_andn2_saveexec_b64 s[4:5], s[4:5]
; %bb.2313:
	s_mov_b32 s6, 0x7f800000
	v_mov_b32_e32 v3, 0x7c
	v_mov_b32_e32 v4, 0x7f
	v_cmp_lt_u32_e32 vcc, s6, v5
	v_cndmask_b32_e32 v3, v3, v4, vcc
; %bb.2314:
	s_or_b64 exec, exec, s[4:5]
	v_lshrrev_b32_e32 v2, 8, v2
	s_movk_i32 s4, 0x80
	v_and_or_b32 v2, v2, s4, v3
	global_store_byte v[0:1], v2, off
.LBB39_2315:
	s_mov_b64 s[4:5], 0
.LBB39_2316:
	s_andn2_b64 vcc, exec, s[4:5]
	s_mov_b64 s[4:5], 0
	s_cbranch_vccnz .LBB39_2323
; %bb.2317:
	s_cmp_gt_i32 s12, 14
	s_mov_b64 s[6:7], -1
	s_cbranch_scc0 .LBB39_2321
; %bb.2318:
	s_cmp_eq_u32 s12, 15
	s_mov_b64 s[0:1], -1
	s_cbranch_scc0 .LBB39_2320
; %bb.2319:
	global_store_short v[0:1], v7, off
	s_mov_b64 s[0:1], 0
.LBB39_2320:
	s_mov_b64 s[6:7], 0
.LBB39_2321:
	s_and_b64 vcc, exec, s[6:7]
	s_cbranch_vccz .LBB39_2323
; %bb.2322:
	s_cmp_lg_u32 s12, 11
	s_mov_b64 s[4:5], -1
	s_cselect_b64 s[0:1], -1, 0
.LBB39_2323:
	s_and_b64 vcc, exec, s[0:1]
	s_cbranch_vccnz .LBB39_2345
.LBB39_2324:
	s_mov_b64 s[0:1], 0
	s_branch .LBB39_1926
.LBB39_2325:
	s_mov_b64 s[0:1], 0
                                        ; implicit-def: $vgpr0_vgpr1
                                        ; implicit-def: $sgpr14
	s_branch .LBB39_1925
.LBB39_2326:
	s_mov_b64 s[4:5], 0
	s_mov_b64 s[0:1], -1
	s_branch .LBB39_1926
.LBB39_2327:
	s_trap 2
	s_or_b64 s[2:3], s[2:3], exec
	s_cbranch_execz .LBB39_1770
	s_branch .LBB39_1771
.LBB39_2328:
	s_andn2_saveexec_b64 s[12:13], s[12:13]
	s_cbranch_execz .LBB39_1874
.LBB39_2329:
	s_mov_b32 s16, 0x46000000
	v_add_f32_e64 v8, |v9|, s16
	v_and_b32_e32 v8, 0xff, v8
	v_cmp_ne_u32_e32 vcc, 0, v8
	s_andn2_b64 s[10:11], s[10:11], exec
	s_and_b64 s[16:17], vcc, exec
	s_or_b64 s[10:11], s[10:11], s[16:17]
	s_or_b64 exec, exec, s[12:13]
	v_mov_b32_e32 v10, 0
	s_and_saveexec_b64 s[12:13], s[10:11]
	s_cbranch_execnz .LBB39_1875
	s_branch .LBB39_1876
.LBB39_2330:
	s_trap 2
	s_or_b64 s[2:3], s[2:3], exec
	s_cbranch_execz .LBB39_1922
	s_branch .LBB39_1923
.LBB39_2331:
	s_andn2_saveexec_b64 s[10:11], s[10:11]
	s_cbranch_execz .LBB39_1887
.LBB39_2332:
	s_mov_b32 s12, 0x42800000
	v_add_f32_e64 v8, |v9|, s12
	v_and_b32_e32 v8, 0xff, v8
	v_cmp_ne_u32_e32 vcc, 0, v8
	s_andn2_b64 s[6:7], s[6:7], exec
	s_and_b64 s[12:13], vcc, exec
	s_or_b64 s[6:7], s[6:7], s[12:13]
	s_or_b64 exec, exec, s[10:11]
	v_mov_b32_e32 v10, 0
	s_and_saveexec_b64 s[10:11], s[6:7]
	s_cbranch_execnz .LBB39_1888
	s_branch .LBB39_1889
.LBB39_2333:
	s_andn2_saveexec_b64 s[12:13], s[12:13]
	s_cbranch_execz .LBB39_2039
.LBB39_2334:
	s_mov_b32 s16, 0x46000000
	v_add_f32_e64 v5, |v6|, s16
	v_and_b32_e32 v5, 0xff, v5
	v_cmp_ne_u32_e32 vcc, 0, v5
	s_andn2_b64 s[10:11], s[10:11], exec
	s_and_b64 s[16:17], vcc, exec
	s_or_b64 s[10:11], s[10:11], s[16:17]
	s_or_b64 exec, exec, s[12:13]
	v_mov_b32_e32 v8, 0
	s_and_saveexec_b64 s[12:13], s[10:11]
	s_cbranch_execnz .LBB39_2040
	s_branch .LBB39_2041
.LBB39_2335:
	s_trap 2
	s_or_b64 s[2:3], s[2:3], exec
	s_cbranch_execz .LBB39_2087
	s_branch .LBB39_2088
.LBB39_2336:
	s_andn2_saveexec_b64 s[10:11], s[10:11]
	s_cbranch_execz .LBB39_2052
.LBB39_2337:
	s_mov_b32 s12, 0x42800000
	v_add_f32_e64 v5, |v6|, s12
	v_and_b32_e32 v5, 0xff, v5
	v_cmp_ne_u32_e32 vcc, 0, v5
	s_andn2_b64 s[6:7], s[6:7], exec
	s_and_b64 s[12:13], vcc, exec
	s_or_b64 s[6:7], s[6:7], s[12:13]
	s_or_b64 exec, exec, s[10:11]
	v_mov_b32_e32 v8, 0
	s_and_saveexec_b64 s[10:11], s[6:7]
	s_cbranch_execnz .LBB39_2053
	s_branch .LBB39_2054
.LBB39_2338:
	s_andn2_saveexec_b64 s[12:13], s[12:13]
	s_cbranch_execz .LBB39_2158
.LBB39_2339:
	s_mov_b32 s16, 0x46000000
	v_add_f32_e64 v4, |v5|, s16
	v_and_b32_e32 v4, 0xff, v4
	v_cmp_ne_u32_e32 vcc, 0, v4
	s_andn2_b64 s[10:11], s[10:11], exec
	s_and_b64 s[16:17], vcc, exec
	s_or_b64 s[10:11], s[10:11], s[16:17]
	s_or_b64 exec, exec, s[12:13]
	v_mov_b32_e32 v6, 0
	s_and_saveexec_b64 s[12:13], s[10:11]
	s_cbranch_execnz .LBB39_2159
	s_branch .LBB39_2160
.LBB39_2340:
	s_trap 2
	s_or_b64 s[2:3], s[2:3], exec
	s_cbranch_execz .LBB39_2206
	s_branch .LBB39_2207
.LBB39_2341:
	s_andn2_saveexec_b64 s[10:11], s[10:11]
	s_cbranch_execz .LBB39_2171
.LBB39_2342:
	s_mov_b32 s12, 0x42800000
	v_add_f32_e64 v4, |v5|, s12
	v_and_b32_e32 v4, 0xff, v4
	v_cmp_ne_u32_e32 vcc, 0, v4
	s_andn2_b64 s[6:7], s[6:7], exec
	s_and_b64 s[12:13], vcc, exec
	s_or_b64 s[6:7], s[6:7], s[12:13]
	s_or_b64 exec, exec, s[10:11]
	v_mov_b32_e32 v6, 0
	s_and_saveexec_b64 s[10:11], s[6:7]
	s_cbranch_execnz .LBB39_2172
	s_branch .LBB39_2173
.LBB39_2343:
	s_andn2_saveexec_b64 s[10:11], s[10:11]
	s_cbranch_execz .LBB39_2278
.LBB39_2344:
	s_mov_b32 s13, 0x46000000
	v_add_f32_e64 v3, |v4|, s13
	v_and_b32_e32 v3, 0xff, v3
	v_cmp_ne_u32_e32 vcc, 0, v3
	s_andn2_b64 s[8:9], s[8:9], exec
	s_and_b64 s[16:17], vcc, exec
	s_or_b64 s[8:9], s[8:9], s[16:17]
	s_or_b64 exec, exec, s[10:11]
	v_mov_b32_e32 v5, 0
	s_and_saveexec_b64 s[10:11], s[8:9]
	s_cbranch_execnz .LBB39_2279
	s_branch .LBB39_2280
.LBB39_2345:
	s_mov_b64 s[4:5], 0
	s_or_b64 s[2:3], s[2:3], exec
	s_trap 2
	s_branch .LBB39_2324
.LBB39_2346:
	s_andn2_saveexec_b64 s[8:9], s[8:9]
	s_cbranch_execz .LBB39_2290
.LBB39_2347:
	s_mov_b32 s10, 0x42800000
	v_add_f32_e64 v3, |v4|, s10
	v_and_b32_e32 v3, 0xff, v3
	v_cmp_ne_u32_e32 vcc, 0, v3
	s_andn2_b64 s[6:7], s[6:7], exec
	s_and_b64 s[10:11], vcc, exec
	s_or_b64 s[6:7], s[6:7], s[10:11]
	s_or_b64 exec, exec, s[8:9]
	v_mov_b32_e32 v5, 0
	s_and_saveexec_b64 s[8:9], s[6:7]
	s_cbranch_execnz .LBB39_2291
	s_branch .LBB39_2292
	.section	.rodata,"a",@progbits
	.p2align	6, 0x0
	.amdhsa_kernel _ZN2at6native32elementwise_kernel_manual_unrollILi128ELi4EZNS0_15gpu_kernel_implIZZZNS0_19digamma_kernel_cudaERNS_18TensorIteratorBaseEENKUlvE_clEvENKUlvE2_clEvEUlN3c108BFloat16EE_EEvS4_RKT_EUlibE0_EEviT1_
		.amdhsa_group_segment_fixed_size 0
		.amdhsa_private_segment_fixed_size 0
		.amdhsa_kernarg_size 360
		.amdhsa_user_sgpr_count 6
		.amdhsa_user_sgpr_private_segment_buffer 1
		.amdhsa_user_sgpr_dispatch_ptr 0
		.amdhsa_user_sgpr_queue_ptr 0
		.amdhsa_user_sgpr_kernarg_segment_ptr 1
		.amdhsa_user_sgpr_dispatch_id 0
		.amdhsa_user_sgpr_flat_scratch_init 0
		.amdhsa_user_sgpr_private_segment_size 0
		.amdhsa_uses_dynamic_stack 0
		.amdhsa_system_sgpr_private_segment_wavefront_offset 0
		.amdhsa_system_sgpr_workgroup_id_x 1
		.amdhsa_system_sgpr_workgroup_id_y 0
		.amdhsa_system_sgpr_workgroup_id_z 0
		.amdhsa_system_sgpr_workgroup_info 0
		.amdhsa_system_vgpr_workitem_id 0
		.amdhsa_next_free_vgpr 46
		.amdhsa_next_free_sgpr 78
		.amdhsa_reserve_vcc 1
		.amdhsa_reserve_flat_scratch 0
		.amdhsa_float_round_mode_32 0
		.amdhsa_float_round_mode_16_64 0
		.amdhsa_float_denorm_mode_32 3
		.amdhsa_float_denorm_mode_16_64 3
		.amdhsa_dx10_clamp 1
		.amdhsa_ieee_mode 1
		.amdhsa_fp16_overflow 0
		.amdhsa_exception_fp_ieee_invalid_op 0
		.amdhsa_exception_fp_denorm_src 0
		.amdhsa_exception_fp_ieee_div_zero 0
		.amdhsa_exception_fp_ieee_overflow 0
		.amdhsa_exception_fp_ieee_underflow 0
		.amdhsa_exception_fp_ieee_inexact 0
		.amdhsa_exception_int_div_zero 0
	.end_amdhsa_kernel
	.section	.text._ZN2at6native32elementwise_kernel_manual_unrollILi128ELi4EZNS0_15gpu_kernel_implIZZZNS0_19digamma_kernel_cudaERNS_18TensorIteratorBaseEENKUlvE_clEvENKUlvE2_clEvEUlN3c108BFloat16EE_EEvS4_RKT_EUlibE0_EEviT1_,"axG",@progbits,_ZN2at6native32elementwise_kernel_manual_unrollILi128ELi4EZNS0_15gpu_kernel_implIZZZNS0_19digamma_kernel_cudaERNS_18TensorIteratorBaseEENKUlvE_clEvENKUlvE2_clEvEUlN3c108BFloat16EE_EEvS4_RKT_EUlibE0_EEviT1_,comdat
.Lfunc_end39:
	.size	_ZN2at6native32elementwise_kernel_manual_unrollILi128ELi4EZNS0_15gpu_kernel_implIZZZNS0_19digamma_kernel_cudaERNS_18TensorIteratorBaseEENKUlvE_clEvENKUlvE2_clEvEUlN3c108BFloat16EE_EEvS4_RKT_EUlibE0_EEviT1_, .Lfunc_end39-_ZN2at6native32elementwise_kernel_manual_unrollILi128ELi4EZNS0_15gpu_kernel_implIZZZNS0_19digamma_kernel_cudaERNS_18TensorIteratorBaseEENKUlvE_clEvENKUlvE2_clEvEUlN3c108BFloat16EE_EEvS4_RKT_EUlibE0_EEviT1_
                                        ; -- End function
	.set _ZN2at6native32elementwise_kernel_manual_unrollILi128ELi4EZNS0_15gpu_kernel_implIZZZNS0_19digamma_kernel_cudaERNS_18TensorIteratorBaseEENKUlvE_clEvENKUlvE2_clEvEUlN3c108BFloat16EE_EEvS4_RKT_EUlibE0_EEviT1_.num_vgpr, 46
	.set _ZN2at6native32elementwise_kernel_manual_unrollILi128ELi4EZNS0_15gpu_kernel_implIZZZNS0_19digamma_kernel_cudaERNS_18TensorIteratorBaseEENKUlvE_clEvENKUlvE2_clEvEUlN3c108BFloat16EE_EEvS4_RKT_EUlibE0_EEviT1_.num_agpr, 0
	.set _ZN2at6native32elementwise_kernel_manual_unrollILi128ELi4EZNS0_15gpu_kernel_implIZZZNS0_19digamma_kernel_cudaERNS_18TensorIteratorBaseEENKUlvE_clEvENKUlvE2_clEvEUlN3c108BFloat16EE_EEvS4_RKT_EUlibE0_EEviT1_.numbered_sgpr, 78
	.set _ZN2at6native32elementwise_kernel_manual_unrollILi128ELi4EZNS0_15gpu_kernel_implIZZZNS0_19digamma_kernel_cudaERNS_18TensorIteratorBaseEENKUlvE_clEvENKUlvE2_clEvEUlN3c108BFloat16EE_EEvS4_RKT_EUlibE0_EEviT1_.num_named_barrier, 0
	.set _ZN2at6native32elementwise_kernel_manual_unrollILi128ELi4EZNS0_15gpu_kernel_implIZZZNS0_19digamma_kernel_cudaERNS_18TensorIteratorBaseEENKUlvE_clEvENKUlvE2_clEvEUlN3c108BFloat16EE_EEvS4_RKT_EUlibE0_EEviT1_.private_seg_size, 0
	.set _ZN2at6native32elementwise_kernel_manual_unrollILi128ELi4EZNS0_15gpu_kernel_implIZZZNS0_19digamma_kernel_cudaERNS_18TensorIteratorBaseEENKUlvE_clEvENKUlvE2_clEvEUlN3c108BFloat16EE_EEvS4_RKT_EUlibE0_EEviT1_.uses_vcc, 1
	.set _ZN2at6native32elementwise_kernel_manual_unrollILi128ELi4EZNS0_15gpu_kernel_implIZZZNS0_19digamma_kernel_cudaERNS_18TensorIteratorBaseEENKUlvE_clEvENKUlvE2_clEvEUlN3c108BFloat16EE_EEvS4_RKT_EUlibE0_EEviT1_.uses_flat_scratch, 0
	.set _ZN2at6native32elementwise_kernel_manual_unrollILi128ELi4EZNS0_15gpu_kernel_implIZZZNS0_19digamma_kernel_cudaERNS_18TensorIteratorBaseEENKUlvE_clEvENKUlvE2_clEvEUlN3c108BFloat16EE_EEvS4_RKT_EUlibE0_EEviT1_.has_dyn_sized_stack, 0
	.set _ZN2at6native32elementwise_kernel_manual_unrollILi128ELi4EZNS0_15gpu_kernel_implIZZZNS0_19digamma_kernel_cudaERNS_18TensorIteratorBaseEENKUlvE_clEvENKUlvE2_clEvEUlN3c108BFloat16EE_EEvS4_RKT_EUlibE0_EEviT1_.has_recursion, 0
	.set _ZN2at6native32elementwise_kernel_manual_unrollILi128ELi4EZNS0_15gpu_kernel_implIZZZNS0_19digamma_kernel_cudaERNS_18TensorIteratorBaseEENKUlvE_clEvENKUlvE2_clEvEUlN3c108BFloat16EE_EEvS4_RKT_EUlibE0_EEviT1_.has_indirect_call, 0
	.section	.AMDGPU.csdata,"",@progbits
; Kernel info:
; codeLenInByte = 62668
; TotalNumSgprs: 82
; NumVgprs: 46
; ScratchSize: 0
; MemoryBound: 0
; FloatMode: 240
; IeeeMode: 1
; LDSByteSize: 0 bytes/workgroup (compile time only)
; SGPRBlocks: 10
; VGPRBlocks: 11
; NumSGPRsForWavesPerEU: 82
; NumVGPRsForWavesPerEU: 46
; Occupancy: 5
; WaveLimiterHint : 1
; COMPUTE_PGM_RSRC2:SCRATCH_EN: 0
; COMPUTE_PGM_RSRC2:USER_SGPR: 6
; COMPUTE_PGM_RSRC2:TRAP_HANDLER: 0
; COMPUTE_PGM_RSRC2:TGID_X_EN: 1
; COMPUTE_PGM_RSRC2:TGID_Y_EN: 0
; COMPUTE_PGM_RSRC2:TGID_Z_EN: 0
; COMPUTE_PGM_RSRC2:TIDIG_COMP_CNT: 0
	.text
	.p2align	2                               ; -- Begin function _ZN2at6native25elementwise_kernel_helperILb0EZZZNS0_20trigamma_kernel_cudaERNS_18TensorIteratorBaseEENKUlvE_clEvENKUlvE_clEvEUldE_NS0_6memory8policies11unroll_baseILi256ESt5arrayIPcLm2EE23TrivialOffsetCalculatorILi1EjESE_NS7_15LoadWithoutCastENS7_16StoreWithoutCastELi4ELi1EEEEEvT0_T1_
	.type	_ZN2at6native25elementwise_kernel_helperILb0EZZZNS0_20trigamma_kernel_cudaERNS_18TensorIteratorBaseEENKUlvE_clEvENKUlvE_clEvEUldE_NS0_6memory8policies11unroll_baseILi256ESt5arrayIPcLm2EE23TrivialOffsetCalculatorILi1EjESE_NS7_15LoadWithoutCastENS7_16StoreWithoutCastELi4ELi1EEEEEvT0_T1_,@function
_ZN2at6native25elementwise_kernel_helperILb0EZZZNS0_20trigamma_kernel_cudaERNS_18TensorIteratorBaseEENKUlvE_clEvENKUlvE_clEvEUldE_NS0_6memory8policies11unroll_baseILi256ESt5arrayIPcLm2EE23TrivialOffsetCalculatorILi1EjESE_NS7_15LoadWithoutCastENS7_16StoreWithoutCastELi4ELi1EEEEEvT0_T1_: ; @_ZN2at6native25elementwise_kernel_helperILb0EZZZNS0_20trigamma_kernel_cudaERNS_18TensorIteratorBaseEENKUlvE_clEvENKUlvE_clEvEUldE_NS0_6memory8policies11unroll_baseILi256ESt5arrayIPcLm2EE23TrivialOffsetCalculatorILi1EjESE_NS7_15LoadWithoutCastENS7_16StoreWithoutCastELi4ELi1EEEEEvT0_T1_
; %bb.0:
	s_waitcnt vmcnt(0) expcnt(0) lgkmcnt(0)
	v_and_b32_e32 v22, 0x3ff, v31
	s_lshl_b32 s16, s12, 10
	v_mov_b32_e32 v16, 0
	v_mov_b32_e32 v18, 0
	v_cmp_lt_i32_e64 s[4:5], v22, v4
	v_mov_b32_e32 v17, 0
	v_or_b32_e32 v5, s16, v22
	v_mov_b32_e32 v19, 0
	v_mov_b32_e32 v10, v22
	s_and_saveexec_b64 s[6:7], s[4:5]
	s_cbranch_execz .LBB40_2
; %bb.1:
	v_mov_b32_e32 v6, 0
	v_lshlrev_b64 v[6:7], 3, v[5:6]
	v_add_u32_e32 v10, 0x100, v22
	v_add_co_u32_e32 v6, vcc, v2, v6
	v_addc_co_u32_e32 v7, vcc, v3, v7, vcc
	flat_load_dwordx2 v[18:19], v[6:7]
.LBB40_2:
	s_or_b64 exec, exec, s[6:7]
	v_cmp_lt_i32_e32 vcc, v10, v4
	s_and_saveexec_b64 s[6:7], vcc
	s_cbranch_execz .LBB40_4
; %bb.3:
	v_add_u32_e32 v6, s16, v10
	v_mov_b32_e32 v7, 0
	v_lshlrev_b64 v[6:7], 3, v[6:7]
	v_add_u32_e32 v10, 0x100, v10
	v_add_co_u32_e32 v6, vcc, v2, v6
	v_addc_co_u32_e32 v7, vcc, v3, v7, vcc
	flat_load_dwordx2 v[16:17], v[6:7]
.LBB40_4:
	s_or_b64 exec, exec, s[6:7]
	v_mov_b32_e32 v6, 0
	v_mov_b32_e32 v8, 0
	v_mov_b32_e32 v7, 0
	v_mov_b32_e32 v9, 0
	v_cmp_lt_i32_e32 vcc, v10, v4
	s_and_saveexec_b64 s[6:7], vcc
	s_cbranch_execz .LBB40_6
; %bb.5:
	v_add_u32_e32 v8, s16, v10
	v_mov_b32_e32 v9, 0
	v_lshlrev_b64 v[8:9], 3, v[8:9]
	v_add_u32_e32 v10, 0x100, v10
	v_add_co_u32_e32 v8, vcc, v2, v8
	v_addc_co_u32_e32 v9, vcc, v3, v9, vcc
	flat_load_dwordx2 v[8:9], v[8:9]
.LBB40_6:
	s_or_b64 exec, exec, s[6:7]
	v_cmp_lt_i32_e32 vcc, v10, v4
	s_and_saveexec_b64 s[6:7], vcc
	s_cbranch_execz .LBB40_8
; %bb.7:
	v_add_u32_e32 v6, s16, v10
	v_mov_b32_e32 v7, 0
	v_lshlrev_b64 v[6:7], 3, v[6:7]
	v_add_co_u32_e32 v2, vcc, v2, v6
	v_addc_co_u32_e32 v3, vcc, v3, v7, vcc
	flat_load_dwordx2 v[6:7], v[2:3]
.LBB40_8:
	s_or_b64 exec, exec, s[6:7]
	v_mov_b32_e32 v2, 0
	v_mov_b32_e32 v3, v2
	;; [unrolled: 1-line block ×8, first 2 shown]
	s_and_saveexec_b64 s[8:9], s[4:5]
	s_cbranch_execz .LBB40_16
; %bb.9:
	s_waitcnt vmcnt(0) lgkmcnt(0)
	v_cmp_gt_f64_e32 vcc, 0.5, v[18:19]
	v_mov_b32_e32 v10, 0
	v_mov_b32_e32 v2, 0
	;; [unrolled: 1-line block ×4, first 2 shown]
	s_and_saveexec_b64 s[10:11], vcc
	s_cbranch_execz .LBB40_15
; %bb.10:
	s_mov_b32 s13, 0x400921fb
	s_mov_b32 s12, 0x54442d18
	v_mul_f64 v[2:3], v[18:19], s[12:13]
	s_mov_b32 s6, 0
	s_mov_b32 s7, 0x41d00000
                                        ; implicit-def: $vgpr14
                                        ; implicit-def: $vgpr10_vgpr11
                                        ; implicit-def: $vgpr12_vgpr13
	v_cmp_nlt_f64_e64 s[6:7], |v[2:3]|, s[6:7]
	s_and_saveexec_b64 s[14:15], s[6:7]
	s_xor_b64 s[14:15], exec, s[14:15]
	s_cbranch_execz .LBB40_12
; %bb.11:
	v_trig_preop_f64 v[10:11], |v[2:3]|, 0
	s_mov_b32 s6, 0
	s_mov_b32 s7, 0x7b000000
	s_movk_i32 s13, 0xff80
	v_ldexp_f64 v[14:15], |v[2:3]|, s13
	v_cmp_ge_f64_e64 vcc, |v[2:3]|, s[6:7]
	v_trig_preop_f64 v[12:13], |v[2:3]|, 1
	v_and_b32_e32 v20, 0x7fffffff, v3
	v_trig_preop_f64 v[27:28], |v[2:3]|, 2
	s_mov_b32 s6, 0
	s_mov_b32 s7, 0x7ff00000
	v_mov_b32_e32 v38, 0x40100000
	v_mov_b32_e32 v37, 0
	v_cndmask_b32_e32 v15, v20, v15, vcc
	v_cndmask_b32_e32 v14, v2, v14, vcc
	s_mov_b32 s13, 0x3ff921fb
	v_mul_f64 v[20:21], v[10:11], v[14:15]
	v_mul_f64 v[23:24], v[12:13], v[14:15]
	;; [unrolled: 1-line block ×3, first 2 shown]
	v_fma_f64 v[10:11], v[10:11], v[14:15], -v[20:21]
	v_fma_f64 v[12:13], v[12:13], v[14:15], -v[23:24]
	;; [unrolled: 1-line block ×3, first 2 shown]
	v_add_f64 v[25:26], v[23:24], v[10:11]
	v_add_f64 v[29:30], v[25:26], -v[23:24]
	v_add_f64 v[35:36], v[20:21], v[25:26]
	v_add_f64 v[31:32], v[25:26], -v[29:30]
	v_add_f64 v[10:11], v[10:11], -v[29:30]
	v_add_f64 v[29:30], v[33:34], v[12:13]
	v_add_f64 v[20:21], v[35:36], -v[20:21]
	v_add_f64 v[23:24], v[23:24], -v[31:32]
	v_ldexp_f64 v[31:32], v[35:36], -2
	v_add_f64 v[48:49], v[29:30], -v[33:34]
	v_add_f64 v[20:21], v[25:26], -v[20:21]
	v_add_f64 v[10:11], v[10:11], v[23:24]
	v_fract_f64_e32 v[23:24], v[31:32]
	v_cmp_neq_f64_e64 vcc, |v[31:32]|, s[6:7]
	v_add_f64 v[12:13], v[12:13], -v[48:49]
	v_add_f64 v[25:26], v[29:30], v[10:11]
	v_ldexp_f64 v[23:24], v[23:24], 2
	v_add_f64 v[31:32], v[20:21], v[25:26]
	v_cndmask_b32_e32 v24, 0, v24, vcc
	v_cndmask_b32_e32 v23, 0, v23, vcc
	v_add_f64 v[50:51], v[25:26], -v[29:30]
	v_add_f64 v[35:36], v[31:32], v[23:24]
	v_add_f64 v[20:21], v[31:32], -v[20:21]
	v_add_f64 v[10:11], v[10:11], -v[50:51]
	v_cmp_gt_f64_e32 vcc, 0, v[35:36]
	v_add_f64 v[35:36], v[29:30], -v[48:49]
	v_add_f64 v[20:21], v[25:26], -v[20:21]
	v_cndmask_b32_e32 v38, 0, v38, vcc
	v_add_f64 v[23:24], v[23:24], v[37:38]
	v_add_f64 v[38:39], v[25:26], -v[50:51]
	v_add_f64 v[35:36], v[33:34], -v[35:36]
	v_add_f64 v[52:53], v[31:32], v[23:24]
	v_add_f64 v[29:30], v[29:30], -v[38:39]
	v_add_f64 v[12:13], v[12:13], v[35:36]
	v_cvt_i32_f64_e32 v48, v[52:53]
	v_add_f64 v[10:11], v[10:11], v[29:30]
	v_cvt_f64_i32_e32 v[38:39], v48
	v_add_f64 v[23:24], v[23:24], -v[38:39]
	v_add_f64 v[10:11], v[12:13], v[10:11]
	v_add_f64 v[12:13], v[31:32], v[23:24]
	;; [unrolled: 1-line block ×3, first 2 shown]
	v_add_f64 v[14:15], v[12:13], -v[23:24]
	v_cmp_le_f64_e32 vcc, 0.5, v[12:13]
	v_add_f64 v[10:11], v[20:21], v[10:11]
	v_add_f64 v[20:21], v[31:32], -v[14:15]
	v_mov_b32_e32 v15, 0x3ff00000
	v_cndmask_b32_e32 v38, 0, v15, vcc
	v_add_f64 v[12:13], v[12:13], -v[37:38]
	v_addc_co_u32_e64 v14, s[6:7], 0, v48, vcc
	s_mov_b32 s6, 0x33145c07
	s_mov_b32 s7, 0x3c91a626
	v_add_f64 v[10:11], v[10:11], v[20:21]
	v_add_f64 v[20:21], v[12:13], v[10:11]
	v_mul_f64 v[23:24], v[20:21], s[12:13]
	v_add_f64 v[12:13], v[20:21], -v[12:13]
	v_fma_f64 v[25:26], v[20:21], s[12:13], -v[23:24]
	v_add_f64 v[10:11], v[10:11], -v[12:13]
	v_fma_f64 v[12:13], v[20:21], s[6:7], v[25:26]
	v_fma_f64 v[12:13], v[10:11], s[12:13], v[12:13]
	v_add_f64 v[10:11], v[23:24], v[12:13]
	v_add_f64 v[20:21], v[10:11], -v[23:24]
	v_add_f64 v[12:13], v[12:13], -v[20:21]
.LBB40_12:
	s_andn2_saveexec_b64 s[6:7], s[14:15]
	s_cbranch_execz .LBB40_14
; %bb.13:
	s_mov_b32 s12, 0x6dc9c883
	s_mov_b32 s13, 0x3fe45f30
	v_mul_f64 v[10:11], |v[2:3]|, s[12:13]
	s_mov_b32 s12, 0x54442d18
	s_mov_b32 s13, 0xbff921fb
	;; [unrolled: 1-line block ×4, first 2 shown]
	v_rndne_f64_e32 v[14:15], v[10:11]
	v_fma_f64 v[10:11], v[14:15], s[12:13], |v[2:3]|
	v_mul_f64 v[12:13], v[14:15], s[14:15]
	s_mov_b32 s12, 0x252049c0
	s_mov_b32 s13, 0xb97b839a
	v_fma_f64 v[25:26], v[14:15], s[14:15], v[10:11]
	v_add_f64 v[20:21], v[10:11], v[12:13]
	s_mov_b32 s15, 0x3c91a626
	v_add_f64 v[23:24], v[10:11], -v[20:21]
	v_add_f64 v[20:21], v[20:21], -v[25:26]
	v_add_f64 v[10:11], v[23:24], v[12:13]
	v_fma_f64 v[12:13], v[14:15], s[14:15], v[12:13]
	v_add_f64 v[10:11], v[20:21], v[10:11]
	v_add_f64 v[10:11], v[10:11], -v[12:13]
	v_fma_f64 v[12:13], v[14:15], s[12:13], v[10:11]
	v_cvt_i32_f64_e32 v14, v[14:15]
	v_add_f64 v[10:11], v[25:26], v[12:13]
	v_add_f64 v[20:21], v[10:11], -v[25:26]
	v_add_f64 v[12:13], v[12:13], -v[20:21]
.LBB40_14:
	s_or_b64 exec, exec, s[6:7]
	v_mul_f64 v[20:21], v[10:11], v[10:11]
	s_mov_b32 s6, 0xf9a43bb8
	v_mov_b32_e32 v24, 0xb42fdfa7
	v_mov_b32_e32 v25, 0xbe5ae600
	s_mov_b32 s7, 0x3de5e0b2
	s_mov_b32 s12, 0x796cde01
	v_mov_b32_e32 v23, 0x9037ab78
	s_mov_b32 s13, 0x3ec71de3
	v_fma_f64 v[25:26], v[20:21], s[6:7], v[24:25]
	s_mov_b32 s6, 0x46cc5e42
	v_mov_b32_e32 v24, 0x3e21eeb6
	s_mov_b32 s7, 0xbda907db
	v_fma_f64 v[23:24], v[20:21], s[6:7], v[23:24]
	v_mul_f64 v[27:28], v[20:21], 0.5
	s_mov_b32 s6, 0xa17f65f6
	s_mov_b32 s14, 0x19e83e5c
	v_fma_f64 v[25:26], v[20:21], v[25:26], s[12:13]
	s_mov_b32 s7, 0xbe927e4f
	s_mov_b32 s15, 0xbf2a01a0
	;; [unrolled: 1-line block ×3, first 2 shown]
	v_fma_f64 v[23:24], v[20:21], v[23:24], s[6:7]
	v_add_f64 v[29:30], -v[27:28], 1.0
	s_mov_b32 s6, 0x11110bb3
	s_mov_b32 s13, 0x3efa01a0
	v_fma_f64 v[25:26], v[20:21], v[25:26], s[14:15]
	s_mov_b32 s7, 0x3f811111
	v_mul_f64 v[31:32], v[12:13], 0.5
	v_mul_f64 v[33:34], v[10:11], -v[20:21]
	v_fma_f64 v[23:24], v[20:21], v[23:24], s[12:13]
	v_add_f64 v[35:36], -v[29:30], 1.0
	v_add_f64 v[18:19], -v[18:19], 1.0
	v_fma_f64 v[25:26], v[20:21], v[25:26], s[6:7]
	s_mov_b32 s6, 0x16c16967
	s_mov_b32 s7, 0xbf56c16c
	v_fma_f64 v[23:24], v[20:21], v[23:24], s[6:7]
	v_add_f64 v[27:28], v[35:36], -v[27:28]
	s_mov_b32 s7, 0x3fa55555
	s_mov_b32 s6, 0x55555555
	v_fma_f64 v[25:26], v[33:34], v[25:26], v[31:32]
	v_mul_f64 v[31:32], v[20:21], v[20:21]
	v_fma_f64 v[23:24], v[20:21], v[23:24], s[6:7]
	v_fma_f64 v[27:28], v[10:11], -v[12:13], v[27:28]
	s_mov_b32 s7, 0xbfc55555
	v_fma_f64 v[12:13], v[20:21], v[25:26], -v[12:13]
	v_fma_f64 v[20:21], v[31:32], v[23:24], v[27:28]
	v_fma_f64 v[12:13], v[33:34], s[6:7], v[12:13]
	s_movk_i32 s6, 0x1f8
	v_cmp_class_f64_e64 s[6:7], v[2:3], s6
	v_lshlrev_b32_e32 v2, 30, v14
	v_xor_b32_e32 v2, v2, v3
	v_add_f64 v[20:21], v[29:30], v[20:21]
	v_and_b32_e32 v2, 0x80000000, v2
	v_add_f64 v[10:11], v[10:11], -v[12:13]
	v_and_b32_e32 v12, 1, v14
	v_cmp_eq_u32_e32 vcc, 0, v12
	v_mov_b32_e32 v12, 0x7ff80000
	v_cndmask_b32_e32 v3, v21, v11, vcc
	v_cndmask_b32_e32 v10, v20, v10, vcc
	v_xor_b32_e32 v3, v3, v2
	v_cndmask_b32_e64 v2, 0, v10, s[6:7]
	v_cndmask_b32_e64 v3, v12, v3, s[6:7]
	v_mul_f64 v[2:3], v[2:3], v[2:3]
	s_mov_b32 s6, 0xc9be45de
	s_mov_b32 s7, 0xc023bd3c
	v_div_scale_f64 v[10:11], s[12:13], v[2:3], v[2:3], s[6:7]
	v_rcp_f64_e32 v[12:13], v[10:11]
	v_fma_f64 v[14:15], -v[10:11], v[12:13], 1.0
	v_fma_f64 v[12:13], v[12:13], v[14:15], v[12:13]
	v_div_scale_f64 v[14:15], vcc, s[6:7], v[2:3], s[6:7]
	v_fma_f64 v[20:21], -v[10:11], v[12:13], 1.0
	v_fma_f64 v[12:13], v[12:13], v[20:21], v[12:13]
	v_mul_f64 v[20:21], v[14:15], v[12:13]
	v_fma_f64 v[10:11], -v[10:11], v[20:21], v[14:15]
	v_div_fmas_f64 v[10:11], v[10:11], v[12:13], v[20:21]
	v_div_fixup_f64 v[2:3], v[10:11], v[2:3], s[6:7]
	v_add_f64 v[10:11], v[2:3], 0
	v_mov_b32_e32 v2, 0
	v_mov_b32_e32 v3, 0xbff00000
.LBB40_15:
	s_or_b64 exec, exec, s[10:11]
	v_mul_f64 v[12:13], v[18:19], v[18:19]
	v_div_scale_f64 v[14:15], s[6:7], v[12:13], v[12:13], 1.0
	v_rcp_f64_e32 v[20:21], v[14:15]
	v_fma_f64 v[23:24], -v[14:15], v[20:21], 1.0
	v_fma_f64 v[20:21], v[20:21], v[23:24], v[20:21]
	v_fma_f64 v[23:24], -v[14:15], v[20:21], 1.0
	v_fma_f64 v[20:21], v[20:21], v[23:24], v[20:21]
	v_div_scale_f64 v[23:24], vcc, 1.0, v[12:13], 1.0
	v_mul_f64 v[25:26], v[23:24], v[20:21]
	v_fma_f64 v[14:15], -v[14:15], v[25:26], v[23:24]
	s_nop 1
	v_div_fmas_f64 v[14:15], v[14:15], v[20:21], v[25:26]
	v_div_fixup_f64 v[12:13], v[14:15], v[12:13], 1.0
	v_add_f64 v[10:11], v[10:11], v[12:13]
	v_add_f64 v[12:13], v[18:19], 1.0
	v_mul_f64 v[14:15], v[12:13], v[12:13]
	v_add_f64 v[12:13], v[12:13], 1.0
	v_div_scale_f64 v[18:19], s[6:7], v[14:15], v[14:15], 1.0
	v_rcp_f64_e32 v[20:21], v[18:19]
	v_fma_f64 v[23:24], -v[18:19], v[20:21], 1.0
	v_fma_f64 v[20:21], v[20:21], v[23:24], v[20:21]
	v_fma_f64 v[23:24], -v[18:19], v[20:21], 1.0
	v_fma_f64 v[20:21], v[20:21], v[23:24], v[20:21]
	v_div_scale_f64 v[23:24], vcc, 1.0, v[14:15], 1.0
	v_mul_f64 v[25:26], v[23:24], v[20:21]
	v_fma_f64 v[18:19], -v[18:19], v[25:26], v[23:24]
	s_nop 1
	v_div_fmas_f64 v[18:19], v[18:19], v[20:21], v[25:26]
	v_div_fixup_f64 v[14:15], v[18:19], v[14:15], 1.0
	v_add_f64 v[10:11], v[10:11], v[14:15]
	v_mul_f64 v[14:15], v[12:13], v[12:13]
	v_add_f64 v[12:13], v[12:13], 1.0
	v_div_scale_f64 v[18:19], s[6:7], v[14:15], v[14:15], 1.0
	v_rcp_f64_e32 v[20:21], v[18:19]
	v_fma_f64 v[23:24], -v[18:19], v[20:21], 1.0
	v_fma_f64 v[20:21], v[20:21], v[23:24], v[20:21]
	v_fma_f64 v[23:24], -v[18:19], v[20:21], 1.0
	v_fma_f64 v[20:21], v[20:21], v[23:24], v[20:21]
	v_div_scale_f64 v[23:24], vcc, 1.0, v[14:15], 1.0
	v_mul_f64 v[25:26], v[23:24], v[20:21]
	v_fma_f64 v[18:19], -v[18:19], v[25:26], v[23:24]
	s_nop 1
	v_div_fmas_f64 v[18:19], v[18:19], v[20:21], v[25:26]
	v_div_fixup_f64 v[14:15], v[18:19], v[14:15], 1.0
	v_add_f64 v[10:11], v[10:11], v[14:15]
	;; [unrolled: 15-line block ×5, first 2 shown]
	v_mul_f64 v[14:15], v[12:13], v[12:13]
	v_div_scale_f64 v[18:19], s[6:7], v[14:15], v[14:15], 1.0
	v_rcp_f64_e32 v[20:21], v[18:19]
	v_fma_f64 v[23:24], -v[18:19], v[20:21], 1.0
	v_fma_f64 v[20:21], v[20:21], v[23:24], v[20:21]
	v_fma_f64 v[23:24], -v[18:19], v[20:21], 1.0
	v_fma_f64 v[20:21], v[20:21], v[23:24], v[20:21]
	v_div_scale_f64 v[23:24], vcc, 1.0, v[14:15], 1.0
	v_mul_f64 v[25:26], v[23:24], v[20:21]
	v_fma_f64 v[18:19], -v[18:19], v[25:26], v[23:24]
	s_nop 1
	v_div_fmas_f64 v[18:19], v[18:19], v[20:21], v[25:26]
	v_div_fixup_f64 v[14:15], v[18:19], v[14:15], 1.0
	v_add_f64 v[18:19], v[12:13], v[12:13]
	v_div_scale_f64 v[20:21], s[6:7], v[18:19], v[18:19], 1.0
	s_mov_b32 s6, 0x18618618
	s_mov_b32 s7, 0xbf986186
	v_rcp_f64_e32 v[23:24], v[20:21]
	v_fma_f64 v[25:26], -v[20:21], v[23:24], 1.0
	v_fma_f64 v[23:24], v[23:24], v[25:26], v[23:24]
	v_fma_f64 v[25:26], -v[20:21], v[23:24], 1.0
	v_fma_f64 v[23:24], v[23:24], v[25:26], v[23:24]
	v_div_scale_f64 v[25:26], vcc, 1.0, v[18:19], 1.0
	v_mul_f64 v[27:28], v[25:26], v[23:24]
	v_fma_f64 v[20:21], -v[20:21], v[27:28], v[25:26]
	s_nop 1
	v_div_fmas_f64 v[20:21], v[20:21], v[23:24], v[27:28]
	v_div_fixup_f64 v[18:19], v[20:21], v[18:19], 1.0
	v_mov_b32_e32 v20, 0x11111111
	v_mov_b32_e32 v21, 0x3fa11111
	v_fma_f64 v[20:21], v[14:15], s[6:7], v[20:21]
	s_mov_b32 s6, 0x55555555
	s_mov_b32 s7, 0x3fc55555
	v_add_f64 v[18:19], v[18:19], 1.0
	v_fma_f64 v[20:21], -v[14:15], v[20:21], s[6:7]
	v_fma_f64 v[14:15], v[14:15], v[20:21], v[18:19]
	v_div_scale_f64 v[18:19], s[6:7], v[12:13], v[12:13], v[14:15]
	v_rcp_f64_e32 v[20:21], v[18:19]
	v_fma_f64 v[23:24], -v[18:19], v[20:21], 1.0
	v_fma_f64 v[20:21], v[20:21], v[23:24], v[20:21]
	v_fma_f64 v[23:24], -v[18:19], v[20:21], 1.0
	v_fma_f64 v[20:21], v[20:21], v[23:24], v[20:21]
	v_div_scale_f64 v[23:24], vcc, v[14:15], v[12:13], v[14:15]
	v_mul_f64 v[25:26], v[23:24], v[20:21]
	v_fma_f64 v[18:19], -v[18:19], v[25:26], v[23:24]
	s_nop 1
	v_div_fmas_f64 v[18:19], v[18:19], v[20:21], v[25:26]
	v_div_fixup_f64 v[12:13], v[18:19], v[12:13], v[14:15]
	v_mov_b32_e32 v14, 0
	v_mov_b32_e32 v15, v14
	v_add_f64 v[10:11], v[10:11], v[12:13]
	v_mov_b32_e32 v12, v14
	v_mov_b32_e32 v13, v14
	v_mul_f64 v[2:3], v[2:3], v[10:11]
	v_mov_b32_e32 v10, v14
	v_mov_b32_e32 v11, v14
.LBB40_16:
	s_or_b64 exec, exec, s[8:9]
	v_add_u32_e32 v23, 0x100, v22
	v_cmp_lt_i32_e32 vcc, v23, v4
	s_and_saveexec_b64 s[8:9], vcc
	s_cbranch_execz .LBB40_24
; %bb.17:
	s_waitcnt vmcnt(0) lgkmcnt(0)
	v_cmp_gt_f64_e32 vcc, 0.5, v[16:17]
	v_mov_b32_e32 v18, 0
	v_mov_b32_e32 v14, 0
	;; [unrolled: 1-line block ×4, first 2 shown]
	s_and_saveexec_b64 s[10:11], vcc
	s_cbranch_execz .LBB40_23
; %bb.18:
	s_mov_b32 s7, 0x400921fb
	s_mov_b32 s6, 0x54442d18
	v_mul_f64 v[14:15], v[16:17], s[6:7]
	s_mov_b32 s12, 0
	s_mov_b32 s13, 0x41d00000
                                        ; implicit-def: $vgpr24
                                        ; implicit-def: $vgpr18_vgpr19
                                        ; implicit-def: $vgpr20_vgpr21
	v_cmp_nlt_f64_e64 s[12:13], |v[14:15]|, s[12:13]
	s_and_saveexec_b64 s[14:15], s[12:13]
	s_xor_b64 s[12:13], exec, s[14:15]
	s_cbranch_execz .LBB40_20
; %bb.19:
	v_trig_preop_f64 v[18:19], |v[14:15]|, 0
	s_mov_b32 s14, 0
	s_mov_b32 s15, 0x7b000000
	s_movk_i32 s7, 0xff80
	v_cmp_ge_f64_e64 vcc, |v[14:15]|, s[14:15]
	v_ldexp_f64 v[20:21], |v[14:15]|, s7
	v_trig_preop_f64 v[24:25], |v[14:15]|, 1
	v_and_b32_e32 v26, 0x7fffffff, v15
	v_trig_preop_f64 v[32:33], |v[14:15]|, 2
	s_mov_b32 s14, 0
	s_mov_b32 s15, 0x7ff00000
	s_mov_b32 s7, 0x3ff921fb
	v_cndmask_b32_e32 v21, v26, v21, vcc
	v_cndmask_b32_e32 v20, v14, v20, vcc
	v_mul_f64 v[26:27], v[18:19], v[20:21]
	v_mul_f64 v[28:29], v[24:25], v[20:21]
	;; [unrolled: 1-line block ×3, first 2 shown]
	v_fma_f64 v[18:19], v[18:19], v[20:21], -v[26:27]
	v_fma_f64 v[24:25], v[24:25], v[20:21], -v[28:29]
	;; [unrolled: 1-line block ×3, first 2 shown]
	v_add_f64 v[30:31], v[28:29], v[18:19]
	v_add_f64 v[34:35], v[30:31], -v[28:29]
	v_add_f64 v[48:49], v[26:27], v[30:31]
	v_add_f64 v[36:37], v[30:31], -v[34:35]
	v_add_f64 v[18:19], v[18:19], -v[34:35]
	v_add_f64 v[34:35], v[38:39], v[24:25]
	v_add_f64 v[26:27], v[48:49], -v[26:27]
	v_add_f64 v[28:29], v[28:29], -v[36:37]
	v_ldexp_f64 v[36:37], v[48:49], -2
	v_add_f64 v[52:53], v[34:35], -v[38:39]
	v_add_f64 v[26:27], v[30:31], -v[26:27]
	v_add_f64 v[18:19], v[18:19], v[28:29]
	v_fract_f64_e32 v[28:29], v[36:37]
	v_cmp_neq_f64_e64 vcc, |v[36:37]|, s[14:15]
	v_add_f64 v[24:25], v[24:25], -v[52:53]
	v_add_f64 v[52:53], v[34:35], -v[52:53]
	s_mov_b32 s14, 0x33145c07
	s_mov_b32 s15, 0x3c91a626
	v_add_f64 v[30:31], v[34:35], v[18:19]
	v_ldexp_f64 v[28:29], v[28:29], 2
	v_add_f64 v[36:37], v[26:27], v[30:31]
	v_cndmask_b32_e32 v29, 0, v29, vcc
	v_cndmask_b32_e32 v28, 0, v28, vcc
	v_add_f64 v[50:51], v[30:31], -v[34:35]
	v_add_f64 v[48:49], v[36:37], v[28:29]
	v_add_f64 v[26:27], v[36:37], -v[26:27]
	v_add_f64 v[18:19], v[18:19], -v[50:51]
	;; [unrolled: 1-line block ×3, first 2 shown]
	v_cmp_gt_f64_e32 vcc, 0, v[48:49]
	v_mov_b32_e32 v49, 0x40100000
	v_mov_b32_e32 v48, 0
	v_add_f64 v[26:27], v[30:31], -v[26:27]
	v_add_f64 v[34:35], v[34:35], -v[50:51]
	;; [unrolled: 1-line block ×3, first 2 shown]
	v_cndmask_b32_e32 v49, 0, v49, vcc
	v_add_f64 v[28:29], v[28:29], v[48:49]
	v_add_f64 v[18:19], v[18:19], v[34:35]
	;; [unrolled: 1-line block ×5, first 2 shown]
	v_cvt_i32_f64_e32 v53, v[49:50]
	v_add_f64 v[18:19], v[20:21], v[18:19]
	v_cvt_f64_i32_e32 v[49:50], v53
	v_add_f64 v[28:29], v[28:29], -v[49:50]
	v_add_f64 v[18:19], v[26:27], v[18:19]
	v_mov_b32_e32 v26, 0x3ff00000
	v_add_f64 v[24:25], v[36:37], v[28:29]
	v_add_f64 v[20:21], v[24:25], -v[28:29]
	v_cmp_le_f64_e32 vcc, 0.5, v[24:25]
	v_add_f64 v[20:21], v[36:37], -v[20:21]
	v_cndmask_b32_e32 v49, 0, v26, vcc
	v_add_f64 v[18:19], v[18:19], v[20:21]
	v_add_f64 v[20:21], v[24:25], -v[48:49]
	v_add_f64 v[24:25], v[20:21], v[18:19]
	v_mul_f64 v[26:27], v[24:25], s[6:7]
	v_add_f64 v[20:21], v[24:25], -v[20:21]
	v_fma_f64 v[28:29], v[24:25], s[6:7], -v[26:27]
	v_add_f64 v[18:19], v[18:19], -v[20:21]
	v_fma_f64 v[20:21], v[24:25], s[14:15], v[28:29]
	v_fma_f64 v[20:21], v[18:19], s[6:7], v[20:21]
	v_add_f64 v[18:19], v[26:27], v[20:21]
	v_add_f64 v[24:25], v[18:19], -v[26:27]
	v_add_f64 v[20:21], v[20:21], -v[24:25]
	v_addc_co_u32_e32 v24, vcc, 0, v53, vcc
.LBB40_20:
	s_andn2_saveexec_b64 s[6:7], s[12:13]
	s_cbranch_execz .LBB40_22
; %bb.21:
	s_mov_b32 s12, 0x6dc9c883
	s_mov_b32 s13, 0x3fe45f30
	v_mul_f64 v[18:19], |v[14:15]|, s[12:13]
	s_mov_b32 s12, 0x54442d18
	s_mov_b32 s13, 0xbff921fb
	;; [unrolled: 1-line block ×4, first 2 shown]
	v_rndne_f64_e32 v[24:25], v[18:19]
	v_fma_f64 v[18:19], v[24:25], s[12:13], |v[14:15]|
	v_mul_f64 v[20:21], v[24:25], s[14:15]
	s_mov_b32 s12, 0x252049c0
	s_mov_b32 s13, 0xb97b839a
	v_fma_f64 v[30:31], v[24:25], s[14:15], v[18:19]
	v_add_f64 v[26:27], v[18:19], v[20:21]
	s_mov_b32 s15, 0x3c91a626
	v_add_f64 v[28:29], v[18:19], -v[26:27]
	v_add_f64 v[26:27], v[26:27], -v[30:31]
	v_add_f64 v[18:19], v[28:29], v[20:21]
	v_fma_f64 v[20:21], v[24:25], s[14:15], v[20:21]
	v_add_f64 v[18:19], v[26:27], v[18:19]
	v_add_f64 v[18:19], v[18:19], -v[20:21]
	v_fma_f64 v[20:21], v[24:25], s[12:13], v[18:19]
	v_cvt_i32_f64_e32 v24, v[24:25]
	v_add_f64 v[18:19], v[30:31], v[20:21]
	v_add_f64 v[26:27], v[18:19], -v[30:31]
	v_add_f64 v[20:21], v[20:21], -v[26:27]
.LBB40_22:
	s_or_b64 exec, exec, s[6:7]
	v_mul_f64 v[25:26], v[18:19], v[18:19]
	s_mov_b32 s6, 0xf9a43bb8
	v_mov_b32_e32 v28, 0xb42fdfa7
	v_mov_b32_e32 v29, 0xbe5ae600
	s_mov_b32 s7, 0x3de5e0b2
	s_mov_b32 s12, 0x796cde01
	v_mov_b32_e32 v27, 0x9037ab78
	s_mov_b32 s13, 0x3ec71de3
	v_fma_f64 v[29:30], v[25:26], s[6:7], v[28:29]
	s_mov_b32 s6, 0x46cc5e42
	v_mov_b32_e32 v28, 0x3e21eeb6
	s_mov_b32 s7, 0xbda907db
	v_fma_f64 v[27:28], v[25:26], s[6:7], v[27:28]
	v_mul_f64 v[31:32], v[25:26], 0.5
	s_mov_b32 s6, 0xa17f65f6
	s_mov_b32 s14, 0x19e83e5c
	v_fma_f64 v[29:30], v[25:26], v[29:30], s[12:13]
	s_mov_b32 s7, 0xbe927e4f
	s_mov_b32 s15, 0xbf2a01a0
	;; [unrolled: 1-line block ×3, first 2 shown]
	v_fma_f64 v[27:28], v[25:26], v[27:28], s[6:7]
	v_add_f64 v[33:34], -v[31:32], 1.0
	s_mov_b32 s6, 0x11110bb3
	s_mov_b32 s13, 0x3efa01a0
	v_fma_f64 v[29:30], v[25:26], v[29:30], s[14:15]
	s_mov_b32 s7, 0x3f811111
	v_mul_f64 v[35:36], v[20:21], 0.5
	v_mul_f64 v[37:38], v[18:19], -v[25:26]
	v_fma_f64 v[27:28], v[25:26], v[27:28], s[12:13]
	v_add_f64 v[48:49], -v[33:34], 1.0
	v_add_f64 v[16:17], -v[16:17], 1.0
	v_fma_f64 v[29:30], v[25:26], v[29:30], s[6:7]
	s_mov_b32 s6, 0x16c16967
	s_mov_b32 s7, 0xbf56c16c
	v_fma_f64 v[27:28], v[25:26], v[27:28], s[6:7]
	v_add_f64 v[31:32], v[48:49], -v[31:32]
	s_mov_b32 s7, 0x3fa55555
	s_mov_b32 s6, 0x55555555
	v_fma_f64 v[29:30], v[37:38], v[29:30], v[35:36]
	v_mul_f64 v[35:36], v[25:26], v[25:26]
	v_fma_f64 v[27:28], v[25:26], v[27:28], s[6:7]
	v_fma_f64 v[31:32], v[18:19], -v[20:21], v[31:32]
	s_mov_b32 s7, 0xbfc55555
	v_fma_f64 v[20:21], v[25:26], v[29:30], -v[20:21]
	v_fma_f64 v[25:26], v[35:36], v[27:28], v[31:32]
	v_fma_f64 v[20:21], v[37:38], s[6:7], v[20:21]
	s_movk_i32 s6, 0x1f8
	v_cmp_class_f64_e64 s[6:7], v[14:15], s6
	v_lshlrev_b32_e32 v14, 30, v24
	v_xor_b32_e32 v14, v14, v15
	v_add_f64 v[25:26], v[33:34], v[25:26]
	v_and_b32_e32 v14, 0x80000000, v14
	v_add_f64 v[18:19], v[18:19], -v[20:21]
	v_and_b32_e32 v20, 1, v24
	v_cmp_eq_u32_e32 vcc, 0, v20
	v_mov_b32_e32 v20, 0x7ff80000
	v_cndmask_b32_e32 v15, v26, v19, vcc
	v_cndmask_b32_e32 v18, v25, v18, vcc
	v_xor_b32_e32 v15, v15, v14
	v_cndmask_b32_e64 v14, 0, v18, s[6:7]
	v_cndmask_b32_e64 v15, v20, v15, s[6:7]
	v_mul_f64 v[14:15], v[14:15], v[14:15]
	s_mov_b32 s6, 0xc9be45de
	s_mov_b32 s7, 0xc023bd3c
	v_div_scale_f64 v[18:19], s[12:13], v[14:15], v[14:15], s[6:7]
	v_rcp_f64_e32 v[20:21], v[18:19]
	v_fma_f64 v[24:25], -v[18:19], v[20:21], 1.0
	v_fma_f64 v[20:21], v[20:21], v[24:25], v[20:21]
	v_div_scale_f64 v[24:25], vcc, s[6:7], v[14:15], s[6:7]
	v_fma_f64 v[26:27], -v[18:19], v[20:21], 1.0
	v_fma_f64 v[20:21], v[20:21], v[26:27], v[20:21]
	v_mul_f64 v[26:27], v[24:25], v[20:21]
	v_fma_f64 v[18:19], -v[18:19], v[26:27], v[24:25]
	v_div_fmas_f64 v[18:19], v[18:19], v[20:21], v[26:27]
	v_div_fixup_f64 v[14:15], v[18:19], v[14:15], s[6:7]
	v_add_f64 v[18:19], v[14:15], 0
	v_mov_b32_e32 v14, 0
	v_mov_b32_e32 v15, 0xbff00000
.LBB40_23:
	s_or_b64 exec, exec, s[10:11]
	v_mul_f64 v[20:21], v[16:17], v[16:17]
	v_add_f64 v[16:17], v[16:17], 1.0
	v_div_scale_f64 v[24:25], s[6:7], v[20:21], v[20:21], 1.0
	v_rcp_f64_e32 v[26:27], v[24:25]
	v_fma_f64 v[28:29], -v[24:25], v[26:27], 1.0
	v_fma_f64 v[26:27], v[26:27], v[28:29], v[26:27]
	v_fma_f64 v[28:29], -v[24:25], v[26:27], 1.0
	v_fma_f64 v[26:27], v[26:27], v[28:29], v[26:27]
	v_div_scale_f64 v[28:29], vcc, 1.0, v[20:21], 1.0
	v_mul_f64 v[30:31], v[28:29], v[26:27]
	v_fma_f64 v[24:25], -v[24:25], v[30:31], v[28:29]
	s_nop 1
	v_div_fmas_f64 v[24:25], v[24:25], v[26:27], v[30:31]
	v_div_fixup_f64 v[20:21], v[24:25], v[20:21], 1.0
	v_add_f64 v[18:19], v[18:19], v[20:21]
	v_mul_f64 v[20:21], v[16:17], v[16:17]
	v_add_f64 v[16:17], v[16:17], 1.0
	v_div_scale_f64 v[24:25], s[6:7], v[20:21], v[20:21], 1.0
	v_rcp_f64_e32 v[26:27], v[24:25]
	v_fma_f64 v[28:29], -v[24:25], v[26:27], 1.0
	v_fma_f64 v[26:27], v[26:27], v[28:29], v[26:27]
	v_fma_f64 v[28:29], -v[24:25], v[26:27], 1.0
	v_fma_f64 v[26:27], v[26:27], v[28:29], v[26:27]
	v_div_scale_f64 v[28:29], vcc, 1.0, v[20:21], 1.0
	v_mul_f64 v[30:31], v[28:29], v[26:27]
	v_fma_f64 v[24:25], -v[24:25], v[30:31], v[28:29]
	s_nop 1
	v_div_fmas_f64 v[24:25], v[24:25], v[26:27], v[30:31]
	v_div_fixup_f64 v[20:21], v[24:25], v[20:21], 1.0
	v_add_f64 v[18:19], v[18:19], v[20:21]
	;; [unrolled: 15-line block ×6, first 2 shown]
	v_mul_f64 v[20:21], v[16:17], v[16:17]
	v_div_scale_f64 v[24:25], s[6:7], v[20:21], v[20:21], 1.0
	v_rcp_f64_e32 v[26:27], v[24:25]
	v_fma_f64 v[28:29], -v[24:25], v[26:27], 1.0
	v_fma_f64 v[26:27], v[26:27], v[28:29], v[26:27]
	v_fma_f64 v[28:29], -v[24:25], v[26:27], 1.0
	v_fma_f64 v[26:27], v[26:27], v[28:29], v[26:27]
	v_div_scale_f64 v[28:29], vcc, 1.0, v[20:21], 1.0
	v_mul_f64 v[30:31], v[28:29], v[26:27]
	v_fma_f64 v[24:25], -v[24:25], v[30:31], v[28:29]
	s_nop 1
	v_div_fmas_f64 v[24:25], v[24:25], v[26:27], v[30:31]
	v_div_fixup_f64 v[20:21], v[24:25], v[20:21], 1.0
	v_add_f64 v[24:25], v[16:17], v[16:17]
	v_div_scale_f64 v[26:27], s[6:7], v[24:25], v[24:25], 1.0
	s_mov_b32 s6, 0x18618618
	s_mov_b32 s7, 0xbf986186
	v_rcp_f64_e32 v[28:29], v[26:27]
	v_fma_f64 v[30:31], -v[26:27], v[28:29], 1.0
	v_fma_f64 v[28:29], v[28:29], v[30:31], v[28:29]
	v_fma_f64 v[30:31], -v[26:27], v[28:29], 1.0
	v_fma_f64 v[28:29], v[28:29], v[30:31], v[28:29]
	v_div_scale_f64 v[30:31], vcc, 1.0, v[24:25], 1.0
	v_mul_f64 v[32:33], v[30:31], v[28:29]
	v_fma_f64 v[26:27], -v[26:27], v[32:33], v[30:31]
	s_nop 1
	v_div_fmas_f64 v[26:27], v[26:27], v[28:29], v[32:33]
	v_div_fixup_f64 v[24:25], v[26:27], v[24:25], 1.0
	v_mov_b32_e32 v26, 0x11111111
	v_mov_b32_e32 v27, 0x3fa11111
	v_fma_f64 v[26:27], v[20:21], s[6:7], v[26:27]
	s_mov_b32 s6, 0x55555555
	s_mov_b32 s7, 0x3fc55555
	v_add_f64 v[24:25], v[24:25], 1.0
	v_fma_f64 v[26:27], -v[20:21], v[26:27], s[6:7]
	v_fma_f64 v[20:21], v[20:21], v[26:27], v[24:25]
	v_div_scale_f64 v[24:25], s[6:7], v[16:17], v[16:17], v[20:21]
	v_rcp_f64_e32 v[26:27], v[24:25]
	v_fma_f64 v[28:29], -v[24:25], v[26:27], 1.0
	v_fma_f64 v[26:27], v[26:27], v[28:29], v[26:27]
	v_fma_f64 v[28:29], -v[24:25], v[26:27], 1.0
	v_fma_f64 v[26:27], v[26:27], v[28:29], v[26:27]
	v_div_scale_f64 v[28:29], vcc, v[20:21], v[16:17], v[20:21]
	v_mul_f64 v[30:31], v[28:29], v[26:27]
	v_fma_f64 v[24:25], -v[24:25], v[30:31], v[28:29]
	s_nop 1
	v_div_fmas_f64 v[24:25], v[24:25], v[26:27], v[30:31]
	v_div_fixup_f64 v[16:17], v[24:25], v[16:17], v[20:21]
	v_add_f64 v[16:17], v[18:19], v[16:17]
	v_mul_f64 v[14:15], v[14:15], v[16:17]
.LBB40_24:
	s_or_b64 exec, exec, s[8:9]
	s_waitcnt vmcnt(0) lgkmcnt(0)
	v_add_u32_e32 v16, 0x200, v22
	v_cmp_lt_i32_e32 vcc, v16, v4
	s_and_saveexec_b64 s[8:9], vcc
	s_cbranch_execz .LBB40_32
; %bb.25:
	v_cmp_gt_f64_e32 vcc, 0.5, v[8:9]
	v_mov_b32_e32 v16, 0
	v_mov_b32_e32 v12, 0
	;; [unrolled: 1-line block ×4, first 2 shown]
	s_and_saveexec_b64 s[10:11], vcc
	s_cbranch_execz .LBB40_31
; %bb.26:
	s_mov_b32 s13, 0x400921fb
	s_mov_b32 s12, 0x54442d18
	v_mul_f64 v[12:13], v[8:9], s[12:13]
	s_mov_b32 s6, 0
	s_mov_b32 s7, 0x41d00000
                                        ; implicit-def: $vgpr20
                                        ; implicit-def: $vgpr16_vgpr17
                                        ; implicit-def: $vgpr18_vgpr19
	v_cmp_nlt_f64_e64 s[6:7], |v[12:13]|, s[6:7]
	s_and_saveexec_b64 s[14:15], s[6:7]
	s_xor_b64 s[14:15], exec, s[14:15]
	s_cbranch_execz .LBB40_28
; %bb.27:
	v_trig_preop_f64 v[16:17], |v[12:13]|, 0
	s_mov_b32 s6, 0
	s_mov_b32 s7, 0x7b000000
	v_cmp_ge_f64_e64 vcc, |v[12:13]|, s[6:7]
	s_movk_i32 s6, 0xff80
	v_ldexp_f64 v[20:21], |v[12:13]|, s6
	v_trig_preop_f64 v[18:19], |v[12:13]|, 1
	v_and_b32_e32 v24, 0x7fffffff, v13
	s_mov_b32 s6, 0
	s_mov_b32 s7, 0x7ff00000
	;; [unrolled: 1-line block ×3, first 2 shown]
	v_cndmask_b32_e32 v21, v24, v21, vcc
	v_cndmask_b32_e32 v20, v12, v20, vcc
	v_mul_f64 v[26:27], v[16:17], v[20:21]
	v_mul_f64 v[24:25], v[18:19], v[20:21]
	v_fma_f64 v[16:17], v[16:17], v[20:21], -v[26:27]
	v_fma_f64 v[18:19], v[18:19], v[20:21], -v[24:25]
	v_add_f64 v[28:29], v[24:25], v[16:17]
	v_add_f64 v[36:37], v[28:29], -v[24:25]
	v_add_f64 v[30:31], v[26:27], v[28:29]
	v_add_f64 v[16:17], v[16:17], -v[36:37]
	v_add_f64 v[36:37], v[28:29], -v[36:37]
	v_ldexp_f64 v[32:33], v[30:31], -2
	v_add_f64 v[26:27], v[30:31], -v[26:27]
	v_add_f64 v[36:37], v[24:25], -v[36:37]
	v_trig_preop_f64 v[24:25], |v[12:13]|, 2
	v_fract_f64_e32 v[34:35], v[32:33]
	v_add_f64 v[26:27], v[28:29], -v[26:27]
	v_cmp_neq_f64_e64 vcc, |v[32:33]|, s[6:7]
	v_add_f64 v[16:17], v[16:17], v[36:37]
	v_mul_f64 v[36:37], v[24:25], v[20:21]
	v_add_f64 v[38:39], v[36:37], v[18:19]
	v_add_f64 v[48:49], v[38:39], v[16:17]
	v_add_f64 v[30:31], v[48:49], -v[38:39]
	v_add_f64 v[28:29], v[26:27], v[48:49]
	v_add_f64 v[16:17], v[16:17], -v[30:31]
	v_add_f64 v[30:31], v[48:49], -v[30:31]
	;; [unrolled: 1-line block ×5, first 2 shown]
	v_add_f64 v[16:17], v[16:17], v[30:31]
	v_add_f64 v[30:31], v[38:39], -v[36:37]
	v_add_f64 v[18:19], v[18:19], -v[30:31]
	;; [unrolled: 1-line block ×4, first 2 shown]
	v_add_f64 v[18:19], v[18:19], v[30:31]
	v_add_f64 v[16:17], v[18:19], v[16:17]
	v_fma_f64 v[18:19], v[24:25], v[20:21], -v[36:37]
	v_mov_b32_e32 v24, 0
	v_add_f64 v[16:17], v[18:19], v[16:17]
	v_ldexp_f64 v[18:19], v[34:35], 2
	v_add_f64 v[16:17], v[26:27], v[16:17]
	v_cndmask_b32_e32 v19, 0, v19, vcc
	v_cndmask_b32_e32 v18, 0, v18, vcc
	v_add_f64 v[20:21], v[28:29], v[18:19]
	v_cmp_gt_f64_e32 vcc, 0, v[20:21]
	v_mov_b32_e32 v20, 0x40100000
	v_cndmask_b32_e32 v25, 0, v20, vcc
	v_add_f64 v[18:19], v[18:19], v[24:25]
	v_add_f64 v[20:21], v[28:29], v[18:19]
	v_cvt_i32_f64_e32 v25, v[20:21]
	v_cvt_f64_i32_e32 v[20:21], v25
	v_add_f64 v[18:19], v[18:19], -v[20:21]
	v_add_f64 v[26:27], v[28:29], v[18:19]
	v_add_f64 v[18:19], v[26:27], -v[18:19]
	v_cmp_le_f64_e32 vcc, 0.5, v[26:27]
	v_add_f64 v[18:19], v[28:29], -v[18:19]
	v_addc_co_u32_e64 v20, s[6:7], 0, v25, vcc
	s_mov_b32 s6, 0x33145c07
	s_mov_b32 s7, 0x3c91a626
	v_add_f64 v[16:17], v[16:17], v[18:19]
	v_mov_b32_e32 v18, 0x3ff00000
	v_cndmask_b32_e32 v25, 0, v18, vcc
	v_add_f64 v[18:19], v[26:27], -v[24:25]
	v_add_f64 v[24:25], v[18:19], v[16:17]
	v_add_f64 v[18:19], v[24:25], -v[18:19]
	v_add_f64 v[16:17], v[16:17], -v[18:19]
	v_mul_f64 v[18:19], v[24:25], s[12:13]
	v_fma_f64 v[26:27], v[24:25], s[12:13], -v[18:19]
	v_fma_f64 v[24:25], v[24:25], s[6:7], v[26:27]
	v_fma_f64 v[24:25], v[16:17], s[12:13], v[24:25]
	v_add_f64 v[16:17], v[18:19], v[24:25]
	v_add_f64 v[18:19], v[16:17], -v[18:19]
	v_add_f64 v[18:19], v[24:25], -v[18:19]
.LBB40_28:
	s_andn2_saveexec_b64 s[6:7], s[14:15]
	s_cbranch_execz .LBB40_30
; %bb.29:
	s_mov_b32 s12, 0x6dc9c883
	s_mov_b32 s13, 0x3fe45f30
	v_mul_f64 v[16:17], |v[12:13]|, s[12:13]
	s_mov_b32 s12, 0x54442d18
	s_mov_b32 s13, 0xbff921fb
	;; [unrolled: 1-line block ×4, first 2 shown]
	v_rndne_f64_e32 v[20:21], v[16:17]
	v_fma_f64 v[16:17], v[20:21], s[12:13], |v[12:13]|
	v_mul_f64 v[18:19], v[20:21], s[14:15]
	s_mov_b32 s12, 0x252049c0
	s_mov_b32 s13, 0xb97b839a
	v_fma_f64 v[28:29], v[20:21], s[14:15], v[16:17]
	v_add_f64 v[24:25], v[16:17], v[18:19]
	s_mov_b32 s15, 0x3c91a626
	v_add_f64 v[26:27], v[16:17], -v[24:25]
	v_add_f64 v[24:25], v[24:25], -v[28:29]
	v_add_f64 v[16:17], v[26:27], v[18:19]
	v_fma_f64 v[18:19], v[20:21], s[14:15], v[18:19]
	v_add_f64 v[16:17], v[24:25], v[16:17]
	v_add_f64 v[16:17], v[16:17], -v[18:19]
	v_fma_f64 v[18:19], v[20:21], s[12:13], v[16:17]
	v_cvt_i32_f64_e32 v20, v[20:21]
	v_add_f64 v[16:17], v[28:29], v[18:19]
	v_add_f64 v[24:25], v[16:17], -v[28:29]
	v_add_f64 v[18:19], v[18:19], -v[24:25]
.LBB40_30:
	s_or_b64 exec, exec, s[6:7]
	v_mul_f64 v[24:25], v[16:17], v[16:17]
	s_mov_b32 s6, 0xf9a43bb8
	v_mov_b32_e32 v27, 0xb42fdfa7
	v_mov_b32_e32 v28, 0xbe5ae600
	s_mov_b32 s7, 0x3de5e0b2
	s_mov_b32 s12, 0x796cde01
	v_mov_b32_e32 v26, 0x9037ab78
	s_mov_b32 s13, 0x3ec71de3
	v_fma_f64 v[28:29], v[24:25], s[6:7], v[27:28]
	s_mov_b32 s6, 0x46cc5e42
	v_mov_b32_e32 v27, 0x3e21eeb6
	s_mov_b32 s7, 0xbda907db
	v_fma_f64 v[26:27], v[24:25], s[6:7], v[26:27]
	v_mul_f64 v[30:31], v[24:25], 0.5
	s_mov_b32 s6, 0xa17f65f6
	s_mov_b32 s14, 0x19e83e5c
	v_fma_f64 v[28:29], v[24:25], v[28:29], s[12:13]
	s_mov_b32 s7, 0xbe927e4f
	s_mov_b32 s15, 0xbf2a01a0
	;; [unrolled: 1-line block ×3, first 2 shown]
	v_fma_f64 v[26:27], v[24:25], v[26:27], s[6:7]
	v_add_f64 v[32:33], -v[30:31], 1.0
	s_mov_b32 s6, 0x11110bb3
	s_mov_b32 s13, 0x3efa01a0
	v_fma_f64 v[28:29], v[24:25], v[28:29], s[14:15]
	s_mov_b32 s7, 0x3f811111
	v_mul_f64 v[34:35], v[18:19], 0.5
	v_mul_f64 v[36:37], v[16:17], -v[24:25]
	v_fma_f64 v[26:27], v[24:25], v[26:27], s[12:13]
	v_add_f64 v[38:39], -v[32:33], 1.0
	v_add_f64 v[8:9], -v[8:9], 1.0
	v_fma_f64 v[28:29], v[24:25], v[28:29], s[6:7]
	s_mov_b32 s6, 0x16c16967
	s_mov_b32 s7, 0xbf56c16c
	v_fma_f64 v[26:27], v[24:25], v[26:27], s[6:7]
	v_add_f64 v[30:31], v[38:39], -v[30:31]
	s_mov_b32 s7, 0x3fa55555
	s_mov_b32 s6, 0x55555555
	v_fma_f64 v[28:29], v[36:37], v[28:29], v[34:35]
	v_mul_f64 v[34:35], v[24:25], v[24:25]
	v_fma_f64 v[26:27], v[24:25], v[26:27], s[6:7]
	v_fma_f64 v[30:31], v[16:17], -v[18:19], v[30:31]
	s_mov_b32 s7, 0xbfc55555
	v_fma_f64 v[18:19], v[24:25], v[28:29], -v[18:19]
	v_fma_f64 v[24:25], v[34:35], v[26:27], v[30:31]
	v_fma_f64 v[18:19], v[36:37], s[6:7], v[18:19]
	s_movk_i32 s6, 0x1f8
	v_cmp_class_f64_e64 s[6:7], v[12:13], s6
	v_lshlrev_b32_e32 v12, 30, v20
	v_xor_b32_e32 v12, v12, v13
	v_add_f64 v[24:25], v[32:33], v[24:25]
	v_and_b32_e32 v12, 0x80000000, v12
	v_add_f64 v[16:17], v[16:17], -v[18:19]
	v_and_b32_e32 v18, 1, v20
	v_cmp_eq_u32_e32 vcc, 0, v18
	v_mov_b32_e32 v18, 0x7ff80000
	v_cndmask_b32_e32 v13, v25, v17, vcc
	v_cndmask_b32_e32 v16, v24, v16, vcc
	v_xor_b32_e32 v13, v13, v12
	v_cndmask_b32_e64 v12, 0, v16, s[6:7]
	v_cndmask_b32_e64 v13, v18, v13, s[6:7]
	v_mul_f64 v[12:13], v[12:13], v[12:13]
	s_mov_b32 s6, 0xc9be45de
	s_mov_b32 s7, 0xc023bd3c
	v_div_scale_f64 v[16:17], s[12:13], v[12:13], v[12:13], s[6:7]
	v_rcp_f64_e32 v[18:19], v[16:17]
	v_fma_f64 v[20:21], -v[16:17], v[18:19], 1.0
	v_fma_f64 v[18:19], v[18:19], v[20:21], v[18:19]
	v_div_scale_f64 v[20:21], vcc, s[6:7], v[12:13], s[6:7]
	v_fma_f64 v[24:25], -v[16:17], v[18:19], 1.0
	v_fma_f64 v[18:19], v[18:19], v[24:25], v[18:19]
	v_mul_f64 v[24:25], v[20:21], v[18:19]
	v_fma_f64 v[16:17], -v[16:17], v[24:25], v[20:21]
	v_div_fmas_f64 v[16:17], v[16:17], v[18:19], v[24:25]
	v_div_fixup_f64 v[12:13], v[16:17], v[12:13], s[6:7]
	v_add_f64 v[16:17], v[12:13], 0
	v_mov_b32_e32 v12, 0
	v_mov_b32_e32 v13, 0xbff00000
.LBB40_31:
	s_or_b64 exec, exec, s[10:11]
	v_mul_f64 v[18:19], v[8:9], v[8:9]
	v_add_f64 v[8:9], v[8:9], 1.0
	v_div_scale_f64 v[20:21], s[6:7], v[18:19], v[18:19], 1.0
	v_rcp_f64_e32 v[24:25], v[20:21]
	v_fma_f64 v[26:27], -v[20:21], v[24:25], 1.0
	v_fma_f64 v[24:25], v[24:25], v[26:27], v[24:25]
	v_fma_f64 v[26:27], -v[20:21], v[24:25], 1.0
	v_fma_f64 v[24:25], v[24:25], v[26:27], v[24:25]
	v_div_scale_f64 v[26:27], vcc, 1.0, v[18:19], 1.0
	v_mul_f64 v[28:29], v[26:27], v[24:25]
	v_fma_f64 v[20:21], -v[20:21], v[28:29], v[26:27]
	s_nop 1
	v_div_fmas_f64 v[20:21], v[20:21], v[24:25], v[28:29]
	v_div_fixup_f64 v[18:19], v[20:21], v[18:19], 1.0
	v_add_f64 v[16:17], v[16:17], v[18:19]
	v_mul_f64 v[18:19], v[8:9], v[8:9]
	v_add_f64 v[8:9], v[8:9], 1.0
	v_div_scale_f64 v[20:21], s[6:7], v[18:19], v[18:19], 1.0
	v_rcp_f64_e32 v[24:25], v[20:21]
	v_fma_f64 v[26:27], -v[20:21], v[24:25], 1.0
	v_fma_f64 v[24:25], v[24:25], v[26:27], v[24:25]
	v_fma_f64 v[26:27], -v[20:21], v[24:25], 1.0
	v_fma_f64 v[24:25], v[24:25], v[26:27], v[24:25]
	v_div_scale_f64 v[26:27], vcc, 1.0, v[18:19], 1.0
	v_mul_f64 v[28:29], v[26:27], v[24:25]
	v_fma_f64 v[20:21], -v[20:21], v[28:29], v[26:27]
	s_nop 1
	v_div_fmas_f64 v[20:21], v[20:21], v[24:25], v[28:29]
	v_div_fixup_f64 v[18:19], v[20:21], v[18:19], 1.0
	v_add_f64 v[16:17], v[16:17], v[18:19]
	;; [unrolled: 15-line block ×6, first 2 shown]
	v_mul_f64 v[18:19], v[8:9], v[8:9]
	v_div_scale_f64 v[20:21], s[6:7], v[18:19], v[18:19], 1.0
	v_rcp_f64_e32 v[24:25], v[20:21]
	v_fma_f64 v[26:27], -v[20:21], v[24:25], 1.0
	v_fma_f64 v[24:25], v[24:25], v[26:27], v[24:25]
	v_fma_f64 v[26:27], -v[20:21], v[24:25], 1.0
	v_fma_f64 v[24:25], v[24:25], v[26:27], v[24:25]
	v_div_scale_f64 v[26:27], vcc, 1.0, v[18:19], 1.0
	v_mul_f64 v[28:29], v[26:27], v[24:25]
	v_fma_f64 v[20:21], -v[20:21], v[28:29], v[26:27]
	s_nop 1
	v_div_fmas_f64 v[20:21], v[20:21], v[24:25], v[28:29]
	v_div_fixup_f64 v[18:19], v[20:21], v[18:19], 1.0
	v_add_f64 v[20:21], v[8:9], v[8:9]
	v_div_scale_f64 v[24:25], s[6:7], v[20:21], v[20:21], 1.0
	s_mov_b32 s6, 0x18618618
	s_mov_b32 s7, 0xbf986186
	v_rcp_f64_e32 v[26:27], v[24:25]
	v_fma_f64 v[28:29], -v[24:25], v[26:27], 1.0
	v_fma_f64 v[26:27], v[26:27], v[28:29], v[26:27]
	v_fma_f64 v[28:29], -v[24:25], v[26:27], 1.0
	v_fma_f64 v[26:27], v[26:27], v[28:29], v[26:27]
	v_div_scale_f64 v[28:29], vcc, 1.0, v[20:21], 1.0
	v_mul_f64 v[30:31], v[28:29], v[26:27]
	v_fma_f64 v[24:25], -v[24:25], v[30:31], v[28:29]
	s_nop 1
	v_div_fmas_f64 v[24:25], v[24:25], v[26:27], v[30:31]
	v_div_fixup_f64 v[20:21], v[24:25], v[20:21], 1.0
	v_mov_b32_e32 v24, 0x11111111
	v_mov_b32_e32 v25, 0x3fa11111
	v_fma_f64 v[24:25], v[18:19], s[6:7], v[24:25]
	s_mov_b32 s6, 0x55555555
	s_mov_b32 s7, 0x3fc55555
	v_add_f64 v[20:21], v[20:21], 1.0
	v_fma_f64 v[24:25], -v[18:19], v[24:25], s[6:7]
	v_fma_f64 v[18:19], v[18:19], v[24:25], v[20:21]
	v_div_scale_f64 v[20:21], s[6:7], v[8:9], v[8:9], v[18:19]
	v_rcp_f64_e32 v[24:25], v[20:21]
	v_fma_f64 v[26:27], -v[20:21], v[24:25], 1.0
	v_fma_f64 v[24:25], v[24:25], v[26:27], v[24:25]
	v_fma_f64 v[26:27], -v[20:21], v[24:25], 1.0
	v_fma_f64 v[24:25], v[24:25], v[26:27], v[24:25]
	v_div_scale_f64 v[26:27], vcc, v[18:19], v[8:9], v[18:19]
	v_mul_f64 v[28:29], v[26:27], v[24:25]
	v_fma_f64 v[20:21], -v[20:21], v[28:29], v[26:27]
	s_nop 1
	v_div_fmas_f64 v[20:21], v[20:21], v[24:25], v[28:29]
	v_div_fixup_f64 v[8:9], v[20:21], v[8:9], v[18:19]
	v_add_f64 v[8:9], v[16:17], v[8:9]
	v_mul_f64 v[12:13], v[12:13], v[8:9]
.LBB40_32:
	s_or_b64 exec, exec, s[8:9]
	v_add_u32_e32 v8, 0x300, v22
	v_cmp_lt_i32_e32 vcc, v8, v4
	s_and_saveexec_b64 s[8:9], vcc
	s_cbranch_execnz .LBB40_38
; %bb.33:
	s_or_b64 exec, exec, s[8:9]
	s_and_saveexec_b64 s[6:7], s[4:5]
	s_xor_b64 s[4:5], exec, s[6:7]
	s_cbranch_execnz .LBB40_45
.LBB40_34:
	s_or_b64 exec, exec, s[4:5]
	v_cmp_lt_i32_e32 vcc, v22, v4
	s_and_saveexec_b64 s[4:5], vcc
	s_cbranch_execnz .LBB40_46
.LBB40_35:
	s_or_b64 exec, exec, s[4:5]
	v_cmp_lt_i32_e32 vcc, v22, v4
	s_and_saveexec_b64 s[4:5], vcc
	s_cbranch_execnz .LBB40_47
.LBB40_36:
	s_or_b64 exec, exec, s[4:5]
	v_cmp_lt_i32_e32 vcc, v22, v4
	s_and_saveexec_b64 s[4:5], vcc
	s_cbranch_execnz .LBB40_48
.LBB40_37:
	s_or_b64 exec, exec, s[4:5]
	s_waitcnt vmcnt(0) lgkmcnt(0)
	s_setpc_b64 s[30:31]
.LBB40_38:
	v_cmp_gt_f64_e32 vcc, 0.5, v[6:7]
	v_mov_b32_e32 v10, 0
	v_mov_b32_e32 v8, 0
	;; [unrolled: 1-line block ×4, first 2 shown]
	s_and_saveexec_b64 s[10:11], vcc
	s_cbranch_execz .LBB40_44
; %bb.39:
	s_mov_b32 s13, 0x400921fb
	s_mov_b32 s12, 0x54442d18
	v_mul_f64 v[8:9], v[6:7], s[12:13]
	s_mov_b32 s6, 0
	s_mov_b32 s7, 0x41d00000
                                        ; implicit-def: $vgpr18
                                        ; implicit-def: $vgpr10_vgpr11
                                        ; implicit-def: $vgpr16_vgpr17
	v_cmp_nlt_f64_e64 s[6:7], |v[8:9]|, s[6:7]
	s_and_saveexec_b64 s[14:15], s[6:7]
	s_xor_b64 s[14:15], exec, s[14:15]
	s_cbranch_execz .LBB40_41
; %bb.40:
	v_trig_preop_f64 v[10:11], |v[8:9]|, 0
	s_mov_b32 s6, 0
	s_mov_b32 s7, 0x7b000000
	v_cmp_ge_f64_e64 vcc, |v[8:9]|, s[6:7]
	s_movk_i32 s6, 0xff80
	v_ldexp_f64 v[18:19], |v[8:9]|, s6
	v_trig_preop_f64 v[16:17], |v[8:9]|, 1
	v_and_b32_e32 v20, 0x7fffffff, v9
	s_mov_b32 s6, 0
	s_mov_b32 s7, 0x7ff00000
	;; [unrolled: 1-line block ×3, first 2 shown]
	v_cndmask_b32_e32 v19, v20, v19, vcc
	v_cndmask_b32_e32 v18, v8, v18, vcc
	v_mul_f64 v[24:25], v[10:11], v[18:19]
	v_mul_f64 v[20:21], v[16:17], v[18:19]
	v_fma_f64 v[10:11], v[10:11], v[18:19], -v[24:25]
	v_fma_f64 v[16:17], v[16:17], v[18:19], -v[20:21]
	v_add_f64 v[26:27], v[20:21], v[10:11]
	v_add_f64 v[34:35], v[26:27], -v[20:21]
	v_add_f64 v[28:29], v[24:25], v[26:27]
	v_add_f64 v[10:11], v[10:11], -v[34:35]
	v_add_f64 v[34:35], v[26:27], -v[34:35]
	v_ldexp_f64 v[30:31], v[28:29], -2
	v_add_f64 v[24:25], v[28:29], -v[24:25]
	v_add_f64 v[34:35], v[20:21], -v[34:35]
	v_trig_preop_f64 v[20:21], |v[8:9]|, 2
	v_fract_f64_e32 v[32:33], v[30:31]
	v_add_f64 v[24:25], v[26:27], -v[24:25]
	v_cmp_neq_f64_e64 vcc, |v[30:31]|, s[6:7]
	v_add_f64 v[10:11], v[10:11], v[34:35]
	v_mul_f64 v[34:35], v[20:21], v[18:19]
	v_add_f64 v[36:37], v[34:35], v[16:17]
	v_add_f64 v[38:39], v[36:37], v[10:11]
	v_add_f64 v[28:29], v[38:39], -v[36:37]
	v_add_f64 v[26:27], v[24:25], v[38:39]
	v_add_f64 v[10:11], v[10:11], -v[28:29]
	v_add_f64 v[28:29], v[38:39], -v[28:29]
	;; [unrolled: 1-line block ×5, first 2 shown]
	v_add_f64 v[10:11], v[10:11], v[28:29]
	v_add_f64 v[28:29], v[36:37], -v[34:35]
	v_add_f64 v[16:17], v[16:17], -v[28:29]
	;; [unrolled: 1-line block ×4, first 2 shown]
	v_add_f64 v[16:17], v[16:17], v[28:29]
	v_add_f64 v[10:11], v[16:17], v[10:11]
	v_fma_f64 v[16:17], v[20:21], v[18:19], -v[34:35]
	v_add_f64 v[10:11], v[16:17], v[10:11]
	v_ldexp_f64 v[16:17], v[32:33], 2
	v_add_f64 v[10:11], v[24:25], v[10:11]
	v_cndmask_b32_e32 v17, 0, v17, vcc
	v_cndmask_b32_e32 v16, 0, v16, vcc
	v_add_f64 v[18:19], v[26:27], v[16:17]
	v_cmp_gt_f64_e32 vcc, 0, v[18:19]
	v_mov_b32_e32 v18, 0x40100000
	v_mov_b32_e32 v19, 0
	v_cndmask_b32_e32 v20, 0, v18, vcc
	v_add_f64 v[16:17], v[16:17], v[19:20]
	v_add_f64 v[20:21], v[26:27], v[16:17]
	v_cvt_i32_f64_e32 v18, v[20:21]
	v_cvt_f64_i32_e32 v[20:21], v18
	v_add_f64 v[16:17], v[16:17], -v[20:21]
	v_add_f64 v[24:25], v[26:27], v[16:17]
	v_add_f64 v[16:17], v[24:25], -v[16:17]
	v_cmp_le_f64_e32 vcc, 0.5, v[24:25]
	v_add_f64 v[16:17], v[26:27], -v[16:17]
	v_addc_co_u32_e64 v18, s[6:7], 0, v18, vcc
	s_mov_b32 s6, 0x33145c07
	s_mov_b32 s7, 0x3c91a626
	v_add_f64 v[10:11], v[10:11], v[16:17]
	v_mov_b32_e32 v16, 0x3ff00000
	v_cndmask_b32_e32 v20, 0, v16, vcc
	v_add_f64 v[16:17], v[24:25], -v[19:20]
	v_add_f64 v[19:20], v[16:17], v[10:11]
	v_add_f64 v[16:17], v[19:20], -v[16:17]
	v_add_f64 v[10:11], v[10:11], -v[16:17]
	v_mul_f64 v[16:17], v[19:20], s[12:13]
	v_fma_f64 v[24:25], v[19:20], s[12:13], -v[16:17]
	v_fma_f64 v[19:20], v[19:20], s[6:7], v[24:25]
	v_fma_f64 v[19:20], v[10:11], s[12:13], v[19:20]
	v_add_f64 v[10:11], v[16:17], v[19:20]
	v_add_f64 v[16:17], v[10:11], -v[16:17]
	v_add_f64 v[16:17], v[19:20], -v[16:17]
.LBB40_41:
	s_andn2_saveexec_b64 s[6:7], s[14:15]
	s_cbranch_execz .LBB40_43
; %bb.42:
	s_mov_b32 s12, 0x6dc9c883
	s_mov_b32 s13, 0x3fe45f30
	v_mul_f64 v[10:11], |v[8:9]|, s[12:13]
	s_mov_b32 s12, 0x54442d18
	s_mov_b32 s13, 0xbff921fb
	;; [unrolled: 1-line block ×4, first 2 shown]
	v_rndne_f64_e32 v[18:19], v[10:11]
	v_fma_f64 v[10:11], v[18:19], s[12:13], |v[8:9]|
	v_mul_f64 v[16:17], v[18:19], s[14:15]
	s_mov_b32 s12, 0x252049c0
	s_mov_b32 s13, 0xb97b839a
	v_fma_f64 v[26:27], v[18:19], s[14:15], v[10:11]
	v_add_f64 v[20:21], v[10:11], v[16:17]
	s_mov_b32 s15, 0x3c91a626
	v_add_f64 v[24:25], v[10:11], -v[20:21]
	v_add_f64 v[20:21], v[20:21], -v[26:27]
	v_add_f64 v[10:11], v[24:25], v[16:17]
	v_fma_f64 v[16:17], v[18:19], s[14:15], v[16:17]
	v_add_f64 v[10:11], v[20:21], v[10:11]
	v_add_f64 v[10:11], v[10:11], -v[16:17]
	v_fma_f64 v[16:17], v[18:19], s[12:13], v[10:11]
	v_cvt_i32_f64_e32 v18, v[18:19]
	v_add_f64 v[10:11], v[26:27], v[16:17]
	v_add_f64 v[20:21], v[10:11], -v[26:27]
	v_add_f64 v[16:17], v[16:17], -v[20:21]
.LBB40_43:
	s_or_b64 exec, exec, s[6:7]
	v_mul_f64 v[19:20], v[10:11], v[10:11]
	s_mov_b32 s6, 0xf9a43bb8
	v_mov_b32_e32 v25, 0xb42fdfa7
	v_mov_b32_e32 v26, 0xbe5ae600
	s_mov_b32 s7, 0x3de5e0b2
	s_mov_b32 s12, 0x796cde01
	v_mov_b32_e32 v24, 0x9037ab78
	s_mov_b32 s13, 0x3ec71de3
	v_fma_f64 v[26:27], v[19:20], s[6:7], v[25:26]
	s_mov_b32 s6, 0x46cc5e42
	v_mov_b32_e32 v25, 0x3e21eeb6
	s_mov_b32 s7, 0xbda907db
	v_fma_f64 v[24:25], v[19:20], s[6:7], v[24:25]
	v_mul_f64 v[28:29], v[19:20], 0.5
	s_mov_b32 s6, 0xa17f65f6
	s_mov_b32 s14, 0x19e83e5c
	v_fma_f64 v[26:27], v[19:20], v[26:27], s[12:13]
	s_mov_b32 s7, 0xbe927e4f
	s_mov_b32 s15, 0xbf2a01a0
	;; [unrolled: 1-line block ×3, first 2 shown]
	v_fma_f64 v[24:25], v[19:20], v[24:25], s[6:7]
	v_add_f64 v[30:31], -v[28:29], 1.0
	s_mov_b32 s6, 0x11110bb3
	s_mov_b32 s13, 0x3efa01a0
	v_fma_f64 v[26:27], v[19:20], v[26:27], s[14:15]
	s_mov_b32 s7, 0x3f811111
	v_mul_f64 v[32:33], v[16:17], 0.5
	v_mul_f64 v[34:35], v[10:11], -v[19:20]
	v_fma_f64 v[24:25], v[19:20], v[24:25], s[12:13]
	v_add_f64 v[36:37], -v[30:31], 1.0
	v_add_f64 v[6:7], -v[6:7], 1.0
	v_fma_f64 v[26:27], v[19:20], v[26:27], s[6:7]
	s_mov_b32 s6, 0x16c16967
	s_mov_b32 s7, 0xbf56c16c
	v_fma_f64 v[24:25], v[19:20], v[24:25], s[6:7]
	v_add_f64 v[28:29], v[36:37], -v[28:29]
	s_mov_b32 s7, 0x3fa55555
	s_mov_b32 s6, 0x55555555
	v_fma_f64 v[26:27], v[34:35], v[26:27], v[32:33]
	v_mul_f64 v[32:33], v[19:20], v[19:20]
	v_fma_f64 v[24:25], v[19:20], v[24:25], s[6:7]
	v_fma_f64 v[28:29], v[10:11], -v[16:17], v[28:29]
	s_mov_b32 s7, 0xbfc55555
	v_fma_f64 v[16:17], v[19:20], v[26:27], -v[16:17]
	v_fma_f64 v[19:20], v[32:33], v[24:25], v[28:29]
	v_fma_f64 v[16:17], v[34:35], s[6:7], v[16:17]
	s_movk_i32 s6, 0x1f8
	v_cmp_class_f64_e64 s[6:7], v[8:9], s6
	v_lshlrev_b32_e32 v8, 30, v18
	v_xor_b32_e32 v8, v8, v9
	v_add_f64 v[19:20], v[30:31], v[19:20]
	v_and_b32_e32 v8, 0x80000000, v8
	v_add_f64 v[10:11], v[10:11], -v[16:17]
	v_and_b32_e32 v16, 1, v18
	v_cmp_eq_u32_e32 vcc, 0, v16
	v_mov_b32_e32 v16, 0x7ff80000
	v_cndmask_b32_e32 v9, v20, v11, vcc
	v_cndmask_b32_e32 v10, v19, v10, vcc
	v_xor_b32_e32 v9, v9, v8
	v_cndmask_b32_e64 v8, 0, v10, s[6:7]
	v_cndmask_b32_e64 v9, v16, v9, s[6:7]
	v_mul_f64 v[8:9], v[8:9], v[8:9]
	s_mov_b32 s6, 0xc9be45de
	s_mov_b32 s7, 0xc023bd3c
	v_div_scale_f64 v[10:11], s[12:13], v[8:9], v[8:9], s[6:7]
	v_rcp_f64_e32 v[16:17], v[10:11]
	v_fma_f64 v[18:19], -v[10:11], v[16:17], 1.0
	v_fma_f64 v[16:17], v[16:17], v[18:19], v[16:17]
	v_div_scale_f64 v[18:19], vcc, s[6:7], v[8:9], s[6:7]
	v_fma_f64 v[20:21], -v[10:11], v[16:17], 1.0
	v_fma_f64 v[16:17], v[16:17], v[20:21], v[16:17]
	v_mul_f64 v[20:21], v[18:19], v[16:17]
	v_fma_f64 v[10:11], -v[10:11], v[20:21], v[18:19]
	v_div_fmas_f64 v[10:11], v[10:11], v[16:17], v[20:21]
	v_div_fixup_f64 v[8:9], v[10:11], v[8:9], s[6:7]
	v_add_f64 v[10:11], v[8:9], 0
	v_mov_b32_e32 v8, 0
	v_mov_b32_e32 v9, 0xbff00000
.LBB40_44:
	s_or_b64 exec, exec, s[10:11]
	v_mul_f64 v[16:17], v[6:7], v[6:7]
	v_add_f64 v[6:7], v[6:7], 1.0
	v_div_scale_f64 v[18:19], s[6:7], v[16:17], v[16:17], 1.0
	v_rcp_f64_e32 v[20:21], v[18:19]
	v_fma_f64 v[24:25], -v[18:19], v[20:21], 1.0
	v_fma_f64 v[20:21], v[20:21], v[24:25], v[20:21]
	v_fma_f64 v[24:25], -v[18:19], v[20:21], 1.0
	v_fma_f64 v[20:21], v[20:21], v[24:25], v[20:21]
	v_div_scale_f64 v[24:25], vcc, 1.0, v[16:17], 1.0
	v_mul_f64 v[26:27], v[24:25], v[20:21]
	v_fma_f64 v[18:19], -v[18:19], v[26:27], v[24:25]
	s_nop 1
	v_div_fmas_f64 v[18:19], v[18:19], v[20:21], v[26:27]
	v_div_fixup_f64 v[16:17], v[18:19], v[16:17], 1.0
	v_add_f64 v[10:11], v[10:11], v[16:17]
	v_mul_f64 v[16:17], v[6:7], v[6:7]
	v_add_f64 v[6:7], v[6:7], 1.0
	v_div_scale_f64 v[18:19], s[6:7], v[16:17], v[16:17], 1.0
	v_rcp_f64_e32 v[20:21], v[18:19]
	v_fma_f64 v[24:25], -v[18:19], v[20:21], 1.0
	v_fma_f64 v[20:21], v[20:21], v[24:25], v[20:21]
	v_fma_f64 v[24:25], -v[18:19], v[20:21], 1.0
	v_fma_f64 v[20:21], v[20:21], v[24:25], v[20:21]
	v_div_scale_f64 v[24:25], vcc, 1.0, v[16:17], 1.0
	v_mul_f64 v[26:27], v[24:25], v[20:21]
	v_fma_f64 v[18:19], -v[18:19], v[26:27], v[24:25]
	s_nop 1
	v_div_fmas_f64 v[18:19], v[18:19], v[20:21], v[26:27]
	v_div_fixup_f64 v[16:17], v[18:19], v[16:17], 1.0
	v_add_f64 v[10:11], v[10:11], v[16:17]
	;; [unrolled: 15-line block ×6, first 2 shown]
	v_mul_f64 v[16:17], v[6:7], v[6:7]
	v_div_scale_f64 v[18:19], s[6:7], v[16:17], v[16:17], 1.0
	v_rcp_f64_e32 v[20:21], v[18:19]
	v_fma_f64 v[24:25], -v[18:19], v[20:21], 1.0
	v_fma_f64 v[20:21], v[20:21], v[24:25], v[20:21]
	v_fma_f64 v[24:25], -v[18:19], v[20:21], 1.0
	v_fma_f64 v[20:21], v[20:21], v[24:25], v[20:21]
	v_div_scale_f64 v[24:25], vcc, 1.0, v[16:17], 1.0
	v_mul_f64 v[26:27], v[24:25], v[20:21]
	v_fma_f64 v[18:19], -v[18:19], v[26:27], v[24:25]
	s_nop 1
	v_div_fmas_f64 v[18:19], v[18:19], v[20:21], v[26:27]
	v_div_fixup_f64 v[16:17], v[18:19], v[16:17], 1.0
	v_add_f64 v[18:19], v[6:7], v[6:7]
	v_div_scale_f64 v[20:21], s[6:7], v[18:19], v[18:19], 1.0
	s_mov_b32 s6, 0x18618618
	s_mov_b32 s7, 0xbf986186
	v_rcp_f64_e32 v[24:25], v[20:21]
	v_fma_f64 v[26:27], -v[20:21], v[24:25], 1.0
	v_fma_f64 v[24:25], v[24:25], v[26:27], v[24:25]
	v_fma_f64 v[26:27], -v[20:21], v[24:25], 1.0
	v_fma_f64 v[24:25], v[24:25], v[26:27], v[24:25]
	v_div_scale_f64 v[26:27], vcc, 1.0, v[18:19], 1.0
	v_mul_f64 v[28:29], v[26:27], v[24:25]
	v_fma_f64 v[20:21], -v[20:21], v[28:29], v[26:27]
	s_nop 1
	v_div_fmas_f64 v[20:21], v[20:21], v[24:25], v[28:29]
	v_div_fixup_f64 v[18:19], v[20:21], v[18:19], 1.0
	v_mov_b32_e32 v20, 0x11111111
	v_mov_b32_e32 v21, 0x3fa11111
	v_fma_f64 v[20:21], v[16:17], s[6:7], v[20:21]
	s_mov_b32 s6, 0x55555555
	s_mov_b32 s7, 0x3fc55555
	v_add_f64 v[18:19], v[18:19], 1.0
	v_fma_f64 v[20:21], -v[16:17], v[20:21], s[6:7]
	v_fma_f64 v[16:17], v[16:17], v[20:21], v[18:19]
	v_div_scale_f64 v[18:19], s[6:7], v[6:7], v[6:7], v[16:17]
	v_rcp_f64_e32 v[20:21], v[18:19]
	v_fma_f64 v[24:25], -v[18:19], v[20:21], 1.0
	v_fma_f64 v[20:21], v[20:21], v[24:25], v[20:21]
	v_fma_f64 v[24:25], -v[18:19], v[20:21], 1.0
	v_fma_f64 v[20:21], v[20:21], v[24:25], v[20:21]
	v_div_scale_f64 v[24:25], vcc, v[16:17], v[6:7], v[16:17]
	v_mul_f64 v[26:27], v[24:25], v[20:21]
	v_fma_f64 v[18:19], -v[18:19], v[26:27], v[24:25]
	s_nop 1
	v_div_fmas_f64 v[18:19], v[18:19], v[20:21], v[26:27]
	v_div_fixup_f64 v[6:7], v[18:19], v[6:7], v[16:17]
	v_add_f64 v[6:7], v[10:11], v[6:7]
	v_mul_f64 v[10:11], v[8:9], v[6:7]
	s_or_b64 exec, exec, s[8:9]
	s_and_saveexec_b64 s[6:7], s[4:5]
	s_xor_b64 s[4:5], exec, s[6:7]
	s_cbranch_execz .LBB40_34
.LBB40_45:
	v_mov_b32_e32 v6, 0
	v_lshlrev_b64 v[5:6], 3, v[5:6]
	v_mov_b32_e32 v22, v23
	v_add_co_u32_e32 v5, vcc, v0, v5
	v_addc_co_u32_e32 v6, vcc, v1, v6, vcc
	flat_store_dwordx2 v[5:6], v[2:3]
	s_or_b64 exec, exec, s[4:5]
	v_cmp_lt_i32_e32 vcc, v22, v4
	s_and_saveexec_b64 s[4:5], vcc
	s_cbranch_execz .LBB40_35
.LBB40_46:
	v_add_u32_e32 v2, s16, v22
	v_mov_b32_e32 v3, 0
	v_lshlrev_b64 v[2:3], 3, v[2:3]
	v_add_u32_e32 v22, 0x100, v22
	v_add_co_u32_e32 v2, vcc, v0, v2
	v_addc_co_u32_e32 v3, vcc, v1, v3, vcc
	flat_store_dwordx2 v[2:3], v[14:15]
	s_or_b64 exec, exec, s[4:5]
	v_cmp_lt_i32_e32 vcc, v22, v4
	s_and_saveexec_b64 s[4:5], vcc
	s_cbranch_execz .LBB40_36
.LBB40_47:
	v_add_u32_e32 v2, s16, v22
	v_mov_b32_e32 v3, 0
	v_lshlrev_b64 v[2:3], 3, v[2:3]
	v_add_u32_e32 v22, 0x100, v22
	v_add_co_u32_e32 v2, vcc, v0, v2
	v_addc_co_u32_e32 v3, vcc, v1, v3, vcc
	flat_store_dwordx2 v[2:3], v[12:13]
	s_or_b64 exec, exec, s[4:5]
	v_cmp_lt_i32_e32 vcc, v22, v4
	s_and_saveexec_b64 s[4:5], vcc
	s_cbranch_execz .LBB40_37
.LBB40_48:
	v_add_u32_e32 v2, s16, v22
	v_mov_b32_e32 v3, 0
	v_lshlrev_b64 v[2:3], 3, v[2:3]
	v_add_co_u32_e32 v0, vcc, v0, v2
	v_addc_co_u32_e32 v1, vcc, v1, v3, vcc
	flat_store_dwordx2 v[0:1], v[10:11]
	s_or_b64 exec, exec, s[4:5]
	s_waitcnt vmcnt(0) lgkmcnt(0)
	s_setpc_b64 s[30:31]
.Lfunc_end40:
	.size	_ZN2at6native25elementwise_kernel_helperILb0EZZZNS0_20trigamma_kernel_cudaERNS_18TensorIteratorBaseEENKUlvE_clEvENKUlvE_clEvEUldE_NS0_6memory8policies11unroll_baseILi256ESt5arrayIPcLm2EE23TrivialOffsetCalculatorILi1EjESE_NS7_15LoadWithoutCastENS7_16StoreWithoutCastELi4ELi1EEEEEvT0_T1_, .Lfunc_end40-_ZN2at6native25elementwise_kernel_helperILb0EZZZNS0_20trigamma_kernel_cudaERNS_18TensorIteratorBaseEENKUlvE_clEvENKUlvE_clEvEUldE_NS0_6memory8policies11unroll_baseILi256ESt5arrayIPcLm2EE23TrivialOffsetCalculatorILi1EjESE_NS7_15LoadWithoutCastENS7_16StoreWithoutCastELi4ELi1EEEEEvT0_T1_
                                        ; -- End function
	.set .L_ZN2at6native25elementwise_kernel_helperILb0EZZZNS0_20trigamma_kernel_cudaERNS_18TensorIteratorBaseEENKUlvE_clEvENKUlvE_clEvEUldE_NS0_6memory8policies11unroll_baseILi256ESt5arrayIPcLm2EE23TrivialOffsetCalculatorILi1EjESE_NS7_15LoadWithoutCastENS7_16StoreWithoutCastELi4ELi1EEEEEvT0_T1_.num_vgpr, 54
	.set .L_ZN2at6native25elementwise_kernel_helperILb0EZZZNS0_20trigamma_kernel_cudaERNS_18TensorIteratorBaseEENKUlvE_clEvENKUlvE_clEvEUldE_NS0_6memory8policies11unroll_baseILi256ESt5arrayIPcLm2EE23TrivialOffsetCalculatorILi1EjESE_NS7_15LoadWithoutCastENS7_16StoreWithoutCastELi4ELi1EEEEEvT0_T1_.num_agpr, 0
	.set .L_ZN2at6native25elementwise_kernel_helperILb0EZZZNS0_20trigamma_kernel_cudaERNS_18TensorIteratorBaseEENKUlvE_clEvENKUlvE_clEvEUldE_NS0_6memory8policies11unroll_baseILi256ESt5arrayIPcLm2EE23TrivialOffsetCalculatorILi1EjESE_NS7_15LoadWithoutCastENS7_16StoreWithoutCastELi4ELi1EEEEEvT0_T1_.numbered_sgpr, 32
	.set .L_ZN2at6native25elementwise_kernel_helperILb0EZZZNS0_20trigamma_kernel_cudaERNS_18TensorIteratorBaseEENKUlvE_clEvENKUlvE_clEvEUldE_NS0_6memory8policies11unroll_baseILi256ESt5arrayIPcLm2EE23TrivialOffsetCalculatorILi1EjESE_NS7_15LoadWithoutCastENS7_16StoreWithoutCastELi4ELi1EEEEEvT0_T1_.num_named_barrier, 0
	.set .L_ZN2at6native25elementwise_kernel_helperILb0EZZZNS0_20trigamma_kernel_cudaERNS_18TensorIteratorBaseEENKUlvE_clEvENKUlvE_clEvEUldE_NS0_6memory8policies11unroll_baseILi256ESt5arrayIPcLm2EE23TrivialOffsetCalculatorILi1EjESE_NS7_15LoadWithoutCastENS7_16StoreWithoutCastELi4ELi1EEEEEvT0_T1_.private_seg_size, 0
	.set .L_ZN2at6native25elementwise_kernel_helperILb0EZZZNS0_20trigamma_kernel_cudaERNS_18TensorIteratorBaseEENKUlvE_clEvENKUlvE_clEvEUldE_NS0_6memory8policies11unroll_baseILi256ESt5arrayIPcLm2EE23TrivialOffsetCalculatorILi1EjESE_NS7_15LoadWithoutCastENS7_16StoreWithoutCastELi4ELi1EEEEEvT0_T1_.uses_vcc, 1
	.set .L_ZN2at6native25elementwise_kernel_helperILb0EZZZNS0_20trigamma_kernel_cudaERNS_18TensorIteratorBaseEENKUlvE_clEvENKUlvE_clEvEUldE_NS0_6memory8policies11unroll_baseILi256ESt5arrayIPcLm2EE23TrivialOffsetCalculatorILi1EjESE_NS7_15LoadWithoutCastENS7_16StoreWithoutCastELi4ELi1EEEEEvT0_T1_.uses_flat_scratch, 0
	.set .L_ZN2at6native25elementwise_kernel_helperILb0EZZZNS0_20trigamma_kernel_cudaERNS_18TensorIteratorBaseEENKUlvE_clEvENKUlvE_clEvEUldE_NS0_6memory8policies11unroll_baseILi256ESt5arrayIPcLm2EE23TrivialOffsetCalculatorILi1EjESE_NS7_15LoadWithoutCastENS7_16StoreWithoutCastELi4ELi1EEEEEvT0_T1_.has_dyn_sized_stack, 0
	.set .L_ZN2at6native25elementwise_kernel_helperILb0EZZZNS0_20trigamma_kernel_cudaERNS_18TensorIteratorBaseEENKUlvE_clEvENKUlvE_clEvEUldE_NS0_6memory8policies11unroll_baseILi256ESt5arrayIPcLm2EE23TrivialOffsetCalculatorILi1EjESE_NS7_15LoadWithoutCastENS7_16StoreWithoutCastELi4ELi1EEEEEvT0_T1_.has_recursion, 0
	.set .L_ZN2at6native25elementwise_kernel_helperILb0EZZZNS0_20trigamma_kernel_cudaERNS_18TensorIteratorBaseEENKUlvE_clEvENKUlvE_clEvEUldE_NS0_6memory8policies11unroll_baseILi256ESt5arrayIPcLm2EE23TrivialOffsetCalculatorILi1EjESE_NS7_15LoadWithoutCastENS7_16StoreWithoutCastELi4ELi1EEEEEvT0_T1_.has_indirect_call, 0
	.section	.AMDGPU.csdata,"",@progbits
; Function info:
; codeLenInByte = 10904
; TotalNumSgprs: 36
; NumVgprs: 54
; ScratchSize: 0
; MemoryBound: 0
	.text
	.p2align	2                               ; -- Begin function _ZN2at6native25elementwise_kernel_helperILb0EZZZNS0_20trigamma_kernel_cudaERNS_18TensorIteratorBaseEENKUlvE_clEvENKUlvE_clEvEUldE_NS0_6memory8policies10vectorizedILi4ESt5arrayIPcLm2EELi4EEEEEvT0_T1_
	.type	_ZN2at6native25elementwise_kernel_helperILb0EZZZNS0_20trigamma_kernel_cudaERNS_18TensorIteratorBaseEENKUlvE_clEvENKUlvE_clEvEUldE_NS0_6memory8policies10vectorizedILi4ESt5arrayIPcLm2EELi4EEEEEvT0_T1_,@function
_ZN2at6native25elementwise_kernel_helperILb0EZZZNS0_20trigamma_kernel_cudaERNS_18TensorIteratorBaseEENKUlvE_clEvENKUlvE_clEvEUldE_NS0_6memory8policies10vectorizedILi4ESt5arrayIPcLm2EELi4EEEEEvT0_T1_: ; @_ZN2at6native25elementwise_kernel_helperILb0EZZZNS0_20trigamma_kernel_cudaERNS_18TensorIteratorBaseEENKUlvE_clEvENKUlvE_clEvEUldE_NS0_6memory8policies10vectorizedILi4ESt5arrayIPcLm2EELi4EEEEEvT0_T1_
; %bb.0:
	s_waitcnt vmcnt(0) expcnt(0) lgkmcnt(0)
	s_lshl_b32 s4, s12, 10
	s_ashr_i32 s5, s4, 31
	s_lshl_b64 s[6:7], s[4:5], 3
	v_mov_b32_e32 v4, s7
	v_add_co_u32_e32 v2, vcc, s6, v2
	v_addc_co_u32_e32 v3, vcc, v3, v4, vcc
	v_and_b32_e32 v4, 0x3ff, v31
	v_lshlrev_b32_e32 v28, 5, v4
	v_add_co_u32_e32 v10, vcc, v2, v28
	v_addc_co_u32_e32 v11, vcc, 0, v3, vcc
	flat_load_dwordx4 v[6:9], v[10:11]
	flat_load_dwordx4 v[2:5], v[10:11] offset:16
	v_mov_b32_e32 v12, 0
	v_mov_b32_e32 v10, 0
	;; [unrolled: 1-line block ×4, first 2 shown]
	s_waitcnt vmcnt(0) lgkmcnt(0)
	v_cmp_gt_f64_e32 vcc, 0.5, v[6:7]
	s_and_saveexec_b64 s[8:9], vcc
	s_cbranch_execz .LBB41_6
; %bb.1:
	s_mov_b32 s11, 0x400921fb
	s_mov_b32 s10, 0x54442d18
	v_mul_f64 v[10:11], v[6:7], s[10:11]
	s_mov_b32 s4, 0
	s_mov_b32 s5, 0x41d00000
                                        ; implicit-def: $vgpr16
                                        ; implicit-def: $vgpr12_vgpr13
                                        ; implicit-def: $vgpr14_vgpr15
	v_cmp_nlt_f64_e64 s[4:5], |v[10:11]|, s[4:5]
	s_and_saveexec_b64 s[12:13], s[4:5]
	s_xor_b64 s[12:13], exec, s[12:13]
	s_cbranch_execz .LBB41_3
; %bb.2:
	v_trig_preop_f64 v[12:13], |v[10:11]|, 0
	s_mov_b32 s4, 0
	s_mov_b32 s5, 0x7b000000
	s_movk_i32 s11, 0xff80
	v_ldexp_f64 v[16:17], |v[10:11]|, s11
	v_cmp_ge_f64_e64 vcc, |v[10:11]|, s[4:5]
	v_trig_preop_f64 v[14:15], |v[10:11]|, 1
	v_and_b32_e32 v18, 0x7fffffff, v11
	v_trig_preop_f64 v[24:25], |v[10:11]|, 2
	s_mov_b32 s4, 0
	s_mov_b32 s5, 0x7ff00000
	v_mov_b32_e32 v36, 0x40100000
	v_mov_b32_e32 v35, 0
	v_cndmask_b32_e32 v17, v18, v17, vcc
	v_cndmask_b32_e32 v16, v10, v16, vcc
	s_mov_b32 s11, 0x3ff921fb
	v_mul_f64 v[18:19], v[12:13], v[16:17]
	v_mul_f64 v[20:21], v[14:15], v[16:17]
	;; [unrolled: 1-line block ×3, first 2 shown]
	v_fma_f64 v[12:13], v[12:13], v[16:17], -v[18:19]
	v_fma_f64 v[14:15], v[14:15], v[16:17], -v[20:21]
	;; [unrolled: 1-line block ×3, first 2 shown]
	v_add_f64 v[22:23], v[20:21], v[12:13]
	v_add_f64 v[26:27], v[22:23], -v[20:21]
	v_add_f64 v[33:34], v[18:19], v[22:23]
	v_add_f64 v[29:30], v[22:23], -v[26:27]
	v_add_f64 v[12:13], v[12:13], -v[26:27]
	v_add_f64 v[26:27], v[31:32], v[14:15]
	v_add_f64 v[18:19], v[33:34], -v[18:19]
	v_add_f64 v[20:21], v[20:21], -v[29:30]
	v_ldexp_f64 v[29:30], v[33:34], -2
	v_add_f64 v[37:38], v[26:27], -v[31:32]
	v_add_f64 v[18:19], v[22:23], -v[18:19]
	v_add_f64 v[12:13], v[12:13], v[20:21]
	v_fract_f64_e32 v[20:21], v[29:30]
	v_cmp_neq_f64_e64 vcc, |v[29:30]|, s[4:5]
	v_add_f64 v[14:15], v[14:15], -v[37:38]
	v_add_f64 v[22:23], v[26:27], v[12:13]
	v_ldexp_f64 v[20:21], v[20:21], 2
	v_add_f64 v[29:30], v[18:19], v[22:23]
	v_cndmask_b32_e32 v21, 0, v21, vcc
	v_cndmask_b32_e32 v20, 0, v20, vcc
	v_add_f64 v[48:49], v[22:23], -v[26:27]
	v_add_f64 v[33:34], v[29:30], v[20:21]
	v_add_f64 v[18:19], v[29:30], -v[18:19]
	v_add_f64 v[50:51], v[22:23], -v[48:49]
	;; [unrolled: 1-line block ×3, first 2 shown]
	v_cmp_gt_f64_e32 vcc, 0, v[33:34]
	v_add_f64 v[33:34], v[26:27], -v[37:38]
	v_add_f64 v[18:19], v[22:23], -v[18:19]
	v_add_f64 v[26:27], v[26:27], -v[50:51]
	v_cndmask_b32_e32 v36, 0, v36, vcc
	v_add_f64 v[20:21], v[20:21], v[35:36]
	v_add_f64 v[33:34], v[31:32], -v[33:34]
	v_add_f64 v[12:13], v[12:13], v[26:27]
	v_add_f64 v[52:53], v[29:30], v[20:21]
	;; [unrolled: 1-line block ×3, first 2 shown]
	v_cvt_i32_f64_e32 v38, v[52:53]
	v_add_f64 v[12:13], v[14:15], v[12:13]
	v_cvt_f64_i32_e32 v[36:37], v38
	v_add_f64 v[20:21], v[20:21], -v[36:37]
	v_add_f64 v[12:13], v[16:17], v[12:13]
	v_add_f64 v[14:15], v[29:30], v[20:21]
	v_add_f64 v[12:13], v[18:19], v[12:13]
	v_mov_b32_e32 v19, 0x3ff00000
	v_add_f64 v[16:17], v[14:15], -v[20:21]
	v_cmp_le_f64_e32 vcc, 0.5, v[14:15]
	v_add_f64 v[17:18], v[29:30], -v[16:17]
	v_cndmask_b32_e32 v36, 0, v19, vcc
	v_add_f64 v[14:15], v[14:15], -v[35:36]
	v_addc_co_u32_e64 v16, s[4:5], 0, v38, vcc
	s_mov_b32 s4, 0x33145c07
	s_mov_b32 s5, 0x3c91a626
	v_add_f64 v[12:13], v[12:13], v[17:18]
	v_add_f64 v[17:18], v[14:15], v[12:13]
	v_mul_f64 v[19:20], v[17:18], s[10:11]
	v_add_f64 v[14:15], v[17:18], -v[14:15]
	v_fma_f64 v[21:22], v[17:18], s[10:11], -v[19:20]
	v_add_f64 v[12:13], v[12:13], -v[14:15]
	v_fma_f64 v[14:15], v[17:18], s[4:5], v[21:22]
	v_fma_f64 v[14:15], v[12:13], s[10:11], v[14:15]
	v_add_f64 v[12:13], v[19:20], v[14:15]
	v_add_f64 v[17:18], v[12:13], -v[19:20]
	v_add_f64 v[14:15], v[14:15], -v[17:18]
.LBB41_3:
	s_andn2_saveexec_b64 s[4:5], s[12:13]
	s_cbranch_execz .LBB41_5
; %bb.4:
	s_mov_b32 s10, 0x6dc9c883
	s_mov_b32 s11, 0x3fe45f30
	v_mul_f64 v[12:13], |v[10:11]|, s[10:11]
	s_mov_b32 s10, 0x54442d18
	s_mov_b32 s11, 0xbff921fb
	;; [unrolled: 1-line block ×4, first 2 shown]
	v_rndne_f64_e32 v[16:17], v[12:13]
	v_fma_f64 v[12:13], v[16:17], s[10:11], |v[10:11]|
	v_mul_f64 v[14:15], v[16:17], s[12:13]
	s_mov_b32 s10, 0x252049c0
	s_mov_b32 s11, 0xb97b839a
	v_fma_f64 v[22:23], v[16:17], s[12:13], v[12:13]
	v_add_f64 v[18:19], v[12:13], v[14:15]
	s_mov_b32 s13, 0x3c91a626
	v_add_f64 v[20:21], v[12:13], -v[18:19]
	v_add_f64 v[18:19], v[18:19], -v[22:23]
	v_add_f64 v[12:13], v[20:21], v[14:15]
	v_fma_f64 v[14:15], v[16:17], s[12:13], v[14:15]
	v_add_f64 v[12:13], v[18:19], v[12:13]
	v_add_f64 v[12:13], v[12:13], -v[14:15]
	v_fma_f64 v[14:15], v[16:17], s[10:11], v[12:13]
	v_cvt_i32_f64_e32 v16, v[16:17]
	v_add_f64 v[12:13], v[22:23], v[14:15]
	v_add_f64 v[18:19], v[12:13], -v[22:23]
	v_add_f64 v[14:15], v[14:15], -v[18:19]
.LBB41_5:
	s_or_b64 exec, exec, s[4:5]
	v_mul_f64 v[17:18], v[12:13], v[12:13]
	s_mov_b32 s4, 0xf9a43bb8
	v_mov_b32_e32 v20, 0xb42fdfa7
	v_mov_b32_e32 v21, 0xbe5ae600
	s_mov_b32 s5, 0x3de5e0b2
	s_mov_b32 s10, 0x796cde01
	v_mov_b32_e32 v19, 0x9037ab78
	s_mov_b32 s11, 0x3ec71de3
	v_fma_f64 v[21:22], v[17:18], s[4:5], v[20:21]
	s_mov_b32 s4, 0x46cc5e42
	v_mov_b32_e32 v20, 0x3e21eeb6
	s_mov_b32 s5, 0xbda907db
	v_fma_f64 v[19:20], v[17:18], s[4:5], v[19:20]
	v_mul_f64 v[23:24], v[17:18], 0.5
	s_mov_b32 s4, 0xa17f65f6
	s_mov_b32 s12, 0x19e83e5c
	v_fma_f64 v[21:22], v[17:18], v[21:22], s[10:11]
	s_mov_b32 s5, 0xbe927e4f
	s_mov_b32 s13, 0xbf2a01a0
	s_mov_b32 s10, 0x19f4ec90
	v_fma_f64 v[19:20], v[17:18], v[19:20], s[4:5]
	v_add_f64 v[25:26], -v[23:24], 1.0
	s_mov_b32 s4, 0x11110bb3
	s_mov_b32 s11, 0x3efa01a0
	v_fma_f64 v[21:22], v[17:18], v[21:22], s[12:13]
	s_mov_b32 s5, 0x3f811111
	v_mul_f64 v[29:30], v[14:15], 0.5
	v_mul_f64 v[31:32], v[12:13], -v[17:18]
	v_fma_f64 v[19:20], v[17:18], v[19:20], s[10:11]
	v_add_f64 v[33:34], -v[25:26], 1.0
	v_add_f64 v[6:7], -v[6:7], 1.0
	v_fma_f64 v[21:22], v[17:18], v[21:22], s[4:5]
	s_mov_b32 s4, 0x16c16967
	s_mov_b32 s5, 0xbf56c16c
	v_fma_f64 v[19:20], v[17:18], v[19:20], s[4:5]
	v_add_f64 v[23:24], v[33:34], -v[23:24]
	s_mov_b32 s5, 0x3fa55555
	s_mov_b32 s4, 0x55555555
	v_fma_f64 v[21:22], v[31:32], v[21:22], v[29:30]
	v_mul_f64 v[29:30], v[17:18], v[17:18]
	v_fma_f64 v[19:20], v[17:18], v[19:20], s[4:5]
	v_fma_f64 v[23:24], v[12:13], -v[14:15], v[23:24]
	s_mov_b32 s5, 0xbfc55555
	v_fma_f64 v[14:15], v[17:18], v[21:22], -v[14:15]
	v_fma_f64 v[17:18], v[29:30], v[19:20], v[23:24]
	v_fma_f64 v[14:15], v[31:32], s[4:5], v[14:15]
	s_movk_i32 s4, 0x1f8
	v_cmp_class_f64_e64 s[4:5], v[10:11], s4
	v_lshlrev_b32_e32 v10, 30, v16
	v_xor_b32_e32 v10, v10, v11
	v_add_f64 v[17:18], v[25:26], v[17:18]
	v_and_b32_e32 v10, 0x80000000, v10
	v_add_f64 v[12:13], v[12:13], -v[14:15]
	v_and_b32_e32 v14, 1, v16
	v_cmp_eq_u32_e32 vcc, 0, v14
	v_mov_b32_e32 v14, 0x7ff80000
	v_cndmask_b32_e32 v11, v18, v13, vcc
	v_cndmask_b32_e32 v12, v17, v12, vcc
	v_xor_b32_e32 v11, v11, v10
	v_cndmask_b32_e64 v10, 0, v12, s[4:5]
	v_cndmask_b32_e64 v11, v14, v11, s[4:5]
	v_mul_f64 v[10:11], v[10:11], v[10:11]
	s_mov_b32 s4, 0xc9be45de
	s_mov_b32 s5, 0xc023bd3c
	v_div_scale_f64 v[12:13], s[10:11], v[10:11], v[10:11], s[4:5]
	v_rcp_f64_e32 v[14:15], v[12:13]
	v_fma_f64 v[16:17], -v[12:13], v[14:15], 1.0
	v_fma_f64 v[14:15], v[14:15], v[16:17], v[14:15]
	v_div_scale_f64 v[16:17], vcc, s[4:5], v[10:11], s[4:5]
	v_fma_f64 v[18:19], -v[12:13], v[14:15], 1.0
	v_fma_f64 v[14:15], v[14:15], v[18:19], v[14:15]
	v_mul_f64 v[18:19], v[16:17], v[14:15]
	v_fma_f64 v[12:13], -v[12:13], v[18:19], v[16:17]
	v_div_fmas_f64 v[12:13], v[12:13], v[14:15], v[18:19]
	v_div_fixup_f64 v[10:11], v[12:13], v[10:11], s[4:5]
	v_add_f64 v[12:13], v[10:11], 0
	v_mov_b32_e32 v10, 0
	v_mov_b32_e32 v11, 0xbff00000
.LBB41_6:
	s_or_b64 exec, exec, s[8:9]
	v_cmp_gt_f64_e32 vcc, 0.5, v[8:9]
	v_mov_b32_e32 v16, 0
	v_mov_b32_e32 v14, 0
	;; [unrolled: 1-line block ×4, first 2 shown]
	s_and_saveexec_b64 s[8:9], vcc
	s_cbranch_execz .LBB41_12
; %bb.7:
	s_mov_b32 s11, 0x400921fb
	s_mov_b32 s10, 0x54442d18
	v_mul_f64 v[14:15], v[8:9], s[10:11]
	s_mov_b32 s4, 0
	s_mov_b32 s5, 0x41d00000
                                        ; implicit-def: $vgpr20
                                        ; implicit-def: $vgpr16_vgpr17
                                        ; implicit-def: $vgpr18_vgpr19
	v_cmp_nlt_f64_e64 s[4:5], |v[14:15]|, s[4:5]
	s_and_saveexec_b64 s[12:13], s[4:5]
	s_xor_b64 s[12:13], exec, s[12:13]
	s_cbranch_execz .LBB41_9
; %bb.8:
	v_trig_preop_f64 v[16:17], |v[14:15]|, 0
	s_mov_b32 s4, 0
	s_mov_b32 s5, 0x7b000000
	v_cmp_ge_f64_e64 vcc, |v[14:15]|, s[4:5]
	s_movk_i32 s4, 0xff80
	v_ldexp_f64 v[20:21], |v[14:15]|, s4
	v_trig_preop_f64 v[18:19], |v[14:15]|, 1
	v_and_b32_e32 v22, 0x7fffffff, v15
	s_mov_b32 s4, 0
	s_mov_b32 s5, 0x7ff00000
	;; [unrolled: 1-line block ×3, first 2 shown]
	v_cndmask_b32_e32 v21, v22, v21, vcc
	v_cndmask_b32_e32 v20, v14, v20, vcc
	v_mul_f64 v[24:25], v[16:17], v[20:21]
	v_mul_f64 v[22:23], v[18:19], v[20:21]
	v_fma_f64 v[16:17], v[16:17], v[20:21], -v[24:25]
	v_fma_f64 v[18:19], v[18:19], v[20:21], -v[22:23]
	v_add_f64 v[26:27], v[22:23], v[16:17]
	v_add_f64 v[35:36], v[26:27], -v[22:23]
	v_add_f64 v[29:30], v[24:25], v[26:27]
	v_add_f64 v[16:17], v[16:17], -v[35:36]
	v_add_f64 v[35:36], v[26:27], -v[35:36]
	v_ldexp_f64 v[31:32], v[29:30], -2
	v_add_f64 v[24:25], v[29:30], -v[24:25]
	v_add_f64 v[35:36], v[22:23], -v[35:36]
	v_trig_preop_f64 v[22:23], |v[14:15]|, 2
	v_fract_f64_e32 v[33:34], v[31:32]
	v_add_f64 v[24:25], v[26:27], -v[24:25]
	v_cmp_neq_f64_e64 vcc, |v[31:32]|, s[4:5]
	v_add_f64 v[16:17], v[16:17], v[35:36]
	v_mul_f64 v[35:36], v[22:23], v[20:21]
	v_add_f64 v[37:38], v[35:36], v[18:19]
	v_add_f64 v[48:49], v[37:38], v[16:17]
	v_add_f64 v[29:30], v[48:49], -v[37:38]
	v_add_f64 v[26:27], v[24:25], v[48:49]
	v_add_f64 v[16:17], v[16:17], -v[29:30]
	v_add_f64 v[29:30], v[48:49], -v[29:30]
	;; [unrolled: 1-line block ×5, first 2 shown]
	v_add_f64 v[16:17], v[16:17], v[29:30]
	v_add_f64 v[29:30], v[37:38], -v[35:36]
	v_add_f64 v[18:19], v[18:19], -v[29:30]
	;; [unrolled: 1-line block ×4, first 2 shown]
	v_add_f64 v[18:19], v[18:19], v[29:30]
	v_add_f64 v[16:17], v[18:19], v[16:17]
	v_fma_f64 v[18:19], v[22:23], v[20:21], -v[35:36]
	v_add_f64 v[16:17], v[18:19], v[16:17]
	v_ldexp_f64 v[18:19], v[33:34], 2
	v_add_f64 v[16:17], v[24:25], v[16:17]
	v_cndmask_b32_e32 v19, 0, v19, vcc
	v_cndmask_b32_e32 v18, 0, v18, vcc
	v_add_f64 v[20:21], v[26:27], v[18:19]
	v_cmp_gt_f64_e32 vcc, 0, v[20:21]
	v_mov_b32_e32 v20, 0x40100000
	v_mov_b32_e32 v21, 0
	v_cndmask_b32_e32 v22, 0, v20, vcc
	v_add_f64 v[18:19], v[18:19], v[21:22]
	v_add_f64 v[22:23], v[26:27], v[18:19]
	v_cvt_i32_f64_e32 v20, v[22:23]
	v_cvt_f64_i32_e32 v[22:23], v20
	v_add_f64 v[18:19], v[18:19], -v[22:23]
	v_add_f64 v[23:24], v[26:27], v[18:19]
	v_add_f64 v[18:19], v[23:24], -v[18:19]
	v_cmp_le_f64_e32 vcc, 0.5, v[23:24]
	v_add_f64 v[18:19], v[26:27], -v[18:19]
	v_addc_co_u32_e64 v20, s[4:5], 0, v20, vcc
	s_mov_b32 s4, 0x33145c07
	s_mov_b32 s5, 0x3c91a626
	v_add_f64 v[16:17], v[16:17], v[18:19]
	v_mov_b32_e32 v18, 0x3ff00000
	v_cndmask_b32_e32 v22, 0, v18, vcc
	v_add_f64 v[18:19], v[23:24], -v[21:22]
	v_add_f64 v[21:22], v[18:19], v[16:17]
	v_add_f64 v[18:19], v[21:22], -v[18:19]
	v_add_f64 v[16:17], v[16:17], -v[18:19]
	v_mul_f64 v[18:19], v[21:22], s[10:11]
	v_fma_f64 v[23:24], v[21:22], s[10:11], -v[18:19]
	v_fma_f64 v[21:22], v[21:22], s[4:5], v[23:24]
	v_fma_f64 v[21:22], v[16:17], s[10:11], v[21:22]
	v_add_f64 v[16:17], v[18:19], v[21:22]
	v_add_f64 v[18:19], v[16:17], -v[18:19]
	v_add_f64 v[18:19], v[21:22], -v[18:19]
.LBB41_9:
	s_andn2_saveexec_b64 s[4:5], s[12:13]
	s_cbranch_execz .LBB41_11
; %bb.10:
	s_mov_b32 s10, 0x6dc9c883
	s_mov_b32 s11, 0x3fe45f30
	v_mul_f64 v[16:17], |v[14:15]|, s[10:11]
	s_mov_b32 s10, 0x54442d18
	s_mov_b32 s11, 0xbff921fb
	;; [unrolled: 1-line block ×4, first 2 shown]
	v_rndne_f64_e32 v[20:21], v[16:17]
	v_fma_f64 v[16:17], v[20:21], s[10:11], |v[14:15]|
	v_mul_f64 v[18:19], v[20:21], s[12:13]
	s_mov_b32 s10, 0x252049c0
	s_mov_b32 s11, 0xb97b839a
	v_fma_f64 v[26:27], v[20:21], s[12:13], v[16:17]
	v_add_f64 v[22:23], v[16:17], v[18:19]
	s_mov_b32 s13, 0x3c91a626
	v_add_f64 v[24:25], v[16:17], -v[22:23]
	v_add_f64 v[22:23], v[22:23], -v[26:27]
	v_add_f64 v[16:17], v[24:25], v[18:19]
	v_fma_f64 v[18:19], v[20:21], s[12:13], v[18:19]
	v_add_f64 v[16:17], v[22:23], v[16:17]
	v_add_f64 v[16:17], v[16:17], -v[18:19]
	v_fma_f64 v[18:19], v[20:21], s[10:11], v[16:17]
	v_cvt_i32_f64_e32 v20, v[20:21]
	v_add_f64 v[16:17], v[26:27], v[18:19]
	v_add_f64 v[22:23], v[16:17], -v[26:27]
	v_add_f64 v[18:19], v[18:19], -v[22:23]
.LBB41_11:
	s_or_b64 exec, exec, s[4:5]
	v_mul_f64 v[21:22], v[16:17], v[16:17]
	s_mov_b32 s4, 0xf9a43bb8
	v_mov_b32_e32 v24, 0xb42fdfa7
	v_mov_b32_e32 v25, 0xbe5ae600
	s_mov_b32 s5, 0x3de5e0b2
	s_mov_b32 s10, 0x796cde01
	v_mov_b32_e32 v23, 0x9037ab78
	s_mov_b32 s11, 0x3ec71de3
	v_fma_f64 v[25:26], v[21:22], s[4:5], v[24:25]
	s_mov_b32 s4, 0x46cc5e42
	v_mov_b32_e32 v24, 0x3e21eeb6
	s_mov_b32 s5, 0xbda907db
	v_fma_f64 v[23:24], v[21:22], s[4:5], v[23:24]
	v_mul_f64 v[29:30], v[21:22], 0.5
	s_mov_b32 s4, 0xa17f65f6
	s_mov_b32 s12, 0x19e83e5c
	v_fma_f64 v[25:26], v[21:22], v[25:26], s[10:11]
	s_mov_b32 s5, 0xbe927e4f
	s_mov_b32 s13, 0xbf2a01a0
	;; [unrolled: 1-line block ×3, first 2 shown]
	v_fma_f64 v[23:24], v[21:22], v[23:24], s[4:5]
	v_add_f64 v[31:32], -v[29:30], 1.0
	s_mov_b32 s4, 0x11110bb3
	s_mov_b32 s11, 0x3efa01a0
	v_fma_f64 v[25:26], v[21:22], v[25:26], s[12:13]
	s_mov_b32 s5, 0x3f811111
	v_mul_f64 v[33:34], v[18:19], 0.5
	v_mul_f64 v[35:36], v[16:17], -v[21:22]
	v_fma_f64 v[23:24], v[21:22], v[23:24], s[10:11]
	v_add_f64 v[37:38], -v[31:32], 1.0
	v_add_f64 v[8:9], -v[8:9], 1.0
	v_fma_f64 v[25:26], v[21:22], v[25:26], s[4:5]
	s_mov_b32 s4, 0x16c16967
	s_mov_b32 s5, 0xbf56c16c
	v_fma_f64 v[23:24], v[21:22], v[23:24], s[4:5]
	v_add_f64 v[29:30], v[37:38], -v[29:30]
	s_mov_b32 s5, 0x3fa55555
	s_mov_b32 s4, 0x55555555
	v_fma_f64 v[25:26], v[35:36], v[25:26], v[33:34]
	v_mul_f64 v[33:34], v[21:22], v[21:22]
	v_fma_f64 v[23:24], v[21:22], v[23:24], s[4:5]
	v_fma_f64 v[29:30], v[16:17], -v[18:19], v[29:30]
	s_mov_b32 s5, 0xbfc55555
	v_fma_f64 v[18:19], v[21:22], v[25:26], -v[18:19]
	v_fma_f64 v[21:22], v[33:34], v[23:24], v[29:30]
	v_fma_f64 v[18:19], v[35:36], s[4:5], v[18:19]
	s_movk_i32 s4, 0x1f8
	v_cmp_class_f64_e64 s[4:5], v[14:15], s4
	v_lshlrev_b32_e32 v14, 30, v20
	v_xor_b32_e32 v14, v14, v15
	v_add_f64 v[21:22], v[31:32], v[21:22]
	v_and_b32_e32 v14, 0x80000000, v14
	v_add_f64 v[16:17], v[16:17], -v[18:19]
	v_and_b32_e32 v18, 1, v20
	v_cmp_eq_u32_e32 vcc, 0, v18
	v_mov_b32_e32 v18, 0x7ff80000
	v_cndmask_b32_e32 v15, v22, v17, vcc
	v_cndmask_b32_e32 v16, v21, v16, vcc
	v_xor_b32_e32 v15, v15, v14
	v_cndmask_b32_e64 v14, 0, v16, s[4:5]
	v_cndmask_b32_e64 v15, v18, v15, s[4:5]
	v_mul_f64 v[14:15], v[14:15], v[14:15]
	s_mov_b32 s4, 0xc9be45de
	s_mov_b32 s5, 0xc023bd3c
	v_div_scale_f64 v[16:17], s[10:11], v[14:15], v[14:15], s[4:5]
	v_rcp_f64_e32 v[18:19], v[16:17]
	v_fma_f64 v[20:21], -v[16:17], v[18:19], 1.0
	v_fma_f64 v[18:19], v[18:19], v[20:21], v[18:19]
	v_div_scale_f64 v[20:21], vcc, s[4:5], v[14:15], s[4:5]
	v_fma_f64 v[22:23], -v[16:17], v[18:19], 1.0
	v_fma_f64 v[18:19], v[18:19], v[22:23], v[18:19]
	v_mul_f64 v[22:23], v[20:21], v[18:19]
	v_fma_f64 v[16:17], -v[16:17], v[22:23], v[20:21]
	v_div_fmas_f64 v[16:17], v[16:17], v[18:19], v[22:23]
	v_div_fixup_f64 v[14:15], v[16:17], v[14:15], s[4:5]
	v_add_f64 v[16:17], v[14:15], 0
	v_mov_b32_e32 v14, 0
	v_mov_b32_e32 v15, 0xbff00000
.LBB41_12:
	s_or_b64 exec, exec, s[8:9]
	v_cmp_gt_f64_e32 vcc, 0.5, v[2:3]
	v_mov_b32_e32 v24, 0
	v_mov_b32_e32 v20, 0
	;; [unrolled: 1-line block ×4, first 2 shown]
	s_and_saveexec_b64 s[8:9], vcc
	s_cbranch_execz .LBB41_18
; %bb.13:
	s_mov_b32 s11, 0x400921fb
	s_mov_b32 s10, 0x54442d18
	v_mul_f64 v[18:19], v[2:3], s[10:11]
	s_mov_b32 s4, 0
	s_mov_b32 s5, 0x41d00000
                                        ; implicit-def: $vgpr24
                                        ; implicit-def: $vgpr20_vgpr21
                                        ; implicit-def: $vgpr22_vgpr23
	v_cmp_nlt_f64_e64 s[4:5], |v[18:19]|, s[4:5]
	s_and_saveexec_b64 s[12:13], s[4:5]
	s_xor_b64 s[12:13], exec, s[12:13]
	s_cbranch_execz .LBB41_15
; %bb.14:
	v_trig_preop_f64 v[20:21], |v[18:19]|, 0
	s_mov_b32 s4, 0
	s_mov_b32 s5, 0x7b000000
	v_cmp_ge_f64_e64 vcc, |v[18:19]|, s[4:5]
	s_movk_i32 s4, 0xff80
	v_ldexp_f64 v[24:25], |v[18:19]|, s4
	v_trig_preop_f64 v[22:23], |v[18:19]|, 1
	v_and_b32_e32 v26, 0x7fffffff, v19
	s_mov_b32 s4, 0
	s_mov_b32 s5, 0x7ff00000
	;; [unrolled: 1-line block ×3, first 2 shown]
	v_cndmask_b32_e32 v25, v26, v25, vcc
	v_cndmask_b32_e32 v24, v18, v24, vcc
	v_mul_f64 v[29:30], v[20:21], v[24:25]
	v_mul_f64 v[26:27], v[22:23], v[24:25]
	v_fma_f64 v[20:21], v[20:21], v[24:25], -v[29:30]
	v_fma_f64 v[22:23], v[22:23], v[24:25], -v[26:27]
	v_add_f64 v[31:32], v[26:27], v[20:21]
	v_add_f64 v[48:49], v[31:32], -v[26:27]
	v_add_f64 v[33:34], v[29:30], v[31:32]
	v_add_f64 v[20:21], v[20:21], -v[48:49]
	v_add_f64 v[48:49], v[31:32], -v[48:49]
	v_ldexp_f64 v[35:36], v[33:34], -2
	v_add_f64 v[29:30], v[33:34], -v[29:30]
	v_add_f64 v[48:49], v[26:27], -v[48:49]
	v_trig_preop_f64 v[26:27], |v[18:19]|, 2
	v_fract_f64_e32 v[37:38], v[35:36]
	v_add_f64 v[29:30], v[31:32], -v[29:30]
	v_cmp_neq_f64_e64 vcc, |v[35:36]|, s[4:5]
	v_add_f64 v[20:21], v[20:21], v[48:49]
	v_mul_f64 v[48:49], v[26:27], v[24:25]
	v_add_f64 v[50:51], v[48:49], v[22:23]
	v_add_f64 v[52:53], v[50:51], v[20:21]
	v_add_f64 v[33:34], v[52:53], -v[50:51]
	v_add_f64 v[31:32], v[29:30], v[52:53]
	v_add_f64 v[20:21], v[20:21], -v[33:34]
	v_add_f64 v[33:34], v[52:53], -v[33:34]
	;; [unrolled: 1-line block ×5, first 2 shown]
	v_add_f64 v[20:21], v[20:21], v[33:34]
	v_add_f64 v[33:34], v[50:51], -v[48:49]
	v_add_f64 v[22:23], v[22:23], -v[33:34]
	;; [unrolled: 1-line block ×4, first 2 shown]
	v_add_f64 v[22:23], v[22:23], v[33:34]
	v_add_f64 v[20:21], v[22:23], v[20:21]
	v_fma_f64 v[22:23], v[26:27], v[24:25], -v[48:49]
	v_add_f64 v[20:21], v[22:23], v[20:21]
	v_ldexp_f64 v[22:23], v[37:38], 2
	v_add_f64 v[20:21], v[29:30], v[20:21]
	v_cndmask_b32_e32 v23, 0, v23, vcc
	v_cndmask_b32_e32 v22, 0, v22, vcc
	v_add_f64 v[24:25], v[31:32], v[22:23]
	v_cmp_gt_f64_e32 vcc, 0, v[24:25]
	v_mov_b32_e32 v24, 0x40100000
	v_mov_b32_e32 v25, 0
	v_cndmask_b32_e32 v26, 0, v24, vcc
	v_add_f64 v[22:23], v[22:23], v[25:26]
	v_add_f64 v[26:27], v[31:32], v[22:23]
	v_cvt_i32_f64_e32 v24, v[26:27]
	v_cvt_f64_i32_e32 v[26:27], v24
	v_add_f64 v[22:23], v[22:23], -v[26:27]
	v_add_f64 v[29:30], v[31:32], v[22:23]
	v_add_f64 v[22:23], v[29:30], -v[22:23]
	v_cmp_le_f64_e32 vcc, 0.5, v[29:30]
	v_add_f64 v[22:23], v[31:32], -v[22:23]
	v_addc_co_u32_e64 v24, s[4:5], 0, v24, vcc
	s_mov_b32 s4, 0x33145c07
	s_mov_b32 s5, 0x3c91a626
	v_add_f64 v[20:21], v[20:21], v[22:23]
	v_mov_b32_e32 v22, 0x3ff00000
	v_cndmask_b32_e32 v26, 0, v22, vcc
	v_add_f64 v[22:23], v[29:30], -v[25:26]
	v_add_f64 v[25:26], v[22:23], v[20:21]
	v_add_f64 v[22:23], v[25:26], -v[22:23]
	v_add_f64 v[20:21], v[20:21], -v[22:23]
	v_mul_f64 v[22:23], v[25:26], s[10:11]
	v_fma_f64 v[29:30], v[25:26], s[10:11], -v[22:23]
	v_fma_f64 v[25:26], v[25:26], s[4:5], v[29:30]
	v_fma_f64 v[25:26], v[20:21], s[10:11], v[25:26]
	v_add_f64 v[20:21], v[22:23], v[25:26]
	v_add_f64 v[22:23], v[20:21], -v[22:23]
	v_add_f64 v[22:23], v[25:26], -v[22:23]
.LBB41_15:
	s_andn2_saveexec_b64 s[4:5], s[12:13]
	s_cbranch_execz .LBB41_17
; %bb.16:
	s_mov_b32 s10, 0x6dc9c883
	s_mov_b32 s11, 0x3fe45f30
	v_mul_f64 v[20:21], |v[18:19]|, s[10:11]
	s_mov_b32 s10, 0x54442d18
	s_mov_b32 s11, 0xbff921fb
	;; [unrolled: 1-line block ×4, first 2 shown]
	v_rndne_f64_e32 v[24:25], v[20:21]
	v_fma_f64 v[20:21], v[24:25], s[10:11], |v[18:19]|
	v_mul_f64 v[22:23], v[24:25], s[12:13]
	s_mov_b32 s10, 0x252049c0
	s_mov_b32 s11, 0xb97b839a
	v_fma_f64 v[31:32], v[24:25], s[12:13], v[20:21]
	v_add_f64 v[26:27], v[20:21], v[22:23]
	s_mov_b32 s13, 0x3c91a626
	v_add_f64 v[29:30], v[20:21], -v[26:27]
	v_add_f64 v[26:27], v[26:27], -v[31:32]
	v_add_f64 v[20:21], v[29:30], v[22:23]
	v_fma_f64 v[22:23], v[24:25], s[12:13], v[22:23]
	v_add_f64 v[20:21], v[26:27], v[20:21]
	v_add_f64 v[20:21], v[20:21], -v[22:23]
	v_fma_f64 v[22:23], v[24:25], s[10:11], v[20:21]
	v_cvt_i32_f64_e32 v24, v[24:25]
	v_add_f64 v[20:21], v[31:32], v[22:23]
	v_add_f64 v[26:27], v[20:21], -v[31:32]
	v_add_f64 v[22:23], v[22:23], -v[26:27]
.LBB41_17:
	s_or_b64 exec, exec, s[4:5]
	v_mul_f64 v[25:26], v[20:21], v[20:21]
	s_mov_b32 s4, 0xf9a43bb8
	v_mov_b32_e32 v30, 0xb42fdfa7
	v_mov_b32_e32 v31, 0xbe5ae600
	s_mov_b32 s5, 0x3de5e0b2
	s_mov_b32 s10, 0x796cde01
	v_mov_b32_e32 v29, 0x9037ab78
	s_mov_b32 s11, 0x3ec71de3
	v_fma_f64 v[31:32], v[25:26], s[4:5], v[30:31]
	s_mov_b32 s4, 0x46cc5e42
	v_mov_b32_e32 v30, 0x3e21eeb6
	s_mov_b32 s5, 0xbda907db
	v_fma_f64 v[29:30], v[25:26], s[4:5], v[29:30]
	v_mul_f64 v[33:34], v[25:26], 0.5
	s_mov_b32 s4, 0xa17f65f6
	s_mov_b32 s12, 0x19e83e5c
	v_fma_f64 v[31:32], v[25:26], v[31:32], s[10:11]
	s_mov_b32 s5, 0xbe927e4f
	s_mov_b32 s13, 0xbf2a01a0
	;; [unrolled: 1-line block ×3, first 2 shown]
	v_fma_f64 v[29:30], v[25:26], v[29:30], s[4:5]
	v_add_f64 v[35:36], -v[33:34], 1.0
	s_mov_b32 s4, 0x11110bb3
	s_mov_b32 s11, 0x3efa01a0
	v_fma_f64 v[31:32], v[25:26], v[31:32], s[12:13]
	s_mov_b32 s5, 0x3f811111
	v_mul_f64 v[37:38], v[22:23], 0.5
	v_mul_f64 v[48:49], v[20:21], -v[25:26]
	v_fma_f64 v[29:30], v[25:26], v[29:30], s[10:11]
	v_add_f64 v[50:51], -v[35:36], 1.0
	v_add_f64 v[2:3], -v[2:3], 1.0
	v_fma_f64 v[31:32], v[25:26], v[31:32], s[4:5]
	s_mov_b32 s4, 0x16c16967
	s_mov_b32 s5, 0xbf56c16c
	v_fma_f64 v[29:30], v[25:26], v[29:30], s[4:5]
	v_add_f64 v[33:34], v[50:51], -v[33:34]
	s_mov_b32 s5, 0x3fa55555
	s_mov_b32 s4, 0x55555555
	v_fma_f64 v[31:32], v[48:49], v[31:32], v[37:38]
	v_mul_f64 v[37:38], v[25:26], v[25:26]
	v_fma_f64 v[29:30], v[25:26], v[29:30], s[4:5]
	v_fma_f64 v[33:34], v[20:21], -v[22:23], v[33:34]
	s_mov_b32 s5, 0xbfc55555
	v_fma_f64 v[22:23], v[25:26], v[31:32], -v[22:23]
	v_fma_f64 v[25:26], v[37:38], v[29:30], v[33:34]
	v_fma_f64 v[22:23], v[48:49], s[4:5], v[22:23]
	s_movk_i32 s4, 0x1f8
	v_cmp_class_f64_e64 s[4:5], v[18:19], s4
	v_lshlrev_b32_e32 v18, 30, v24
	v_xor_b32_e32 v18, v18, v19
	v_add_f64 v[25:26], v[35:36], v[25:26]
	v_and_b32_e32 v18, 0x80000000, v18
	v_add_f64 v[20:21], v[20:21], -v[22:23]
	v_and_b32_e32 v22, 1, v24
	v_cmp_eq_u32_e32 vcc, 0, v22
	v_mov_b32_e32 v22, 0x7ff80000
	v_cndmask_b32_e32 v19, v26, v21, vcc
	v_cndmask_b32_e32 v20, v25, v20, vcc
	v_xor_b32_e32 v19, v19, v18
	v_cndmask_b32_e64 v18, 0, v20, s[4:5]
	v_cndmask_b32_e64 v19, v22, v19, s[4:5]
	v_mul_f64 v[18:19], v[18:19], v[18:19]
	s_mov_b32 s4, 0xc9be45de
	s_mov_b32 s5, 0xc023bd3c
	v_div_scale_f64 v[20:21], s[10:11], v[18:19], v[18:19], s[4:5]
	v_rcp_f64_e32 v[22:23], v[20:21]
	v_fma_f64 v[24:25], -v[20:21], v[22:23], 1.0
	v_fma_f64 v[22:23], v[22:23], v[24:25], v[22:23]
	v_div_scale_f64 v[24:25], vcc, s[4:5], v[18:19], s[4:5]
	v_fma_f64 v[26:27], -v[20:21], v[22:23], 1.0
	v_fma_f64 v[22:23], v[22:23], v[26:27], v[22:23]
	v_mul_f64 v[26:27], v[24:25], v[22:23]
	v_fma_f64 v[20:21], -v[20:21], v[26:27], v[24:25]
	v_div_fmas_f64 v[20:21], v[20:21], v[22:23], v[26:27]
	v_div_fixup_f64 v[18:19], v[20:21], v[18:19], s[4:5]
	v_mov_b32_e32 v20, 0
	v_mov_b32_e32 v21, 0xbff00000
	v_add_f64 v[24:25], v[18:19], 0
.LBB41_18:
	s_or_b64 exec, exec, s[8:9]
	v_cmp_gt_f64_e32 vcc, 0.5, v[4:5]
	v_mov_b32_e32 v22, 0
	v_mov_b32_e32 v18, 0
	;; [unrolled: 1-line block ×4, first 2 shown]
	s_and_saveexec_b64 s[8:9], vcc
	s_cbranch_execz .LBB41_24
; %bb.19:
	s_mov_b32 s5, 0x400921fb
	s_mov_b32 s4, 0x54442d18
	v_mul_f64 v[18:19], v[4:5], s[4:5]
	s_mov_b32 s10, 0
	s_mov_b32 s11, 0x41d00000
                                        ; implicit-def: $vgpr29
                                        ; implicit-def: $vgpr22_vgpr23
                                        ; implicit-def: $vgpr26_vgpr27
	v_cmp_nlt_f64_e64 s[10:11], |v[18:19]|, s[10:11]
	s_and_saveexec_b64 s[12:13], s[10:11]
	s_xor_b64 s[10:11], exec, s[12:13]
	s_cbranch_execz .LBB41_21
; %bb.20:
	v_trig_preop_f64 v[22:23], |v[18:19]|, 0
	s_mov_b32 s12, 0
	s_mov_b32 s13, 0x7b000000
	s_movk_i32 s5, 0xff80
	v_ldexp_f64 v[26:27], |v[18:19]|, s5
	v_cmp_ge_f64_e64 vcc, |v[18:19]|, s[12:13]
	v_trig_preop_f64 v[29:30], |v[18:19]|, 1
	v_and_b32_e32 v31, 0x7fffffff, v19
	v_trig_preop_f64 v[37:38], |v[18:19]|, 2
	s_mov_b32 s12, 0
	s_mov_b32 s13, 0x7ff00000
	v_mov_b32_e32 v39, 0x40100000
	v_mov_b32_e32 v64, 0
	v_cndmask_b32_e32 v27, v31, v27, vcc
	v_cndmask_b32_e32 v26, v18, v26, vcc
	s_mov_b32 s5, 0x3ff921fb
	v_mul_f64 v[31:32], v[22:23], v[26:27]
	v_mul_f64 v[33:34], v[29:30], v[26:27]
	;; [unrolled: 1-line block ×3, first 2 shown]
	v_fma_f64 v[22:23], v[22:23], v[26:27], -v[31:32]
	v_fma_f64 v[29:30], v[29:30], v[26:27], -v[33:34]
	v_fma_f64 v[26:27], v[37:38], v[26:27], -v[52:53]
	v_add_f64 v[35:36], v[33:34], v[22:23]
	v_add_f64 v[48:49], v[35:36], -v[33:34]
	v_add_f64 v[54:55], v[31:32], v[35:36]
	v_add_f64 v[50:51], v[35:36], -v[48:49]
	v_add_f64 v[22:23], v[22:23], -v[48:49]
	v_add_f64 v[48:49], v[52:53], v[29:30]
	v_add_f64 v[31:32], v[54:55], -v[31:32]
	v_add_f64 v[33:34], v[33:34], -v[50:51]
	v_ldexp_f64 v[50:51], v[54:55], -2
	v_add_f64 v[31:32], v[35:36], -v[31:32]
	v_add_f64 v[22:23], v[22:23], v[33:34]
	v_fract_f64_e32 v[33:34], v[50:51]
	v_cmp_neq_f64_e64 vcc, |v[50:51]|, s[12:13]
	s_mov_b32 s12, 0x33145c07
	s_mov_b32 s13, 0x3c91a626
	v_add_f64 v[35:36], v[48:49], v[22:23]
	v_ldexp_f64 v[33:34], v[33:34], 2
	v_add_f64 v[50:51], v[31:32], v[35:36]
	v_cndmask_b32_e32 v34, 0, v34, vcc
	v_cndmask_b32_e32 v33, 0, v33, vcc
	v_add_f64 v[66:67], v[35:36], -v[48:49]
	v_add_f64 v[54:55], v[50:51], v[33:34]
	v_add_f64 v[31:32], v[50:51], -v[31:32]
	v_add_f64 v[70:71], v[35:36], -v[66:67]
	;; [unrolled: 1-line block ×3, first 2 shown]
	v_cmp_gt_f64_e32 vcc, 0, v[54:55]
	v_add_f64 v[54:55], v[48:49], -v[52:53]
	v_add_f64 v[31:32], v[35:36], -v[31:32]
	v_cndmask_b32_e32 v65, 0, v39, vcc
	v_add_f64 v[33:34], v[33:34], v[64:65]
	v_add_f64 v[68:69], v[48:49], -v[54:55]
	v_add_f64 v[29:30], v[29:30], -v[54:55]
	v_add_f64 v[48:49], v[48:49], -v[70:71]
	v_add_f64 v[80:81], v[50:51], v[33:34]
	v_add_f64 v[54:55], v[52:53], -v[68:69]
	v_add_f64 v[22:23], v[22:23], v[48:49]
	v_cvt_i32_f64_e32 v39, v[80:81]
	v_add_f64 v[29:30], v[29:30], v[54:55]
	v_cvt_f64_i32_e32 v[65:66], v39
	v_add_f64 v[33:34], v[33:34], -v[65:66]
	v_add_f64 v[22:23], v[29:30], v[22:23]
	v_add_f64 v[29:30], v[50:51], v[33:34]
	;; [unrolled: 1-line block ×3, first 2 shown]
	v_add_f64 v[26:27], v[29:30], -v[33:34]
	v_cmp_le_f64_e32 vcc, 0.5, v[29:30]
	v_add_f64 v[22:23], v[31:32], v[22:23]
	v_mov_b32_e32 v31, 0x3ff00000
	v_add_f64 v[26:27], v[50:51], -v[26:27]
	v_cndmask_b32_e32 v65, 0, v31, vcc
	v_add_f64 v[22:23], v[22:23], v[26:27]
	v_add_f64 v[26:27], v[29:30], -v[64:65]
	v_add_f64 v[29:30], v[26:27], v[22:23]
	v_mul_f64 v[31:32], v[29:30], s[4:5]
	v_add_f64 v[26:27], v[29:30], -v[26:27]
	v_fma_f64 v[33:34], v[29:30], s[4:5], -v[31:32]
	v_add_f64 v[22:23], v[22:23], -v[26:27]
	v_fma_f64 v[26:27], v[29:30], s[12:13], v[33:34]
	v_fma_f64 v[26:27], v[22:23], s[4:5], v[26:27]
	v_add_f64 v[22:23], v[31:32], v[26:27]
	v_add_f64 v[29:30], v[22:23], -v[31:32]
	v_add_f64 v[26:27], v[26:27], -v[29:30]
	v_addc_co_u32_e32 v29, vcc, 0, v39, vcc
.LBB41_21:
	s_andn2_saveexec_b64 s[4:5], s[10:11]
	s_cbranch_execz .LBB41_23
; %bb.22:
	s_mov_b32 s10, 0x6dc9c883
	s_mov_b32 s11, 0x3fe45f30
	v_mul_f64 v[22:23], |v[18:19]|, s[10:11]
	s_mov_b32 s10, 0x54442d18
	s_mov_b32 s11, 0xbff921fb
	;; [unrolled: 1-line block ×4, first 2 shown]
	v_rndne_f64_e32 v[29:30], v[22:23]
	v_fma_f64 v[22:23], v[29:30], s[10:11], |v[18:19]|
	v_mul_f64 v[26:27], v[29:30], s[12:13]
	s_mov_b32 s10, 0x252049c0
	s_mov_b32 s11, 0xb97b839a
	v_fma_f64 v[35:36], v[29:30], s[12:13], v[22:23]
	v_add_f64 v[31:32], v[22:23], v[26:27]
	s_mov_b32 s13, 0x3c91a626
	v_add_f64 v[33:34], v[22:23], -v[31:32]
	v_add_f64 v[31:32], v[31:32], -v[35:36]
	v_add_f64 v[22:23], v[33:34], v[26:27]
	v_fma_f64 v[26:27], v[29:30], s[12:13], v[26:27]
	v_add_f64 v[22:23], v[31:32], v[22:23]
	v_add_f64 v[22:23], v[22:23], -v[26:27]
	v_fma_f64 v[26:27], v[29:30], s[10:11], v[22:23]
	v_cvt_i32_f64_e32 v29, v[29:30]
	v_add_f64 v[22:23], v[35:36], v[26:27]
	v_add_f64 v[31:32], v[22:23], -v[35:36]
	v_add_f64 v[26:27], v[26:27], -v[31:32]
.LBB41_23:
	s_or_b64 exec, exec, s[4:5]
	v_mul_f64 v[30:31], v[22:23], v[22:23]
	s_mov_b32 s4, 0xf9a43bb8
	v_mov_b32_e32 v33, 0xb42fdfa7
	v_mov_b32_e32 v34, 0xbe5ae600
	s_mov_b32 s5, 0x3de5e0b2
	s_mov_b32 s10, 0x796cde01
	v_mov_b32_e32 v32, 0x9037ab78
	s_mov_b32 s11, 0x3ec71de3
	v_fma_f64 v[34:35], v[30:31], s[4:5], v[33:34]
	s_mov_b32 s4, 0x46cc5e42
	v_mov_b32_e32 v33, 0x3e21eeb6
	s_mov_b32 s5, 0xbda907db
	v_fma_f64 v[32:33], v[30:31], s[4:5], v[32:33]
	v_mul_f64 v[36:37], v[30:31], 0.5
	s_mov_b32 s4, 0xa17f65f6
	s_mov_b32 s12, 0x19e83e5c
	v_fma_f64 v[34:35], v[30:31], v[34:35], s[10:11]
	s_mov_b32 s5, 0xbe927e4f
	s_mov_b32 s13, 0xbf2a01a0
	;; [unrolled: 1-line block ×3, first 2 shown]
	v_fma_f64 v[32:33], v[30:31], v[32:33], s[4:5]
	v_add_f64 v[38:39], -v[36:37], 1.0
	s_mov_b32 s4, 0x11110bb3
	s_mov_b32 s11, 0x3efa01a0
	v_fma_f64 v[34:35], v[30:31], v[34:35], s[12:13]
	s_mov_b32 s5, 0x3f811111
	v_mul_f64 v[48:49], v[26:27], 0.5
	v_mul_f64 v[50:51], v[22:23], -v[30:31]
	v_fma_f64 v[32:33], v[30:31], v[32:33], s[10:11]
	v_add_f64 v[52:53], -v[38:39], 1.0
	v_add_f64 v[4:5], -v[4:5], 1.0
	v_fma_f64 v[34:35], v[30:31], v[34:35], s[4:5]
	s_mov_b32 s4, 0x16c16967
	s_mov_b32 s5, 0xbf56c16c
	v_fma_f64 v[32:33], v[30:31], v[32:33], s[4:5]
	v_add_f64 v[36:37], v[52:53], -v[36:37]
	s_mov_b32 s5, 0x3fa55555
	s_mov_b32 s4, 0x55555555
	v_fma_f64 v[34:35], v[50:51], v[34:35], v[48:49]
	v_mul_f64 v[48:49], v[30:31], v[30:31]
	v_fma_f64 v[32:33], v[30:31], v[32:33], s[4:5]
	v_fma_f64 v[36:37], v[22:23], -v[26:27], v[36:37]
	s_mov_b32 s5, 0xbfc55555
	v_fma_f64 v[26:27], v[30:31], v[34:35], -v[26:27]
	v_fma_f64 v[30:31], v[48:49], v[32:33], v[36:37]
	v_fma_f64 v[26:27], v[50:51], s[4:5], v[26:27]
	s_movk_i32 s4, 0x1f8
	v_cmp_class_f64_e64 s[4:5], v[18:19], s4
	v_lshlrev_b32_e32 v18, 30, v29
	v_xor_b32_e32 v18, v18, v19
	v_add_f64 v[30:31], v[38:39], v[30:31]
	v_and_b32_e32 v18, 0x80000000, v18
	v_add_f64 v[22:23], v[22:23], -v[26:27]
	v_and_b32_e32 v26, 1, v29
	v_cmp_eq_u32_e32 vcc, 0, v26
	v_mov_b32_e32 v26, 0x7ff80000
	v_cndmask_b32_e32 v19, v31, v23, vcc
	v_cndmask_b32_e32 v22, v30, v22, vcc
	v_xor_b32_e32 v19, v19, v18
	v_cndmask_b32_e64 v18, 0, v22, s[4:5]
	v_cndmask_b32_e64 v19, v26, v19, s[4:5]
	v_mul_f64 v[18:19], v[18:19], v[18:19]
	s_mov_b32 s4, 0xc9be45de
	s_mov_b32 s5, 0xc023bd3c
	v_div_scale_f64 v[22:23], s[10:11], v[18:19], v[18:19], s[4:5]
	v_rcp_f64_e32 v[26:27], v[22:23]
	v_fma_f64 v[29:30], -v[22:23], v[26:27], 1.0
	v_fma_f64 v[26:27], v[26:27], v[29:30], v[26:27]
	v_div_scale_f64 v[29:30], vcc, s[4:5], v[18:19], s[4:5]
	v_fma_f64 v[31:32], -v[22:23], v[26:27], 1.0
	v_fma_f64 v[26:27], v[26:27], v[31:32], v[26:27]
	v_mul_f64 v[31:32], v[29:30], v[26:27]
	v_fma_f64 v[22:23], -v[22:23], v[31:32], v[29:30]
	v_div_fmas_f64 v[22:23], v[22:23], v[26:27], v[31:32]
	v_div_fixup_f64 v[18:19], v[22:23], v[18:19], s[4:5]
	v_add_f64 v[22:23], v[18:19], 0
	v_mov_b32_e32 v18, 0
	v_mov_b32_e32 v19, 0xbff00000
.LBB41_24:
	s_or_b64 exec, exec, s[8:9]
	v_mul_f64 v[26:27], v[2:3], v[2:3]
	v_add_f64 v[2:3], v[2:3], 1.0
	s_mov_b32 s8, 0x11111111
	s_mov_b32 s9, 0x3fa11111
	v_div_scale_f64 v[29:30], s[4:5], v[26:27], v[26:27], 1.0
	v_rcp_f64_e32 v[31:32], v[29:30]
	v_fma_f64 v[33:34], -v[29:30], v[31:32], 1.0
	v_fma_f64 v[31:32], v[31:32], v[33:34], v[31:32]
	v_fma_f64 v[33:34], -v[29:30], v[31:32], 1.0
	v_fma_f64 v[31:32], v[31:32], v[33:34], v[31:32]
	v_div_scale_f64 v[33:34], vcc, 1.0, v[26:27], 1.0
	v_mul_f64 v[35:36], v[33:34], v[31:32]
	v_fma_f64 v[29:30], -v[29:30], v[35:36], v[33:34]
	s_nop 1
	v_div_fmas_f64 v[29:30], v[29:30], v[31:32], v[35:36]
	v_div_fixup_f64 v[26:27], v[29:30], v[26:27], 1.0
	v_add_f64 v[24:25], v[24:25], v[26:27]
	v_mul_f64 v[26:27], v[2:3], v[2:3]
	v_add_f64 v[2:3], v[2:3], 1.0
	v_div_scale_f64 v[29:30], s[4:5], v[26:27], v[26:27], 1.0
	v_rcp_f64_e32 v[31:32], v[29:30]
	v_fma_f64 v[33:34], -v[29:30], v[31:32], 1.0
	v_fma_f64 v[31:32], v[31:32], v[33:34], v[31:32]
	v_fma_f64 v[33:34], -v[29:30], v[31:32], 1.0
	v_fma_f64 v[31:32], v[31:32], v[33:34], v[31:32]
	v_div_scale_f64 v[33:34], vcc, 1.0, v[26:27], 1.0
	v_mul_f64 v[35:36], v[33:34], v[31:32]
	v_fma_f64 v[29:30], -v[29:30], v[35:36], v[33:34]
	s_nop 1
	v_div_fmas_f64 v[29:30], v[29:30], v[31:32], v[35:36]
	v_div_fixup_f64 v[26:27], v[29:30], v[26:27], 1.0
	v_add_f64 v[24:25], v[24:25], v[26:27]
	v_mul_f64 v[26:27], v[2:3], v[2:3]
	v_add_f64 v[2:3], v[2:3], 1.0
	;; [unrolled: 15-line block ×5, first 2 shown]
	v_div_scale_f64 v[29:30], s[4:5], v[26:27], v[26:27], 1.0
	v_rcp_f64_e32 v[31:32], v[29:30]
	v_fma_f64 v[33:34], -v[29:30], v[31:32], 1.0
	v_fma_f64 v[31:32], v[31:32], v[33:34], v[31:32]
	v_fma_f64 v[33:34], -v[29:30], v[31:32], 1.0
	v_fma_f64 v[31:32], v[31:32], v[33:34], v[31:32]
	v_div_scale_f64 v[33:34], vcc, 1.0, v[26:27], 1.0
	v_mul_f64 v[35:36], v[33:34], v[31:32]
	v_fma_f64 v[29:30], -v[29:30], v[35:36], v[33:34]
	s_nop 1
	v_div_fmas_f64 v[29:30], v[29:30], v[31:32], v[35:36]
	v_div_fixup_f64 v[26:27], v[29:30], v[26:27], 1.0
	v_add_f64 v[26:27], v[24:25], v[26:27]
	v_add_f64 v[24:25], v[2:3], v[2:3]
	v_div_scale_f64 v[29:30], s[4:5], v[24:25], v[24:25], 1.0
	v_rcp_f64_e32 v[31:32], v[29:30]
	v_fma_f64 v[33:34], -v[29:30], v[31:32], 1.0
	v_fma_f64 v[31:32], v[31:32], v[33:34], v[31:32]
	v_fma_f64 v[33:34], -v[29:30], v[31:32], 1.0
	v_fma_f64 v[31:32], v[31:32], v[33:34], v[31:32]
	v_div_scale_f64 v[33:34], vcc, 1.0, v[24:25], 1.0
	v_mul_f64 v[35:36], v[33:34], v[31:32]
	v_fma_f64 v[29:30], -v[29:30], v[35:36], v[33:34]
	s_nop 1
	v_div_fmas_f64 v[29:30], v[29:30], v[31:32], v[35:36]
	v_div_fixup_f64 v[24:25], v[29:30], v[24:25], 1.0
	v_add_f64 v[29:30], v[24:25], 1.0
	v_mul_f64 v[24:25], v[2:3], v[2:3]
	v_div_scale_f64 v[31:32], s[4:5], v[24:25], v[24:25], 1.0
	s_mov_b32 s4, 0x18618618
	s_mov_b32 s5, 0xbf986186
	v_rcp_f64_e32 v[33:34], v[31:32]
	v_fma_f64 v[35:36], -v[31:32], v[33:34], 1.0
	v_fma_f64 v[33:34], v[33:34], v[35:36], v[33:34]
	v_fma_f64 v[35:36], -v[31:32], v[33:34], 1.0
	v_fma_f64 v[33:34], v[33:34], v[35:36], v[33:34]
	v_div_scale_f64 v[35:36], vcc, 1.0, v[24:25], 1.0
	v_mul_f64 v[37:38], v[35:36], v[33:34]
	v_fma_f64 v[31:32], -v[31:32], v[37:38], v[35:36]
	s_nop 1
	v_div_fmas_f64 v[31:32], v[31:32], v[33:34], v[37:38]
	v_div_fixup_f64 v[31:32], v[31:32], v[24:25], 1.0
	v_mov_b32_e32 v25, s9
	v_mov_b32_e32 v24, s8
	s_mov_b32 s8, 0x55555555
	s_mov_b32 s9, 0x3fc55555
	v_fma_f64 v[33:34], v[31:32], s[4:5], v[24:25]
	v_fma_f64 v[33:34], -v[31:32], v[33:34], s[8:9]
	v_fma_f64 v[29:30], v[31:32], v[33:34], v[29:30]
	v_div_scale_f64 v[31:32], s[10:11], v[2:3], v[2:3], v[29:30]
	v_rcp_f64_e32 v[33:34], v[31:32]
	v_fma_f64 v[35:36], -v[31:32], v[33:34], 1.0
	v_fma_f64 v[33:34], v[33:34], v[35:36], v[33:34]
	v_fma_f64 v[35:36], -v[31:32], v[33:34], 1.0
	v_fma_f64 v[33:34], v[33:34], v[35:36], v[33:34]
	v_div_scale_f64 v[35:36], vcc, v[29:30], v[2:3], v[29:30]
	v_mul_f64 v[37:38], v[35:36], v[33:34]
	v_fma_f64 v[31:32], -v[31:32], v[37:38], v[35:36]
	s_nop 1
	v_div_fmas_f64 v[31:32], v[31:32], v[33:34], v[37:38]
	v_div_fixup_f64 v[2:3], v[31:32], v[2:3], v[29:30]
	v_add_f64 v[2:3], v[26:27], v[2:3]
	v_mul_f64 v[2:3], v[20:21], v[2:3]
	v_mul_f64 v[20:21], v[8:9], v[8:9]
	v_add_f64 v[8:9], v[8:9], 1.0
	v_div_scale_f64 v[26:27], s[10:11], v[20:21], v[20:21], 1.0
	v_rcp_f64_e32 v[29:30], v[26:27]
	v_fma_f64 v[31:32], -v[26:27], v[29:30], 1.0
	v_fma_f64 v[29:30], v[29:30], v[31:32], v[29:30]
	v_fma_f64 v[31:32], -v[26:27], v[29:30], 1.0
	v_fma_f64 v[29:30], v[29:30], v[31:32], v[29:30]
	v_div_scale_f64 v[31:32], vcc, 1.0, v[20:21], 1.0
	v_mul_f64 v[33:34], v[31:32], v[29:30]
	v_fma_f64 v[26:27], -v[26:27], v[33:34], v[31:32]
	s_nop 1
	v_div_fmas_f64 v[26:27], v[26:27], v[29:30], v[33:34]
	v_div_fixup_f64 v[20:21], v[26:27], v[20:21], 1.0
	v_add_f64 v[16:17], v[16:17], v[20:21]
	v_mul_f64 v[20:21], v[8:9], v[8:9]
	v_add_f64 v[8:9], v[8:9], 1.0
	v_div_scale_f64 v[26:27], s[10:11], v[20:21], v[20:21], 1.0
	v_rcp_f64_e32 v[29:30], v[26:27]
	v_fma_f64 v[31:32], -v[26:27], v[29:30], 1.0
	v_fma_f64 v[29:30], v[29:30], v[31:32], v[29:30]
	v_fma_f64 v[31:32], -v[26:27], v[29:30], 1.0
	v_fma_f64 v[29:30], v[29:30], v[31:32], v[29:30]
	v_div_scale_f64 v[31:32], vcc, 1.0, v[20:21], 1.0
	v_mul_f64 v[33:34], v[31:32], v[29:30]
	v_fma_f64 v[26:27], -v[26:27], v[33:34], v[31:32]
	s_nop 1
	v_div_fmas_f64 v[26:27], v[26:27], v[29:30], v[33:34]
	v_div_fixup_f64 v[20:21], v[26:27], v[20:21], 1.0
	v_add_f64 v[16:17], v[16:17], v[20:21]
	;; [unrolled: 15-line block ×6, first 2 shown]
	v_add_f64 v[20:21], v[8:9], v[8:9]
	v_div_scale_f64 v[26:27], s[10:11], v[20:21], v[20:21], 1.0
	v_rcp_f64_e32 v[29:30], v[26:27]
	v_fma_f64 v[31:32], -v[26:27], v[29:30], 1.0
	v_fma_f64 v[29:30], v[29:30], v[31:32], v[29:30]
	v_fma_f64 v[31:32], -v[26:27], v[29:30], 1.0
	v_fma_f64 v[29:30], v[29:30], v[31:32], v[29:30]
	v_div_scale_f64 v[31:32], vcc, 1.0, v[20:21], 1.0
	v_mul_f64 v[33:34], v[31:32], v[29:30]
	v_fma_f64 v[26:27], -v[26:27], v[33:34], v[31:32]
	s_nop 1
	v_div_fmas_f64 v[26:27], v[26:27], v[29:30], v[33:34]
	v_div_fixup_f64 v[20:21], v[26:27], v[20:21], 1.0
	v_mul_f64 v[26:27], v[8:9], v[8:9]
	v_add_f64 v[20:21], v[20:21], 1.0
	v_div_scale_f64 v[29:30], s[10:11], v[26:27], v[26:27], 1.0
	v_rcp_f64_e32 v[31:32], v[29:30]
	v_fma_f64 v[33:34], -v[29:30], v[31:32], 1.0
	v_fma_f64 v[31:32], v[31:32], v[33:34], v[31:32]
	v_fma_f64 v[33:34], -v[29:30], v[31:32], 1.0
	v_fma_f64 v[31:32], v[31:32], v[33:34], v[31:32]
	v_div_scale_f64 v[33:34], vcc, 1.0, v[26:27], 1.0
	v_mul_f64 v[35:36], v[33:34], v[31:32]
	v_fma_f64 v[29:30], -v[29:30], v[35:36], v[33:34]
	s_nop 1
	v_div_fmas_f64 v[29:30], v[29:30], v[31:32], v[35:36]
	v_div_fixup_f64 v[26:27], v[29:30], v[26:27], 1.0
	v_fma_f64 v[29:30], v[26:27], s[4:5], v[24:25]
	v_fma_f64 v[29:30], -v[26:27], v[29:30], s[8:9]
	v_fma_f64 v[20:21], v[26:27], v[29:30], v[20:21]
	v_div_scale_f64 v[26:27], s[10:11], v[8:9], v[8:9], v[20:21]
	v_rcp_f64_e32 v[29:30], v[26:27]
	v_fma_f64 v[31:32], -v[26:27], v[29:30], 1.0
	v_fma_f64 v[29:30], v[29:30], v[31:32], v[29:30]
	v_fma_f64 v[31:32], -v[26:27], v[29:30], 1.0
	v_fma_f64 v[29:30], v[29:30], v[31:32], v[29:30]
	v_div_scale_f64 v[31:32], vcc, v[20:21], v[8:9], v[20:21]
	v_mul_f64 v[33:34], v[31:32], v[29:30]
	v_fma_f64 v[26:27], -v[26:27], v[33:34], v[31:32]
	s_nop 1
	v_div_fmas_f64 v[26:27], v[26:27], v[29:30], v[33:34]
	v_div_fixup_f64 v[8:9], v[26:27], v[8:9], v[20:21]
	v_add_f64 v[8:9], v[16:17], v[8:9]
	v_mul_f64 v[8:9], v[14:15], v[8:9]
	v_mul_f64 v[14:15], v[6:7], v[6:7]
	v_add_f64 v[6:7], v[6:7], 1.0
	v_div_scale_f64 v[16:17], s[10:11], v[14:15], v[14:15], 1.0
	v_rcp_f64_e32 v[20:21], v[16:17]
	v_fma_f64 v[26:27], -v[16:17], v[20:21], 1.0
	v_fma_f64 v[20:21], v[20:21], v[26:27], v[20:21]
	v_fma_f64 v[26:27], -v[16:17], v[20:21], 1.0
	v_fma_f64 v[20:21], v[20:21], v[26:27], v[20:21]
	v_div_scale_f64 v[26:27], vcc, 1.0, v[14:15], 1.0
	v_mul_f64 v[29:30], v[26:27], v[20:21]
	v_fma_f64 v[16:17], -v[16:17], v[29:30], v[26:27]
	s_nop 1
	v_div_fmas_f64 v[16:17], v[16:17], v[20:21], v[29:30]
	v_div_fixup_f64 v[14:15], v[16:17], v[14:15], 1.0
	v_add_f64 v[12:13], v[12:13], v[14:15]
	v_mul_f64 v[14:15], v[6:7], v[6:7]
	v_add_f64 v[6:7], v[6:7], 1.0
	v_div_scale_f64 v[16:17], s[10:11], v[14:15], v[14:15], 1.0
	v_rcp_f64_e32 v[20:21], v[16:17]
	v_fma_f64 v[26:27], -v[16:17], v[20:21], 1.0
	v_fma_f64 v[20:21], v[20:21], v[26:27], v[20:21]
	v_fma_f64 v[26:27], -v[16:17], v[20:21], 1.0
	v_fma_f64 v[20:21], v[20:21], v[26:27], v[20:21]
	v_div_scale_f64 v[26:27], vcc, 1.0, v[14:15], 1.0
	v_mul_f64 v[29:30], v[26:27], v[20:21]
	v_fma_f64 v[16:17], -v[16:17], v[29:30], v[26:27]
	s_nop 1
	v_div_fmas_f64 v[16:17], v[16:17], v[20:21], v[29:30]
	v_div_fixup_f64 v[14:15], v[16:17], v[14:15], 1.0
	v_add_f64 v[12:13], v[12:13], v[14:15]
	;; [unrolled: 15-line block ×6, first 2 shown]
	v_add_f64 v[14:15], v[6:7], v[6:7]
	v_div_scale_f64 v[16:17], s[10:11], v[14:15], v[14:15], 1.0
	v_rcp_f64_e32 v[20:21], v[16:17]
	v_fma_f64 v[26:27], -v[16:17], v[20:21], 1.0
	v_fma_f64 v[20:21], v[20:21], v[26:27], v[20:21]
	v_fma_f64 v[26:27], -v[16:17], v[20:21], 1.0
	v_fma_f64 v[20:21], v[20:21], v[26:27], v[20:21]
	v_div_scale_f64 v[26:27], vcc, 1.0, v[14:15], 1.0
	v_mul_f64 v[29:30], v[26:27], v[20:21]
	v_fma_f64 v[16:17], -v[16:17], v[29:30], v[26:27]
	s_nop 1
	v_div_fmas_f64 v[16:17], v[16:17], v[20:21], v[29:30]
	v_div_fixup_f64 v[14:15], v[16:17], v[14:15], 1.0
	v_mul_f64 v[16:17], v[6:7], v[6:7]
	v_add_f64 v[14:15], v[14:15], 1.0
	v_div_scale_f64 v[20:21], s[10:11], v[16:17], v[16:17], 1.0
	v_rcp_f64_e32 v[26:27], v[20:21]
	v_fma_f64 v[29:30], -v[20:21], v[26:27], 1.0
	v_fma_f64 v[26:27], v[26:27], v[29:30], v[26:27]
	v_fma_f64 v[29:30], -v[20:21], v[26:27], 1.0
	v_fma_f64 v[26:27], v[26:27], v[29:30], v[26:27]
	v_div_scale_f64 v[29:30], vcc, 1.0, v[16:17], 1.0
	v_mul_f64 v[31:32], v[29:30], v[26:27]
	v_fma_f64 v[20:21], -v[20:21], v[31:32], v[29:30]
	s_nop 1
	v_div_fmas_f64 v[20:21], v[20:21], v[26:27], v[31:32]
	v_div_fixup_f64 v[16:17], v[20:21], v[16:17], 1.0
	v_fma_f64 v[20:21], v[16:17], s[4:5], v[24:25]
	v_fma_f64 v[20:21], -v[16:17], v[20:21], s[8:9]
	v_fma_f64 v[14:15], v[16:17], v[20:21], v[14:15]
	v_div_scale_f64 v[16:17], s[10:11], v[6:7], v[6:7], v[14:15]
	v_rcp_f64_e32 v[20:21], v[16:17]
	v_fma_f64 v[26:27], -v[16:17], v[20:21], 1.0
	v_fma_f64 v[20:21], v[20:21], v[26:27], v[20:21]
	v_fma_f64 v[26:27], -v[16:17], v[20:21], 1.0
	v_fma_f64 v[20:21], v[20:21], v[26:27], v[20:21]
	v_div_scale_f64 v[26:27], vcc, v[14:15], v[6:7], v[14:15]
	v_mul_f64 v[29:30], v[26:27], v[20:21]
	v_fma_f64 v[16:17], -v[16:17], v[29:30], v[26:27]
	s_nop 1
	v_div_fmas_f64 v[16:17], v[16:17], v[20:21], v[29:30]
	v_div_fixup_f64 v[6:7], v[16:17], v[6:7], v[14:15]
	v_add_f64 v[6:7], v[12:13], v[6:7]
	v_mul_f64 v[6:7], v[10:11], v[6:7]
	v_mul_f64 v[10:11], v[4:5], v[4:5]
	v_add_f64 v[4:5], v[4:5], 1.0
	v_div_scale_f64 v[12:13], s[10:11], v[10:11], v[10:11], 1.0
	v_rcp_f64_e32 v[14:15], v[12:13]
	v_fma_f64 v[16:17], -v[12:13], v[14:15], 1.0
	v_fma_f64 v[14:15], v[14:15], v[16:17], v[14:15]
	v_fma_f64 v[16:17], -v[12:13], v[14:15], 1.0
	v_fma_f64 v[14:15], v[14:15], v[16:17], v[14:15]
	v_div_scale_f64 v[16:17], vcc, 1.0, v[10:11], 1.0
	v_mul_f64 v[20:21], v[16:17], v[14:15]
	v_fma_f64 v[12:13], -v[12:13], v[20:21], v[16:17]
	s_nop 1
	v_div_fmas_f64 v[12:13], v[12:13], v[14:15], v[20:21]
	v_div_fixup_f64 v[10:11], v[12:13], v[10:11], 1.0
	v_mul_f64 v[12:13], v[4:5], v[4:5]
	v_add_f64 v[4:5], v[4:5], 1.0
	v_add_f64 v[10:11], v[22:23], v[10:11]
	v_div_scale_f64 v[14:15], s[10:11], v[12:13], v[12:13], 1.0
	v_rcp_f64_e32 v[16:17], v[14:15]
	v_fma_f64 v[20:21], -v[14:15], v[16:17], 1.0
	v_fma_f64 v[16:17], v[16:17], v[20:21], v[16:17]
	v_fma_f64 v[20:21], -v[14:15], v[16:17], 1.0
	v_fma_f64 v[16:17], v[16:17], v[20:21], v[16:17]
	v_div_scale_f64 v[20:21], vcc, 1.0, v[12:13], 1.0
	v_mul_f64 v[22:23], v[20:21], v[16:17]
	v_fma_f64 v[14:15], -v[14:15], v[22:23], v[20:21]
	s_nop 1
	v_div_fmas_f64 v[14:15], v[14:15], v[16:17], v[22:23]
	v_div_fixup_f64 v[12:13], v[14:15], v[12:13], 1.0
	v_add_f64 v[10:11], v[10:11], v[12:13]
	v_mul_f64 v[12:13], v[4:5], v[4:5]
	v_add_f64 v[4:5], v[4:5], 1.0
	v_div_scale_f64 v[14:15], s[10:11], v[12:13], v[12:13], 1.0
	v_rcp_f64_e32 v[16:17], v[14:15]
	v_fma_f64 v[20:21], -v[14:15], v[16:17], 1.0
	v_fma_f64 v[16:17], v[16:17], v[20:21], v[16:17]
	v_fma_f64 v[20:21], -v[14:15], v[16:17], 1.0
	v_fma_f64 v[16:17], v[16:17], v[20:21], v[16:17]
	v_div_scale_f64 v[20:21], vcc, 1.0, v[12:13], 1.0
	v_mul_f64 v[22:23], v[20:21], v[16:17]
	v_fma_f64 v[14:15], -v[14:15], v[22:23], v[20:21]
	s_nop 1
	v_div_fmas_f64 v[14:15], v[14:15], v[16:17], v[22:23]
	v_div_fixup_f64 v[12:13], v[14:15], v[12:13], 1.0
	v_add_f64 v[10:11], v[10:11], v[12:13]
	v_mul_f64 v[12:13], v[4:5], v[4:5]
	v_add_f64 v[4:5], v[4:5], 1.0
	;; [unrolled: 15-line block ×4, first 2 shown]
	v_div_scale_f64 v[14:15], s[10:11], v[12:13], v[12:13], 1.0
	v_rcp_f64_e32 v[16:17], v[14:15]
	v_fma_f64 v[20:21], -v[14:15], v[16:17], 1.0
	v_fma_f64 v[16:17], v[16:17], v[20:21], v[16:17]
	v_fma_f64 v[20:21], -v[14:15], v[16:17], 1.0
	v_fma_f64 v[16:17], v[16:17], v[20:21], v[16:17]
	v_div_scale_f64 v[20:21], vcc, 1.0, v[12:13], 1.0
	v_mul_f64 v[22:23], v[20:21], v[16:17]
	v_fma_f64 v[14:15], -v[14:15], v[22:23], v[20:21]
	s_nop 1
	v_div_fmas_f64 v[14:15], v[14:15], v[16:17], v[22:23]
	v_div_fixup_f64 v[12:13], v[14:15], v[12:13], 1.0
	v_add_f64 v[10:11], v[10:11], v[12:13]
	v_mul_f64 v[12:13], v[4:5], v[4:5]
	v_div_scale_f64 v[14:15], s[10:11], v[12:13], v[12:13], 1.0
	v_rcp_f64_e32 v[16:17], v[14:15]
	v_fma_f64 v[20:21], -v[14:15], v[16:17], 1.0
	v_fma_f64 v[16:17], v[16:17], v[20:21], v[16:17]
	v_fma_f64 v[20:21], -v[14:15], v[16:17], 1.0
	v_fma_f64 v[16:17], v[16:17], v[20:21], v[16:17]
	v_div_scale_f64 v[20:21], vcc, 1.0, v[12:13], 1.0
	v_mul_f64 v[22:23], v[20:21], v[16:17]
	v_fma_f64 v[14:15], -v[14:15], v[22:23], v[20:21]
	s_nop 1
	v_div_fmas_f64 v[14:15], v[14:15], v[16:17], v[22:23]
	v_div_fixup_f64 v[12:13], v[14:15], v[12:13], 1.0
	v_add_f64 v[14:15], v[4:5], v[4:5]
	v_div_scale_f64 v[16:17], s[10:11], v[14:15], v[14:15], 1.0
	v_rcp_f64_e32 v[20:21], v[16:17]
	v_fma_f64 v[22:23], -v[16:17], v[20:21], 1.0
	v_fma_f64 v[20:21], v[20:21], v[22:23], v[20:21]
	v_fma_f64 v[22:23], -v[16:17], v[20:21], 1.0
	v_fma_f64 v[20:21], v[20:21], v[22:23], v[20:21]
	v_div_scale_f64 v[22:23], vcc, 1.0, v[14:15], 1.0
	v_mul_f64 v[26:27], v[22:23], v[20:21]
	v_fma_f64 v[16:17], -v[16:17], v[26:27], v[22:23]
	s_nop 1
	v_div_fmas_f64 v[16:17], v[16:17], v[20:21], v[26:27]
	v_div_fixup_f64 v[14:15], v[16:17], v[14:15], 1.0
	v_fma_f64 v[16:17], v[12:13], s[4:5], v[24:25]
	v_add_f64 v[14:15], v[14:15], 1.0
	v_fma_f64 v[16:17], -v[12:13], v[16:17], s[8:9]
	v_fma_f64 v[12:13], v[12:13], v[16:17], v[14:15]
	v_div_scale_f64 v[14:15], s[4:5], v[4:5], v[4:5], v[12:13]
	v_rcp_f64_e32 v[16:17], v[14:15]
	v_fma_f64 v[20:21], -v[14:15], v[16:17], 1.0
	v_fma_f64 v[16:17], v[16:17], v[20:21], v[16:17]
	v_fma_f64 v[20:21], -v[14:15], v[16:17], 1.0
	v_fma_f64 v[16:17], v[16:17], v[20:21], v[16:17]
	v_div_scale_f64 v[20:21], vcc, v[12:13], v[4:5], v[12:13]
	v_mul_f64 v[22:23], v[20:21], v[16:17]
	v_fma_f64 v[14:15], -v[14:15], v[22:23], v[20:21]
	s_nop 1
	v_div_fmas_f64 v[14:15], v[14:15], v[16:17], v[22:23]
	v_add_co_u32_e32 v0, vcc, s6, v0
	v_div_fixup_f64 v[4:5], v[14:15], v[4:5], v[12:13]
	v_add_f64 v[4:5], v[10:11], v[4:5]
	v_mov_b32_e32 v10, s7
	v_addc_co_u32_e32 v1, vcc, v1, v10, vcc
	v_add_co_u32_e32 v0, vcc, v0, v28
	v_addc_co_u32_e32 v1, vcc, 0, v1, vcc
	v_mul_f64 v[4:5], v[18:19], v[4:5]
	flat_store_dwordx4 v[0:1], v[6:9]
	flat_store_dwordx4 v[0:1], v[2:5] offset:16
	s_waitcnt vmcnt(0) lgkmcnt(0)
	s_setpc_b64 s[30:31]
.Lfunc_end41:
	.size	_ZN2at6native25elementwise_kernel_helperILb0EZZZNS0_20trigamma_kernel_cudaERNS_18TensorIteratorBaseEENKUlvE_clEvENKUlvE_clEvEUldE_NS0_6memory8policies10vectorizedILi4ESt5arrayIPcLm2EELi4EEEEEvT0_T1_, .Lfunc_end41-_ZN2at6native25elementwise_kernel_helperILb0EZZZNS0_20trigamma_kernel_cudaERNS_18TensorIteratorBaseEENKUlvE_clEvENKUlvE_clEvEUldE_NS0_6memory8policies10vectorizedILi4ESt5arrayIPcLm2EELi4EEEEEvT0_T1_
                                        ; -- End function
	.set .L_ZN2at6native25elementwise_kernel_helperILb0EZZZNS0_20trigamma_kernel_cudaERNS_18TensorIteratorBaseEENKUlvE_clEvENKUlvE_clEvEUldE_NS0_6memory8policies10vectorizedILi4ESt5arrayIPcLm2EELi4EEEEEvT0_T1_.num_vgpr, 82
	.set .L_ZN2at6native25elementwise_kernel_helperILb0EZZZNS0_20trigamma_kernel_cudaERNS_18TensorIteratorBaseEENKUlvE_clEvENKUlvE_clEvEUldE_NS0_6memory8policies10vectorizedILi4ESt5arrayIPcLm2EELi4EEEEEvT0_T1_.num_agpr, 0
	.set .L_ZN2at6native25elementwise_kernel_helperILb0EZZZNS0_20trigamma_kernel_cudaERNS_18TensorIteratorBaseEENKUlvE_clEvENKUlvE_clEvEUldE_NS0_6memory8policies10vectorizedILi4ESt5arrayIPcLm2EELi4EEEEEvT0_T1_.numbered_sgpr, 32
	.set .L_ZN2at6native25elementwise_kernel_helperILb0EZZZNS0_20trigamma_kernel_cudaERNS_18TensorIteratorBaseEENKUlvE_clEvENKUlvE_clEvEUldE_NS0_6memory8policies10vectorizedILi4ESt5arrayIPcLm2EELi4EEEEEvT0_T1_.num_named_barrier, 0
	.set .L_ZN2at6native25elementwise_kernel_helperILb0EZZZNS0_20trigamma_kernel_cudaERNS_18TensorIteratorBaseEENKUlvE_clEvENKUlvE_clEvEUldE_NS0_6memory8policies10vectorizedILi4ESt5arrayIPcLm2EELi4EEEEEvT0_T1_.private_seg_size, 0
	.set .L_ZN2at6native25elementwise_kernel_helperILb0EZZZNS0_20trigamma_kernel_cudaERNS_18TensorIteratorBaseEENKUlvE_clEvENKUlvE_clEvEUldE_NS0_6memory8policies10vectorizedILi4ESt5arrayIPcLm2EELi4EEEEEvT0_T1_.uses_vcc, 1
	.set .L_ZN2at6native25elementwise_kernel_helperILb0EZZZNS0_20trigamma_kernel_cudaERNS_18TensorIteratorBaseEENKUlvE_clEvENKUlvE_clEvEUldE_NS0_6memory8policies10vectorizedILi4ESt5arrayIPcLm2EELi4EEEEEvT0_T1_.uses_flat_scratch, 0
	.set .L_ZN2at6native25elementwise_kernel_helperILb0EZZZNS0_20trigamma_kernel_cudaERNS_18TensorIteratorBaseEENKUlvE_clEvENKUlvE_clEvEUldE_NS0_6memory8policies10vectorizedILi4ESt5arrayIPcLm2EELi4EEEEEvT0_T1_.has_dyn_sized_stack, 0
	.set .L_ZN2at6native25elementwise_kernel_helperILb0EZZZNS0_20trigamma_kernel_cudaERNS_18TensorIteratorBaseEENKUlvE_clEvENKUlvE_clEvEUldE_NS0_6memory8policies10vectorizedILi4ESt5arrayIPcLm2EELi4EEEEEvT0_T1_.has_recursion, 0
	.set .L_ZN2at6native25elementwise_kernel_helperILb0EZZZNS0_20trigamma_kernel_cudaERNS_18TensorIteratorBaseEENKUlvE_clEvENKUlvE_clEvEUldE_NS0_6memory8policies10vectorizedILi4ESt5arrayIPcLm2EELi4EEEEEvT0_T1_.has_indirect_call, 0
	.section	.AMDGPU.csdata,"",@progbits
; Function info:
; codeLenInByte = 10164
; TotalNumSgprs: 36
; NumVgprs: 82
; ScratchSize: 0
; MemoryBound: 0
	.section	.text._ZN2at6native29vectorized_elementwise_kernelILi16EZZZNS0_20trigamma_kernel_cudaERNS_18TensorIteratorBaseEENKUlvE_clEvENKUlvE_clEvEUldE_St5arrayIPcLm2EEEEviT0_T1_,"axG",@progbits,_ZN2at6native29vectorized_elementwise_kernelILi16EZZZNS0_20trigamma_kernel_cudaERNS_18TensorIteratorBaseEENKUlvE_clEvENKUlvE_clEvEUldE_St5arrayIPcLm2EEEEviT0_T1_,comdat
	.globl	_ZN2at6native29vectorized_elementwise_kernelILi16EZZZNS0_20trigamma_kernel_cudaERNS_18TensorIteratorBaseEENKUlvE_clEvENKUlvE_clEvEUldE_St5arrayIPcLm2EEEEviT0_T1_ ; -- Begin function _ZN2at6native29vectorized_elementwise_kernelILi16EZZZNS0_20trigamma_kernel_cudaERNS_18TensorIteratorBaseEENKUlvE_clEvENKUlvE_clEvEUldE_St5arrayIPcLm2EEEEviT0_T1_
	.p2align	8
	.type	_ZN2at6native29vectorized_elementwise_kernelILi16EZZZNS0_20trigamma_kernel_cudaERNS_18TensorIteratorBaseEENKUlvE_clEvENKUlvE_clEvEUldE_St5arrayIPcLm2EEEEviT0_T1_,@function
_ZN2at6native29vectorized_elementwise_kernelILi16EZZZNS0_20trigamma_kernel_cudaERNS_18TensorIteratorBaseEENKUlvE_clEvENKUlvE_clEvEUldE_St5arrayIPcLm2EEEEviT0_T1_: ; @_ZN2at6native29vectorized_elementwise_kernelILi16EZZZNS0_20trigamma_kernel_cudaERNS_18TensorIteratorBaseEENKUlvE_clEvENKUlvE_clEvEUldE_St5arrayIPcLm2EEEEviT0_T1_
; %bb.0:
	s_mov_b32 s14, s6
	s_load_dword s6, s[4:5], 0x0
	s_load_dwordx4 s[16:19], s[4:5], 0x8
	s_add_u32 s0, s0, s7
	s_addc_u32 s1, s1, 0
	s_lshl_b32 s4, s14, 10
	s_waitcnt lgkmcnt(0)
	s_sub_i32 s15, s6, s4
	v_mov_b32_e32 v40, v0
	s_cmpk_gt_i32 s15, 0x3ff
	s_mov_b64 s[4:5], -1
	s_mov_b32 s32, 0
	s_cbranch_scc1 .LBB42_3
; %bb.1:
	s_andn2_b64 vcc, exec, s[4:5]
	s_cbranch_vccz .LBB42_4
.LBB42_2:
	s_endpgm
.LBB42_3:
	s_getpc_b64 s[4:5]
	s_add_u32 s4, s4, _ZN2at6native25elementwise_kernel_helperILb0EZZZNS0_20trigamma_kernel_cudaERNS_18TensorIteratorBaseEENKUlvE_clEvENKUlvE_clEvEUldE_NS0_6memory8policies10vectorizedILi4ESt5arrayIPcLm2EELi4EEEEEvT0_T1_@rel32@lo+4
	s_addc_u32 s5, s5, _ZN2at6native25elementwise_kernel_helperILb0EZZZNS0_20trigamma_kernel_cudaERNS_18TensorIteratorBaseEENKUlvE_clEvENKUlvE_clEvEUldE_NS0_6memory8policies10vectorizedILi4ESt5arrayIPcLm2EELi4EEEEEvT0_T1_@rel32@hi+12
	s_mov_b32 s12, s14
	v_mov_b32_e32 v31, v40
	v_mov_b32_e32 v0, s16
	;; [unrolled: 1-line block ×5, first 2 shown]
	s_swappc_b64 s[30:31], s[4:5]
	s_cbranch_execnz .LBB42_2
.LBB42_4:
	s_getpc_b64 s[4:5]
	s_add_u32 s4, s4, _ZN2at6native25elementwise_kernel_helperILb0EZZZNS0_20trigamma_kernel_cudaERNS_18TensorIteratorBaseEENKUlvE_clEvENKUlvE_clEvEUldE_NS0_6memory8policies11unroll_baseILi256ESt5arrayIPcLm2EE23TrivialOffsetCalculatorILi1EjESE_NS7_15LoadWithoutCastENS7_16StoreWithoutCastELi4ELi1EEEEEvT0_T1_@rel32@lo+4
	s_addc_u32 s5, s5, _ZN2at6native25elementwise_kernel_helperILb0EZZZNS0_20trigamma_kernel_cudaERNS_18TensorIteratorBaseEENKUlvE_clEvENKUlvE_clEvEUldE_NS0_6memory8policies11unroll_baseILi256ESt5arrayIPcLm2EE23TrivialOffsetCalculatorILi1EjESE_NS7_15LoadWithoutCastENS7_16StoreWithoutCastELi4ELi1EEEEEvT0_T1_@rel32@hi+12
	s_mov_b32 s12, s14
	v_mov_b32_e32 v31, v40
	v_mov_b32_e32 v0, s16
	v_mov_b32_e32 v1, s17
	v_mov_b32_e32 v2, s18
	v_mov_b32_e32 v3, s19
	v_mov_b32_e32 v4, s15
	s_swappc_b64 s[30:31], s[4:5]
	s_endpgm
	.section	.rodata,"a",@progbits
	.p2align	6, 0x0
	.amdhsa_kernel _ZN2at6native29vectorized_elementwise_kernelILi16EZZZNS0_20trigamma_kernel_cudaERNS_18TensorIteratorBaseEENKUlvE_clEvENKUlvE_clEvEUldE_St5arrayIPcLm2EEEEviT0_T1_
		.amdhsa_group_segment_fixed_size 0
		.amdhsa_private_segment_fixed_size 0
		.amdhsa_kernarg_size 24
		.amdhsa_user_sgpr_count 6
		.amdhsa_user_sgpr_private_segment_buffer 1
		.amdhsa_user_sgpr_dispatch_ptr 0
		.amdhsa_user_sgpr_queue_ptr 0
		.amdhsa_user_sgpr_kernarg_segment_ptr 1
		.amdhsa_user_sgpr_dispatch_id 0
		.amdhsa_user_sgpr_flat_scratch_init 0
		.amdhsa_user_sgpr_private_segment_size 0
		.amdhsa_uses_dynamic_stack 0
		.amdhsa_system_sgpr_private_segment_wavefront_offset 0
		.amdhsa_system_sgpr_workgroup_id_x 1
		.amdhsa_system_sgpr_workgroup_id_y 0
		.amdhsa_system_sgpr_workgroup_id_z 0
		.amdhsa_system_sgpr_workgroup_info 0
		.amdhsa_system_vgpr_workitem_id 0
		.amdhsa_next_free_vgpr 82
		.amdhsa_next_free_sgpr 33
		.amdhsa_reserve_vcc 1
		.amdhsa_reserve_flat_scratch 0
		.amdhsa_float_round_mode_32 0
		.amdhsa_float_round_mode_16_64 0
		.amdhsa_float_denorm_mode_32 3
		.amdhsa_float_denorm_mode_16_64 3
		.amdhsa_dx10_clamp 1
		.amdhsa_ieee_mode 1
		.amdhsa_fp16_overflow 0
		.amdhsa_exception_fp_ieee_invalid_op 0
		.amdhsa_exception_fp_denorm_src 0
		.amdhsa_exception_fp_ieee_div_zero 0
		.amdhsa_exception_fp_ieee_overflow 0
		.amdhsa_exception_fp_ieee_underflow 0
		.amdhsa_exception_fp_ieee_inexact 0
		.amdhsa_exception_int_div_zero 0
	.end_amdhsa_kernel
	.section	.text._ZN2at6native29vectorized_elementwise_kernelILi16EZZZNS0_20trigamma_kernel_cudaERNS_18TensorIteratorBaseEENKUlvE_clEvENKUlvE_clEvEUldE_St5arrayIPcLm2EEEEviT0_T1_,"axG",@progbits,_ZN2at6native29vectorized_elementwise_kernelILi16EZZZNS0_20trigamma_kernel_cudaERNS_18TensorIteratorBaseEENKUlvE_clEvENKUlvE_clEvEUldE_St5arrayIPcLm2EEEEviT0_T1_,comdat
.Lfunc_end42:
	.size	_ZN2at6native29vectorized_elementwise_kernelILi16EZZZNS0_20trigamma_kernel_cudaERNS_18TensorIteratorBaseEENKUlvE_clEvENKUlvE_clEvEUldE_St5arrayIPcLm2EEEEviT0_T1_, .Lfunc_end42-_ZN2at6native29vectorized_elementwise_kernelILi16EZZZNS0_20trigamma_kernel_cudaERNS_18TensorIteratorBaseEENKUlvE_clEvENKUlvE_clEvEUldE_St5arrayIPcLm2EEEEviT0_T1_
                                        ; -- End function
	.set _ZN2at6native29vectorized_elementwise_kernelILi16EZZZNS0_20trigamma_kernel_cudaERNS_18TensorIteratorBaseEENKUlvE_clEvENKUlvE_clEvEUldE_St5arrayIPcLm2EEEEviT0_T1_.num_vgpr, max(41, .L_ZN2at6native25elementwise_kernel_helperILb0EZZZNS0_20trigamma_kernel_cudaERNS_18TensorIteratorBaseEENKUlvE_clEvENKUlvE_clEvEUldE_NS0_6memory8policies10vectorizedILi4ESt5arrayIPcLm2EELi4EEEEEvT0_T1_.num_vgpr, .L_ZN2at6native25elementwise_kernel_helperILb0EZZZNS0_20trigamma_kernel_cudaERNS_18TensorIteratorBaseEENKUlvE_clEvENKUlvE_clEvEUldE_NS0_6memory8policies11unroll_baseILi256ESt5arrayIPcLm2EE23TrivialOffsetCalculatorILi1EjESE_NS7_15LoadWithoutCastENS7_16StoreWithoutCastELi4ELi1EEEEEvT0_T1_.num_vgpr)
	.set _ZN2at6native29vectorized_elementwise_kernelILi16EZZZNS0_20trigamma_kernel_cudaERNS_18TensorIteratorBaseEENKUlvE_clEvENKUlvE_clEvEUldE_St5arrayIPcLm2EEEEviT0_T1_.num_agpr, max(0, .L_ZN2at6native25elementwise_kernel_helperILb0EZZZNS0_20trigamma_kernel_cudaERNS_18TensorIteratorBaseEENKUlvE_clEvENKUlvE_clEvEUldE_NS0_6memory8policies10vectorizedILi4ESt5arrayIPcLm2EELi4EEEEEvT0_T1_.num_agpr, .L_ZN2at6native25elementwise_kernel_helperILb0EZZZNS0_20trigamma_kernel_cudaERNS_18TensorIteratorBaseEENKUlvE_clEvENKUlvE_clEvEUldE_NS0_6memory8policies11unroll_baseILi256ESt5arrayIPcLm2EE23TrivialOffsetCalculatorILi1EjESE_NS7_15LoadWithoutCastENS7_16StoreWithoutCastELi4ELi1EEEEEvT0_T1_.num_agpr)
	.set _ZN2at6native29vectorized_elementwise_kernelILi16EZZZNS0_20trigamma_kernel_cudaERNS_18TensorIteratorBaseEENKUlvE_clEvENKUlvE_clEvEUldE_St5arrayIPcLm2EEEEviT0_T1_.numbered_sgpr, max(33, .L_ZN2at6native25elementwise_kernel_helperILb0EZZZNS0_20trigamma_kernel_cudaERNS_18TensorIteratorBaseEENKUlvE_clEvENKUlvE_clEvEUldE_NS0_6memory8policies10vectorizedILi4ESt5arrayIPcLm2EELi4EEEEEvT0_T1_.numbered_sgpr, .L_ZN2at6native25elementwise_kernel_helperILb0EZZZNS0_20trigamma_kernel_cudaERNS_18TensorIteratorBaseEENKUlvE_clEvENKUlvE_clEvEUldE_NS0_6memory8policies11unroll_baseILi256ESt5arrayIPcLm2EE23TrivialOffsetCalculatorILi1EjESE_NS7_15LoadWithoutCastENS7_16StoreWithoutCastELi4ELi1EEEEEvT0_T1_.numbered_sgpr)
	.set _ZN2at6native29vectorized_elementwise_kernelILi16EZZZNS0_20trigamma_kernel_cudaERNS_18TensorIteratorBaseEENKUlvE_clEvENKUlvE_clEvEUldE_St5arrayIPcLm2EEEEviT0_T1_.num_named_barrier, max(0, .L_ZN2at6native25elementwise_kernel_helperILb0EZZZNS0_20trigamma_kernel_cudaERNS_18TensorIteratorBaseEENKUlvE_clEvENKUlvE_clEvEUldE_NS0_6memory8policies10vectorizedILi4ESt5arrayIPcLm2EELi4EEEEEvT0_T1_.num_named_barrier, .L_ZN2at6native25elementwise_kernel_helperILb0EZZZNS0_20trigamma_kernel_cudaERNS_18TensorIteratorBaseEENKUlvE_clEvENKUlvE_clEvEUldE_NS0_6memory8policies11unroll_baseILi256ESt5arrayIPcLm2EE23TrivialOffsetCalculatorILi1EjESE_NS7_15LoadWithoutCastENS7_16StoreWithoutCastELi4ELi1EEEEEvT0_T1_.num_named_barrier)
	.set _ZN2at6native29vectorized_elementwise_kernelILi16EZZZNS0_20trigamma_kernel_cudaERNS_18TensorIteratorBaseEENKUlvE_clEvENKUlvE_clEvEUldE_St5arrayIPcLm2EEEEviT0_T1_.private_seg_size, 0+max(.L_ZN2at6native25elementwise_kernel_helperILb0EZZZNS0_20trigamma_kernel_cudaERNS_18TensorIteratorBaseEENKUlvE_clEvENKUlvE_clEvEUldE_NS0_6memory8policies10vectorizedILi4ESt5arrayIPcLm2EELi4EEEEEvT0_T1_.private_seg_size, .L_ZN2at6native25elementwise_kernel_helperILb0EZZZNS0_20trigamma_kernel_cudaERNS_18TensorIteratorBaseEENKUlvE_clEvENKUlvE_clEvEUldE_NS0_6memory8policies11unroll_baseILi256ESt5arrayIPcLm2EE23TrivialOffsetCalculatorILi1EjESE_NS7_15LoadWithoutCastENS7_16StoreWithoutCastELi4ELi1EEEEEvT0_T1_.private_seg_size)
	.set _ZN2at6native29vectorized_elementwise_kernelILi16EZZZNS0_20trigamma_kernel_cudaERNS_18TensorIteratorBaseEENKUlvE_clEvENKUlvE_clEvEUldE_St5arrayIPcLm2EEEEviT0_T1_.uses_vcc, or(1, .L_ZN2at6native25elementwise_kernel_helperILb0EZZZNS0_20trigamma_kernel_cudaERNS_18TensorIteratorBaseEENKUlvE_clEvENKUlvE_clEvEUldE_NS0_6memory8policies10vectorizedILi4ESt5arrayIPcLm2EELi4EEEEEvT0_T1_.uses_vcc, .L_ZN2at6native25elementwise_kernel_helperILb0EZZZNS0_20trigamma_kernel_cudaERNS_18TensorIteratorBaseEENKUlvE_clEvENKUlvE_clEvEUldE_NS0_6memory8policies11unroll_baseILi256ESt5arrayIPcLm2EE23TrivialOffsetCalculatorILi1EjESE_NS7_15LoadWithoutCastENS7_16StoreWithoutCastELi4ELi1EEEEEvT0_T1_.uses_vcc)
	.set _ZN2at6native29vectorized_elementwise_kernelILi16EZZZNS0_20trigamma_kernel_cudaERNS_18TensorIteratorBaseEENKUlvE_clEvENKUlvE_clEvEUldE_St5arrayIPcLm2EEEEviT0_T1_.uses_flat_scratch, or(0, .L_ZN2at6native25elementwise_kernel_helperILb0EZZZNS0_20trigamma_kernel_cudaERNS_18TensorIteratorBaseEENKUlvE_clEvENKUlvE_clEvEUldE_NS0_6memory8policies10vectorizedILi4ESt5arrayIPcLm2EELi4EEEEEvT0_T1_.uses_flat_scratch, .L_ZN2at6native25elementwise_kernel_helperILb0EZZZNS0_20trigamma_kernel_cudaERNS_18TensorIteratorBaseEENKUlvE_clEvENKUlvE_clEvEUldE_NS0_6memory8policies11unroll_baseILi256ESt5arrayIPcLm2EE23TrivialOffsetCalculatorILi1EjESE_NS7_15LoadWithoutCastENS7_16StoreWithoutCastELi4ELi1EEEEEvT0_T1_.uses_flat_scratch)
	.set _ZN2at6native29vectorized_elementwise_kernelILi16EZZZNS0_20trigamma_kernel_cudaERNS_18TensorIteratorBaseEENKUlvE_clEvENKUlvE_clEvEUldE_St5arrayIPcLm2EEEEviT0_T1_.has_dyn_sized_stack, or(0, .L_ZN2at6native25elementwise_kernel_helperILb0EZZZNS0_20trigamma_kernel_cudaERNS_18TensorIteratorBaseEENKUlvE_clEvENKUlvE_clEvEUldE_NS0_6memory8policies10vectorizedILi4ESt5arrayIPcLm2EELi4EEEEEvT0_T1_.has_dyn_sized_stack, .L_ZN2at6native25elementwise_kernel_helperILb0EZZZNS0_20trigamma_kernel_cudaERNS_18TensorIteratorBaseEENKUlvE_clEvENKUlvE_clEvEUldE_NS0_6memory8policies11unroll_baseILi256ESt5arrayIPcLm2EE23TrivialOffsetCalculatorILi1EjESE_NS7_15LoadWithoutCastENS7_16StoreWithoutCastELi4ELi1EEEEEvT0_T1_.has_dyn_sized_stack)
	.set _ZN2at6native29vectorized_elementwise_kernelILi16EZZZNS0_20trigamma_kernel_cudaERNS_18TensorIteratorBaseEENKUlvE_clEvENKUlvE_clEvEUldE_St5arrayIPcLm2EEEEviT0_T1_.has_recursion, or(0, .L_ZN2at6native25elementwise_kernel_helperILb0EZZZNS0_20trigamma_kernel_cudaERNS_18TensorIteratorBaseEENKUlvE_clEvENKUlvE_clEvEUldE_NS0_6memory8policies10vectorizedILi4ESt5arrayIPcLm2EELi4EEEEEvT0_T1_.has_recursion, .L_ZN2at6native25elementwise_kernel_helperILb0EZZZNS0_20trigamma_kernel_cudaERNS_18TensorIteratorBaseEENKUlvE_clEvENKUlvE_clEvEUldE_NS0_6memory8policies11unroll_baseILi256ESt5arrayIPcLm2EE23TrivialOffsetCalculatorILi1EjESE_NS7_15LoadWithoutCastENS7_16StoreWithoutCastELi4ELi1EEEEEvT0_T1_.has_recursion)
	.set _ZN2at6native29vectorized_elementwise_kernelILi16EZZZNS0_20trigamma_kernel_cudaERNS_18TensorIteratorBaseEENKUlvE_clEvENKUlvE_clEvEUldE_St5arrayIPcLm2EEEEviT0_T1_.has_indirect_call, or(0, .L_ZN2at6native25elementwise_kernel_helperILb0EZZZNS0_20trigamma_kernel_cudaERNS_18TensorIteratorBaseEENKUlvE_clEvENKUlvE_clEvEUldE_NS0_6memory8policies10vectorizedILi4ESt5arrayIPcLm2EELi4EEEEEvT0_T1_.has_indirect_call, .L_ZN2at6native25elementwise_kernel_helperILb0EZZZNS0_20trigamma_kernel_cudaERNS_18TensorIteratorBaseEENKUlvE_clEvENKUlvE_clEvEUldE_NS0_6memory8policies11unroll_baseILi256ESt5arrayIPcLm2EE23TrivialOffsetCalculatorILi1EjESE_NS7_15LoadWithoutCastENS7_16StoreWithoutCastELi4ELi1EEEEEvT0_T1_.has_indirect_call)
	.section	.AMDGPU.csdata,"",@progbits
; Kernel info:
; codeLenInByte = 180
; TotalNumSgprs: 37
; NumVgprs: 82
; ScratchSize: 0
; MemoryBound: 0
; FloatMode: 240
; IeeeMode: 1
; LDSByteSize: 0 bytes/workgroup (compile time only)
; SGPRBlocks: 4
; VGPRBlocks: 20
; NumSGPRsForWavesPerEU: 37
; NumVGPRsForWavesPerEU: 82
; Occupancy: 3
; WaveLimiterHint : 0
; COMPUTE_PGM_RSRC2:SCRATCH_EN: 0
; COMPUTE_PGM_RSRC2:USER_SGPR: 6
; COMPUTE_PGM_RSRC2:TRAP_HANDLER: 0
; COMPUTE_PGM_RSRC2:TGID_X_EN: 1
; COMPUTE_PGM_RSRC2:TGID_Y_EN: 0
; COMPUTE_PGM_RSRC2:TGID_Z_EN: 0
; COMPUTE_PGM_RSRC2:TIDIG_COMP_CNT: 0
	.section	.text._ZN2at6native29vectorized_elementwise_kernelILi8EZZZNS0_20trigamma_kernel_cudaERNS_18TensorIteratorBaseEENKUlvE_clEvENKUlvE_clEvEUldE_St5arrayIPcLm2EEEEviT0_T1_,"axG",@progbits,_ZN2at6native29vectorized_elementwise_kernelILi8EZZZNS0_20trigamma_kernel_cudaERNS_18TensorIteratorBaseEENKUlvE_clEvENKUlvE_clEvEUldE_St5arrayIPcLm2EEEEviT0_T1_,comdat
	.globl	_ZN2at6native29vectorized_elementwise_kernelILi8EZZZNS0_20trigamma_kernel_cudaERNS_18TensorIteratorBaseEENKUlvE_clEvENKUlvE_clEvEUldE_St5arrayIPcLm2EEEEviT0_T1_ ; -- Begin function _ZN2at6native29vectorized_elementwise_kernelILi8EZZZNS0_20trigamma_kernel_cudaERNS_18TensorIteratorBaseEENKUlvE_clEvENKUlvE_clEvEUldE_St5arrayIPcLm2EEEEviT0_T1_
	.p2align	8
	.type	_ZN2at6native29vectorized_elementwise_kernelILi8EZZZNS0_20trigamma_kernel_cudaERNS_18TensorIteratorBaseEENKUlvE_clEvENKUlvE_clEvEUldE_St5arrayIPcLm2EEEEviT0_T1_,@function
_ZN2at6native29vectorized_elementwise_kernelILi8EZZZNS0_20trigamma_kernel_cudaERNS_18TensorIteratorBaseEENKUlvE_clEvENKUlvE_clEvEUldE_St5arrayIPcLm2EEEEviT0_T1_: ; @_ZN2at6native29vectorized_elementwise_kernelILi8EZZZNS0_20trigamma_kernel_cudaERNS_18TensorIteratorBaseEENKUlvE_clEvENKUlvE_clEvEUldE_St5arrayIPcLm2EEEEviT0_T1_
; %bb.0:
	s_mov_b32 s14, s6
	s_load_dword s6, s[4:5], 0x0
	s_load_dwordx4 s[16:19], s[4:5], 0x8
	s_add_u32 s0, s0, s7
	s_addc_u32 s1, s1, 0
	s_lshl_b32 s4, s14, 10
	s_waitcnt lgkmcnt(0)
	s_sub_i32 s15, s6, s4
	v_mov_b32_e32 v40, v0
	s_cmpk_gt_i32 s15, 0x3ff
	s_mov_b64 s[4:5], -1
	s_mov_b32 s32, 0
	s_cbranch_scc1 .LBB43_3
; %bb.1:
	s_andn2_b64 vcc, exec, s[4:5]
	s_cbranch_vccz .LBB43_4
.LBB43_2:
	s_endpgm
.LBB43_3:
	s_getpc_b64 s[4:5]
	s_add_u32 s4, s4, _ZN2at6native25elementwise_kernel_helperILb0EZZZNS0_20trigamma_kernel_cudaERNS_18TensorIteratorBaseEENKUlvE_clEvENKUlvE_clEvEUldE_NS0_6memory8policies10vectorizedILi4ESt5arrayIPcLm2EELi4EEEEEvT0_T1_@rel32@lo+4
	s_addc_u32 s5, s5, _ZN2at6native25elementwise_kernel_helperILb0EZZZNS0_20trigamma_kernel_cudaERNS_18TensorIteratorBaseEENKUlvE_clEvENKUlvE_clEvEUldE_NS0_6memory8policies10vectorizedILi4ESt5arrayIPcLm2EELi4EEEEEvT0_T1_@rel32@hi+12
	s_mov_b32 s12, s14
	v_mov_b32_e32 v31, v40
	v_mov_b32_e32 v0, s16
	;; [unrolled: 1-line block ×5, first 2 shown]
	s_swappc_b64 s[30:31], s[4:5]
	s_cbranch_execnz .LBB43_2
.LBB43_4:
	s_getpc_b64 s[4:5]
	s_add_u32 s4, s4, _ZN2at6native25elementwise_kernel_helperILb0EZZZNS0_20trigamma_kernel_cudaERNS_18TensorIteratorBaseEENKUlvE_clEvENKUlvE_clEvEUldE_NS0_6memory8policies11unroll_baseILi256ESt5arrayIPcLm2EE23TrivialOffsetCalculatorILi1EjESE_NS7_15LoadWithoutCastENS7_16StoreWithoutCastELi4ELi1EEEEEvT0_T1_@rel32@lo+4
	s_addc_u32 s5, s5, _ZN2at6native25elementwise_kernel_helperILb0EZZZNS0_20trigamma_kernel_cudaERNS_18TensorIteratorBaseEENKUlvE_clEvENKUlvE_clEvEUldE_NS0_6memory8policies11unroll_baseILi256ESt5arrayIPcLm2EE23TrivialOffsetCalculatorILi1EjESE_NS7_15LoadWithoutCastENS7_16StoreWithoutCastELi4ELi1EEEEEvT0_T1_@rel32@hi+12
	s_mov_b32 s12, s14
	v_mov_b32_e32 v31, v40
	v_mov_b32_e32 v0, s16
	;; [unrolled: 1-line block ×6, first 2 shown]
	s_swappc_b64 s[30:31], s[4:5]
	s_endpgm
	.section	.rodata,"a",@progbits
	.p2align	6, 0x0
	.amdhsa_kernel _ZN2at6native29vectorized_elementwise_kernelILi8EZZZNS0_20trigamma_kernel_cudaERNS_18TensorIteratorBaseEENKUlvE_clEvENKUlvE_clEvEUldE_St5arrayIPcLm2EEEEviT0_T1_
		.amdhsa_group_segment_fixed_size 0
		.amdhsa_private_segment_fixed_size 0
		.amdhsa_kernarg_size 24
		.amdhsa_user_sgpr_count 6
		.amdhsa_user_sgpr_private_segment_buffer 1
		.amdhsa_user_sgpr_dispatch_ptr 0
		.amdhsa_user_sgpr_queue_ptr 0
		.amdhsa_user_sgpr_kernarg_segment_ptr 1
		.amdhsa_user_sgpr_dispatch_id 0
		.amdhsa_user_sgpr_flat_scratch_init 0
		.amdhsa_user_sgpr_private_segment_size 0
		.amdhsa_uses_dynamic_stack 0
		.amdhsa_system_sgpr_private_segment_wavefront_offset 0
		.amdhsa_system_sgpr_workgroup_id_x 1
		.amdhsa_system_sgpr_workgroup_id_y 0
		.amdhsa_system_sgpr_workgroup_id_z 0
		.amdhsa_system_sgpr_workgroup_info 0
		.amdhsa_system_vgpr_workitem_id 0
		.amdhsa_next_free_vgpr 82
		.amdhsa_next_free_sgpr 33
		.amdhsa_reserve_vcc 1
		.amdhsa_reserve_flat_scratch 0
		.amdhsa_float_round_mode_32 0
		.amdhsa_float_round_mode_16_64 0
		.amdhsa_float_denorm_mode_32 3
		.amdhsa_float_denorm_mode_16_64 3
		.amdhsa_dx10_clamp 1
		.amdhsa_ieee_mode 1
		.amdhsa_fp16_overflow 0
		.amdhsa_exception_fp_ieee_invalid_op 0
		.amdhsa_exception_fp_denorm_src 0
		.amdhsa_exception_fp_ieee_div_zero 0
		.amdhsa_exception_fp_ieee_overflow 0
		.amdhsa_exception_fp_ieee_underflow 0
		.amdhsa_exception_fp_ieee_inexact 0
		.amdhsa_exception_int_div_zero 0
	.end_amdhsa_kernel
	.section	.text._ZN2at6native29vectorized_elementwise_kernelILi8EZZZNS0_20trigamma_kernel_cudaERNS_18TensorIteratorBaseEENKUlvE_clEvENKUlvE_clEvEUldE_St5arrayIPcLm2EEEEviT0_T1_,"axG",@progbits,_ZN2at6native29vectorized_elementwise_kernelILi8EZZZNS0_20trigamma_kernel_cudaERNS_18TensorIteratorBaseEENKUlvE_clEvENKUlvE_clEvEUldE_St5arrayIPcLm2EEEEviT0_T1_,comdat
.Lfunc_end43:
	.size	_ZN2at6native29vectorized_elementwise_kernelILi8EZZZNS0_20trigamma_kernel_cudaERNS_18TensorIteratorBaseEENKUlvE_clEvENKUlvE_clEvEUldE_St5arrayIPcLm2EEEEviT0_T1_, .Lfunc_end43-_ZN2at6native29vectorized_elementwise_kernelILi8EZZZNS0_20trigamma_kernel_cudaERNS_18TensorIteratorBaseEENKUlvE_clEvENKUlvE_clEvEUldE_St5arrayIPcLm2EEEEviT0_T1_
                                        ; -- End function
	.set _ZN2at6native29vectorized_elementwise_kernelILi8EZZZNS0_20trigamma_kernel_cudaERNS_18TensorIteratorBaseEENKUlvE_clEvENKUlvE_clEvEUldE_St5arrayIPcLm2EEEEviT0_T1_.num_vgpr, max(41, .L_ZN2at6native25elementwise_kernel_helperILb0EZZZNS0_20trigamma_kernel_cudaERNS_18TensorIteratorBaseEENKUlvE_clEvENKUlvE_clEvEUldE_NS0_6memory8policies10vectorizedILi4ESt5arrayIPcLm2EELi4EEEEEvT0_T1_.num_vgpr, .L_ZN2at6native25elementwise_kernel_helperILb0EZZZNS0_20trigamma_kernel_cudaERNS_18TensorIteratorBaseEENKUlvE_clEvENKUlvE_clEvEUldE_NS0_6memory8policies11unroll_baseILi256ESt5arrayIPcLm2EE23TrivialOffsetCalculatorILi1EjESE_NS7_15LoadWithoutCastENS7_16StoreWithoutCastELi4ELi1EEEEEvT0_T1_.num_vgpr)
	.set _ZN2at6native29vectorized_elementwise_kernelILi8EZZZNS0_20trigamma_kernel_cudaERNS_18TensorIteratorBaseEENKUlvE_clEvENKUlvE_clEvEUldE_St5arrayIPcLm2EEEEviT0_T1_.num_agpr, max(0, .L_ZN2at6native25elementwise_kernel_helperILb0EZZZNS0_20trigamma_kernel_cudaERNS_18TensorIteratorBaseEENKUlvE_clEvENKUlvE_clEvEUldE_NS0_6memory8policies10vectorizedILi4ESt5arrayIPcLm2EELi4EEEEEvT0_T1_.num_agpr, .L_ZN2at6native25elementwise_kernel_helperILb0EZZZNS0_20trigamma_kernel_cudaERNS_18TensorIteratorBaseEENKUlvE_clEvENKUlvE_clEvEUldE_NS0_6memory8policies11unroll_baseILi256ESt5arrayIPcLm2EE23TrivialOffsetCalculatorILi1EjESE_NS7_15LoadWithoutCastENS7_16StoreWithoutCastELi4ELi1EEEEEvT0_T1_.num_agpr)
	.set _ZN2at6native29vectorized_elementwise_kernelILi8EZZZNS0_20trigamma_kernel_cudaERNS_18TensorIteratorBaseEENKUlvE_clEvENKUlvE_clEvEUldE_St5arrayIPcLm2EEEEviT0_T1_.numbered_sgpr, max(33, .L_ZN2at6native25elementwise_kernel_helperILb0EZZZNS0_20trigamma_kernel_cudaERNS_18TensorIteratorBaseEENKUlvE_clEvENKUlvE_clEvEUldE_NS0_6memory8policies10vectorizedILi4ESt5arrayIPcLm2EELi4EEEEEvT0_T1_.numbered_sgpr, .L_ZN2at6native25elementwise_kernel_helperILb0EZZZNS0_20trigamma_kernel_cudaERNS_18TensorIteratorBaseEENKUlvE_clEvENKUlvE_clEvEUldE_NS0_6memory8policies11unroll_baseILi256ESt5arrayIPcLm2EE23TrivialOffsetCalculatorILi1EjESE_NS7_15LoadWithoutCastENS7_16StoreWithoutCastELi4ELi1EEEEEvT0_T1_.numbered_sgpr)
	.set _ZN2at6native29vectorized_elementwise_kernelILi8EZZZNS0_20trigamma_kernel_cudaERNS_18TensorIteratorBaseEENKUlvE_clEvENKUlvE_clEvEUldE_St5arrayIPcLm2EEEEviT0_T1_.num_named_barrier, max(0, .L_ZN2at6native25elementwise_kernel_helperILb0EZZZNS0_20trigamma_kernel_cudaERNS_18TensorIteratorBaseEENKUlvE_clEvENKUlvE_clEvEUldE_NS0_6memory8policies10vectorizedILi4ESt5arrayIPcLm2EELi4EEEEEvT0_T1_.num_named_barrier, .L_ZN2at6native25elementwise_kernel_helperILb0EZZZNS0_20trigamma_kernel_cudaERNS_18TensorIteratorBaseEENKUlvE_clEvENKUlvE_clEvEUldE_NS0_6memory8policies11unroll_baseILi256ESt5arrayIPcLm2EE23TrivialOffsetCalculatorILi1EjESE_NS7_15LoadWithoutCastENS7_16StoreWithoutCastELi4ELi1EEEEEvT0_T1_.num_named_barrier)
	.set _ZN2at6native29vectorized_elementwise_kernelILi8EZZZNS0_20trigamma_kernel_cudaERNS_18TensorIteratorBaseEENKUlvE_clEvENKUlvE_clEvEUldE_St5arrayIPcLm2EEEEviT0_T1_.private_seg_size, 0+max(.L_ZN2at6native25elementwise_kernel_helperILb0EZZZNS0_20trigamma_kernel_cudaERNS_18TensorIteratorBaseEENKUlvE_clEvENKUlvE_clEvEUldE_NS0_6memory8policies10vectorizedILi4ESt5arrayIPcLm2EELi4EEEEEvT0_T1_.private_seg_size, .L_ZN2at6native25elementwise_kernel_helperILb0EZZZNS0_20trigamma_kernel_cudaERNS_18TensorIteratorBaseEENKUlvE_clEvENKUlvE_clEvEUldE_NS0_6memory8policies11unroll_baseILi256ESt5arrayIPcLm2EE23TrivialOffsetCalculatorILi1EjESE_NS7_15LoadWithoutCastENS7_16StoreWithoutCastELi4ELi1EEEEEvT0_T1_.private_seg_size)
	.set _ZN2at6native29vectorized_elementwise_kernelILi8EZZZNS0_20trigamma_kernel_cudaERNS_18TensorIteratorBaseEENKUlvE_clEvENKUlvE_clEvEUldE_St5arrayIPcLm2EEEEviT0_T1_.uses_vcc, or(1, .L_ZN2at6native25elementwise_kernel_helperILb0EZZZNS0_20trigamma_kernel_cudaERNS_18TensorIteratorBaseEENKUlvE_clEvENKUlvE_clEvEUldE_NS0_6memory8policies10vectorizedILi4ESt5arrayIPcLm2EELi4EEEEEvT0_T1_.uses_vcc, .L_ZN2at6native25elementwise_kernel_helperILb0EZZZNS0_20trigamma_kernel_cudaERNS_18TensorIteratorBaseEENKUlvE_clEvENKUlvE_clEvEUldE_NS0_6memory8policies11unroll_baseILi256ESt5arrayIPcLm2EE23TrivialOffsetCalculatorILi1EjESE_NS7_15LoadWithoutCastENS7_16StoreWithoutCastELi4ELi1EEEEEvT0_T1_.uses_vcc)
	.set _ZN2at6native29vectorized_elementwise_kernelILi8EZZZNS0_20trigamma_kernel_cudaERNS_18TensorIteratorBaseEENKUlvE_clEvENKUlvE_clEvEUldE_St5arrayIPcLm2EEEEviT0_T1_.uses_flat_scratch, or(0, .L_ZN2at6native25elementwise_kernel_helperILb0EZZZNS0_20trigamma_kernel_cudaERNS_18TensorIteratorBaseEENKUlvE_clEvENKUlvE_clEvEUldE_NS0_6memory8policies10vectorizedILi4ESt5arrayIPcLm2EELi4EEEEEvT0_T1_.uses_flat_scratch, .L_ZN2at6native25elementwise_kernel_helperILb0EZZZNS0_20trigamma_kernel_cudaERNS_18TensorIteratorBaseEENKUlvE_clEvENKUlvE_clEvEUldE_NS0_6memory8policies11unroll_baseILi256ESt5arrayIPcLm2EE23TrivialOffsetCalculatorILi1EjESE_NS7_15LoadWithoutCastENS7_16StoreWithoutCastELi4ELi1EEEEEvT0_T1_.uses_flat_scratch)
	.set _ZN2at6native29vectorized_elementwise_kernelILi8EZZZNS0_20trigamma_kernel_cudaERNS_18TensorIteratorBaseEENKUlvE_clEvENKUlvE_clEvEUldE_St5arrayIPcLm2EEEEviT0_T1_.has_dyn_sized_stack, or(0, .L_ZN2at6native25elementwise_kernel_helperILb0EZZZNS0_20trigamma_kernel_cudaERNS_18TensorIteratorBaseEENKUlvE_clEvENKUlvE_clEvEUldE_NS0_6memory8policies10vectorizedILi4ESt5arrayIPcLm2EELi4EEEEEvT0_T1_.has_dyn_sized_stack, .L_ZN2at6native25elementwise_kernel_helperILb0EZZZNS0_20trigamma_kernel_cudaERNS_18TensorIteratorBaseEENKUlvE_clEvENKUlvE_clEvEUldE_NS0_6memory8policies11unroll_baseILi256ESt5arrayIPcLm2EE23TrivialOffsetCalculatorILi1EjESE_NS7_15LoadWithoutCastENS7_16StoreWithoutCastELi4ELi1EEEEEvT0_T1_.has_dyn_sized_stack)
	.set _ZN2at6native29vectorized_elementwise_kernelILi8EZZZNS0_20trigamma_kernel_cudaERNS_18TensorIteratorBaseEENKUlvE_clEvENKUlvE_clEvEUldE_St5arrayIPcLm2EEEEviT0_T1_.has_recursion, or(0, .L_ZN2at6native25elementwise_kernel_helperILb0EZZZNS0_20trigamma_kernel_cudaERNS_18TensorIteratorBaseEENKUlvE_clEvENKUlvE_clEvEUldE_NS0_6memory8policies10vectorizedILi4ESt5arrayIPcLm2EELi4EEEEEvT0_T1_.has_recursion, .L_ZN2at6native25elementwise_kernel_helperILb0EZZZNS0_20trigamma_kernel_cudaERNS_18TensorIteratorBaseEENKUlvE_clEvENKUlvE_clEvEUldE_NS0_6memory8policies11unroll_baseILi256ESt5arrayIPcLm2EE23TrivialOffsetCalculatorILi1EjESE_NS7_15LoadWithoutCastENS7_16StoreWithoutCastELi4ELi1EEEEEvT0_T1_.has_recursion)
	.set _ZN2at6native29vectorized_elementwise_kernelILi8EZZZNS0_20trigamma_kernel_cudaERNS_18TensorIteratorBaseEENKUlvE_clEvENKUlvE_clEvEUldE_St5arrayIPcLm2EEEEviT0_T1_.has_indirect_call, or(0, .L_ZN2at6native25elementwise_kernel_helperILb0EZZZNS0_20trigamma_kernel_cudaERNS_18TensorIteratorBaseEENKUlvE_clEvENKUlvE_clEvEUldE_NS0_6memory8policies10vectorizedILi4ESt5arrayIPcLm2EELi4EEEEEvT0_T1_.has_indirect_call, .L_ZN2at6native25elementwise_kernel_helperILb0EZZZNS0_20trigamma_kernel_cudaERNS_18TensorIteratorBaseEENKUlvE_clEvENKUlvE_clEvEUldE_NS0_6memory8policies11unroll_baseILi256ESt5arrayIPcLm2EE23TrivialOffsetCalculatorILi1EjESE_NS7_15LoadWithoutCastENS7_16StoreWithoutCastELi4ELi1EEEEEvT0_T1_.has_indirect_call)
	.section	.AMDGPU.csdata,"",@progbits
; Kernel info:
; codeLenInByte = 180
; TotalNumSgprs: 37
; NumVgprs: 82
; ScratchSize: 0
; MemoryBound: 0
; FloatMode: 240
; IeeeMode: 1
; LDSByteSize: 0 bytes/workgroup (compile time only)
; SGPRBlocks: 4
; VGPRBlocks: 20
; NumSGPRsForWavesPerEU: 37
; NumVGPRsForWavesPerEU: 82
; Occupancy: 3
; WaveLimiterHint : 0
; COMPUTE_PGM_RSRC2:SCRATCH_EN: 0
; COMPUTE_PGM_RSRC2:USER_SGPR: 6
; COMPUTE_PGM_RSRC2:TRAP_HANDLER: 0
; COMPUTE_PGM_RSRC2:TGID_X_EN: 1
; COMPUTE_PGM_RSRC2:TGID_Y_EN: 0
; COMPUTE_PGM_RSRC2:TGID_Z_EN: 0
; COMPUTE_PGM_RSRC2:TIDIG_COMP_CNT: 0
	.section	.text._ZN2at6native29vectorized_elementwise_kernelILi4EZZZNS0_20trigamma_kernel_cudaERNS_18TensorIteratorBaseEENKUlvE_clEvENKUlvE_clEvEUldE_St5arrayIPcLm2EEEEviT0_T1_,"axG",@progbits,_ZN2at6native29vectorized_elementwise_kernelILi4EZZZNS0_20trigamma_kernel_cudaERNS_18TensorIteratorBaseEENKUlvE_clEvENKUlvE_clEvEUldE_St5arrayIPcLm2EEEEviT0_T1_,comdat
	.globl	_ZN2at6native29vectorized_elementwise_kernelILi4EZZZNS0_20trigamma_kernel_cudaERNS_18TensorIteratorBaseEENKUlvE_clEvENKUlvE_clEvEUldE_St5arrayIPcLm2EEEEviT0_T1_ ; -- Begin function _ZN2at6native29vectorized_elementwise_kernelILi4EZZZNS0_20trigamma_kernel_cudaERNS_18TensorIteratorBaseEENKUlvE_clEvENKUlvE_clEvEUldE_St5arrayIPcLm2EEEEviT0_T1_
	.p2align	8
	.type	_ZN2at6native29vectorized_elementwise_kernelILi4EZZZNS0_20trigamma_kernel_cudaERNS_18TensorIteratorBaseEENKUlvE_clEvENKUlvE_clEvEUldE_St5arrayIPcLm2EEEEviT0_T1_,@function
_ZN2at6native29vectorized_elementwise_kernelILi4EZZZNS0_20trigamma_kernel_cudaERNS_18TensorIteratorBaseEENKUlvE_clEvENKUlvE_clEvEUldE_St5arrayIPcLm2EEEEviT0_T1_: ; @_ZN2at6native29vectorized_elementwise_kernelILi4EZZZNS0_20trigamma_kernel_cudaERNS_18TensorIteratorBaseEENKUlvE_clEvENKUlvE_clEvEUldE_St5arrayIPcLm2EEEEviT0_T1_
; %bb.0:
	s_mov_b32 s14, s6
	s_load_dword s6, s[4:5], 0x0
	s_load_dwordx4 s[16:19], s[4:5], 0x8
	s_add_u32 s0, s0, s7
	s_addc_u32 s1, s1, 0
	s_lshl_b32 s4, s14, 10
	s_waitcnt lgkmcnt(0)
	s_sub_i32 s15, s6, s4
	v_mov_b32_e32 v40, v0
	s_cmpk_gt_i32 s15, 0x3ff
	s_mov_b64 s[4:5], -1
	s_mov_b32 s32, 0
	s_cbranch_scc1 .LBB44_3
; %bb.1:
	s_andn2_b64 vcc, exec, s[4:5]
	s_cbranch_vccz .LBB44_4
.LBB44_2:
	s_endpgm
.LBB44_3:
	s_getpc_b64 s[4:5]
	s_add_u32 s4, s4, _ZN2at6native25elementwise_kernel_helperILb0EZZZNS0_20trigamma_kernel_cudaERNS_18TensorIteratorBaseEENKUlvE_clEvENKUlvE_clEvEUldE_NS0_6memory8policies10vectorizedILi4ESt5arrayIPcLm2EELi4EEEEEvT0_T1_@rel32@lo+4
	s_addc_u32 s5, s5, _ZN2at6native25elementwise_kernel_helperILb0EZZZNS0_20trigamma_kernel_cudaERNS_18TensorIteratorBaseEENKUlvE_clEvENKUlvE_clEvEUldE_NS0_6memory8policies10vectorizedILi4ESt5arrayIPcLm2EELi4EEEEEvT0_T1_@rel32@hi+12
	s_mov_b32 s12, s14
	v_mov_b32_e32 v31, v40
	v_mov_b32_e32 v0, s16
	;; [unrolled: 1-line block ×5, first 2 shown]
	s_swappc_b64 s[30:31], s[4:5]
	s_cbranch_execnz .LBB44_2
.LBB44_4:
	s_getpc_b64 s[4:5]
	s_add_u32 s4, s4, _ZN2at6native25elementwise_kernel_helperILb0EZZZNS0_20trigamma_kernel_cudaERNS_18TensorIteratorBaseEENKUlvE_clEvENKUlvE_clEvEUldE_NS0_6memory8policies11unroll_baseILi256ESt5arrayIPcLm2EE23TrivialOffsetCalculatorILi1EjESE_NS7_15LoadWithoutCastENS7_16StoreWithoutCastELi4ELi1EEEEEvT0_T1_@rel32@lo+4
	s_addc_u32 s5, s5, _ZN2at6native25elementwise_kernel_helperILb0EZZZNS0_20trigamma_kernel_cudaERNS_18TensorIteratorBaseEENKUlvE_clEvENKUlvE_clEvEUldE_NS0_6memory8policies11unroll_baseILi256ESt5arrayIPcLm2EE23TrivialOffsetCalculatorILi1EjESE_NS7_15LoadWithoutCastENS7_16StoreWithoutCastELi4ELi1EEEEEvT0_T1_@rel32@hi+12
	s_mov_b32 s12, s14
	v_mov_b32_e32 v31, v40
	v_mov_b32_e32 v0, s16
	;; [unrolled: 1-line block ×6, first 2 shown]
	s_swappc_b64 s[30:31], s[4:5]
	s_endpgm
	.section	.rodata,"a",@progbits
	.p2align	6, 0x0
	.amdhsa_kernel _ZN2at6native29vectorized_elementwise_kernelILi4EZZZNS0_20trigamma_kernel_cudaERNS_18TensorIteratorBaseEENKUlvE_clEvENKUlvE_clEvEUldE_St5arrayIPcLm2EEEEviT0_T1_
		.amdhsa_group_segment_fixed_size 0
		.amdhsa_private_segment_fixed_size 0
		.amdhsa_kernarg_size 24
		.amdhsa_user_sgpr_count 6
		.amdhsa_user_sgpr_private_segment_buffer 1
		.amdhsa_user_sgpr_dispatch_ptr 0
		.amdhsa_user_sgpr_queue_ptr 0
		.amdhsa_user_sgpr_kernarg_segment_ptr 1
		.amdhsa_user_sgpr_dispatch_id 0
		.amdhsa_user_sgpr_flat_scratch_init 0
		.amdhsa_user_sgpr_private_segment_size 0
		.amdhsa_uses_dynamic_stack 0
		.amdhsa_system_sgpr_private_segment_wavefront_offset 0
		.amdhsa_system_sgpr_workgroup_id_x 1
		.amdhsa_system_sgpr_workgroup_id_y 0
		.amdhsa_system_sgpr_workgroup_id_z 0
		.amdhsa_system_sgpr_workgroup_info 0
		.amdhsa_system_vgpr_workitem_id 0
		.amdhsa_next_free_vgpr 82
		.amdhsa_next_free_sgpr 33
		.amdhsa_reserve_vcc 1
		.amdhsa_reserve_flat_scratch 0
		.amdhsa_float_round_mode_32 0
		.amdhsa_float_round_mode_16_64 0
		.amdhsa_float_denorm_mode_32 3
		.amdhsa_float_denorm_mode_16_64 3
		.amdhsa_dx10_clamp 1
		.amdhsa_ieee_mode 1
		.amdhsa_fp16_overflow 0
		.amdhsa_exception_fp_ieee_invalid_op 0
		.amdhsa_exception_fp_denorm_src 0
		.amdhsa_exception_fp_ieee_div_zero 0
		.amdhsa_exception_fp_ieee_overflow 0
		.amdhsa_exception_fp_ieee_underflow 0
		.amdhsa_exception_fp_ieee_inexact 0
		.amdhsa_exception_int_div_zero 0
	.end_amdhsa_kernel
	.section	.text._ZN2at6native29vectorized_elementwise_kernelILi4EZZZNS0_20trigamma_kernel_cudaERNS_18TensorIteratorBaseEENKUlvE_clEvENKUlvE_clEvEUldE_St5arrayIPcLm2EEEEviT0_T1_,"axG",@progbits,_ZN2at6native29vectorized_elementwise_kernelILi4EZZZNS0_20trigamma_kernel_cudaERNS_18TensorIteratorBaseEENKUlvE_clEvENKUlvE_clEvEUldE_St5arrayIPcLm2EEEEviT0_T1_,comdat
.Lfunc_end44:
	.size	_ZN2at6native29vectorized_elementwise_kernelILi4EZZZNS0_20trigamma_kernel_cudaERNS_18TensorIteratorBaseEENKUlvE_clEvENKUlvE_clEvEUldE_St5arrayIPcLm2EEEEviT0_T1_, .Lfunc_end44-_ZN2at6native29vectorized_elementwise_kernelILi4EZZZNS0_20trigamma_kernel_cudaERNS_18TensorIteratorBaseEENKUlvE_clEvENKUlvE_clEvEUldE_St5arrayIPcLm2EEEEviT0_T1_
                                        ; -- End function
	.set _ZN2at6native29vectorized_elementwise_kernelILi4EZZZNS0_20trigamma_kernel_cudaERNS_18TensorIteratorBaseEENKUlvE_clEvENKUlvE_clEvEUldE_St5arrayIPcLm2EEEEviT0_T1_.num_vgpr, max(41, .L_ZN2at6native25elementwise_kernel_helperILb0EZZZNS0_20trigamma_kernel_cudaERNS_18TensorIteratorBaseEENKUlvE_clEvENKUlvE_clEvEUldE_NS0_6memory8policies10vectorizedILi4ESt5arrayIPcLm2EELi4EEEEEvT0_T1_.num_vgpr, .L_ZN2at6native25elementwise_kernel_helperILb0EZZZNS0_20trigamma_kernel_cudaERNS_18TensorIteratorBaseEENKUlvE_clEvENKUlvE_clEvEUldE_NS0_6memory8policies11unroll_baseILi256ESt5arrayIPcLm2EE23TrivialOffsetCalculatorILi1EjESE_NS7_15LoadWithoutCastENS7_16StoreWithoutCastELi4ELi1EEEEEvT0_T1_.num_vgpr)
	.set _ZN2at6native29vectorized_elementwise_kernelILi4EZZZNS0_20trigamma_kernel_cudaERNS_18TensorIteratorBaseEENKUlvE_clEvENKUlvE_clEvEUldE_St5arrayIPcLm2EEEEviT0_T1_.num_agpr, max(0, .L_ZN2at6native25elementwise_kernel_helperILb0EZZZNS0_20trigamma_kernel_cudaERNS_18TensorIteratorBaseEENKUlvE_clEvENKUlvE_clEvEUldE_NS0_6memory8policies10vectorizedILi4ESt5arrayIPcLm2EELi4EEEEEvT0_T1_.num_agpr, .L_ZN2at6native25elementwise_kernel_helperILb0EZZZNS0_20trigamma_kernel_cudaERNS_18TensorIteratorBaseEENKUlvE_clEvENKUlvE_clEvEUldE_NS0_6memory8policies11unroll_baseILi256ESt5arrayIPcLm2EE23TrivialOffsetCalculatorILi1EjESE_NS7_15LoadWithoutCastENS7_16StoreWithoutCastELi4ELi1EEEEEvT0_T1_.num_agpr)
	.set _ZN2at6native29vectorized_elementwise_kernelILi4EZZZNS0_20trigamma_kernel_cudaERNS_18TensorIteratorBaseEENKUlvE_clEvENKUlvE_clEvEUldE_St5arrayIPcLm2EEEEviT0_T1_.numbered_sgpr, max(33, .L_ZN2at6native25elementwise_kernel_helperILb0EZZZNS0_20trigamma_kernel_cudaERNS_18TensorIteratorBaseEENKUlvE_clEvENKUlvE_clEvEUldE_NS0_6memory8policies10vectorizedILi4ESt5arrayIPcLm2EELi4EEEEEvT0_T1_.numbered_sgpr, .L_ZN2at6native25elementwise_kernel_helperILb0EZZZNS0_20trigamma_kernel_cudaERNS_18TensorIteratorBaseEENKUlvE_clEvENKUlvE_clEvEUldE_NS0_6memory8policies11unroll_baseILi256ESt5arrayIPcLm2EE23TrivialOffsetCalculatorILi1EjESE_NS7_15LoadWithoutCastENS7_16StoreWithoutCastELi4ELi1EEEEEvT0_T1_.numbered_sgpr)
	.set _ZN2at6native29vectorized_elementwise_kernelILi4EZZZNS0_20trigamma_kernel_cudaERNS_18TensorIteratorBaseEENKUlvE_clEvENKUlvE_clEvEUldE_St5arrayIPcLm2EEEEviT0_T1_.num_named_barrier, max(0, .L_ZN2at6native25elementwise_kernel_helperILb0EZZZNS0_20trigamma_kernel_cudaERNS_18TensorIteratorBaseEENKUlvE_clEvENKUlvE_clEvEUldE_NS0_6memory8policies10vectorizedILi4ESt5arrayIPcLm2EELi4EEEEEvT0_T1_.num_named_barrier, .L_ZN2at6native25elementwise_kernel_helperILb0EZZZNS0_20trigamma_kernel_cudaERNS_18TensorIteratorBaseEENKUlvE_clEvENKUlvE_clEvEUldE_NS0_6memory8policies11unroll_baseILi256ESt5arrayIPcLm2EE23TrivialOffsetCalculatorILi1EjESE_NS7_15LoadWithoutCastENS7_16StoreWithoutCastELi4ELi1EEEEEvT0_T1_.num_named_barrier)
	.set _ZN2at6native29vectorized_elementwise_kernelILi4EZZZNS0_20trigamma_kernel_cudaERNS_18TensorIteratorBaseEENKUlvE_clEvENKUlvE_clEvEUldE_St5arrayIPcLm2EEEEviT0_T1_.private_seg_size, 0+max(.L_ZN2at6native25elementwise_kernel_helperILb0EZZZNS0_20trigamma_kernel_cudaERNS_18TensorIteratorBaseEENKUlvE_clEvENKUlvE_clEvEUldE_NS0_6memory8policies10vectorizedILi4ESt5arrayIPcLm2EELi4EEEEEvT0_T1_.private_seg_size, .L_ZN2at6native25elementwise_kernel_helperILb0EZZZNS0_20trigamma_kernel_cudaERNS_18TensorIteratorBaseEENKUlvE_clEvENKUlvE_clEvEUldE_NS0_6memory8policies11unroll_baseILi256ESt5arrayIPcLm2EE23TrivialOffsetCalculatorILi1EjESE_NS7_15LoadWithoutCastENS7_16StoreWithoutCastELi4ELi1EEEEEvT0_T1_.private_seg_size)
	.set _ZN2at6native29vectorized_elementwise_kernelILi4EZZZNS0_20trigamma_kernel_cudaERNS_18TensorIteratorBaseEENKUlvE_clEvENKUlvE_clEvEUldE_St5arrayIPcLm2EEEEviT0_T1_.uses_vcc, or(1, .L_ZN2at6native25elementwise_kernel_helperILb0EZZZNS0_20trigamma_kernel_cudaERNS_18TensorIteratorBaseEENKUlvE_clEvENKUlvE_clEvEUldE_NS0_6memory8policies10vectorizedILi4ESt5arrayIPcLm2EELi4EEEEEvT0_T1_.uses_vcc, .L_ZN2at6native25elementwise_kernel_helperILb0EZZZNS0_20trigamma_kernel_cudaERNS_18TensorIteratorBaseEENKUlvE_clEvENKUlvE_clEvEUldE_NS0_6memory8policies11unroll_baseILi256ESt5arrayIPcLm2EE23TrivialOffsetCalculatorILi1EjESE_NS7_15LoadWithoutCastENS7_16StoreWithoutCastELi4ELi1EEEEEvT0_T1_.uses_vcc)
	.set _ZN2at6native29vectorized_elementwise_kernelILi4EZZZNS0_20trigamma_kernel_cudaERNS_18TensorIteratorBaseEENKUlvE_clEvENKUlvE_clEvEUldE_St5arrayIPcLm2EEEEviT0_T1_.uses_flat_scratch, or(0, .L_ZN2at6native25elementwise_kernel_helperILb0EZZZNS0_20trigamma_kernel_cudaERNS_18TensorIteratorBaseEENKUlvE_clEvENKUlvE_clEvEUldE_NS0_6memory8policies10vectorizedILi4ESt5arrayIPcLm2EELi4EEEEEvT0_T1_.uses_flat_scratch, .L_ZN2at6native25elementwise_kernel_helperILb0EZZZNS0_20trigamma_kernel_cudaERNS_18TensorIteratorBaseEENKUlvE_clEvENKUlvE_clEvEUldE_NS0_6memory8policies11unroll_baseILi256ESt5arrayIPcLm2EE23TrivialOffsetCalculatorILi1EjESE_NS7_15LoadWithoutCastENS7_16StoreWithoutCastELi4ELi1EEEEEvT0_T1_.uses_flat_scratch)
	.set _ZN2at6native29vectorized_elementwise_kernelILi4EZZZNS0_20trigamma_kernel_cudaERNS_18TensorIteratorBaseEENKUlvE_clEvENKUlvE_clEvEUldE_St5arrayIPcLm2EEEEviT0_T1_.has_dyn_sized_stack, or(0, .L_ZN2at6native25elementwise_kernel_helperILb0EZZZNS0_20trigamma_kernel_cudaERNS_18TensorIteratorBaseEENKUlvE_clEvENKUlvE_clEvEUldE_NS0_6memory8policies10vectorizedILi4ESt5arrayIPcLm2EELi4EEEEEvT0_T1_.has_dyn_sized_stack, .L_ZN2at6native25elementwise_kernel_helperILb0EZZZNS0_20trigamma_kernel_cudaERNS_18TensorIteratorBaseEENKUlvE_clEvENKUlvE_clEvEUldE_NS0_6memory8policies11unroll_baseILi256ESt5arrayIPcLm2EE23TrivialOffsetCalculatorILi1EjESE_NS7_15LoadWithoutCastENS7_16StoreWithoutCastELi4ELi1EEEEEvT0_T1_.has_dyn_sized_stack)
	.set _ZN2at6native29vectorized_elementwise_kernelILi4EZZZNS0_20trigamma_kernel_cudaERNS_18TensorIteratorBaseEENKUlvE_clEvENKUlvE_clEvEUldE_St5arrayIPcLm2EEEEviT0_T1_.has_recursion, or(0, .L_ZN2at6native25elementwise_kernel_helperILb0EZZZNS0_20trigamma_kernel_cudaERNS_18TensorIteratorBaseEENKUlvE_clEvENKUlvE_clEvEUldE_NS0_6memory8policies10vectorizedILi4ESt5arrayIPcLm2EELi4EEEEEvT0_T1_.has_recursion, .L_ZN2at6native25elementwise_kernel_helperILb0EZZZNS0_20trigamma_kernel_cudaERNS_18TensorIteratorBaseEENKUlvE_clEvENKUlvE_clEvEUldE_NS0_6memory8policies11unroll_baseILi256ESt5arrayIPcLm2EE23TrivialOffsetCalculatorILi1EjESE_NS7_15LoadWithoutCastENS7_16StoreWithoutCastELi4ELi1EEEEEvT0_T1_.has_recursion)
	.set _ZN2at6native29vectorized_elementwise_kernelILi4EZZZNS0_20trigamma_kernel_cudaERNS_18TensorIteratorBaseEENKUlvE_clEvENKUlvE_clEvEUldE_St5arrayIPcLm2EEEEviT0_T1_.has_indirect_call, or(0, .L_ZN2at6native25elementwise_kernel_helperILb0EZZZNS0_20trigamma_kernel_cudaERNS_18TensorIteratorBaseEENKUlvE_clEvENKUlvE_clEvEUldE_NS0_6memory8policies10vectorizedILi4ESt5arrayIPcLm2EELi4EEEEEvT0_T1_.has_indirect_call, .L_ZN2at6native25elementwise_kernel_helperILb0EZZZNS0_20trigamma_kernel_cudaERNS_18TensorIteratorBaseEENKUlvE_clEvENKUlvE_clEvEUldE_NS0_6memory8policies11unroll_baseILi256ESt5arrayIPcLm2EE23TrivialOffsetCalculatorILi1EjESE_NS7_15LoadWithoutCastENS7_16StoreWithoutCastELi4ELi1EEEEEvT0_T1_.has_indirect_call)
	.section	.AMDGPU.csdata,"",@progbits
; Kernel info:
; codeLenInByte = 180
; TotalNumSgprs: 37
; NumVgprs: 82
; ScratchSize: 0
; MemoryBound: 0
; FloatMode: 240
; IeeeMode: 1
; LDSByteSize: 0 bytes/workgroup (compile time only)
; SGPRBlocks: 4
; VGPRBlocks: 20
; NumSGPRsForWavesPerEU: 37
; NumVGPRsForWavesPerEU: 82
; Occupancy: 3
; WaveLimiterHint : 0
; COMPUTE_PGM_RSRC2:SCRATCH_EN: 0
; COMPUTE_PGM_RSRC2:USER_SGPR: 6
; COMPUTE_PGM_RSRC2:TRAP_HANDLER: 0
; COMPUTE_PGM_RSRC2:TGID_X_EN: 1
; COMPUTE_PGM_RSRC2:TGID_Y_EN: 0
; COMPUTE_PGM_RSRC2:TGID_Z_EN: 0
; COMPUTE_PGM_RSRC2:TIDIG_COMP_CNT: 0
	.section	.text._ZN2at6native29vectorized_elementwise_kernelILi2EZZZNS0_20trigamma_kernel_cudaERNS_18TensorIteratorBaseEENKUlvE_clEvENKUlvE_clEvEUldE_St5arrayIPcLm2EEEEviT0_T1_,"axG",@progbits,_ZN2at6native29vectorized_elementwise_kernelILi2EZZZNS0_20trigamma_kernel_cudaERNS_18TensorIteratorBaseEENKUlvE_clEvENKUlvE_clEvEUldE_St5arrayIPcLm2EEEEviT0_T1_,comdat
	.globl	_ZN2at6native29vectorized_elementwise_kernelILi2EZZZNS0_20trigamma_kernel_cudaERNS_18TensorIteratorBaseEENKUlvE_clEvENKUlvE_clEvEUldE_St5arrayIPcLm2EEEEviT0_T1_ ; -- Begin function _ZN2at6native29vectorized_elementwise_kernelILi2EZZZNS0_20trigamma_kernel_cudaERNS_18TensorIteratorBaseEENKUlvE_clEvENKUlvE_clEvEUldE_St5arrayIPcLm2EEEEviT0_T1_
	.p2align	8
	.type	_ZN2at6native29vectorized_elementwise_kernelILi2EZZZNS0_20trigamma_kernel_cudaERNS_18TensorIteratorBaseEENKUlvE_clEvENKUlvE_clEvEUldE_St5arrayIPcLm2EEEEviT0_T1_,@function
_ZN2at6native29vectorized_elementwise_kernelILi2EZZZNS0_20trigamma_kernel_cudaERNS_18TensorIteratorBaseEENKUlvE_clEvENKUlvE_clEvEUldE_St5arrayIPcLm2EEEEviT0_T1_: ; @_ZN2at6native29vectorized_elementwise_kernelILi2EZZZNS0_20trigamma_kernel_cudaERNS_18TensorIteratorBaseEENKUlvE_clEvENKUlvE_clEvEUldE_St5arrayIPcLm2EEEEviT0_T1_
; %bb.0:
	s_add_u32 s0, s0, s7
	s_load_dword s7, s[4:5], 0x0
	s_load_dwordx4 s[8:11], s[4:5], 0x8
	s_addc_u32 s1, s1, 0
	s_lshl_b32 s4, s6, 10
	s_mov_b64 s[12:13], -1
	s_waitcnt lgkmcnt(0)
	s_sub_i32 s7, s7, s4
	s_cmpk_gt_i32 s7, 0x3ff
	s_mov_b32 s32, 0
	s_cbranch_scc1 .LBB45_3
; %bb.1:
	s_and_b64 vcc, exec, s[12:13]
	s_cbranch_vccnz .LBB45_28
.LBB45_2:
	s_endpgm
.LBB45_3:
	s_ashr_i32 s5, s4, 31
	s_lshl_b64 s[12:13], s[4:5], 3
	s_add_u32 s4, s10, s12
	s_addc_u32 s5, s11, s13
	v_lshlrev_b32_e32 v27, 4, v0
	global_load_dwordx4 v[5:8], v27, s[4:5]
	v_mov_b32_e32 v1, s5
	v_add_co_u32_e32 v2, vcc, s4, v27
	v_addc_co_u32_e32 v3, vcc, 0, v1, vcc
	v_add_co_u32_e32 v1, vcc, 0x1000, v2
	v_addc_co_u32_e32 v2, vcc, 0, v3, vcc
	global_load_dwordx4 v[1:4], v[1:2], off
	v_mov_b32_e32 v11, 0
	v_mov_b32_e32 v9, 0
	;; [unrolled: 1-line block ×4, first 2 shown]
	s_waitcnt vmcnt(1)
	v_cmp_gt_f64_e32 vcc, 0.5, v[5:6]
	s_and_saveexec_b64 s[14:15], vcc
	s_cbranch_execz .LBB45_9
; %bb.4:
	s_mov_b32 s17, 0x400921fb
	s_mov_b32 s16, 0x54442d18
	v_mul_f64 v[9:10], v[5:6], s[16:17]
	s_mov_b32 s4, 0
	s_mov_b32 s5, 0x41d00000
                                        ; implicit-def: $vgpr15
                                        ; implicit-def: $vgpr11_vgpr12
                                        ; implicit-def: $vgpr13_vgpr14
	v_cmp_nlt_f64_e64 s[4:5], |v[9:10]|, s[4:5]
	s_and_saveexec_b64 s[18:19], s[4:5]
	s_xor_b64 s[18:19], exec, s[18:19]
	s_cbranch_execz .LBB45_6
; %bb.5:
	v_trig_preop_f64 v[11:12], |v[9:10]|, 0
	s_mov_b32 s4, 0
	s_mov_b32 s5, 0x7b000000
	s_movk_i32 s17, 0xff80
	v_ldexp_f64 v[15:16], |v[9:10]|, s17
	v_cmp_ge_f64_e64 vcc, |v[9:10]|, s[4:5]
	v_trig_preop_f64 v[13:14], |v[9:10]|, 1
	v_and_b32_e32 v17, 0x7fffffff, v10
	v_trig_preop_f64 v[23:24], |v[9:10]|, 2
	s_mov_b32 s4, 0
	s_mov_b32 s5, 0x7ff00000
	v_mov_b32_e32 v35, 0x40100000
	v_mov_b32_e32 v34, 0
	v_cndmask_b32_e32 v16, v17, v16, vcc
	v_cndmask_b32_e32 v15, v9, v15, vcc
	s_mov_b32 s17, 0x3ff921fb
	v_mul_f64 v[17:18], v[11:12], v[15:16]
	v_mul_f64 v[19:20], v[13:14], v[15:16]
	;; [unrolled: 1-line block ×3, first 2 shown]
	v_fma_f64 v[11:12], v[11:12], v[15:16], -v[17:18]
	v_fma_f64 v[13:14], v[13:14], v[15:16], -v[19:20]
	;; [unrolled: 1-line block ×3, first 2 shown]
	v_add_f64 v[21:22], v[19:20], v[11:12]
	v_add_f64 v[25:26], v[21:22], -v[19:20]
	v_add_f64 v[32:33], v[17:18], v[21:22]
	v_add_f64 v[28:29], v[21:22], -v[25:26]
	v_add_f64 v[11:12], v[11:12], -v[25:26]
	v_add_f64 v[25:26], v[30:31], v[13:14]
	v_add_f64 v[17:18], v[32:33], -v[17:18]
	v_add_f64 v[19:20], v[19:20], -v[28:29]
	v_ldexp_f64 v[28:29], v[32:33], -2
	v_add_f64 v[36:37], v[25:26], -v[30:31]
	v_add_f64 v[17:18], v[21:22], -v[17:18]
	v_add_f64 v[11:12], v[11:12], v[19:20]
	v_fract_f64_e32 v[19:20], v[28:29]
	v_cmp_neq_f64_e64 vcc, |v[28:29]|, s[4:5]
	v_add_f64 v[13:14], v[13:14], -v[36:37]
	v_add_f64 v[21:22], v[25:26], v[11:12]
	v_ldexp_f64 v[19:20], v[19:20], 2
	v_add_f64 v[28:29], v[17:18], v[21:22]
	v_cndmask_b32_e32 v20, 0, v20, vcc
	v_cndmask_b32_e32 v19, 0, v19, vcc
	v_add_f64 v[38:39], v[21:22], -v[25:26]
	v_add_f64 v[32:33], v[28:29], v[19:20]
	v_add_f64 v[17:18], v[28:29], -v[17:18]
	v_add_f64 v[40:41], v[21:22], -v[38:39]
	;; [unrolled: 1-line block ×3, first 2 shown]
	v_cmp_gt_f64_e32 vcc, 0, v[32:33]
	v_add_f64 v[32:33], v[25:26], -v[36:37]
	v_add_f64 v[17:18], v[21:22], -v[17:18]
	;; [unrolled: 1-line block ×3, first 2 shown]
	v_cndmask_b32_e32 v35, 0, v35, vcc
	v_add_f64 v[19:20], v[19:20], v[34:35]
	v_add_f64 v[32:33], v[30:31], -v[32:33]
	v_add_f64 v[11:12], v[11:12], v[25:26]
	v_add_f64 v[42:43], v[28:29], v[19:20]
	;; [unrolled: 1-line block ×3, first 2 shown]
	v_cvt_i32_f64_e32 v37, v[42:43]
	v_add_f64 v[11:12], v[13:14], v[11:12]
	v_cvt_f64_i32_e32 v[35:36], v37
	v_add_f64 v[19:20], v[19:20], -v[35:36]
	v_add_f64 v[11:12], v[15:16], v[11:12]
	v_add_f64 v[13:14], v[28:29], v[19:20]
	;; [unrolled: 1-line block ×3, first 2 shown]
	v_mov_b32_e32 v18, 0x3ff00000
	v_add_f64 v[15:16], v[13:14], -v[19:20]
	v_cmp_le_f64_e32 vcc, 0.5, v[13:14]
	v_add_f64 v[16:17], v[28:29], -v[15:16]
	v_cndmask_b32_e32 v35, 0, v18, vcc
	v_add_f64 v[13:14], v[13:14], -v[34:35]
	v_addc_co_u32_e64 v15, s[4:5], 0, v37, vcc
	s_mov_b32 s4, 0x33145c07
	s_mov_b32 s5, 0x3c91a626
	v_add_f64 v[11:12], v[11:12], v[16:17]
	v_add_f64 v[16:17], v[13:14], v[11:12]
	v_mul_f64 v[18:19], v[16:17], s[16:17]
	v_add_f64 v[13:14], v[16:17], -v[13:14]
	v_fma_f64 v[20:21], v[16:17], s[16:17], -v[18:19]
	v_add_f64 v[11:12], v[11:12], -v[13:14]
	v_fma_f64 v[13:14], v[16:17], s[4:5], v[20:21]
	v_fma_f64 v[13:14], v[11:12], s[16:17], v[13:14]
	v_add_f64 v[11:12], v[18:19], v[13:14]
	v_add_f64 v[16:17], v[11:12], -v[18:19]
	v_add_f64 v[13:14], v[13:14], -v[16:17]
.LBB45_6:
	s_andn2_saveexec_b64 s[4:5], s[18:19]
	s_cbranch_execz .LBB45_8
; %bb.7:
	s_mov_b32 s16, 0x6dc9c883
	s_mov_b32 s17, 0x3fe45f30
	v_mul_f64 v[11:12], |v[9:10]|, s[16:17]
	s_mov_b32 s16, 0x54442d18
	s_mov_b32 s17, 0xbff921fb
	;; [unrolled: 1-line block ×4, first 2 shown]
	v_rndne_f64_e32 v[15:16], v[11:12]
	v_fma_f64 v[11:12], v[15:16], s[16:17], |v[9:10]|
	v_mul_f64 v[13:14], v[15:16], s[18:19]
	s_mov_b32 s16, 0x252049c0
	s_mov_b32 s17, 0xb97b839a
	v_fma_f64 v[21:22], v[15:16], s[18:19], v[11:12]
	v_add_f64 v[17:18], v[11:12], v[13:14]
	s_mov_b32 s19, 0x3c91a626
	v_add_f64 v[19:20], v[11:12], -v[17:18]
	v_add_f64 v[17:18], v[17:18], -v[21:22]
	v_add_f64 v[11:12], v[19:20], v[13:14]
	v_fma_f64 v[13:14], v[15:16], s[18:19], v[13:14]
	v_add_f64 v[11:12], v[17:18], v[11:12]
	v_add_f64 v[11:12], v[11:12], -v[13:14]
	v_fma_f64 v[13:14], v[15:16], s[16:17], v[11:12]
	v_cvt_i32_f64_e32 v15, v[15:16]
	v_add_f64 v[11:12], v[21:22], v[13:14]
	v_add_f64 v[17:18], v[11:12], -v[21:22]
	v_add_f64 v[13:14], v[13:14], -v[17:18]
.LBB45_8:
	s_or_b64 exec, exec, s[4:5]
	v_mul_f64 v[16:17], v[11:12], v[11:12]
	s_mov_b32 s4, 0xf9a43bb8
	v_mov_b32_e32 v19, 0xb42fdfa7
	v_mov_b32_e32 v20, 0xbe5ae600
	s_mov_b32 s5, 0x3de5e0b2
	s_mov_b32 s16, 0x796cde01
	v_mov_b32_e32 v18, 0x9037ab78
	s_mov_b32 s17, 0x3ec71de3
	v_fma_f64 v[20:21], v[16:17], s[4:5], v[19:20]
	s_mov_b32 s4, 0x46cc5e42
	v_mov_b32_e32 v19, 0x3e21eeb6
	s_mov_b32 s5, 0xbda907db
	v_fma_f64 v[18:19], v[16:17], s[4:5], v[18:19]
	v_mul_f64 v[22:23], v[16:17], 0.5
	s_mov_b32 s4, 0xa17f65f6
	s_mov_b32 s18, 0x19e83e5c
	v_fma_f64 v[20:21], v[16:17], v[20:21], s[16:17]
	s_mov_b32 s5, 0xbe927e4f
	s_mov_b32 s19, 0xbf2a01a0
	;; [unrolled: 1-line block ×3, first 2 shown]
	v_fma_f64 v[18:19], v[16:17], v[18:19], s[4:5]
	v_add_f64 v[24:25], -v[22:23], 1.0
	s_mov_b32 s4, 0x11110bb3
	s_mov_b32 s17, 0x3efa01a0
	v_fma_f64 v[20:21], v[16:17], v[20:21], s[18:19]
	s_mov_b32 s5, 0x3f811111
	v_mul_f64 v[28:29], v[13:14], 0.5
	v_mul_f64 v[30:31], v[11:12], -v[16:17]
	v_fma_f64 v[18:19], v[16:17], v[18:19], s[16:17]
	v_add_f64 v[32:33], -v[24:25], 1.0
	v_add_f64 v[5:6], -v[5:6], 1.0
	v_fma_f64 v[20:21], v[16:17], v[20:21], s[4:5]
	s_mov_b32 s4, 0x16c16967
	s_mov_b32 s5, 0xbf56c16c
	v_fma_f64 v[18:19], v[16:17], v[18:19], s[4:5]
	v_add_f64 v[22:23], v[32:33], -v[22:23]
	s_mov_b32 s5, 0x3fa55555
	s_mov_b32 s4, 0x55555555
	v_fma_f64 v[20:21], v[30:31], v[20:21], v[28:29]
	v_mul_f64 v[28:29], v[16:17], v[16:17]
	v_fma_f64 v[18:19], v[16:17], v[18:19], s[4:5]
	v_fma_f64 v[22:23], v[11:12], -v[13:14], v[22:23]
	s_mov_b32 s5, 0xbfc55555
	v_fma_f64 v[13:14], v[16:17], v[20:21], -v[13:14]
	v_fma_f64 v[16:17], v[28:29], v[18:19], v[22:23]
	v_fma_f64 v[13:14], v[30:31], s[4:5], v[13:14]
	s_movk_i32 s4, 0x1f8
	v_cmp_class_f64_e64 s[4:5], v[9:10], s4
	v_lshlrev_b32_e32 v9, 30, v15
	v_xor_b32_e32 v9, v9, v10
	v_add_f64 v[16:17], v[24:25], v[16:17]
	v_and_b32_e32 v9, 0x80000000, v9
	v_add_f64 v[11:12], v[11:12], -v[13:14]
	v_and_b32_e32 v13, 1, v15
	v_cmp_eq_u32_e32 vcc, 0, v13
	v_mov_b32_e32 v13, 0x7ff80000
	v_cndmask_b32_e32 v10, v17, v12, vcc
	v_cndmask_b32_e32 v11, v16, v11, vcc
	v_xor_b32_e32 v10, v10, v9
	v_cndmask_b32_e64 v9, 0, v11, s[4:5]
	v_cndmask_b32_e64 v10, v13, v10, s[4:5]
	v_mul_f64 v[9:10], v[9:10], v[9:10]
	s_mov_b32 s4, 0xc9be45de
	s_mov_b32 s5, 0xc023bd3c
	v_div_scale_f64 v[11:12], s[16:17], v[9:10], v[9:10], s[4:5]
	v_rcp_f64_e32 v[13:14], v[11:12]
	v_fma_f64 v[15:16], -v[11:12], v[13:14], 1.0
	v_fma_f64 v[13:14], v[13:14], v[15:16], v[13:14]
	v_div_scale_f64 v[15:16], vcc, s[4:5], v[9:10], s[4:5]
	v_fma_f64 v[17:18], -v[11:12], v[13:14], 1.0
	v_fma_f64 v[13:14], v[13:14], v[17:18], v[13:14]
	v_mul_f64 v[17:18], v[15:16], v[13:14]
	v_fma_f64 v[11:12], -v[11:12], v[17:18], v[15:16]
	v_div_fmas_f64 v[11:12], v[11:12], v[13:14], v[17:18]
	v_div_fixup_f64 v[9:10], v[11:12], v[9:10], s[4:5]
	v_add_f64 v[11:12], v[9:10], 0
	v_mov_b32_e32 v9, 0
	v_mov_b32_e32 v10, 0xbff00000
.LBB45_9:
	s_or_b64 exec, exec, s[14:15]
	v_cmp_gt_f64_e32 vcc, 0.5, v[7:8]
	v_mov_b32_e32 v15, 0
	v_mov_b32_e32 v13, 0
	;; [unrolled: 1-line block ×4, first 2 shown]
	s_and_saveexec_b64 s[14:15], vcc
	s_cbranch_execz .LBB45_15
; %bb.10:
	s_mov_b32 s17, 0x400921fb
	s_mov_b32 s16, 0x54442d18
	v_mul_f64 v[13:14], v[7:8], s[16:17]
	s_mov_b32 s4, 0
	s_mov_b32 s5, 0x41d00000
                                        ; implicit-def: $vgpr19
                                        ; implicit-def: $vgpr15_vgpr16
                                        ; implicit-def: $vgpr17_vgpr18
	v_cmp_nlt_f64_e64 s[4:5], |v[13:14]|, s[4:5]
	s_and_saveexec_b64 s[18:19], s[4:5]
	s_xor_b64 s[18:19], exec, s[18:19]
	s_cbranch_execz .LBB45_12
; %bb.11:
	v_trig_preop_f64 v[15:16], |v[13:14]|, 0
	s_mov_b32 s4, 0
	s_mov_b32 s5, 0x7b000000
	s_movk_i32 s17, 0xff80
	v_ldexp_f64 v[19:20], |v[13:14]|, s17
	v_cmp_ge_f64_e64 vcc, |v[13:14]|, s[4:5]
	v_trig_preop_f64 v[17:18], |v[13:14]|, 1
	v_and_b32_e32 v21, 0x7fffffff, v14
	v_trig_preop_f64 v[28:29], |v[13:14]|, 2
	s_mov_b32 s4, 0
	s_mov_b32 s5, 0x7ff00000
	v_mov_b32_e32 v39, 0x40100000
	v_mov_b32_e32 v38, 0
	v_cndmask_b32_e32 v20, v21, v20, vcc
	v_cndmask_b32_e32 v19, v13, v19, vcc
	s_mov_b32 s17, 0x3ff921fb
	v_mul_f64 v[21:22], v[15:16], v[19:20]
	v_mul_f64 v[23:24], v[17:18], v[19:20]
	;; [unrolled: 1-line block ×3, first 2 shown]
	v_fma_f64 v[15:16], v[15:16], v[19:20], -v[21:22]
	v_fma_f64 v[17:18], v[17:18], v[19:20], -v[23:24]
	;; [unrolled: 1-line block ×3, first 2 shown]
	v_add_f64 v[25:26], v[23:24], v[15:16]
	v_add_f64 v[30:31], v[25:26], -v[23:24]
	v_add_f64 v[36:37], v[21:22], v[25:26]
	v_add_f64 v[32:33], v[25:26], -v[30:31]
	v_add_f64 v[15:16], v[15:16], -v[30:31]
	v_add_f64 v[30:31], v[34:35], v[17:18]
	v_add_f64 v[21:22], v[36:37], -v[21:22]
	v_add_f64 v[23:24], v[23:24], -v[32:33]
	v_ldexp_f64 v[32:33], v[36:37], -2
	v_add_f64 v[40:41], v[30:31], -v[34:35]
	v_add_f64 v[21:22], v[25:26], -v[21:22]
	v_add_f64 v[15:16], v[15:16], v[23:24]
	v_fract_f64_e32 v[23:24], v[32:33]
	v_cmp_neq_f64_e64 vcc, |v[32:33]|, s[4:5]
	v_add_f64 v[17:18], v[17:18], -v[40:41]
	v_add_f64 v[25:26], v[30:31], v[15:16]
	v_ldexp_f64 v[23:24], v[23:24], 2
	v_add_f64 v[32:33], v[21:22], v[25:26]
	v_cndmask_b32_e32 v24, 0, v24, vcc
	v_cndmask_b32_e32 v23, 0, v23, vcc
	v_add_f64 v[42:43], v[25:26], -v[30:31]
	v_add_f64 v[36:37], v[32:33], v[23:24]
	v_add_f64 v[21:22], v[32:33], -v[21:22]
	v_add_f64 v[44:45], v[25:26], -v[42:43]
	;; [unrolled: 1-line block ×3, first 2 shown]
	v_cmp_gt_f64_e32 vcc, 0, v[36:37]
	v_add_f64 v[36:37], v[30:31], -v[40:41]
	v_add_f64 v[21:22], v[25:26], -v[21:22]
	;; [unrolled: 1-line block ×3, first 2 shown]
	v_cndmask_b32_e32 v39, 0, v39, vcc
	v_add_f64 v[23:24], v[23:24], v[38:39]
	v_add_f64 v[36:37], v[34:35], -v[36:37]
	v_add_f64 v[15:16], v[15:16], v[30:31]
	v_add_f64 v[46:47], v[32:33], v[23:24]
	;; [unrolled: 1-line block ×3, first 2 shown]
	v_cvt_i32_f64_e32 v41, v[46:47]
	v_add_f64 v[15:16], v[17:18], v[15:16]
	v_cvt_f64_i32_e32 v[39:40], v41
	v_add_f64 v[23:24], v[23:24], -v[39:40]
	v_add_f64 v[15:16], v[19:20], v[15:16]
	v_add_f64 v[17:18], v[32:33], v[23:24]
	;; [unrolled: 1-line block ×3, first 2 shown]
	v_mov_b32_e32 v22, 0x3ff00000
	v_add_f64 v[19:20], v[17:18], -v[23:24]
	v_cmp_le_f64_e32 vcc, 0.5, v[17:18]
	v_add_f64 v[20:21], v[32:33], -v[19:20]
	v_cndmask_b32_e32 v39, 0, v22, vcc
	v_add_f64 v[17:18], v[17:18], -v[38:39]
	v_addc_co_u32_e64 v19, s[4:5], 0, v41, vcc
	s_mov_b32 s4, 0x33145c07
	s_mov_b32 s5, 0x3c91a626
	v_add_f64 v[15:16], v[15:16], v[20:21]
	v_add_f64 v[20:21], v[17:18], v[15:16]
	v_mul_f64 v[22:23], v[20:21], s[16:17]
	v_add_f64 v[17:18], v[20:21], -v[17:18]
	v_fma_f64 v[24:25], v[20:21], s[16:17], -v[22:23]
	v_add_f64 v[15:16], v[15:16], -v[17:18]
	v_fma_f64 v[17:18], v[20:21], s[4:5], v[24:25]
	v_fma_f64 v[17:18], v[15:16], s[16:17], v[17:18]
	v_add_f64 v[15:16], v[22:23], v[17:18]
	v_add_f64 v[20:21], v[15:16], -v[22:23]
	v_add_f64 v[17:18], v[17:18], -v[20:21]
.LBB45_12:
	s_andn2_saveexec_b64 s[4:5], s[18:19]
	s_cbranch_execz .LBB45_14
; %bb.13:
	s_mov_b32 s16, 0x6dc9c883
	s_mov_b32 s17, 0x3fe45f30
	v_mul_f64 v[15:16], |v[13:14]|, s[16:17]
	s_mov_b32 s16, 0x54442d18
	s_mov_b32 s17, 0xbff921fb
	;; [unrolled: 1-line block ×4, first 2 shown]
	v_rndne_f64_e32 v[19:20], v[15:16]
	v_fma_f64 v[15:16], v[19:20], s[16:17], |v[13:14]|
	v_mul_f64 v[17:18], v[19:20], s[18:19]
	s_mov_b32 s16, 0x252049c0
	s_mov_b32 s17, 0xb97b839a
	v_fma_f64 v[25:26], v[19:20], s[18:19], v[15:16]
	v_add_f64 v[21:22], v[15:16], v[17:18]
	s_mov_b32 s19, 0x3c91a626
	v_add_f64 v[23:24], v[15:16], -v[21:22]
	v_add_f64 v[21:22], v[21:22], -v[25:26]
	v_add_f64 v[15:16], v[23:24], v[17:18]
	v_fma_f64 v[17:18], v[19:20], s[18:19], v[17:18]
	v_add_f64 v[15:16], v[21:22], v[15:16]
	v_add_f64 v[15:16], v[15:16], -v[17:18]
	v_fma_f64 v[17:18], v[19:20], s[16:17], v[15:16]
	v_cvt_i32_f64_e32 v19, v[19:20]
	v_add_f64 v[15:16], v[25:26], v[17:18]
	v_add_f64 v[21:22], v[15:16], -v[25:26]
	v_add_f64 v[17:18], v[17:18], -v[21:22]
.LBB45_14:
	s_or_b64 exec, exec, s[4:5]
	v_mul_f64 v[20:21], v[15:16], v[15:16]
	s_mov_b32 s4, 0xf9a43bb8
	v_mov_b32_e32 v23, 0xb42fdfa7
	v_mov_b32_e32 v24, 0xbe5ae600
	s_mov_b32 s5, 0x3de5e0b2
	s_mov_b32 s16, 0x796cde01
	v_mov_b32_e32 v22, 0x9037ab78
	s_mov_b32 s17, 0x3ec71de3
	v_fma_f64 v[24:25], v[20:21], s[4:5], v[23:24]
	s_mov_b32 s4, 0x46cc5e42
	v_mov_b32_e32 v23, 0x3e21eeb6
	s_mov_b32 s5, 0xbda907db
	v_fma_f64 v[22:23], v[20:21], s[4:5], v[22:23]
	v_mul_f64 v[28:29], v[20:21], 0.5
	s_mov_b32 s4, 0xa17f65f6
	s_mov_b32 s18, 0x19e83e5c
	v_fma_f64 v[24:25], v[20:21], v[24:25], s[16:17]
	s_mov_b32 s5, 0xbe927e4f
	s_mov_b32 s19, 0xbf2a01a0
	;; [unrolled: 1-line block ×3, first 2 shown]
	v_fma_f64 v[22:23], v[20:21], v[22:23], s[4:5]
	v_add_f64 v[30:31], -v[28:29], 1.0
	s_mov_b32 s4, 0x11110bb3
	s_mov_b32 s17, 0x3efa01a0
	v_fma_f64 v[24:25], v[20:21], v[24:25], s[18:19]
	s_mov_b32 s5, 0x3f811111
	v_mul_f64 v[32:33], v[17:18], 0.5
	v_mul_f64 v[34:35], v[15:16], -v[20:21]
	v_fma_f64 v[22:23], v[20:21], v[22:23], s[16:17]
	v_add_f64 v[36:37], -v[30:31], 1.0
	v_add_f64 v[7:8], -v[7:8], 1.0
	v_fma_f64 v[24:25], v[20:21], v[24:25], s[4:5]
	s_mov_b32 s4, 0x16c16967
	s_mov_b32 s5, 0xbf56c16c
	v_fma_f64 v[22:23], v[20:21], v[22:23], s[4:5]
	v_add_f64 v[28:29], v[36:37], -v[28:29]
	s_mov_b32 s5, 0x3fa55555
	s_mov_b32 s4, 0x55555555
	v_fma_f64 v[24:25], v[34:35], v[24:25], v[32:33]
	v_mul_f64 v[32:33], v[20:21], v[20:21]
	v_fma_f64 v[22:23], v[20:21], v[22:23], s[4:5]
	v_fma_f64 v[28:29], v[15:16], -v[17:18], v[28:29]
	s_mov_b32 s5, 0xbfc55555
	v_fma_f64 v[17:18], v[20:21], v[24:25], -v[17:18]
	v_fma_f64 v[20:21], v[32:33], v[22:23], v[28:29]
	v_fma_f64 v[17:18], v[34:35], s[4:5], v[17:18]
	s_movk_i32 s4, 0x1f8
	v_cmp_class_f64_e64 s[4:5], v[13:14], s4
	v_lshlrev_b32_e32 v13, 30, v19
	v_xor_b32_e32 v13, v13, v14
	v_add_f64 v[20:21], v[30:31], v[20:21]
	v_and_b32_e32 v13, 0x80000000, v13
	v_add_f64 v[15:16], v[15:16], -v[17:18]
	v_and_b32_e32 v17, 1, v19
	v_cmp_eq_u32_e32 vcc, 0, v17
	v_mov_b32_e32 v17, 0x7ff80000
	v_cndmask_b32_e32 v14, v21, v16, vcc
	v_cndmask_b32_e32 v15, v20, v15, vcc
	v_xor_b32_e32 v14, v14, v13
	v_cndmask_b32_e64 v13, 0, v15, s[4:5]
	v_cndmask_b32_e64 v14, v17, v14, s[4:5]
	v_mul_f64 v[13:14], v[13:14], v[13:14]
	s_mov_b32 s4, 0xc9be45de
	s_mov_b32 s5, 0xc023bd3c
	v_div_scale_f64 v[15:16], s[16:17], v[13:14], v[13:14], s[4:5]
	v_rcp_f64_e32 v[17:18], v[15:16]
	v_fma_f64 v[19:20], -v[15:16], v[17:18], 1.0
	v_fma_f64 v[17:18], v[17:18], v[19:20], v[17:18]
	v_div_scale_f64 v[19:20], vcc, s[4:5], v[13:14], s[4:5]
	v_fma_f64 v[21:22], -v[15:16], v[17:18], 1.0
	v_fma_f64 v[17:18], v[17:18], v[21:22], v[17:18]
	v_mul_f64 v[21:22], v[19:20], v[17:18]
	v_fma_f64 v[15:16], -v[15:16], v[21:22], v[19:20]
	v_div_fmas_f64 v[15:16], v[15:16], v[17:18], v[21:22]
	v_div_fixup_f64 v[13:14], v[15:16], v[13:14], s[4:5]
	v_add_f64 v[15:16], v[13:14], 0
	v_mov_b32_e32 v13, 0
	v_mov_b32_e32 v14, 0xbff00000
.LBB45_15:
	s_or_b64 exec, exec, s[14:15]
	s_waitcnt vmcnt(0)
	v_cmp_gt_f64_e32 vcc, 0.5, v[1:2]
	v_mov_b32_e32 v23, 0
	v_mov_b32_e32 v19, 0
	;; [unrolled: 1-line block ×4, first 2 shown]
	s_and_saveexec_b64 s[14:15], vcc
	s_cbranch_execz .LBB45_21
; %bb.16:
	s_mov_b32 s5, 0x400921fb
	s_mov_b32 s4, 0x54442d18
	v_mul_f64 v[17:18], v[1:2], s[4:5]
	s_mov_b32 s16, 0
	s_mov_b32 s17, 0x41d00000
                                        ; implicit-def: $vgpr23
                                        ; implicit-def: $vgpr19_vgpr20
                                        ; implicit-def: $vgpr21_vgpr22
	v_cmp_nlt_f64_e64 s[16:17], |v[17:18]|, s[16:17]
	s_and_saveexec_b64 s[18:19], s[16:17]
	s_xor_b64 s[16:17], exec, s[18:19]
	s_cbranch_execz .LBB45_18
; %bb.17:
	v_trig_preop_f64 v[19:20], |v[17:18]|, 0
	s_mov_b32 s18, 0
	s_mov_b32 s19, 0x7b000000
	s_movk_i32 s5, 0xff80
	v_ldexp_f64 v[21:22], |v[17:18]|, s5
	v_cmp_ge_f64_e64 vcc, |v[17:18]|, s[18:19]
	v_trig_preop_f64 v[23:24], |v[17:18]|, 1
	v_and_b32_e32 v25, 0x7fffffff, v18
	v_trig_preop_f64 v[32:33], |v[17:18]|, 2
	s_mov_b32 s18, 0
	s_mov_b32 s19, 0x7ff00000
	v_mov_b32_e32 v43, 0x40100000
	v_mov_b32_e32 v42, 0
	v_cndmask_b32_e32 v22, v25, v22, vcc
	v_cndmask_b32_e32 v21, v17, v21, vcc
	s_mov_b32 s5, 0x3ff921fb
	v_mul_f64 v[25:26], v[19:20], v[21:22]
	v_mul_f64 v[28:29], v[23:24], v[21:22]
	;; [unrolled: 1-line block ×3, first 2 shown]
	v_fma_f64 v[19:20], v[19:20], v[21:22], -v[25:26]
	v_fma_f64 v[23:24], v[23:24], v[21:22], -v[28:29]
	;; [unrolled: 1-line block ×3, first 2 shown]
	v_add_f64 v[30:31], v[28:29], v[19:20]
	v_add_f64 v[34:35], v[30:31], -v[28:29]
	v_add_f64 v[40:41], v[25:26], v[30:31]
	v_add_f64 v[36:37], v[30:31], -v[34:35]
	v_add_f64 v[19:20], v[19:20], -v[34:35]
	v_add_f64 v[34:35], v[38:39], v[23:24]
	v_add_f64 v[25:26], v[40:41], -v[25:26]
	v_add_f64 v[28:29], v[28:29], -v[36:37]
	v_ldexp_f64 v[36:37], v[40:41], -2
	v_add_f64 v[25:26], v[30:31], -v[25:26]
	v_add_f64 v[19:20], v[19:20], v[28:29]
	v_fract_f64_e32 v[28:29], v[36:37]
	v_cmp_neq_f64_e64 vcc, |v[36:37]|, s[18:19]
	s_mov_b32 s18, 0x33145c07
	s_mov_b32 s19, 0x3c91a626
	v_add_f64 v[30:31], v[34:35], v[19:20]
	v_ldexp_f64 v[28:29], v[28:29], 2
	v_add_f64 v[36:37], v[25:26], v[30:31]
	v_cndmask_b32_e32 v29, 0, v29, vcc
	v_cndmask_b32_e32 v28, 0, v28, vcc
	v_add_f64 v[44:45], v[30:31], -v[34:35]
	v_add_f64 v[40:41], v[36:37], v[28:29]
	v_add_f64 v[25:26], v[36:37], -v[25:26]
	v_add_f64 v[48:49], v[30:31], -v[44:45]
	;; [unrolled: 1-line block ×3, first 2 shown]
	v_cmp_gt_f64_e32 vcc, 0, v[40:41]
	v_add_f64 v[40:41], v[34:35], -v[38:39]
	v_add_f64 v[25:26], v[30:31], -v[25:26]
	v_cndmask_b32_e32 v43, 0, v43, vcc
	v_add_f64 v[28:29], v[28:29], v[42:43]
	v_add_f64 v[46:47], v[34:35], -v[40:41]
	v_add_f64 v[23:24], v[23:24], -v[40:41]
	;; [unrolled: 1-line block ×3, first 2 shown]
	v_add_f64 v[50:51], v[36:37], v[28:29]
	v_add_f64 v[40:41], v[38:39], -v[46:47]
	v_add_f64 v[19:20], v[19:20], v[34:35]
	v_cvt_i32_f64_e32 v45, v[50:51]
	v_add_f64 v[23:24], v[23:24], v[40:41]
	v_cvt_f64_i32_e32 v[43:44], v45
	v_add_f64 v[28:29], v[28:29], -v[43:44]
	v_add_f64 v[19:20], v[23:24], v[19:20]
	v_add_f64 v[23:24], v[36:37], v[28:29]
	;; [unrolled: 1-line block ×3, first 2 shown]
	v_add_f64 v[21:22], v[23:24], -v[28:29]
	v_cmp_le_f64_e32 vcc, 0.5, v[23:24]
	v_add_f64 v[19:20], v[25:26], v[19:20]
	v_mov_b32_e32 v25, 0x3ff00000
	v_add_f64 v[21:22], v[36:37], -v[21:22]
	v_cndmask_b32_e32 v43, 0, v25, vcc
	v_add_f64 v[19:20], v[19:20], v[21:22]
	v_add_f64 v[21:22], v[23:24], -v[42:43]
	v_add_f64 v[23:24], v[21:22], v[19:20]
	v_mul_f64 v[25:26], v[23:24], s[4:5]
	v_add_f64 v[21:22], v[23:24], -v[21:22]
	v_fma_f64 v[28:29], v[23:24], s[4:5], -v[25:26]
	v_add_f64 v[19:20], v[19:20], -v[21:22]
	v_fma_f64 v[21:22], v[23:24], s[18:19], v[28:29]
	v_fma_f64 v[21:22], v[19:20], s[4:5], v[21:22]
	v_add_f64 v[19:20], v[25:26], v[21:22]
	v_add_f64 v[23:24], v[19:20], -v[25:26]
	v_add_f64 v[21:22], v[21:22], -v[23:24]
	v_addc_co_u32_e32 v23, vcc, 0, v45, vcc
.LBB45_18:
	s_andn2_saveexec_b64 s[4:5], s[16:17]
	s_cbranch_execz .LBB45_20
; %bb.19:
	s_mov_b32 s16, 0x6dc9c883
	s_mov_b32 s17, 0x3fe45f30
	v_mul_f64 v[19:20], |v[17:18]|, s[16:17]
	s_mov_b32 s16, 0x54442d18
	s_mov_b32 s17, 0xbff921fb
	;; [unrolled: 1-line block ×4, first 2 shown]
	v_rndne_f64_e32 v[23:24], v[19:20]
	v_fma_f64 v[19:20], v[23:24], s[16:17], |v[17:18]|
	v_mul_f64 v[21:22], v[23:24], s[18:19]
	s_mov_b32 s16, 0x252049c0
	s_mov_b32 s17, 0xb97b839a
	v_fma_f64 v[30:31], v[23:24], s[18:19], v[19:20]
	v_add_f64 v[25:26], v[19:20], v[21:22]
	s_mov_b32 s19, 0x3c91a626
	v_add_f64 v[28:29], v[19:20], -v[25:26]
	v_add_f64 v[25:26], v[25:26], -v[30:31]
	v_add_f64 v[19:20], v[28:29], v[21:22]
	v_fma_f64 v[21:22], v[23:24], s[18:19], v[21:22]
	v_add_f64 v[19:20], v[25:26], v[19:20]
	v_add_f64 v[19:20], v[19:20], -v[21:22]
	v_fma_f64 v[21:22], v[23:24], s[16:17], v[19:20]
	v_cvt_i32_f64_e32 v23, v[23:24]
	v_add_f64 v[19:20], v[30:31], v[21:22]
	v_add_f64 v[25:26], v[19:20], -v[30:31]
	v_add_f64 v[21:22], v[21:22], -v[25:26]
.LBB45_20:
	s_or_b64 exec, exec, s[4:5]
	v_mul_f64 v[24:25], v[19:20], v[19:20]
	s_mov_b32 s4, 0xf9a43bb8
	v_mov_b32_e32 v29, 0xb42fdfa7
	v_mov_b32_e32 v30, 0xbe5ae600
	s_mov_b32 s5, 0x3de5e0b2
	s_mov_b32 s16, 0x796cde01
	v_mov_b32_e32 v28, 0x9037ab78
	s_mov_b32 s17, 0x3ec71de3
	v_fma_f64 v[30:31], v[24:25], s[4:5], v[29:30]
	s_mov_b32 s4, 0x46cc5e42
	v_mov_b32_e32 v29, 0x3e21eeb6
	s_mov_b32 s5, 0xbda907db
	v_fma_f64 v[28:29], v[24:25], s[4:5], v[28:29]
	v_mul_f64 v[32:33], v[24:25], 0.5
	s_mov_b32 s4, 0xa17f65f6
	s_mov_b32 s18, 0x19e83e5c
	v_fma_f64 v[30:31], v[24:25], v[30:31], s[16:17]
	s_mov_b32 s5, 0xbe927e4f
	s_mov_b32 s19, 0xbf2a01a0
	;; [unrolled: 1-line block ×3, first 2 shown]
	v_fma_f64 v[28:29], v[24:25], v[28:29], s[4:5]
	v_add_f64 v[34:35], -v[32:33], 1.0
	s_mov_b32 s4, 0x11110bb3
	s_mov_b32 s17, 0x3efa01a0
	v_fma_f64 v[30:31], v[24:25], v[30:31], s[18:19]
	s_mov_b32 s5, 0x3f811111
	v_mul_f64 v[36:37], v[21:22], 0.5
	v_mul_f64 v[38:39], v[19:20], -v[24:25]
	v_fma_f64 v[28:29], v[24:25], v[28:29], s[16:17]
	v_add_f64 v[40:41], -v[34:35], 1.0
	v_add_f64 v[1:2], -v[1:2], 1.0
	v_fma_f64 v[30:31], v[24:25], v[30:31], s[4:5]
	s_mov_b32 s4, 0x16c16967
	s_mov_b32 s5, 0xbf56c16c
	v_fma_f64 v[28:29], v[24:25], v[28:29], s[4:5]
	v_add_f64 v[32:33], v[40:41], -v[32:33]
	s_mov_b32 s5, 0x3fa55555
	s_mov_b32 s4, 0x55555555
	v_fma_f64 v[30:31], v[38:39], v[30:31], v[36:37]
	v_mul_f64 v[36:37], v[24:25], v[24:25]
	v_fma_f64 v[28:29], v[24:25], v[28:29], s[4:5]
	v_fma_f64 v[32:33], v[19:20], -v[21:22], v[32:33]
	s_mov_b32 s5, 0xbfc55555
	v_fma_f64 v[21:22], v[24:25], v[30:31], -v[21:22]
	v_fma_f64 v[24:25], v[36:37], v[28:29], v[32:33]
	v_fma_f64 v[21:22], v[38:39], s[4:5], v[21:22]
	s_movk_i32 s4, 0x1f8
	v_cmp_class_f64_e64 s[4:5], v[17:18], s4
	v_lshlrev_b32_e32 v17, 30, v23
	v_xor_b32_e32 v17, v17, v18
	v_add_f64 v[24:25], v[34:35], v[24:25]
	v_and_b32_e32 v17, 0x80000000, v17
	v_add_f64 v[19:20], v[19:20], -v[21:22]
	v_and_b32_e32 v21, 1, v23
	v_cmp_eq_u32_e32 vcc, 0, v21
	v_mov_b32_e32 v21, 0x7ff80000
	v_cndmask_b32_e32 v18, v25, v20, vcc
	v_cndmask_b32_e32 v19, v24, v19, vcc
	v_xor_b32_e32 v18, v18, v17
	v_cndmask_b32_e64 v17, 0, v19, s[4:5]
	v_cndmask_b32_e64 v18, v21, v18, s[4:5]
	v_mul_f64 v[17:18], v[17:18], v[17:18]
	s_mov_b32 s4, 0xc9be45de
	s_mov_b32 s5, 0xc023bd3c
	v_div_scale_f64 v[19:20], s[16:17], v[17:18], v[17:18], s[4:5]
	v_rcp_f64_e32 v[21:22], v[19:20]
	v_fma_f64 v[23:24], -v[19:20], v[21:22], 1.0
	v_fma_f64 v[21:22], v[21:22], v[23:24], v[21:22]
	v_div_scale_f64 v[23:24], vcc, s[4:5], v[17:18], s[4:5]
	v_fma_f64 v[25:26], -v[19:20], v[21:22], 1.0
	v_fma_f64 v[21:22], v[21:22], v[25:26], v[21:22]
	v_mul_f64 v[25:26], v[23:24], v[21:22]
	v_fma_f64 v[19:20], -v[19:20], v[25:26], v[23:24]
	v_div_fmas_f64 v[19:20], v[19:20], v[21:22], v[25:26]
	v_div_fixup_f64 v[17:18], v[19:20], v[17:18], s[4:5]
	v_mov_b32_e32 v19, 0
	v_mov_b32_e32 v20, 0xbff00000
	v_add_f64 v[23:24], v[17:18], 0
.LBB45_21:
	s_or_b64 exec, exec, s[14:15]
	v_cmp_gt_f64_e32 vcc, 0.5, v[3:4]
	v_mov_b32_e32 v21, 0
	v_mov_b32_e32 v17, 0
	;; [unrolled: 1-line block ×4, first 2 shown]
	s_and_saveexec_b64 s[14:15], vcc
	s_cbranch_execz .LBB45_27
; %bb.22:
	s_mov_b32 s17, 0x400921fb
	s_mov_b32 s16, 0x54442d18
	v_mul_f64 v[17:18], v[3:4], s[16:17]
	s_mov_b32 s4, 0
	s_mov_b32 s5, 0x41d00000
                                        ; implicit-def: $vgpr28
                                        ; implicit-def: $vgpr21_vgpr22
                                        ; implicit-def: $vgpr25_vgpr26
	v_cmp_nlt_f64_e64 s[4:5], |v[17:18]|, s[4:5]
	s_and_saveexec_b64 s[18:19], s[4:5]
	s_xor_b64 s[18:19], exec, s[18:19]
	s_cbranch_execz .LBB45_24
; %bb.23:
	v_trig_preop_f64 v[21:22], |v[17:18]|, 0
	s_mov_b32 s4, 0
	s_mov_b32 s5, 0x7b000000
	s_movk_i32 s17, 0xff80
	v_ldexp_f64 v[28:29], |v[17:18]|, s17
	v_cmp_ge_f64_e64 vcc, |v[17:18]|, s[4:5]
	v_trig_preop_f64 v[25:26], |v[17:18]|, 1
	v_and_b32_e32 v30, 0x7fffffff, v18
	v_trig_preop_f64 v[36:37], |v[17:18]|, 2
	s_mov_b32 s4, 0
	s_mov_b32 s5, 0x7ff00000
	v_mov_b32_e32 v47, 0x40100000
	v_mov_b32_e32 v46, 0
	v_cndmask_b32_e32 v29, v30, v29, vcc
	v_cndmask_b32_e32 v28, v17, v28, vcc
	s_mov_b32 s17, 0x3ff921fb
	v_mul_f64 v[30:31], v[21:22], v[28:29]
	v_mul_f64 v[32:33], v[25:26], v[28:29]
	;; [unrolled: 1-line block ×3, first 2 shown]
	v_fma_f64 v[21:22], v[21:22], v[28:29], -v[30:31]
	v_fma_f64 v[25:26], v[25:26], v[28:29], -v[32:33]
	;; [unrolled: 1-line block ×3, first 2 shown]
	v_add_f64 v[34:35], v[32:33], v[21:22]
	v_add_f64 v[38:39], v[34:35], -v[32:33]
	v_add_f64 v[44:45], v[30:31], v[34:35]
	v_add_f64 v[40:41], v[34:35], -v[38:39]
	v_add_f64 v[21:22], v[21:22], -v[38:39]
	v_add_f64 v[38:39], v[42:43], v[25:26]
	v_add_f64 v[30:31], v[44:45], -v[30:31]
	v_add_f64 v[32:33], v[32:33], -v[40:41]
	v_ldexp_f64 v[40:41], v[44:45], -2
	v_add_f64 v[48:49], v[38:39], -v[42:43]
	v_add_f64 v[30:31], v[34:35], -v[30:31]
	v_add_f64 v[21:22], v[21:22], v[32:33]
	v_fract_f64_e32 v[32:33], v[40:41]
	v_cmp_neq_f64_e64 vcc, |v[40:41]|, s[4:5]
	v_add_f64 v[25:26], v[25:26], -v[48:49]
	v_add_f64 v[34:35], v[38:39], v[21:22]
	v_ldexp_f64 v[32:33], v[32:33], 2
	v_add_f64 v[40:41], v[30:31], v[34:35]
	v_cndmask_b32_e32 v33, 0, v33, vcc
	v_cndmask_b32_e32 v32, 0, v32, vcc
	v_add_f64 v[50:51], v[34:35], -v[38:39]
	v_add_f64 v[44:45], v[40:41], v[32:33]
	v_add_f64 v[30:31], v[40:41], -v[30:31]
	v_add_f64 v[52:53], v[34:35], -v[50:51]
	;; [unrolled: 1-line block ×3, first 2 shown]
	v_cmp_gt_f64_e32 vcc, 0, v[44:45]
	v_add_f64 v[44:45], v[38:39], -v[48:49]
	v_add_f64 v[30:31], v[34:35], -v[30:31]
	;; [unrolled: 1-line block ×3, first 2 shown]
	v_cndmask_b32_e32 v47, 0, v47, vcc
	v_add_f64 v[32:33], v[32:33], v[46:47]
	v_add_f64 v[44:45], v[42:43], -v[44:45]
	v_add_f64 v[21:22], v[21:22], v[38:39]
	v_add_f64 v[54:55], v[40:41], v[32:33]
	;; [unrolled: 1-line block ×3, first 2 shown]
	v_cvt_i32_f64_e32 v49, v[54:55]
	v_add_f64 v[21:22], v[25:26], v[21:22]
	v_cvt_f64_i32_e32 v[47:48], v49
	v_add_f64 v[32:33], v[32:33], -v[47:48]
	v_add_f64 v[21:22], v[28:29], v[21:22]
	v_add_f64 v[25:26], v[40:41], v[32:33]
	v_add_f64 v[21:22], v[30:31], v[21:22]
	v_mov_b32_e32 v31, 0x3ff00000
	v_add_f64 v[28:29], v[25:26], -v[32:33]
	v_cmp_le_f64_e32 vcc, 0.5, v[25:26]
	v_add_f64 v[29:30], v[40:41], -v[28:29]
	v_cndmask_b32_e32 v47, 0, v31, vcc
	v_add_f64 v[25:26], v[25:26], -v[46:47]
	v_addc_co_u32_e64 v28, s[4:5], 0, v49, vcc
	s_mov_b32 s4, 0x33145c07
	s_mov_b32 s5, 0x3c91a626
	v_add_f64 v[21:22], v[21:22], v[29:30]
	v_add_f64 v[29:30], v[25:26], v[21:22]
	v_mul_f64 v[31:32], v[29:30], s[16:17]
	v_add_f64 v[25:26], v[29:30], -v[25:26]
	v_fma_f64 v[33:34], v[29:30], s[16:17], -v[31:32]
	v_add_f64 v[21:22], v[21:22], -v[25:26]
	v_fma_f64 v[25:26], v[29:30], s[4:5], v[33:34]
	v_fma_f64 v[25:26], v[21:22], s[16:17], v[25:26]
	v_add_f64 v[21:22], v[31:32], v[25:26]
	v_add_f64 v[29:30], v[21:22], -v[31:32]
	v_add_f64 v[25:26], v[25:26], -v[29:30]
.LBB45_24:
	s_andn2_saveexec_b64 s[4:5], s[18:19]
	s_cbranch_execz .LBB45_26
; %bb.25:
	s_mov_b32 s16, 0x6dc9c883
	s_mov_b32 s17, 0x3fe45f30
	v_mul_f64 v[21:22], |v[17:18]|, s[16:17]
	s_mov_b32 s16, 0x54442d18
	s_mov_b32 s17, 0xbff921fb
	;; [unrolled: 1-line block ×4, first 2 shown]
	v_rndne_f64_e32 v[28:29], v[21:22]
	v_fma_f64 v[21:22], v[28:29], s[16:17], |v[17:18]|
	v_mul_f64 v[25:26], v[28:29], s[18:19]
	s_mov_b32 s16, 0x252049c0
	s_mov_b32 s17, 0xb97b839a
	v_fma_f64 v[34:35], v[28:29], s[18:19], v[21:22]
	v_add_f64 v[30:31], v[21:22], v[25:26]
	s_mov_b32 s19, 0x3c91a626
	v_add_f64 v[32:33], v[21:22], -v[30:31]
	v_add_f64 v[30:31], v[30:31], -v[34:35]
	v_add_f64 v[21:22], v[32:33], v[25:26]
	v_fma_f64 v[25:26], v[28:29], s[18:19], v[25:26]
	v_add_f64 v[21:22], v[30:31], v[21:22]
	v_add_f64 v[21:22], v[21:22], -v[25:26]
	v_fma_f64 v[25:26], v[28:29], s[16:17], v[21:22]
	v_cvt_i32_f64_e32 v28, v[28:29]
	v_add_f64 v[21:22], v[34:35], v[25:26]
	v_add_f64 v[30:31], v[21:22], -v[34:35]
	v_add_f64 v[25:26], v[25:26], -v[30:31]
.LBB45_26:
	s_or_b64 exec, exec, s[4:5]
	v_mul_f64 v[29:30], v[21:22], v[21:22]
	s_mov_b32 s4, 0xf9a43bb8
	v_mov_b32_e32 v32, 0xb42fdfa7
	v_mov_b32_e32 v33, 0xbe5ae600
	s_mov_b32 s5, 0x3de5e0b2
	s_mov_b32 s16, 0x796cde01
	v_mov_b32_e32 v31, 0x9037ab78
	s_mov_b32 s17, 0x3ec71de3
	v_fma_f64 v[33:34], v[29:30], s[4:5], v[32:33]
	s_mov_b32 s4, 0x46cc5e42
	v_mov_b32_e32 v32, 0x3e21eeb6
	s_mov_b32 s5, 0xbda907db
	v_fma_f64 v[31:32], v[29:30], s[4:5], v[31:32]
	v_mul_f64 v[35:36], v[29:30], 0.5
	s_mov_b32 s4, 0xa17f65f6
	s_mov_b32 s18, 0x19e83e5c
	v_fma_f64 v[33:34], v[29:30], v[33:34], s[16:17]
	s_mov_b32 s5, 0xbe927e4f
	s_mov_b32 s19, 0xbf2a01a0
	;; [unrolled: 1-line block ×3, first 2 shown]
	v_fma_f64 v[31:32], v[29:30], v[31:32], s[4:5]
	v_add_f64 v[37:38], -v[35:36], 1.0
	s_mov_b32 s4, 0x11110bb3
	s_mov_b32 s17, 0x3efa01a0
	v_fma_f64 v[33:34], v[29:30], v[33:34], s[18:19]
	s_mov_b32 s5, 0x3f811111
	v_mul_f64 v[39:40], v[25:26], 0.5
	v_mul_f64 v[41:42], v[21:22], -v[29:30]
	v_fma_f64 v[31:32], v[29:30], v[31:32], s[16:17]
	v_add_f64 v[43:44], -v[37:38], 1.0
	v_add_f64 v[3:4], -v[3:4], 1.0
	v_fma_f64 v[33:34], v[29:30], v[33:34], s[4:5]
	s_mov_b32 s4, 0x16c16967
	s_mov_b32 s5, 0xbf56c16c
	v_fma_f64 v[31:32], v[29:30], v[31:32], s[4:5]
	v_add_f64 v[35:36], v[43:44], -v[35:36]
	s_mov_b32 s5, 0x3fa55555
	s_mov_b32 s4, 0x55555555
	v_fma_f64 v[33:34], v[41:42], v[33:34], v[39:40]
	v_mul_f64 v[39:40], v[29:30], v[29:30]
	v_fma_f64 v[31:32], v[29:30], v[31:32], s[4:5]
	v_fma_f64 v[35:36], v[21:22], -v[25:26], v[35:36]
	s_mov_b32 s5, 0xbfc55555
	v_fma_f64 v[25:26], v[29:30], v[33:34], -v[25:26]
	v_fma_f64 v[29:30], v[39:40], v[31:32], v[35:36]
	v_fma_f64 v[25:26], v[41:42], s[4:5], v[25:26]
	s_movk_i32 s4, 0x1f8
	v_cmp_class_f64_e64 s[4:5], v[17:18], s4
	v_lshlrev_b32_e32 v17, 30, v28
	v_xor_b32_e32 v17, v17, v18
	v_add_f64 v[29:30], v[37:38], v[29:30]
	v_and_b32_e32 v17, 0x80000000, v17
	v_add_f64 v[21:22], v[21:22], -v[25:26]
	v_and_b32_e32 v25, 1, v28
	v_cmp_eq_u32_e32 vcc, 0, v25
	v_mov_b32_e32 v25, 0x7ff80000
	v_cndmask_b32_e32 v18, v30, v22, vcc
	v_cndmask_b32_e32 v21, v29, v21, vcc
	v_xor_b32_e32 v18, v18, v17
	v_cndmask_b32_e64 v17, 0, v21, s[4:5]
	v_cndmask_b32_e64 v18, v25, v18, s[4:5]
	v_mul_f64 v[17:18], v[17:18], v[17:18]
	s_mov_b32 s4, 0xc9be45de
	s_mov_b32 s5, 0xc023bd3c
	v_div_scale_f64 v[21:22], s[16:17], v[17:18], v[17:18], s[4:5]
	v_rcp_f64_e32 v[25:26], v[21:22]
	v_fma_f64 v[28:29], -v[21:22], v[25:26], 1.0
	v_fma_f64 v[25:26], v[25:26], v[28:29], v[25:26]
	v_div_scale_f64 v[28:29], vcc, s[4:5], v[17:18], s[4:5]
	v_fma_f64 v[30:31], -v[21:22], v[25:26], 1.0
	v_fma_f64 v[25:26], v[25:26], v[30:31], v[25:26]
	v_mul_f64 v[30:31], v[28:29], v[25:26]
	v_fma_f64 v[21:22], -v[21:22], v[30:31], v[28:29]
	v_div_fmas_f64 v[21:22], v[21:22], v[25:26], v[30:31]
	v_div_fixup_f64 v[17:18], v[21:22], v[17:18], s[4:5]
	v_add_f64 v[21:22], v[17:18], 0
	v_mov_b32_e32 v17, 0
	v_mov_b32_e32 v18, 0xbff00000
.LBB45_27:
	s_or_b64 exec, exec, s[14:15]
	v_mul_f64 v[25:26], v[1:2], v[1:2]
	v_add_f64 v[1:2], v[1:2], 1.0
	s_mov_b32 s14, 0x11111111
	s_mov_b32 s15, 0x3fa11111
	v_div_scale_f64 v[28:29], s[4:5], v[25:26], v[25:26], 1.0
	v_rcp_f64_e32 v[30:31], v[28:29]
	v_fma_f64 v[32:33], -v[28:29], v[30:31], 1.0
	v_fma_f64 v[30:31], v[30:31], v[32:33], v[30:31]
	v_fma_f64 v[32:33], -v[28:29], v[30:31], 1.0
	v_fma_f64 v[30:31], v[30:31], v[32:33], v[30:31]
	v_div_scale_f64 v[32:33], vcc, 1.0, v[25:26], 1.0
	v_mul_f64 v[34:35], v[32:33], v[30:31]
	v_fma_f64 v[28:29], -v[28:29], v[34:35], v[32:33]
	s_nop 1
	v_div_fmas_f64 v[28:29], v[28:29], v[30:31], v[34:35]
	v_div_fixup_f64 v[25:26], v[28:29], v[25:26], 1.0
	v_add_f64 v[23:24], v[23:24], v[25:26]
	v_mul_f64 v[25:26], v[1:2], v[1:2]
	v_add_f64 v[1:2], v[1:2], 1.0
	v_div_scale_f64 v[28:29], s[4:5], v[25:26], v[25:26], 1.0
	v_rcp_f64_e32 v[30:31], v[28:29]
	v_fma_f64 v[32:33], -v[28:29], v[30:31], 1.0
	v_fma_f64 v[30:31], v[30:31], v[32:33], v[30:31]
	v_fma_f64 v[32:33], -v[28:29], v[30:31], 1.0
	v_fma_f64 v[30:31], v[30:31], v[32:33], v[30:31]
	v_div_scale_f64 v[32:33], vcc, 1.0, v[25:26], 1.0
	v_mul_f64 v[34:35], v[32:33], v[30:31]
	v_fma_f64 v[28:29], -v[28:29], v[34:35], v[32:33]
	s_nop 1
	v_div_fmas_f64 v[28:29], v[28:29], v[30:31], v[34:35]
	v_div_fixup_f64 v[25:26], v[28:29], v[25:26], 1.0
	v_add_f64 v[23:24], v[23:24], v[25:26]
	v_mul_f64 v[25:26], v[1:2], v[1:2]
	v_add_f64 v[1:2], v[1:2], 1.0
	v_div_scale_f64 v[28:29], s[4:5], v[25:26], v[25:26], 1.0
	v_rcp_f64_e32 v[30:31], v[28:29]
	v_fma_f64 v[32:33], -v[28:29], v[30:31], 1.0
	v_fma_f64 v[30:31], v[30:31], v[32:33], v[30:31]
	v_fma_f64 v[32:33], -v[28:29], v[30:31], 1.0
	v_fma_f64 v[30:31], v[30:31], v[32:33], v[30:31]
	v_div_scale_f64 v[32:33], vcc, 1.0, v[25:26], 1.0
	v_mul_f64 v[34:35], v[32:33], v[30:31]
	v_fma_f64 v[28:29], -v[28:29], v[34:35], v[32:33]
	s_nop 1
	v_div_fmas_f64 v[28:29], v[28:29], v[30:31], v[34:35]
	v_div_fixup_f64 v[25:26], v[28:29], v[25:26], 1.0
	v_add_f64 v[23:24], v[23:24], v[25:26]
	v_mul_f64 v[25:26], v[1:2], v[1:2]
	v_add_f64 v[1:2], v[1:2], 1.0
	v_div_scale_f64 v[28:29], s[4:5], v[25:26], v[25:26], 1.0
	v_rcp_f64_e32 v[30:31], v[28:29]
	v_fma_f64 v[32:33], -v[28:29], v[30:31], 1.0
	v_fma_f64 v[30:31], v[30:31], v[32:33], v[30:31]
	v_fma_f64 v[32:33], -v[28:29], v[30:31], 1.0
	v_fma_f64 v[30:31], v[30:31], v[32:33], v[30:31]
	v_div_scale_f64 v[32:33], vcc, 1.0, v[25:26], 1.0
	v_mul_f64 v[34:35], v[32:33], v[30:31]
	v_fma_f64 v[28:29], -v[28:29], v[34:35], v[32:33]
	s_nop 1
	v_div_fmas_f64 v[28:29], v[28:29], v[30:31], v[34:35]
	v_div_fixup_f64 v[25:26], v[28:29], v[25:26], 1.0
	v_add_f64 v[23:24], v[23:24], v[25:26]
	v_mul_f64 v[25:26], v[1:2], v[1:2]
	v_add_f64 v[1:2], v[1:2], 1.0
	v_div_scale_f64 v[28:29], s[4:5], v[25:26], v[25:26], 1.0
	v_rcp_f64_e32 v[30:31], v[28:29]
	v_fma_f64 v[32:33], -v[28:29], v[30:31], 1.0
	v_fma_f64 v[30:31], v[30:31], v[32:33], v[30:31]
	v_fma_f64 v[32:33], -v[28:29], v[30:31], 1.0
	v_fma_f64 v[30:31], v[30:31], v[32:33], v[30:31]
	v_div_scale_f64 v[32:33], vcc, 1.0, v[25:26], 1.0
	v_mul_f64 v[34:35], v[32:33], v[30:31]
	v_fma_f64 v[28:29], -v[28:29], v[34:35], v[32:33]
	s_nop 1
	v_div_fmas_f64 v[28:29], v[28:29], v[30:31], v[34:35]
	v_div_fixup_f64 v[25:26], v[28:29], v[25:26], 1.0
	v_add_f64 v[23:24], v[23:24], v[25:26]
	v_mul_f64 v[25:26], v[1:2], v[1:2]
	v_add_f64 v[1:2], v[1:2], 1.0
	v_div_scale_f64 v[28:29], s[4:5], v[25:26], v[25:26], 1.0
	v_rcp_f64_e32 v[30:31], v[28:29]
	v_fma_f64 v[32:33], -v[28:29], v[30:31], 1.0
	v_fma_f64 v[30:31], v[30:31], v[32:33], v[30:31]
	v_fma_f64 v[32:33], -v[28:29], v[30:31], 1.0
	v_fma_f64 v[30:31], v[30:31], v[32:33], v[30:31]
	v_div_scale_f64 v[32:33], vcc, 1.0, v[25:26], 1.0
	v_mul_f64 v[34:35], v[32:33], v[30:31]
	v_fma_f64 v[28:29], -v[28:29], v[34:35], v[32:33]
	s_nop 1
	v_div_fmas_f64 v[28:29], v[28:29], v[30:31], v[34:35]
	v_div_fixup_f64 v[25:26], v[28:29], v[25:26], 1.0
	v_add_f64 v[25:26], v[23:24], v[25:26]
	v_add_f64 v[23:24], v[1:2], v[1:2]
	v_div_scale_f64 v[28:29], s[4:5], v[23:24], v[23:24], 1.0
	v_rcp_f64_e32 v[30:31], v[28:29]
	v_fma_f64 v[32:33], -v[28:29], v[30:31], 1.0
	v_fma_f64 v[30:31], v[30:31], v[32:33], v[30:31]
	v_fma_f64 v[32:33], -v[28:29], v[30:31], 1.0
	v_fma_f64 v[30:31], v[30:31], v[32:33], v[30:31]
	v_div_scale_f64 v[32:33], vcc, 1.0, v[23:24], 1.0
	v_mul_f64 v[34:35], v[32:33], v[30:31]
	v_fma_f64 v[28:29], -v[28:29], v[34:35], v[32:33]
	s_nop 1
	v_div_fmas_f64 v[28:29], v[28:29], v[30:31], v[34:35]
	v_div_fixup_f64 v[23:24], v[28:29], v[23:24], 1.0
	v_add_f64 v[28:29], v[23:24], 1.0
	v_mul_f64 v[23:24], v[1:2], v[1:2]
	v_div_scale_f64 v[30:31], s[4:5], v[23:24], v[23:24], 1.0
	s_mov_b32 s4, 0x18618618
	s_mov_b32 s5, 0xbf986186
	v_rcp_f64_e32 v[32:33], v[30:31]
	v_fma_f64 v[34:35], -v[30:31], v[32:33], 1.0
	v_fma_f64 v[32:33], v[32:33], v[34:35], v[32:33]
	v_fma_f64 v[34:35], -v[30:31], v[32:33], 1.0
	v_fma_f64 v[32:33], v[32:33], v[34:35], v[32:33]
	v_div_scale_f64 v[34:35], vcc, 1.0, v[23:24], 1.0
	v_mul_f64 v[36:37], v[34:35], v[32:33]
	v_fma_f64 v[30:31], -v[30:31], v[36:37], v[34:35]
	s_nop 1
	v_div_fmas_f64 v[30:31], v[30:31], v[32:33], v[36:37]
	v_div_fixup_f64 v[30:31], v[30:31], v[23:24], 1.0
	v_mov_b32_e32 v24, s15
	v_mov_b32_e32 v23, s14
	s_mov_b32 s14, 0x55555555
	s_mov_b32 s15, 0x3fc55555
	v_fma_f64 v[32:33], v[30:31], s[4:5], v[23:24]
	v_fma_f64 v[32:33], -v[30:31], v[32:33], s[14:15]
	v_fma_f64 v[28:29], v[30:31], v[32:33], v[28:29]
	v_div_scale_f64 v[30:31], s[16:17], v[1:2], v[1:2], v[28:29]
	v_rcp_f64_e32 v[32:33], v[30:31]
	v_fma_f64 v[34:35], -v[30:31], v[32:33], 1.0
	v_fma_f64 v[32:33], v[32:33], v[34:35], v[32:33]
	v_fma_f64 v[34:35], -v[30:31], v[32:33], 1.0
	v_fma_f64 v[32:33], v[32:33], v[34:35], v[32:33]
	v_div_scale_f64 v[34:35], vcc, v[28:29], v[1:2], v[28:29]
	v_mul_f64 v[36:37], v[34:35], v[32:33]
	v_fma_f64 v[30:31], -v[30:31], v[36:37], v[34:35]
	s_nop 1
	v_div_fmas_f64 v[30:31], v[30:31], v[32:33], v[36:37]
	v_div_fixup_f64 v[1:2], v[30:31], v[1:2], v[28:29]
	v_add_f64 v[1:2], v[25:26], v[1:2]
	v_mul_f64 v[1:2], v[19:20], v[1:2]
	v_mul_f64 v[19:20], v[7:8], v[7:8]
	v_add_f64 v[7:8], v[7:8], 1.0
	v_div_scale_f64 v[25:26], s[16:17], v[19:20], v[19:20], 1.0
	v_rcp_f64_e32 v[28:29], v[25:26]
	v_fma_f64 v[30:31], -v[25:26], v[28:29], 1.0
	v_fma_f64 v[28:29], v[28:29], v[30:31], v[28:29]
	v_fma_f64 v[30:31], -v[25:26], v[28:29], 1.0
	v_fma_f64 v[28:29], v[28:29], v[30:31], v[28:29]
	v_div_scale_f64 v[30:31], vcc, 1.0, v[19:20], 1.0
	v_mul_f64 v[32:33], v[30:31], v[28:29]
	v_fma_f64 v[25:26], -v[25:26], v[32:33], v[30:31]
	s_nop 1
	v_div_fmas_f64 v[25:26], v[25:26], v[28:29], v[32:33]
	v_div_fixup_f64 v[19:20], v[25:26], v[19:20], 1.0
	v_add_f64 v[15:16], v[15:16], v[19:20]
	v_mul_f64 v[19:20], v[7:8], v[7:8]
	v_add_f64 v[7:8], v[7:8], 1.0
	v_div_scale_f64 v[25:26], s[16:17], v[19:20], v[19:20], 1.0
	v_rcp_f64_e32 v[28:29], v[25:26]
	v_fma_f64 v[30:31], -v[25:26], v[28:29], 1.0
	v_fma_f64 v[28:29], v[28:29], v[30:31], v[28:29]
	v_fma_f64 v[30:31], -v[25:26], v[28:29], 1.0
	v_fma_f64 v[28:29], v[28:29], v[30:31], v[28:29]
	v_div_scale_f64 v[30:31], vcc, 1.0, v[19:20], 1.0
	v_mul_f64 v[32:33], v[30:31], v[28:29]
	v_fma_f64 v[25:26], -v[25:26], v[32:33], v[30:31]
	s_nop 1
	v_div_fmas_f64 v[25:26], v[25:26], v[28:29], v[32:33]
	v_div_fixup_f64 v[19:20], v[25:26], v[19:20], 1.0
	v_add_f64 v[15:16], v[15:16], v[19:20]
	;; [unrolled: 15-line block ×6, first 2 shown]
	v_add_f64 v[19:20], v[7:8], v[7:8]
	v_div_scale_f64 v[25:26], s[16:17], v[19:20], v[19:20], 1.0
	v_rcp_f64_e32 v[28:29], v[25:26]
	v_fma_f64 v[30:31], -v[25:26], v[28:29], 1.0
	v_fma_f64 v[28:29], v[28:29], v[30:31], v[28:29]
	v_fma_f64 v[30:31], -v[25:26], v[28:29], 1.0
	v_fma_f64 v[28:29], v[28:29], v[30:31], v[28:29]
	v_div_scale_f64 v[30:31], vcc, 1.0, v[19:20], 1.0
	v_mul_f64 v[32:33], v[30:31], v[28:29]
	v_fma_f64 v[25:26], -v[25:26], v[32:33], v[30:31]
	s_nop 1
	v_div_fmas_f64 v[25:26], v[25:26], v[28:29], v[32:33]
	v_div_fixup_f64 v[19:20], v[25:26], v[19:20], 1.0
	v_mul_f64 v[25:26], v[7:8], v[7:8]
	v_add_f64 v[19:20], v[19:20], 1.0
	v_div_scale_f64 v[28:29], s[16:17], v[25:26], v[25:26], 1.0
	v_rcp_f64_e32 v[30:31], v[28:29]
	v_fma_f64 v[32:33], -v[28:29], v[30:31], 1.0
	v_fma_f64 v[30:31], v[30:31], v[32:33], v[30:31]
	v_fma_f64 v[32:33], -v[28:29], v[30:31], 1.0
	v_fma_f64 v[30:31], v[30:31], v[32:33], v[30:31]
	v_div_scale_f64 v[32:33], vcc, 1.0, v[25:26], 1.0
	v_mul_f64 v[34:35], v[32:33], v[30:31]
	v_fma_f64 v[28:29], -v[28:29], v[34:35], v[32:33]
	s_nop 1
	v_div_fmas_f64 v[28:29], v[28:29], v[30:31], v[34:35]
	v_div_fixup_f64 v[25:26], v[28:29], v[25:26], 1.0
	v_fma_f64 v[28:29], v[25:26], s[4:5], v[23:24]
	v_fma_f64 v[28:29], -v[25:26], v[28:29], s[14:15]
	v_fma_f64 v[19:20], v[25:26], v[28:29], v[19:20]
	v_div_scale_f64 v[25:26], s[16:17], v[7:8], v[7:8], v[19:20]
	v_rcp_f64_e32 v[28:29], v[25:26]
	v_fma_f64 v[30:31], -v[25:26], v[28:29], 1.0
	v_fma_f64 v[28:29], v[28:29], v[30:31], v[28:29]
	v_fma_f64 v[30:31], -v[25:26], v[28:29], 1.0
	v_fma_f64 v[28:29], v[28:29], v[30:31], v[28:29]
	v_div_scale_f64 v[30:31], vcc, v[19:20], v[7:8], v[19:20]
	v_mul_f64 v[32:33], v[30:31], v[28:29]
	v_fma_f64 v[25:26], -v[25:26], v[32:33], v[30:31]
	s_nop 1
	v_div_fmas_f64 v[25:26], v[25:26], v[28:29], v[32:33]
	v_div_fixup_f64 v[7:8], v[25:26], v[7:8], v[19:20]
	v_add_f64 v[7:8], v[15:16], v[7:8]
	v_mul_f64 v[7:8], v[13:14], v[7:8]
	v_mul_f64 v[13:14], v[5:6], v[5:6]
	v_add_f64 v[5:6], v[5:6], 1.0
	v_div_scale_f64 v[15:16], s[16:17], v[13:14], v[13:14], 1.0
	v_rcp_f64_e32 v[19:20], v[15:16]
	v_fma_f64 v[25:26], -v[15:16], v[19:20], 1.0
	v_fma_f64 v[19:20], v[19:20], v[25:26], v[19:20]
	v_fma_f64 v[25:26], -v[15:16], v[19:20], 1.0
	v_fma_f64 v[19:20], v[19:20], v[25:26], v[19:20]
	v_div_scale_f64 v[25:26], vcc, 1.0, v[13:14], 1.0
	v_mul_f64 v[28:29], v[25:26], v[19:20]
	v_fma_f64 v[15:16], -v[15:16], v[28:29], v[25:26]
	s_nop 1
	v_div_fmas_f64 v[15:16], v[15:16], v[19:20], v[28:29]
	v_div_fixup_f64 v[13:14], v[15:16], v[13:14], 1.0
	v_add_f64 v[11:12], v[11:12], v[13:14]
	v_mul_f64 v[13:14], v[5:6], v[5:6]
	v_add_f64 v[5:6], v[5:6], 1.0
	v_div_scale_f64 v[15:16], s[16:17], v[13:14], v[13:14], 1.0
	v_rcp_f64_e32 v[19:20], v[15:16]
	v_fma_f64 v[25:26], -v[15:16], v[19:20], 1.0
	v_fma_f64 v[19:20], v[19:20], v[25:26], v[19:20]
	v_fma_f64 v[25:26], -v[15:16], v[19:20], 1.0
	v_fma_f64 v[19:20], v[19:20], v[25:26], v[19:20]
	v_div_scale_f64 v[25:26], vcc, 1.0, v[13:14], 1.0
	v_mul_f64 v[28:29], v[25:26], v[19:20]
	v_fma_f64 v[15:16], -v[15:16], v[28:29], v[25:26]
	s_nop 1
	v_div_fmas_f64 v[15:16], v[15:16], v[19:20], v[28:29]
	v_div_fixup_f64 v[13:14], v[15:16], v[13:14], 1.0
	v_add_f64 v[11:12], v[11:12], v[13:14]
	v_mul_f64 v[13:14], v[5:6], v[5:6]
	v_add_f64 v[5:6], v[5:6], 1.0
	v_div_scale_f64 v[15:16], s[16:17], v[13:14], v[13:14], 1.0
	v_rcp_f64_e32 v[19:20], v[15:16]
	v_fma_f64 v[25:26], -v[15:16], v[19:20], 1.0
	v_fma_f64 v[19:20], v[19:20], v[25:26], v[19:20]
	v_fma_f64 v[25:26], -v[15:16], v[19:20], 1.0
	v_fma_f64 v[19:20], v[19:20], v[25:26], v[19:20]
	v_div_scale_f64 v[25:26], vcc, 1.0, v[13:14], 1.0
	v_mul_f64 v[28:29], v[25:26], v[19:20]
	v_fma_f64 v[15:16], -v[15:16], v[28:29], v[25:26]
	s_nop 1
	v_div_fmas_f64 v[15:16], v[15:16], v[19:20], v[28:29]
	v_div_fixup_f64 v[13:14], v[15:16], v[13:14], 1.0
	v_add_f64 v[11:12], v[11:12], v[13:14]
	v_mul_f64 v[13:14], v[5:6], v[5:6]
	v_add_f64 v[5:6], v[5:6], 1.0
	v_div_scale_f64 v[15:16], s[16:17], v[13:14], v[13:14], 1.0
	v_rcp_f64_e32 v[19:20], v[15:16]
	v_fma_f64 v[25:26], -v[15:16], v[19:20], 1.0
	v_fma_f64 v[19:20], v[19:20], v[25:26], v[19:20]
	v_fma_f64 v[25:26], -v[15:16], v[19:20], 1.0
	v_fma_f64 v[19:20], v[19:20], v[25:26], v[19:20]
	v_div_scale_f64 v[25:26], vcc, 1.0, v[13:14], 1.0
	v_mul_f64 v[28:29], v[25:26], v[19:20]
	v_fma_f64 v[15:16], -v[15:16], v[28:29], v[25:26]
	s_nop 1
	v_div_fmas_f64 v[15:16], v[15:16], v[19:20], v[28:29]
	v_div_fixup_f64 v[13:14], v[15:16], v[13:14], 1.0
	v_add_f64 v[11:12], v[11:12], v[13:14]
	v_mul_f64 v[13:14], v[5:6], v[5:6]
	v_add_f64 v[5:6], v[5:6], 1.0
	v_div_scale_f64 v[15:16], s[16:17], v[13:14], v[13:14], 1.0
	v_rcp_f64_e32 v[19:20], v[15:16]
	v_fma_f64 v[25:26], -v[15:16], v[19:20], 1.0
	v_fma_f64 v[19:20], v[19:20], v[25:26], v[19:20]
	v_fma_f64 v[25:26], -v[15:16], v[19:20], 1.0
	v_fma_f64 v[19:20], v[19:20], v[25:26], v[19:20]
	v_div_scale_f64 v[25:26], vcc, 1.0, v[13:14], 1.0
	v_mul_f64 v[28:29], v[25:26], v[19:20]
	v_fma_f64 v[15:16], -v[15:16], v[28:29], v[25:26]
	s_nop 1
	v_div_fmas_f64 v[15:16], v[15:16], v[19:20], v[28:29]
	v_div_fixup_f64 v[13:14], v[15:16], v[13:14], 1.0
	v_add_f64 v[11:12], v[11:12], v[13:14]
	v_mul_f64 v[13:14], v[5:6], v[5:6]
	v_add_f64 v[5:6], v[5:6], 1.0
	v_div_scale_f64 v[15:16], s[16:17], v[13:14], v[13:14], 1.0
	v_rcp_f64_e32 v[19:20], v[15:16]
	v_fma_f64 v[25:26], -v[15:16], v[19:20], 1.0
	v_fma_f64 v[19:20], v[19:20], v[25:26], v[19:20]
	v_fma_f64 v[25:26], -v[15:16], v[19:20], 1.0
	v_fma_f64 v[19:20], v[19:20], v[25:26], v[19:20]
	v_div_scale_f64 v[25:26], vcc, 1.0, v[13:14], 1.0
	v_mul_f64 v[28:29], v[25:26], v[19:20]
	v_fma_f64 v[15:16], -v[15:16], v[28:29], v[25:26]
	s_nop 1
	v_div_fmas_f64 v[15:16], v[15:16], v[19:20], v[28:29]
	v_div_fixup_f64 v[13:14], v[15:16], v[13:14], 1.0
	v_add_f64 v[11:12], v[11:12], v[13:14]
	v_add_f64 v[13:14], v[5:6], v[5:6]
	v_div_scale_f64 v[15:16], s[16:17], v[13:14], v[13:14], 1.0
	v_rcp_f64_e32 v[19:20], v[15:16]
	v_fma_f64 v[25:26], -v[15:16], v[19:20], 1.0
	v_fma_f64 v[19:20], v[19:20], v[25:26], v[19:20]
	v_fma_f64 v[25:26], -v[15:16], v[19:20], 1.0
	v_fma_f64 v[19:20], v[19:20], v[25:26], v[19:20]
	v_div_scale_f64 v[25:26], vcc, 1.0, v[13:14], 1.0
	v_mul_f64 v[28:29], v[25:26], v[19:20]
	v_fma_f64 v[15:16], -v[15:16], v[28:29], v[25:26]
	s_nop 1
	v_div_fmas_f64 v[15:16], v[15:16], v[19:20], v[28:29]
	v_div_fixup_f64 v[13:14], v[15:16], v[13:14], 1.0
	v_mul_f64 v[15:16], v[5:6], v[5:6]
	v_add_f64 v[13:14], v[13:14], 1.0
	v_div_scale_f64 v[19:20], s[16:17], v[15:16], v[15:16], 1.0
	v_rcp_f64_e32 v[25:26], v[19:20]
	v_fma_f64 v[28:29], -v[19:20], v[25:26], 1.0
	v_fma_f64 v[25:26], v[25:26], v[28:29], v[25:26]
	v_fma_f64 v[28:29], -v[19:20], v[25:26], 1.0
	v_fma_f64 v[25:26], v[25:26], v[28:29], v[25:26]
	v_div_scale_f64 v[28:29], vcc, 1.0, v[15:16], 1.0
	v_mul_f64 v[30:31], v[28:29], v[25:26]
	v_fma_f64 v[19:20], -v[19:20], v[30:31], v[28:29]
	s_nop 1
	v_div_fmas_f64 v[19:20], v[19:20], v[25:26], v[30:31]
	v_div_fixup_f64 v[15:16], v[19:20], v[15:16], 1.0
	v_fma_f64 v[19:20], v[15:16], s[4:5], v[23:24]
	v_fma_f64 v[19:20], -v[15:16], v[19:20], s[14:15]
	v_fma_f64 v[13:14], v[15:16], v[19:20], v[13:14]
	v_div_scale_f64 v[15:16], s[16:17], v[5:6], v[5:6], v[13:14]
	v_rcp_f64_e32 v[19:20], v[15:16]
	v_fma_f64 v[25:26], -v[15:16], v[19:20], 1.0
	v_fma_f64 v[19:20], v[19:20], v[25:26], v[19:20]
	v_fma_f64 v[25:26], -v[15:16], v[19:20], 1.0
	v_fma_f64 v[19:20], v[19:20], v[25:26], v[19:20]
	v_div_scale_f64 v[25:26], vcc, v[13:14], v[5:6], v[13:14]
	v_mul_f64 v[28:29], v[25:26], v[19:20]
	v_fma_f64 v[15:16], -v[15:16], v[28:29], v[25:26]
	s_nop 1
	v_div_fmas_f64 v[15:16], v[15:16], v[19:20], v[28:29]
	v_div_fixup_f64 v[5:6], v[15:16], v[5:6], v[13:14]
	v_add_f64 v[5:6], v[11:12], v[5:6]
	v_mul_f64 v[5:6], v[9:10], v[5:6]
	v_mul_f64 v[9:10], v[3:4], v[3:4]
	v_add_f64 v[3:4], v[3:4], 1.0
	v_div_scale_f64 v[11:12], s[16:17], v[9:10], v[9:10], 1.0
	v_rcp_f64_e32 v[13:14], v[11:12]
	v_fma_f64 v[15:16], -v[11:12], v[13:14], 1.0
	v_fma_f64 v[13:14], v[13:14], v[15:16], v[13:14]
	v_fma_f64 v[15:16], -v[11:12], v[13:14], 1.0
	v_fma_f64 v[13:14], v[13:14], v[15:16], v[13:14]
	v_div_scale_f64 v[15:16], vcc, 1.0, v[9:10], 1.0
	v_mul_f64 v[19:20], v[15:16], v[13:14]
	v_fma_f64 v[11:12], -v[11:12], v[19:20], v[15:16]
	s_nop 1
	v_div_fmas_f64 v[11:12], v[11:12], v[13:14], v[19:20]
	v_div_fixup_f64 v[9:10], v[11:12], v[9:10], 1.0
	v_mul_f64 v[11:12], v[3:4], v[3:4]
	v_add_f64 v[3:4], v[3:4], 1.0
	v_add_f64 v[9:10], v[21:22], v[9:10]
	v_div_scale_f64 v[13:14], s[16:17], v[11:12], v[11:12], 1.0
	v_rcp_f64_e32 v[15:16], v[13:14]
	v_fma_f64 v[19:20], -v[13:14], v[15:16], 1.0
	v_fma_f64 v[15:16], v[15:16], v[19:20], v[15:16]
	v_fma_f64 v[19:20], -v[13:14], v[15:16], 1.0
	v_fma_f64 v[15:16], v[15:16], v[19:20], v[15:16]
	v_div_scale_f64 v[19:20], vcc, 1.0, v[11:12], 1.0
	v_mul_f64 v[21:22], v[19:20], v[15:16]
	v_fma_f64 v[13:14], -v[13:14], v[21:22], v[19:20]
	s_nop 1
	v_div_fmas_f64 v[13:14], v[13:14], v[15:16], v[21:22]
	v_div_fixup_f64 v[11:12], v[13:14], v[11:12], 1.0
	v_add_f64 v[9:10], v[9:10], v[11:12]
	v_mul_f64 v[11:12], v[3:4], v[3:4]
	v_add_f64 v[3:4], v[3:4], 1.0
	v_div_scale_f64 v[13:14], s[16:17], v[11:12], v[11:12], 1.0
	v_rcp_f64_e32 v[15:16], v[13:14]
	v_fma_f64 v[19:20], -v[13:14], v[15:16], 1.0
	v_fma_f64 v[15:16], v[15:16], v[19:20], v[15:16]
	v_fma_f64 v[19:20], -v[13:14], v[15:16], 1.0
	v_fma_f64 v[15:16], v[15:16], v[19:20], v[15:16]
	v_div_scale_f64 v[19:20], vcc, 1.0, v[11:12], 1.0
	v_mul_f64 v[21:22], v[19:20], v[15:16]
	v_fma_f64 v[13:14], -v[13:14], v[21:22], v[19:20]
	s_nop 1
	v_div_fmas_f64 v[13:14], v[13:14], v[15:16], v[21:22]
	v_div_fixup_f64 v[11:12], v[13:14], v[11:12], 1.0
	v_add_f64 v[9:10], v[9:10], v[11:12]
	v_mul_f64 v[11:12], v[3:4], v[3:4]
	v_add_f64 v[3:4], v[3:4], 1.0
	;; [unrolled: 15-line block ×4, first 2 shown]
	v_div_scale_f64 v[13:14], s[16:17], v[11:12], v[11:12], 1.0
	v_rcp_f64_e32 v[15:16], v[13:14]
	v_fma_f64 v[19:20], -v[13:14], v[15:16], 1.0
	v_fma_f64 v[15:16], v[15:16], v[19:20], v[15:16]
	v_fma_f64 v[19:20], -v[13:14], v[15:16], 1.0
	v_fma_f64 v[15:16], v[15:16], v[19:20], v[15:16]
	v_div_scale_f64 v[19:20], vcc, 1.0, v[11:12], 1.0
	v_mul_f64 v[21:22], v[19:20], v[15:16]
	v_fma_f64 v[13:14], -v[13:14], v[21:22], v[19:20]
	s_nop 1
	v_div_fmas_f64 v[13:14], v[13:14], v[15:16], v[21:22]
	v_div_fixup_f64 v[11:12], v[13:14], v[11:12], 1.0
	v_add_f64 v[9:10], v[9:10], v[11:12]
	v_mul_f64 v[11:12], v[3:4], v[3:4]
	v_div_scale_f64 v[13:14], s[16:17], v[11:12], v[11:12], 1.0
	v_rcp_f64_e32 v[15:16], v[13:14]
	v_fma_f64 v[19:20], -v[13:14], v[15:16], 1.0
	v_fma_f64 v[15:16], v[15:16], v[19:20], v[15:16]
	v_fma_f64 v[19:20], -v[13:14], v[15:16], 1.0
	v_fma_f64 v[15:16], v[15:16], v[19:20], v[15:16]
	v_div_scale_f64 v[19:20], vcc, 1.0, v[11:12], 1.0
	v_mul_f64 v[21:22], v[19:20], v[15:16]
	v_fma_f64 v[13:14], -v[13:14], v[21:22], v[19:20]
	s_nop 1
	v_div_fmas_f64 v[13:14], v[13:14], v[15:16], v[21:22]
	v_div_fixup_f64 v[11:12], v[13:14], v[11:12], 1.0
	v_add_f64 v[13:14], v[3:4], v[3:4]
	v_div_scale_f64 v[15:16], s[16:17], v[13:14], v[13:14], 1.0
	v_rcp_f64_e32 v[19:20], v[15:16]
	v_fma_f64 v[21:22], -v[15:16], v[19:20], 1.0
	v_fma_f64 v[19:20], v[19:20], v[21:22], v[19:20]
	v_fma_f64 v[21:22], -v[15:16], v[19:20], 1.0
	v_fma_f64 v[19:20], v[19:20], v[21:22], v[19:20]
	v_div_scale_f64 v[21:22], vcc, 1.0, v[13:14], 1.0
	v_mul_f64 v[25:26], v[21:22], v[19:20]
	v_fma_f64 v[15:16], -v[15:16], v[25:26], v[21:22]
	s_nop 1
	v_div_fmas_f64 v[15:16], v[15:16], v[19:20], v[25:26]
	v_div_fixup_f64 v[13:14], v[15:16], v[13:14], 1.0
	v_fma_f64 v[15:16], v[11:12], s[4:5], v[23:24]
	v_add_f64 v[13:14], v[13:14], 1.0
	v_fma_f64 v[15:16], -v[11:12], v[15:16], s[14:15]
	v_fma_f64 v[11:12], v[11:12], v[15:16], v[13:14]
	v_div_scale_f64 v[13:14], s[4:5], v[3:4], v[3:4], v[11:12]
	s_add_u32 s4, s8, s12
	s_addc_u32 s5, s9, s13
	s_nop 2
	global_store_dwordx4 v27, v[5:8], s[4:5]
	v_rcp_f64_e32 v[15:16], v[13:14]
	v_fma_f64 v[19:20], -v[13:14], v[15:16], 1.0
	v_fma_f64 v[15:16], v[15:16], v[19:20], v[15:16]
	v_fma_f64 v[19:20], -v[13:14], v[15:16], 1.0
	v_fma_f64 v[15:16], v[15:16], v[19:20], v[15:16]
	v_div_scale_f64 v[19:20], vcc, v[11:12], v[3:4], v[11:12]
	v_mul_f64 v[21:22], v[19:20], v[15:16]
	v_fma_f64 v[13:14], -v[13:14], v[21:22], v[19:20]
	s_nop 1
	v_div_fmas_f64 v[13:14], v[13:14], v[15:16], v[21:22]
	v_div_fixup_f64 v[3:4], v[13:14], v[3:4], v[11:12]
	v_add_f64 v[3:4], v[9:10], v[3:4]
	v_add_co_u32_e32 v9, vcc, s4, v27
	v_mov_b32_e32 v10, s5
	v_addc_co_u32_e32 v10, vcc, 0, v10, vcc
	v_add_co_u32_e32 v5, vcc, 0x1000, v9
	v_mul_f64 v[3:4], v[17:18], v[3:4]
	v_addc_co_u32_e32 v6, vcc, 0, v10, vcc
	global_store_dwordx4 v[5:6], v[1:4], off
	s_branch .LBB45_2
.LBB45_28:
	s_getpc_b64 s[4:5]
	s_add_u32 s4, s4, _ZN2at6native25elementwise_kernel_helperILb0EZZZNS0_20trigamma_kernel_cudaERNS_18TensorIteratorBaseEENKUlvE_clEvENKUlvE_clEvEUldE_NS0_6memory8policies11unroll_baseILi256ESt5arrayIPcLm2EE23TrivialOffsetCalculatorILi1EjESE_NS7_15LoadWithoutCastENS7_16StoreWithoutCastELi4ELi1EEEEEvT0_T1_@rel32@lo+4
	s_addc_u32 s5, s5, _ZN2at6native25elementwise_kernel_helperILb0EZZZNS0_20trigamma_kernel_cudaERNS_18TensorIteratorBaseEENKUlvE_clEvENKUlvE_clEvEUldE_NS0_6memory8policies11unroll_baseILi256ESt5arrayIPcLm2EE23TrivialOffsetCalculatorILi1EjESE_NS7_15LoadWithoutCastENS7_16StoreWithoutCastELi4ELi1EEEEEvT0_T1_@rel32@hi+12
	s_mov_b32 s12, s6
	v_mov_b32_e32 v31, v0
	v_mov_b32_e32 v0, s8
	;; [unrolled: 1-line block ×6, first 2 shown]
	s_swappc_b64 s[30:31], s[4:5]
	s_endpgm
	.section	.rodata,"a",@progbits
	.p2align	6, 0x0
	.amdhsa_kernel _ZN2at6native29vectorized_elementwise_kernelILi2EZZZNS0_20trigamma_kernel_cudaERNS_18TensorIteratorBaseEENKUlvE_clEvENKUlvE_clEvEUldE_St5arrayIPcLm2EEEEviT0_T1_
		.amdhsa_group_segment_fixed_size 0
		.amdhsa_private_segment_fixed_size 0
		.amdhsa_kernarg_size 24
		.amdhsa_user_sgpr_count 6
		.amdhsa_user_sgpr_private_segment_buffer 1
		.amdhsa_user_sgpr_dispatch_ptr 0
		.amdhsa_user_sgpr_queue_ptr 0
		.amdhsa_user_sgpr_kernarg_segment_ptr 1
		.amdhsa_user_sgpr_dispatch_id 0
		.amdhsa_user_sgpr_flat_scratch_init 0
		.amdhsa_user_sgpr_private_segment_size 0
		.amdhsa_uses_dynamic_stack 0
		.amdhsa_system_sgpr_private_segment_wavefront_offset 0
		.amdhsa_system_sgpr_workgroup_id_x 1
		.amdhsa_system_sgpr_workgroup_id_y 0
		.amdhsa_system_sgpr_workgroup_id_z 0
		.amdhsa_system_sgpr_workgroup_info 0
		.amdhsa_system_vgpr_workitem_id 0
		.amdhsa_next_free_vgpr 56
		.amdhsa_next_free_sgpr 33
		.amdhsa_reserve_vcc 1
		.amdhsa_reserve_flat_scratch 0
		.amdhsa_float_round_mode_32 0
		.amdhsa_float_round_mode_16_64 0
		.amdhsa_float_denorm_mode_32 3
		.amdhsa_float_denorm_mode_16_64 3
		.amdhsa_dx10_clamp 1
		.amdhsa_ieee_mode 1
		.amdhsa_fp16_overflow 0
		.amdhsa_exception_fp_ieee_invalid_op 0
		.amdhsa_exception_fp_denorm_src 0
		.amdhsa_exception_fp_ieee_div_zero 0
		.amdhsa_exception_fp_ieee_overflow 0
		.amdhsa_exception_fp_ieee_underflow 0
		.amdhsa_exception_fp_ieee_inexact 0
		.amdhsa_exception_int_div_zero 0
	.end_amdhsa_kernel
	.section	.text._ZN2at6native29vectorized_elementwise_kernelILi2EZZZNS0_20trigamma_kernel_cudaERNS_18TensorIteratorBaseEENKUlvE_clEvENKUlvE_clEvEUldE_St5arrayIPcLm2EEEEviT0_T1_,"axG",@progbits,_ZN2at6native29vectorized_elementwise_kernelILi2EZZZNS0_20trigamma_kernel_cudaERNS_18TensorIteratorBaseEENKUlvE_clEvENKUlvE_clEvEUldE_St5arrayIPcLm2EEEEviT0_T1_,comdat
.Lfunc_end45:
	.size	_ZN2at6native29vectorized_elementwise_kernelILi2EZZZNS0_20trigamma_kernel_cudaERNS_18TensorIteratorBaseEENKUlvE_clEvENKUlvE_clEvEUldE_St5arrayIPcLm2EEEEviT0_T1_, .Lfunc_end45-_ZN2at6native29vectorized_elementwise_kernelILi2EZZZNS0_20trigamma_kernel_cudaERNS_18TensorIteratorBaseEENKUlvE_clEvENKUlvE_clEvEUldE_St5arrayIPcLm2EEEEviT0_T1_
                                        ; -- End function
	.set _ZN2at6native29vectorized_elementwise_kernelILi2EZZZNS0_20trigamma_kernel_cudaERNS_18TensorIteratorBaseEENKUlvE_clEvENKUlvE_clEvEUldE_St5arrayIPcLm2EEEEviT0_T1_.num_vgpr, max(56, .L_ZN2at6native25elementwise_kernel_helperILb0EZZZNS0_20trigamma_kernel_cudaERNS_18TensorIteratorBaseEENKUlvE_clEvENKUlvE_clEvEUldE_NS0_6memory8policies11unroll_baseILi256ESt5arrayIPcLm2EE23TrivialOffsetCalculatorILi1EjESE_NS7_15LoadWithoutCastENS7_16StoreWithoutCastELi4ELi1EEEEEvT0_T1_.num_vgpr)
	.set _ZN2at6native29vectorized_elementwise_kernelILi2EZZZNS0_20trigamma_kernel_cudaERNS_18TensorIteratorBaseEENKUlvE_clEvENKUlvE_clEvEUldE_St5arrayIPcLm2EEEEviT0_T1_.num_agpr, max(0, .L_ZN2at6native25elementwise_kernel_helperILb0EZZZNS0_20trigamma_kernel_cudaERNS_18TensorIteratorBaseEENKUlvE_clEvENKUlvE_clEvEUldE_NS0_6memory8policies11unroll_baseILi256ESt5arrayIPcLm2EE23TrivialOffsetCalculatorILi1EjESE_NS7_15LoadWithoutCastENS7_16StoreWithoutCastELi4ELi1EEEEEvT0_T1_.num_agpr)
	.set _ZN2at6native29vectorized_elementwise_kernelILi2EZZZNS0_20trigamma_kernel_cudaERNS_18TensorIteratorBaseEENKUlvE_clEvENKUlvE_clEvEUldE_St5arrayIPcLm2EEEEviT0_T1_.numbered_sgpr, max(33, .L_ZN2at6native25elementwise_kernel_helperILb0EZZZNS0_20trigamma_kernel_cudaERNS_18TensorIteratorBaseEENKUlvE_clEvENKUlvE_clEvEUldE_NS0_6memory8policies11unroll_baseILi256ESt5arrayIPcLm2EE23TrivialOffsetCalculatorILi1EjESE_NS7_15LoadWithoutCastENS7_16StoreWithoutCastELi4ELi1EEEEEvT0_T1_.numbered_sgpr)
	.set _ZN2at6native29vectorized_elementwise_kernelILi2EZZZNS0_20trigamma_kernel_cudaERNS_18TensorIteratorBaseEENKUlvE_clEvENKUlvE_clEvEUldE_St5arrayIPcLm2EEEEviT0_T1_.num_named_barrier, max(0, .L_ZN2at6native25elementwise_kernel_helperILb0EZZZNS0_20trigamma_kernel_cudaERNS_18TensorIteratorBaseEENKUlvE_clEvENKUlvE_clEvEUldE_NS0_6memory8policies11unroll_baseILi256ESt5arrayIPcLm2EE23TrivialOffsetCalculatorILi1EjESE_NS7_15LoadWithoutCastENS7_16StoreWithoutCastELi4ELi1EEEEEvT0_T1_.num_named_barrier)
	.set _ZN2at6native29vectorized_elementwise_kernelILi2EZZZNS0_20trigamma_kernel_cudaERNS_18TensorIteratorBaseEENKUlvE_clEvENKUlvE_clEvEUldE_St5arrayIPcLm2EEEEviT0_T1_.private_seg_size, 0+max(.L_ZN2at6native25elementwise_kernel_helperILb0EZZZNS0_20trigamma_kernel_cudaERNS_18TensorIteratorBaseEENKUlvE_clEvENKUlvE_clEvEUldE_NS0_6memory8policies11unroll_baseILi256ESt5arrayIPcLm2EE23TrivialOffsetCalculatorILi1EjESE_NS7_15LoadWithoutCastENS7_16StoreWithoutCastELi4ELi1EEEEEvT0_T1_.private_seg_size)
	.set _ZN2at6native29vectorized_elementwise_kernelILi2EZZZNS0_20trigamma_kernel_cudaERNS_18TensorIteratorBaseEENKUlvE_clEvENKUlvE_clEvEUldE_St5arrayIPcLm2EEEEviT0_T1_.uses_vcc, or(1, .L_ZN2at6native25elementwise_kernel_helperILb0EZZZNS0_20trigamma_kernel_cudaERNS_18TensorIteratorBaseEENKUlvE_clEvENKUlvE_clEvEUldE_NS0_6memory8policies11unroll_baseILi256ESt5arrayIPcLm2EE23TrivialOffsetCalculatorILi1EjESE_NS7_15LoadWithoutCastENS7_16StoreWithoutCastELi4ELi1EEEEEvT0_T1_.uses_vcc)
	.set _ZN2at6native29vectorized_elementwise_kernelILi2EZZZNS0_20trigamma_kernel_cudaERNS_18TensorIteratorBaseEENKUlvE_clEvENKUlvE_clEvEUldE_St5arrayIPcLm2EEEEviT0_T1_.uses_flat_scratch, or(0, .L_ZN2at6native25elementwise_kernel_helperILb0EZZZNS0_20trigamma_kernel_cudaERNS_18TensorIteratorBaseEENKUlvE_clEvENKUlvE_clEvEUldE_NS0_6memory8policies11unroll_baseILi256ESt5arrayIPcLm2EE23TrivialOffsetCalculatorILi1EjESE_NS7_15LoadWithoutCastENS7_16StoreWithoutCastELi4ELi1EEEEEvT0_T1_.uses_flat_scratch)
	.set _ZN2at6native29vectorized_elementwise_kernelILi2EZZZNS0_20trigamma_kernel_cudaERNS_18TensorIteratorBaseEENKUlvE_clEvENKUlvE_clEvEUldE_St5arrayIPcLm2EEEEviT0_T1_.has_dyn_sized_stack, or(0, .L_ZN2at6native25elementwise_kernel_helperILb0EZZZNS0_20trigamma_kernel_cudaERNS_18TensorIteratorBaseEENKUlvE_clEvENKUlvE_clEvEUldE_NS0_6memory8policies11unroll_baseILi256ESt5arrayIPcLm2EE23TrivialOffsetCalculatorILi1EjESE_NS7_15LoadWithoutCastENS7_16StoreWithoutCastELi4ELi1EEEEEvT0_T1_.has_dyn_sized_stack)
	.set _ZN2at6native29vectorized_elementwise_kernelILi2EZZZNS0_20trigamma_kernel_cudaERNS_18TensorIteratorBaseEENKUlvE_clEvENKUlvE_clEvEUldE_St5arrayIPcLm2EEEEviT0_T1_.has_recursion, or(0, .L_ZN2at6native25elementwise_kernel_helperILb0EZZZNS0_20trigamma_kernel_cudaERNS_18TensorIteratorBaseEENKUlvE_clEvENKUlvE_clEvEUldE_NS0_6memory8policies11unroll_baseILi256ESt5arrayIPcLm2EE23TrivialOffsetCalculatorILi1EjESE_NS7_15LoadWithoutCastENS7_16StoreWithoutCastELi4ELi1EEEEEvT0_T1_.has_recursion)
	.set _ZN2at6native29vectorized_elementwise_kernelILi2EZZZNS0_20trigamma_kernel_cudaERNS_18TensorIteratorBaseEENKUlvE_clEvENKUlvE_clEvEUldE_St5arrayIPcLm2EEEEviT0_T1_.has_indirect_call, or(0, .L_ZN2at6native25elementwise_kernel_helperILb0EZZZNS0_20trigamma_kernel_cudaERNS_18TensorIteratorBaseEENKUlvE_clEvENKUlvE_clEvEUldE_NS0_6memory8policies11unroll_baseILi256ESt5arrayIPcLm2EE23TrivialOffsetCalculatorILi1EjESE_NS7_15LoadWithoutCastENS7_16StoreWithoutCastELi4ELi1EEEEEvT0_T1_.has_indirect_call)
	.section	.AMDGPU.csdata,"",@progbits
; Kernel info:
; codeLenInByte = 10296
; TotalNumSgprs: 37
; NumVgprs: 56
; ScratchSize: 0
; MemoryBound: 0
; FloatMode: 240
; IeeeMode: 1
; LDSByteSize: 0 bytes/workgroup (compile time only)
; SGPRBlocks: 4
; VGPRBlocks: 13
; NumSGPRsForWavesPerEU: 37
; NumVGPRsForWavesPerEU: 56
; Occupancy: 4
; WaveLimiterHint : 1
; COMPUTE_PGM_RSRC2:SCRATCH_EN: 0
; COMPUTE_PGM_RSRC2:USER_SGPR: 6
; COMPUTE_PGM_RSRC2:TRAP_HANDLER: 0
; COMPUTE_PGM_RSRC2:TGID_X_EN: 1
; COMPUTE_PGM_RSRC2:TGID_Y_EN: 0
; COMPUTE_PGM_RSRC2:TGID_Z_EN: 0
; COMPUTE_PGM_RSRC2:TIDIG_COMP_CNT: 0
	.section	.text._ZN2at6native27unrolled_elementwise_kernelIZZZNS0_20trigamma_kernel_cudaERNS_18TensorIteratorBaseEENKUlvE_clEvENKUlvE_clEvEUldE_St5arrayIPcLm2EELi4E23TrivialOffsetCalculatorILi1EjESB_NS0_6memory15LoadWithoutCastENSC_16StoreWithoutCastEEEviT_T0_T2_T3_T4_T5_,"axG",@progbits,_ZN2at6native27unrolled_elementwise_kernelIZZZNS0_20trigamma_kernel_cudaERNS_18TensorIteratorBaseEENKUlvE_clEvENKUlvE_clEvEUldE_St5arrayIPcLm2EELi4E23TrivialOffsetCalculatorILi1EjESB_NS0_6memory15LoadWithoutCastENSC_16StoreWithoutCastEEEviT_T0_T2_T3_T4_T5_,comdat
	.globl	_ZN2at6native27unrolled_elementwise_kernelIZZZNS0_20trigamma_kernel_cudaERNS_18TensorIteratorBaseEENKUlvE_clEvENKUlvE_clEvEUldE_St5arrayIPcLm2EELi4E23TrivialOffsetCalculatorILi1EjESB_NS0_6memory15LoadWithoutCastENSC_16StoreWithoutCastEEEviT_T0_T2_T3_T4_T5_ ; -- Begin function _ZN2at6native27unrolled_elementwise_kernelIZZZNS0_20trigamma_kernel_cudaERNS_18TensorIteratorBaseEENKUlvE_clEvENKUlvE_clEvEUldE_St5arrayIPcLm2EELi4E23TrivialOffsetCalculatorILi1EjESB_NS0_6memory15LoadWithoutCastENSC_16StoreWithoutCastEEEviT_T0_T2_T3_T4_T5_
	.p2align	8
	.type	_ZN2at6native27unrolled_elementwise_kernelIZZZNS0_20trigamma_kernel_cudaERNS_18TensorIteratorBaseEENKUlvE_clEvENKUlvE_clEvEUldE_St5arrayIPcLm2EELi4E23TrivialOffsetCalculatorILi1EjESB_NS0_6memory15LoadWithoutCastENSC_16StoreWithoutCastEEEviT_T0_T2_T3_T4_T5_,@function
_ZN2at6native27unrolled_elementwise_kernelIZZZNS0_20trigamma_kernel_cudaERNS_18TensorIteratorBaseEENKUlvE_clEvENKUlvE_clEvEUldE_St5arrayIPcLm2EELi4E23TrivialOffsetCalculatorILi1EjESB_NS0_6memory15LoadWithoutCastENSC_16StoreWithoutCastEEEviT_T0_T2_T3_T4_T5_: ; @_ZN2at6native27unrolled_elementwise_kernelIZZZNS0_20trigamma_kernel_cudaERNS_18TensorIteratorBaseEENKUlvE_clEvENKUlvE_clEvEUldE_St5arrayIPcLm2EELi4E23TrivialOffsetCalculatorILi1EjESB_NS0_6memory15LoadWithoutCastENSC_16StoreWithoutCastEEEviT_T0_T2_T3_T4_T5_
; %bb.0:
	s_add_u32 s0, s0, s7
	s_load_dword s7, s[4:5], 0x0
	s_load_dwordx4 s[8:11], s[4:5], 0x8
	s_addc_u32 s1, s1, 0
	s_lshl_b32 s4, s6, 10
	s_mov_b32 s12, s6
	s_waitcnt lgkmcnt(0)
	s_sub_i32 s7, s7, s4
	s_getpc_b64 s[4:5]
	s_add_u32 s4, s4, _ZN2at6native25elementwise_kernel_helperILb0EZZZNS0_20trigamma_kernel_cudaERNS_18TensorIteratorBaseEENKUlvE_clEvENKUlvE_clEvEUldE_NS0_6memory8policies11unroll_baseILi256ESt5arrayIPcLm2EE23TrivialOffsetCalculatorILi1EjESE_NS7_15LoadWithoutCastENS7_16StoreWithoutCastELi4ELi1EEEEEvT0_T1_@rel32@lo+4
	s_addc_u32 s5, s5, _ZN2at6native25elementwise_kernel_helperILb0EZZZNS0_20trigamma_kernel_cudaERNS_18TensorIteratorBaseEENKUlvE_clEvENKUlvE_clEvEUldE_NS0_6memory8policies11unroll_baseILi256ESt5arrayIPcLm2EE23TrivialOffsetCalculatorILi1EjESE_NS7_15LoadWithoutCastENS7_16StoreWithoutCastELi4ELi1EEEEEvT0_T1_@rel32@hi+12
	v_mov_b32_e32 v31, v0
	v_mov_b32_e32 v0, s8
	;; [unrolled: 1-line block ×6, first 2 shown]
	s_mov_b32 s32, 0
	s_swappc_b64 s[30:31], s[4:5]
	s_endpgm
	.section	.rodata,"a",@progbits
	.p2align	6, 0x0
	.amdhsa_kernel _ZN2at6native27unrolled_elementwise_kernelIZZZNS0_20trigamma_kernel_cudaERNS_18TensorIteratorBaseEENKUlvE_clEvENKUlvE_clEvEUldE_St5arrayIPcLm2EELi4E23TrivialOffsetCalculatorILi1EjESB_NS0_6memory15LoadWithoutCastENSC_16StoreWithoutCastEEEviT_T0_T2_T3_T4_T5_
		.amdhsa_group_segment_fixed_size 0
		.amdhsa_private_segment_fixed_size 0
		.amdhsa_kernarg_size 28
		.amdhsa_user_sgpr_count 6
		.amdhsa_user_sgpr_private_segment_buffer 1
		.amdhsa_user_sgpr_dispatch_ptr 0
		.amdhsa_user_sgpr_queue_ptr 0
		.amdhsa_user_sgpr_kernarg_segment_ptr 1
		.amdhsa_user_sgpr_dispatch_id 0
		.amdhsa_user_sgpr_flat_scratch_init 0
		.amdhsa_user_sgpr_private_segment_size 0
		.amdhsa_uses_dynamic_stack 0
		.amdhsa_system_sgpr_private_segment_wavefront_offset 0
		.amdhsa_system_sgpr_workgroup_id_x 1
		.amdhsa_system_sgpr_workgroup_id_y 0
		.amdhsa_system_sgpr_workgroup_id_z 0
		.amdhsa_system_sgpr_workgroup_info 0
		.amdhsa_system_vgpr_workitem_id 0
		.amdhsa_next_free_vgpr 54
		.amdhsa_next_free_sgpr 33
		.amdhsa_reserve_vcc 1
		.amdhsa_reserve_flat_scratch 0
		.amdhsa_float_round_mode_32 0
		.amdhsa_float_round_mode_16_64 0
		.amdhsa_float_denorm_mode_32 3
		.amdhsa_float_denorm_mode_16_64 3
		.amdhsa_dx10_clamp 1
		.amdhsa_ieee_mode 1
		.amdhsa_fp16_overflow 0
		.amdhsa_exception_fp_ieee_invalid_op 0
		.amdhsa_exception_fp_denorm_src 0
		.amdhsa_exception_fp_ieee_div_zero 0
		.amdhsa_exception_fp_ieee_overflow 0
		.amdhsa_exception_fp_ieee_underflow 0
		.amdhsa_exception_fp_ieee_inexact 0
		.amdhsa_exception_int_div_zero 0
	.end_amdhsa_kernel
	.section	.text._ZN2at6native27unrolled_elementwise_kernelIZZZNS0_20trigamma_kernel_cudaERNS_18TensorIteratorBaseEENKUlvE_clEvENKUlvE_clEvEUldE_St5arrayIPcLm2EELi4E23TrivialOffsetCalculatorILi1EjESB_NS0_6memory15LoadWithoutCastENSC_16StoreWithoutCastEEEviT_T0_T2_T3_T4_T5_,"axG",@progbits,_ZN2at6native27unrolled_elementwise_kernelIZZZNS0_20trigamma_kernel_cudaERNS_18TensorIteratorBaseEENKUlvE_clEvENKUlvE_clEvEUldE_St5arrayIPcLm2EELi4E23TrivialOffsetCalculatorILi1EjESB_NS0_6memory15LoadWithoutCastENSC_16StoreWithoutCastEEEviT_T0_T2_T3_T4_T5_,comdat
.Lfunc_end46:
	.size	_ZN2at6native27unrolled_elementwise_kernelIZZZNS0_20trigamma_kernel_cudaERNS_18TensorIteratorBaseEENKUlvE_clEvENKUlvE_clEvEUldE_St5arrayIPcLm2EELi4E23TrivialOffsetCalculatorILi1EjESB_NS0_6memory15LoadWithoutCastENSC_16StoreWithoutCastEEEviT_T0_T2_T3_T4_T5_, .Lfunc_end46-_ZN2at6native27unrolled_elementwise_kernelIZZZNS0_20trigamma_kernel_cudaERNS_18TensorIteratorBaseEENKUlvE_clEvENKUlvE_clEvEUldE_St5arrayIPcLm2EELi4E23TrivialOffsetCalculatorILi1EjESB_NS0_6memory15LoadWithoutCastENSC_16StoreWithoutCastEEEviT_T0_T2_T3_T4_T5_
                                        ; -- End function
	.set _ZN2at6native27unrolled_elementwise_kernelIZZZNS0_20trigamma_kernel_cudaERNS_18TensorIteratorBaseEENKUlvE_clEvENKUlvE_clEvEUldE_St5arrayIPcLm2EELi4E23TrivialOffsetCalculatorILi1EjESB_NS0_6memory15LoadWithoutCastENSC_16StoreWithoutCastEEEviT_T0_T2_T3_T4_T5_.num_vgpr, max(32, .L_ZN2at6native25elementwise_kernel_helperILb0EZZZNS0_20trigamma_kernel_cudaERNS_18TensorIteratorBaseEENKUlvE_clEvENKUlvE_clEvEUldE_NS0_6memory8policies11unroll_baseILi256ESt5arrayIPcLm2EE23TrivialOffsetCalculatorILi1EjESE_NS7_15LoadWithoutCastENS7_16StoreWithoutCastELi4ELi1EEEEEvT0_T1_.num_vgpr)
	.set _ZN2at6native27unrolled_elementwise_kernelIZZZNS0_20trigamma_kernel_cudaERNS_18TensorIteratorBaseEENKUlvE_clEvENKUlvE_clEvEUldE_St5arrayIPcLm2EELi4E23TrivialOffsetCalculatorILi1EjESB_NS0_6memory15LoadWithoutCastENSC_16StoreWithoutCastEEEviT_T0_T2_T3_T4_T5_.num_agpr, max(0, .L_ZN2at6native25elementwise_kernel_helperILb0EZZZNS0_20trigamma_kernel_cudaERNS_18TensorIteratorBaseEENKUlvE_clEvENKUlvE_clEvEUldE_NS0_6memory8policies11unroll_baseILi256ESt5arrayIPcLm2EE23TrivialOffsetCalculatorILi1EjESE_NS7_15LoadWithoutCastENS7_16StoreWithoutCastELi4ELi1EEEEEvT0_T1_.num_agpr)
	.set _ZN2at6native27unrolled_elementwise_kernelIZZZNS0_20trigamma_kernel_cudaERNS_18TensorIteratorBaseEENKUlvE_clEvENKUlvE_clEvEUldE_St5arrayIPcLm2EELi4E23TrivialOffsetCalculatorILi1EjESB_NS0_6memory15LoadWithoutCastENSC_16StoreWithoutCastEEEviT_T0_T2_T3_T4_T5_.numbered_sgpr, max(33, .L_ZN2at6native25elementwise_kernel_helperILb0EZZZNS0_20trigamma_kernel_cudaERNS_18TensorIteratorBaseEENKUlvE_clEvENKUlvE_clEvEUldE_NS0_6memory8policies11unroll_baseILi256ESt5arrayIPcLm2EE23TrivialOffsetCalculatorILi1EjESE_NS7_15LoadWithoutCastENS7_16StoreWithoutCastELi4ELi1EEEEEvT0_T1_.numbered_sgpr)
	.set _ZN2at6native27unrolled_elementwise_kernelIZZZNS0_20trigamma_kernel_cudaERNS_18TensorIteratorBaseEENKUlvE_clEvENKUlvE_clEvEUldE_St5arrayIPcLm2EELi4E23TrivialOffsetCalculatorILi1EjESB_NS0_6memory15LoadWithoutCastENSC_16StoreWithoutCastEEEviT_T0_T2_T3_T4_T5_.num_named_barrier, max(0, .L_ZN2at6native25elementwise_kernel_helperILb0EZZZNS0_20trigamma_kernel_cudaERNS_18TensorIteratorBaseEENKUlvE_clEvENKUlvE_clEvEUldE_NS0_6memory8policies11unroll_baseILi256ESt5arrayIPcLm2EE23TrivialOffsetCalculatorILi1EjESE_NS7_15LoadWithoutCastENS7_16StoreWithoutCastELi4ELi1EEEEEvT0_T1_.num_named_barrier)
	.set _ZN2at6native27unrolled_elementwise_kernelIZZZNS0_20trigamma_kernel_cudaERNS_18TensorIteratorBaseEENKUlvE_clEvENKUlvE_clEvEUldE_St5arrayIPcLm2EELi4E23TrivialOffsetCalculatorILi1EjESB_NS0_6memory15LoadWithoutCastENSC_16StoreWithoutCastEEEviT_T0_T2_T3_T4_T5_.private_seg_size, 0+max(.L_ZN2at6native25elementwise_kernel_helperILb0EZZZNS0_20trigamma_kernel_cudaERNS_18TensorIteratorBaseEENKUlvE_clEvENKUlvE_clEvEUldE_NS0_6memory8policies11unroll_baseILi256ESt5arrayIPcLm2EE23TrivialOffsetCalculatorILi1EjESE_NS7_15LoadWithoutCastENS7_16StoreWithoutCastELi4ELi1EEEEEvT0_T1_.private_seg_size)
	.set _ZN2at6native27unrolled_elementwise_kernelIZZZNS0_20trigamma_kernel_cudaERNS_18TensorIteratorBaseEENKUlvE_clEvENKUlvE_clEvEUldE_St5arrayIPcLm2EELi4E23TrivialOffsetCalculatorILi1EjESB_NS0_6memory15LoadWithoutCastENSC_16StoreWithoutCastEEEviT_T0_T2_T3_T4_T5_.uses_vcc, or(1, .L_ZN2at6native25elementwise_kernel_helperILb0EZZZNS0_20trigamma_kernel_cudaERNS_18TensorIteratorBaseEENKUlvE_clEvENKUlvE_clEvEUldE_NS0_6memory8policies11unroll_baseILi256ESt5arrayIPcLm2EE23TrivialOffsetCalculatorILi1EjESE_NS7_15LoadWithoutCastENS7_16StoreWithoutCastELi4ELi1EEEEEvT0_T1_.uses_vcc)
	.set _ZN2at6native27unrolled_elementwise_kernelIZZZNS0_20trigamma_kernel_cudaERNS_18TensorIteratorBaseEENKUlvE_clEvENKUlvE_clEvEUldE_St5arrayIPcLm2EELi4E23TrivialOffsetCalculatorILi1EjESB_NS0_6memory15LoadWithoutCastENSC_16StoreWithoutCastEEEviT_T0_T2_T3_T4_T5_.uses_flat_scratch, or(0, .L_ZN2at6native25elementwise_kernel_helperILb0EZZZNS0_20trigamma_kernel_cudaERNS_18TensorIteratorBaseEENKUlvE_clEvENKUlvE_clEvEUldE_NS0_6memory8policies11unroll_baseILi256ESt5arrayIPcLm2EE23TrivialOffsetCalculatorILi1EjESE_NS7_15LoadWithoutCastENS7_16StoreWithoutCastELi4ELi1EEEEEvT0_T1_.uses_flat_scratch)
	.set _ZN2at6native27unrolled_elementwise_kernelIZZZNS0_20trigamma_kernel_cudaERNS_18TensorIteratorBaseEENKUlvE_clEvENKUlvE_clEvEUldE_St5arrayIPcLm2EELi4E23TrivialOffsetCalculatorILi1EjESB_NS0_6memory15LoadWithoutCastENSC_16StoreWithoutCastEEEviT_T0_T2_T3_T4_T5_.has_dyn_sized_stack, or(0, .L_ZN2at6native25elementwise_kernel_helperILb0EZZZNS0_20trigamma_kernel_cudaERNS_18TensorIteratorBaseEENKUlvE_clEvENKUlvE_clEvEUldE_NS0_6memory8policies11unroll_baseILi256ESt5arrayIPcLm2EE23TrivialOffsetCalculatorILi1EjESE_NS7_15LoadWithoutCastENS7_16StoreWithoutCastELi4ELi1EEEEEvT0_T1_.has_dyn_sized_stack)
	.set _ZN2at6native27unrolled_elementwise_kernelIZZZNS0_20trigamma_kernel_cudaERNS_18TensorIteratorBaseEENKUlvE_clEvENKUlvE_clEvEUldE_St5arrayIPcLm2EELi4E23TrivialOffsetCalculatorILi1EjESB_NS0_6memory15LoadWithoutCastENSC_16StoreWithoutCastEEEviT_T0_T2_T3_T4_T5_.has_recursion, or(0, .L_ZN2at6native25elementwise_kernel_helperILb0EZZZNS0_20trigamma_kernel_cudaERNS_18TensorIteratorBaseEENKUlvE_clEvENKUlvE_clEvEUldE_NS0_6memory8policies11unroll_baseILi256ESt5arrayIPcLm2EE23TrivialOffsetCalculatorILi1EjESE_NS7_15LoadWithoutCastENS7_16StoreWithoutCastELi4ELi1EEEEEvT0_T1_.has_recursion)
	.set _ZN2at6native27unrolled_elementwise_kernelIZZZNS0_20trigamma_kernel_cudaERNS_18TensorIteratorBaseEENKUlvE_clEvENKUlvE_clEvEUldE_St5arrayIPcLm2EELi4E23TrivialOffsetCalculatorILi1EjESB_NS0_6memory15LoadWithoutCastENSC_16StoreWithoutCastEEEviT_T0_T2_T3_T4_T5_.has_indirect_call, or(0, .L_ZN2at6native25elementwise_kernel_helperILb0EZZZNS0_20trigamma_kernel_cudaERNS_18TensorIteratorBaseEENKUlvE_clEvENKUlvE_clEvEUldE_NS0_6memory8policies11unroll_baseILi256ESt5arrayIPcLm2EE23TrivialOffsetCalculatorILi1EjESE_NS7_15LoadWithoutCastENS7_16StoreWithoutCastELi4ELi1EEEEEvT0_T1_.has_indirect_call)
	.section	.AMDGPU.csdata,"",@progbits
; Kernel info:
; codeLenInByte = 96
; TotalNumSgprs: 37
; NumVgprs: 54
; ScratchSize: 0
; MemoryBound: 0
; FloatMode: 240
; IeeeMode: 1
; LDSByteSize: 0 bytes/workgroup (compile time only)
; SGPRBlocks: 4
; VGPRBlocks: 13
; NumSGPRsForWavesPerEU: 37
; NumVGPRsForWavesPerEU: 54
; Occupancy: 4
; WaveLimiterHint : 0
; COMPUTE_PGM_RSRC2:SCRATCH_EN: 0
; COMPUTE_PGM_RSRC2:USER_SGPR: 6
; COMPUTE_PGM_RSRC2:TRAP_HANDLER: 0
; COMPUTE_PGM_RSRC2:TGID_X_EN: 1
; COMPUTE_PGM_RSRC2:TGID_Y_EN: 0
; COMPUTE_PGM_RSRC2:TGID_Z_EN: 0
; COMPUTE_PGM_RSRC2:TIDIG_COMP_CNT: 0
	.section	.text._ZN2at6native32elementwise_kernel_manual_unrollILi128ELi4EZNS0_22gpu_kernel_impl_nocastIZZZNS0_20trigamma_kernel_cudaERNS_18TensorIteratorBaseEENKUlvE_clEvENKUlvE_clEvEUldE_EEvS4_RKT_EUlibE_EEviT1_,"axG",@progbits,_ZN2at6native32elementwise_kernel_manual_unrollILi128ELi4EZNS0_22gpu_kernel_impl_nocastIZZZNS0_20trigamma_kernel_cudaERNS_18TensorIteratorBaseEENKUlvE_clEvENKUlvE_clEvEUldE_EEvS4_RKT_EUlibE_EEviT1_,comdat
	.globl	_ZN2at6native32elementwise_kernel_manual_unrollILi128ELi4EZNS0_22gpu_kernel_impl_nocastIZZZNS0_20trigamma_kernel_cudaERNS_18TensorIteratorBaseEENKUlvE_clEvENKUlvE_clEvEUldE_EEvS4_RKT_EUlibE_EEviT1_ ; -- Begin function _ZN2at6native32elementwise_kernel_manual_unrollILi128ELi4EZNS0_22gpu_kernel_impl_nocastIZZZNS0_20trigamma_kernel_cudaERNS_18TensorIteratorBaseEENKUlvE_clEvENKUlvE_clEvEUldE_EEvS4_RKT_EUlibE_EEviT1_
	.p2align	8
	.type	_ZN2at6native32elementwise_kernel_manual_unrollILi128ELi4EZNS0_22gpu_kernel_impl_nocastIZZZNS0_20trigamma_kernel_cudaERNS_18TensorIteratorBaseEENKUlvE_clEvENKUlvE_clEvEUldE_EEvS4_RKT_EUlibE_EEviT1_,@function
_ZN2at6native32elementwise_kernel_manual_unrollILi128ELi4EZNS0_22gpu_kernel_impl_nocastIZZZNS0_20trigamma_kernel_cudaERNS_18TensorIteratorBaseEENKUlvE_clEvENKUlvE_clEvEUldE_EEvS4_RKT_EUlibE_EEviT1_: ; @_ZN2at6native32elementwise_kernel_manual_unrollILi128ELi4EZNS0_22gpu_kernel_impl_nocastIZZZNS0_20trigamma_kernel_cudaERNS_18TensorIteratorBaseEENKUlvE_clEvENKUlvE_clEvEUldE_EEvS4_RKT_EUlibE_EEviT1_
; %bb.0:
	s_load_dword s55, s[4:5], 0x0
	s_load_dword s33, s[4:5], 0x8
	s_add_u32 s34, s4, 8
	s_addc_u32 s35, s5, 0
	v_lshl_or_b32 v19, s6, 9, v0
	v_or_b32_e32 v7, 0x180, v19
	s_waitcnt lgkmcnt(0)
	s_add_i32 s54, s33, -1
	s_cmp_gt_u32 s54, 1
	v_cmp_le_i32_e32 vcc, s55, v7
	s_cselect_b64 s[36:37], -1, 0
	s_and_saveexec_b64 s[0:1], vcc
	s_xor_b64 s[38:39], exec, s[0:1]
	s_cbranch_execz .LBB47_7
; %bb.1:
	s_load_dwordx4 s[24:27], s[34:35], 0x4
	s_load_dwordx2 s[40:41], s[34:35], 0x14
	s_load_dwordx4 s[20:23], s[34:35], 0xc4
	s_load_dwordx4 s[16:19], s[34:35], 0x148
	s_cmp_lg_u32 s33, 0
	s_cselect_b64 s[46:47], -1, 0
	s_add_u32 s44, s34, 0xc4
	s_addc_u32 s45, s35, 0
	s_min_u32 s56, s54, 15
	s_cmp_gt_u32 s33, 1
	s_cselect_b64 s[42:43], -1, 0
	v_cmp_gt_i32_e32 vcc, s55, v19
	s_and_saveexec_b64 s[48:49], vcc
	s_cbranch_execz .LBB47_14
; %bb.2:
	s_andn2_b64 vcc, exec, s[36:37]
	s_cbranch_vccnz .LBB47_21
; %bb.3:
	s_andn2_b64 vcc, exec, s[46:47]
	s_cbranch_vccnz .LBB47_97
; %bb.4:
	s_add_i32 s58, s56, 1
	s_cmp_eq_u32 s54, 2
	s_cbranch_scc1 .LBB47_99
; %bb.5:
	s_and_b32 s57, s58, 28
	v_mov_b32_e32 v2, 0
	s_mov_b32 s59, 0
	s_mov_b64 s[50:51], s[34:35]
	s_mov_b64 s[52:53], s[44:45]
	v_mov_b32_e32 v0, 0
	v_mov_b32_e32 v1, v19
.LBB47_6:                               ; =>This Inner Loop Header: Depth=1
	s_load_dwordx8 s[8:15], s[50:51], 0x4
	s_load_dwordx4 s[28:31], s[50:51], 0x24
	s_load_dwordx8 s[0:7], s[52:53], 0x0
	s_add_u32 s50, s50, 48
	s_addc_u32 s51, s51, 0
	s_waitcnt lgkmcnt(0)
	v_mul_hi_u32 v3, s9, v1
	s_add_i32 s59, s59, 4
	s_add_u32 s52, s52, 32
	s_addc_u32 s53, s53, 0
	v_add_u32_e32 v3, v1, v3
	v_lshrrev_b32_e32 v3, s10, v3
	v_mul_lo_u32 v4, v3, s8
	v_mul_hi_u32 v5, s12, v3
	s_cmp_lg_u32 s57, s59
	v_sub_u32_e32 v1, v1, v4
	v_add_u32_e32 v4, v3, v5
	v_mul_lo_u32 v5, v1, s0
	v_mul_lo_u32 v6, v1, s1
	v_lshrrev_b32_e32 v1, s13, v4
	v_mul_lo_u32 v4, v1, s11
	v_mul_hi_u32 v7, s15, v1
	v_sub_u32_e32 v3, v3, v4
	v_add_u32_e32 v4, v1, v7
	v_lshrrev_b32_e32 v4, s28, v4
	v_mul_hi_u32 v8, s30, v4
	v_mul_lo_u32 v9, v4, s14
	v_mul_lo_u32 v7, v3, s2
	;; [unrolled: 1-line block ×3, first 2 shown]
	v_sub_u32_e32 v9, v1, v9
	v_add_u32_e32 v1, v4, v8
	v_lshrrev_b32_e32 v1, s31, v1
	v_mul_lo_u32 v8, v1, s29
	v_mul_lo_u32 v10, v9, s4
	;; [unrolled: 1-line block ×3, first 2 shown]
	v_add3_u32 v0, v5, v0, v7
	v_sub_u32_e32 v4, v4, v8
	v_mul_lo_u32 v8, v4, s6
	v_mul_lo_u32 v4, v4, s7
	v_add3_u32 v2, v6, v2, v3
	v_add3_u32 v0, v10, v0, v8
	;; [unrolled: 1-line block ×3, first 2 shown]
	s_cbranch_scc1 .LBB47_6
	s_branch .LBB47_100
.LBB47_7:
	s_andn2_saveexec_b64 s[0:1], s[38:39]
	s_cbranch_execz .LBB47_137
.LBB47_8:
	v_cndmask_b32_e64 v0, 0, 1, s[36:37]
	v_cmp_ne_u32_e64 s[0:1], 1, v0
	s_andn2_b64 vcc, exec, s[36:37]
	s_cbranch_vccnz .LBB47_20
; %bb.9:
	s_cmp_lg_u32 s33, 0
	s_waitcnt lgkmcnt(0)
	s_mov_b32 s26, 0
	s_cbranch_scc0 .LBB47_23
; %bb.10:
	s_min_u32 s27, s54, 15
	s_add_i32 s27, s27, 1
	s_cmp_eq_u32 s54, 2
	s_cbranch_scc1 .LBB47_24
; %bb.11:
	s_and_b32 s26, s27, 28
	s_add_u32 s2, s34, 0xc4
	s_addc_u32 s3, s35, 0
	v_mov_b32_e32 v5, 0
	s_mov_b32 s28, 0
	s_mov_b64 s[24:25], s[34:35]
	v_mov_b32_e32 v0, 0
	v_mov_b32_e32 v1, v19
.LBB47_12:                              ; =>This Inner Loop Header: Depth=1
	s_load_dwordx8 s[12:19], s[24:25], 0x4
	s_load_dwordx4 s[20:23], s[24:25], 0x24
	s_load_dwordx8 s[4:11], s[2:3], 0x0
	s_add_u32 s24, s24, 48
	s_addc_u32 s25, s25, 0
	s_waitcnt lgkmcnt(0)
	v_mul_hi_u32 v2, s13, v1
	s_add_i32 s28, s28, 4
	s_add_u32 s2, s2, 32
	s_addc_u32 s3, s3, 0
	v_add_u32_e32 v2, v1, v2
	v_lshrrev_b32_e32 v2, s14, v2
	v_mul_lo_u32 v3, v2, s12
	v_mul_hi_u32 v4, s16, v2
	s_cmp_lg_u32 s26, s28
	v_sub_u32_e32 v1, v1, v3
	v_add_u32_e32 v3, v2, v4
	v_mul_lo_u32 v4, v1, s4
	v_mul_lo_u32 v6, v1, s5
	v_lshrrev_b32_e32 v1, s17, v3
	v_mul_lo_u32 v3, v1, s15
	v_mul_hi_u32 v8, s19, v1
	v_sub_u32_e32 v2, v2, v3
	v_add_u32_e32 v3, v1, v8
	v_lshrrev_b32_e32 v3, s20, v3
	v_mul_hi_u32 v9, s22, v3
	v_mul_lo_u32 v10, v3, s18
	v_mul_lo_u32 v8, v2, s6
	v_mul_lo_u32 v2, v2, s7
	v_sub_u32_e32 v10, v1, v10
	v_add_u32_e32 v1, v3, v9
	v_lshrrev_b32_e32 v1, s23, v1
	v_mul_lo_u32 v9, v1, s21
	v_mul_lo_u32 v11, v10, s8
	;; [unrolled: 1-line block ×3, first 2 shown]
	v_add3_u32 v0, v4, v0, v8
	v_sub_u32_e32 v3, v3, v9
	v_mul_lo_u32 v9, v3, s10
	v_mul_lo_u32 v3, v3, s11
	v_add3_u32 v2, v6, v5, v2
	v_add3_u32 v0, v11, v0, v9
	;; [unrolled: 1-line block ×3, first 2 shown]
	s_cbranch_scc1 .LBB47_12
; %bb.13:
	s_and_b32 s6, s27, 3
	s_cmp_eq_u32 s6, 0
	s_cbranch_scc0 .LBB47_25
	s_branch .LBB47_27
.LBB47_14:
	s_or_b64 exec, exec, s[48:49]
	v_cmp_gt_i32_e32 vcc, s55, v19
	s_and_saveexec_b64 s[48:49], vcc
	s_cbranch_execz .LBB47_113
.LBB47_15:
	s_andn2_b64 vcc, exec, s[36:37]
	s_cbranch_vccnz .LBB47_22
; %bb.16:
	s_andn2_b64 vcc, exec, s[46:47]
	s_cbranch_vccnz .LBB47_98
; %bb.17:
	s_add_i32 s58, s56, 1
	s_cmp_eq_u32 s54, 2
	s_cbranch_scc1 .LBB47_121
; %bb.18:
	s_and_b32 s57, s58, 28
	v_mov_b32_e32 v2, 0
	s_mov_b32 s59, 0
	s_mov_b64 s[50:51], s[34:35]
	s_mov_b64 s[52:53], s[44:45]
	v_mov_b32_e32 v0, 0
	v_mov_b32_e32 v1, v19
.LBB47_19:                              ; =>This Inner Loop Header: Depth=1
	s_load_dwordx8 s[8:15], s[50:51], 0x4
	s_load_dwordx4 s[28:31], s[50:51], 0x24
	s_load_dwordx8 s[0:7], s[52:53], 0x0
	s_add_u32 s50, s50, 48
	s_addc_u32 s51, s51, 0
	s_waitcnt lgkmcnt(0)
	v_mul_hi_u32 v3, s9, v1
	s_add_i32 s59, s59, 4
	s_add_u32 s52, s52, 32
	s_addc_u32 s53, s53, 0
	v_add_u32_e32 v3, v1, v3
	v_lshrrev_b32_e32 v3, s10, v3
	v_mul_lo_u32 v4, v3, s8
	v_mul_hi_u32 v5, s12, v3
	s_cmp_eq_u32 s57, s59
	v_sub_u32_e32 v1, v1, v4
	v_add_u32_e32 v4, v3, v5
	v_mul_lo_u32 v5, v1, s0
	v_mul_lo_u32 v6, v1, s1
	v_lshrrev_b32_e32 v1, s13, v4
	v_mul_lo_u32 v4, v1, s11
	v_mul_hi_u32 v7, s15, v1
	v_sub_u32_e32 v3, v3, v4
	v_add_u32_e32 v4, v1, v7
	v_lshrrev_b32_e32 v4, s28, v4
	v_mul_hi_u32 v8, s30, v4
	v_mul_lo_u32 v9, v4, s14
	v_mul_lo_u32 v7, v3, s2
	v_mul_lo_u32 v3, v3, s3
	v_sub_u32_e32 v9, v1, v9
	v_add_u32_e32 v1, v4, v8
	v_lshrrev_b32_e32 v1, s31, v1
	v_mul_lo_u32 v8, v1, s29
	v_mul_lo_u32 v10, v9, s4
	;; [unrolled: 1-line block ×3, first 2 shown]
	v_add3_u32 v0, v5, v0, v7
	v_sub_u32_e32 v4, v4, v8
	v_mul_lo_u32 v8, v4, s6
	v_mul_lo_u32 v4, v4, s7
	v_add3_u32 v2, v6, v2, v3
	v_add3_u32 v0, v10, v0, v8
	;; [unrolled: 1-line block ×3, first 2 shown]
	s_cbranch_scc0 .LBB47_19
	s_branch .LBB47_122
.LBB47_20:
                                        ; implicit-def: $vgpr0
                                        ; implicit-def: $vgpr5
	s_branch .LBB47_28
.LBB47_21:
                                        ; implicit-def: $vgpr0
                                        ; implicit-def: $vgpr2
	s_branch .LBB47_104
.LBB47_22:
                                        ; implicit-def: $vgpr0
                                        ; implicit-def: $vgpr2
	s_branch .LBB47_126
.LBB47_23:
	v_mov_b32_e32 v0, 0
	v_mov_b32_e32 v5, 0
	s_branch .LBB47_27
.LBB47_24:
	v_mov_b32_e32 v0, 0
	v_mov_b32_e32 v5, 0
	v_mov_b32_e32 v1, v19
	s_and_b32 s6, s27, 3
	s_cmp_eq_u32 s6, 0
	s_cbranch_scc1 .LBB47_27
.LBB47_25:
	s_lshl_b32 s2, s26, 3
	s_add_u32 s2, s34, s2
	s_addc_u32 s3, s35, 0
	s_add_u32 s2, s2, 0xc4
	s_addc_u32 s3, s3, 0
	s_mul_i32 s4, s26, 12
	s_add_u32 s4, s34, s4
	s_addc_u32 s5, s35, 0
.LBB47_26:                              ; =>This Inner Loop Header: Depth=1
	s_load_dwordx2 s[8:9], s[4:5], 0x4
	s_load_dword s7, s[4:5], 0xc
	s_load_dwordx2 s[10:11], s[2:3], 0x0
	s_add_u32 s4, s4, 12
	s_addc_u32 s5, s5, 0
	s_waitcnt lgkmcnt(0)
	v_mul_hi_u32 v2, s9, v1
	s_add_u32 s2, s2, 8
	s_addc_u32 s3, s3, 0
	s_add_i32 s6, s6, -1
	v_add_u32_e32 v2, v1, v2
	v_lshrrev_b32_e32 v2, s7, v2
	v_mul_lo_u32 v3, v2, s8
	s_cmp_lg_u32 s6, 0
	v_sub_u32_e32 v3, v1, v3
	v_mad_u64_u32 v[0:1], s[8:9], v3, s10, v[0:1]
	v_mad_u64_u32 v[5:6], s[8:9], v3, s11, v[5:6]
	v_mov_b32_e32 v1, v2
	s_cbranch_scc1 .LBB47_26
.LBB47_27:
	s_cbranch_execnz .LBB47_30
.LBB47_28:
	s_load_dwordx4 s[4:7], s[34:35], 0x4
	s_load_dwordx2 s[2:3], s[34:35], 0xc4
	s_cmp_lt_u32 s33, 2
	s_waitcnt lgkmcnt(0)
	v_mul_hi_u32 v0, s5, v19
	v_add_u32_e32 v0, v19, v0
	v_lshrrev_b32_e32 v1, s6, v0
	v_mul_lo_u32 v0, v1, s4
	v_sub_u32_e32 v2, v19, v0
	v_mul_lo_u32 v0, v2, s2
	v_mul_lo_u32 v5, v2, s3
	s_cbranch_scc1 .LBB47_30
; %bb.29:
	s_load_dwordx4 s[4:7], s[34:35], 0x10
	s_load_dwordx2 s[2:3], s[34:35], 0xcc
	s_waitcnt lgkmcnt(0)
	v_mul_hi_u32 v2, s5, v1
	v_add_u32_e32 v2, v1, v2
	v_lshrrev_b32_e32 v2, s6, v2
	v_mul_lo_u32 v2, v2, s4
	v_sub_u32_e32 v2, v1, v2
	v_mad_u64_u32 v[0:1], s[4:5], v2, s2, v[0:1]
	v_mad_u64_u32 v[5:6], s[2:3], v2, s3, v[5:6]
.LBB47_30:
	s_and_b64 vcc, exec, s[0:1]
	v_add_u32_e32 v3, 0x80, v19
	s_cbranch_vccnz .LBB47_36
; %bb.31:
	s_cmp_lg_u32 s33, 0
	s_waitcnt lgkmcnt(0)
	s_mov_b32 s26, 0
	s_cbranch_scc0 .LBB47_37
; %bb.32:
	s_min_u32 s27, s54, 15
	s_add_i32 s27, s27, 1
	s_cmp_eq_u32 s54, 2
	s_cbranch_scc1 .LBB47_38
; %bb.33:
	s_and_b32 s26, s27, 28
	s_add_u32 s2, s34, 0xc4
	s_addc_u32 s3, s35, 0
	v_mov_b32_e32 v10, 0
	s_mov_b32 s28, 0
	s_mov_b64 s[24:25], s[34:35]
	v_mov_b32_e32 v1, 0
	v_mov_b32_e32 v2, v3
.LBB47_34:                              ; =>This Inner Loop Header: Depth=1
	s_load_dwordx8 s[12:19], s[24:25], 0x4
	s_load_dwordx4 s[20:23], s[24:25], 0x24
	s_load_dwordx8 s[4:11], s[2:3], 0x0
	s_add_u32 s24, s24, 48
	s_addc_u32 s25, s25, 0
	s_waitcnt lgkmcnt(0)
	v_mul_hi_u32 v4, s13, v2
	s_add_i32 s28, s28, 4
	s_add_u32 s2, s2, 32
	s_addc_u32 s3, s3, 0
	v_add_u32_e32 v4, v2, v4
	v_lshrrev_b32_e32 v4, s14, v4
	v_mul_lo_u32 v6, v4, s12
	v_mul_hi_u32 v8, s16, v4
	s_cmp_lg_u32 s26, s28
	v_sub_u32_e32 v2, v2, v6
	v_add_u32_e32 v6, v4, v8
	v_mul_lo_u32 v8, v2, s4
	v_mul_lo_u32 v9, v2, s5
	v_lshrrev_b32_e32 v2, s17, v6
	v_mul_lo_u32 v6, v2, s15
	v_mul_hi_u32 v11, s19, v2
	v_sub_u32_e32 v4, v4, v6
	v_add_u32_e32 v6, v2, v11
	v_lshrrev_b32_e32 v6, s20, v6
	v_mul_hi_u32 v12, s22, v6
	v_mul_lo_u32 v13, v6, s18
	v_mul_lo_u32 v11, v4, s6
	;; [unrolled: 1-line block ×3, first 2 shown]
	v_sub_u32_e32 v13, v2, v13
	v_add_u32_e32 v2, v6, v12
	v_lshrrev_b32_e32 v2, s23, v2
	v_mul_lo_u32 v12, v2, s21
	v_mul_lo_u32 v14, v13, s8
	;; [unrolled: 1-line block ×3, first 2 shown]
	v_add3_u32 v1, v8, v1, v11
	v_sub_u32_e32 v6, v6, v12
	v_mul_lo_u32 v12, v6, s10
	v_mul_lo_u32 v6, v6, s11
	v_add3_u32 v4, v9, v10, v4
	v_add3_u32 v1, v14, v1, v12
	;; [unrolled: 1-line block ×3, first 2 shown]
	s_cbranch_scc1 .LBB47_34
; %bb.35:
	s_and_b32 s6, s27, 3
	s_cmp_eq_u32 s6, 0
	s_cbranch_scc0 .LBB47_39
	s_branch .LBB47_41
.LBB47_36:
                                        ; implicit-def: $vgpr1
                                        ; implicit-def: $vgpr10
	s_branch .LBB47_42
.LBB47_37:
	v_mov_b32_e32 v1, 0
	v_mov_b32_e32 v10, 0
	s_branch .LBB47_41
.LBB47_38:
	v_mov_b32_e32 v1, 0
	v_mov_b32_e32 v10, 0
	;; [unrolled: 1-line block ×3, first 2 shown]
	s_and_b32 s6, s27, 3
	s_cmp_eq_u32 s6, 0
	s_cbranch_scc1 .LBB47_41
.LBB47_39:
	s_lshl_b32 s2, s26, 3
	s_add_u32 s2, s34, s2
	s_addc_u32 s3, s35, 0
	s_add_u32 s2, s2, 0xc4
	s_addc_u32 s3, s3, 0
	s_mul_i32 s4, s26, 12
	s_add_u32 s4, s34, s4
	s_addc_u32 s5, s35, 0
.LBB47_40:                              ; =>This Inner Loop Header: Depth=1
	s_load_dwordx2 s[8:9], s[4:5], 0x4
	s_load_dword s7, s[4:5], 0xc
	s_load_dwordx2 s[10:11], s[2:3], 0x0
	s_add_u32 s4, s4, 12
	s_addc_u32 s5, s5, 0
	s_waitcnt lgkmcnt(0)
	v_mul_hi_u32 v4, s9, v2
	s_add_u32 s2, s2, 8
	s_addc_u32 s3, s3, 0
	s_add_i32 s6, s6, -1
	v_add_u32_e32 v4, v2, v4
	v_lshrrev_b32_e32 v4, s7, v4
	v_mul_lo_u32 v6, v4, s8
	s_cmp_lg_u32 s6, 0
	v_sub_u32_e32 v6, v2, v6
	v_mad_u64_u32 v[1:2], s[8:9], v6, s10, v[1:2]
	v_mad_u64_u32 v[10:11], s[8:9], v6, s11, v[10:11]
	v_mov_b32_e32 v2, v4
	s_cbranch_scc1 .LBB47_40
.LBB47_41:
	s_cbranch_execnz .LBB47_44
.LBB47_42:
	s_load_dwordx4 s[4:7], s[34:35], 0x4
	s_load_dwordx2 s[2:3], s[34:35], 0xc4
	s_cmp_lt_u32 s33, 2
	s_waitcnt lgkmcnt(0)
	v_mul_hi_u32 v1, s5, v3
	v_add_u32_e32 v1, v3, v1
	v_lshrrev_b32_e32 v2, s6, v1
	v_mul_lo_u32 v1, v2, s4
	v_sub_u32_e32 v3, v3, v1
	v_mul_lo_u32 v1, v3, s2
	v_mul_lo_u32 v10, v3, s3
	s_cbranch_scc1 .LBB47_44
; %bb.43:
	s_load_dwordx4 s[4:7], s[34:35], 0x10
	s_load_dwordx2 s[2:3], s[34:35], 0xcc
	s_waitcnt lgkmcnt(0)
	v_mul_hi_u32 v3, s5, v2
	v_add_u32_e32 v3, v2, v3
	v_lshrrev_b32_e32 v3, s6, v3
	v_mul_lo_u32 v3, v3, s4
	v_sub_u32_e32 v3, v2, v3
	v_mad_u64_u32 v[1:2], s[4:5], v3, s2, v[1:2]
	v_mad_u64_u32 v[10:11], s[2:3], v3, s3, v[10:11]
.LBB47_44:
	s_and_b64 vcc, exec, s[0:1]
	v_add_u32_e32 v4, 0x100, v19
	s_cbranch_vccnz .LBB47_50
; %bb.45:
	s_cmp_lg_u32 s33, 0
	s_waitcnt lgkmcnt(0)
	s_mov_b32 s26, 0
	s_cbranch_scc0 .LBB47_51
; %bb.46:
	s_min_u32 s27, s54, 15
	s_add_i32 s27, s27, 1
	s_cmp_eq_u32 s54, 2
	s_cbranch_scc1 .LBB47_52
; %bb.47:
	s_and_b32 s26, s27, 28
	s_add_u32 s2, s34, 0xc4
	s_addc_u32 s3, s35, 0
	v_mov_b32_e32 v15, 0
	s_mov_b32 s28, 0
	s_mov_b64 s[24:25], s[34:35]
	v_mov_b32_e32 v2, 0
	v_mov_b32_e32 v3, v4
.LBB47_48:                              ; =>This Inner Loop Header: Depth=1
	s_load_dwordx8 s[12:19], s[24:25], 0x4
	s_load_dwordx4 s[20:23], s[24:25], 0x24
	s_load_dwordx8 s[4:11], s[2:3], 0x0
	s_add_u32 s24, s24, 48
	s_addc_u32 s25, s25, 0
	s_waitcnt lgkmcnt(0)
	v_mul_hi_u32 v6, s13, v3
	s_add_i32 s28, s28, 4
	s_add_u32 s2, s2, 32
	s_addc_u32 s3, s3, 0
	v_add_u32_e32 v6, v3, v6
	v_lshrrev_b32_e32 v6, s14, v6
	v_mul_lo_u32 v8, v6, s12
	v_mul_hi_u32 v9, s16, v6
	s_cmp_lg_u32 s26, s28
	v_sub_u32_e32 v3, v3, v8
	v_add_u32_e32 v8, v6, v9
	v_mul_lo_u32 v9, v3, s4
	v_mul_lo_u32 v11, v3, s5
	v_lshrrev_b32_e32 v3, s17, v8
	v_mul_lo_u32 v8, v3, s15
	v_mul_hi_u32 v12, s19, v3
	v_sub_u32_e32 v6, v6, v8
	v_add_u32_e32 v8, v3, v12
	v_lshrrev_b32_e32 v8, s20, v8
	v_mul_hi_u32 v13, s22, v8
	v_mul_lo_u32 v14, v8, s18
	v_mul_lo_u32 v12, v6, s6
	;; [unrolled: 1-line block ×3, first 2 shown]
	v_sub_u32_e32 v14, v3, v14
	v_add_u32_e32 v3, v8, v13
	v_lshrrev_b32_e32 v3, s23, v3
	v_mul_lo_u32 v13, v3, s21
	v_mul_lo_u32 v16, v14, s8
	;; [unrolled: 1-line block ×3, first 2 shown]
	v_add3_u32 v2, v9, v2, v12
	v_sub_u32_e32 v8, v8, v13
	v_mul_lo_u32 v13, v8, s10
	v_mul_lo_u32 v8, v8, s11
	v_add3_u32 v6, v11, v15, v6
	v_add3_u32 v2, v16, v2, v13
	;; [unrolled: 1-line block ×3, first 2 shown]
	s_cbranch_scc1 .LBB47_48
; %bb.49:
	s_and_b32 s6, s27, 3
	s_cmp_eq_u32 s6, 0
	s_cbranch_scc0 .LBB47_53
	s_branch .LBB47_55
.LBB47_50:
                                        ; implicit-def: $vgpr2
                                        ; implicit-def: $vgpr15
	s_branch .LBB47_56
.LBB47_51:
	v_mov_b32_e32 v2, 0
	v_mov_b32_e32 v15, 0
	s_branch .LBB47_55
.LBB47_52:
	v_mov_b32_e32 v2, 0
	v_mov_b32_e32 v15, 0
	;; [unrolled: 1-line block ×3, first 2 shown]
	s_and_b32 s6, s27, 3
	s_cmp_eq_u32 s6, 0
	s_cbranch_scc1 .LBB47_55
.LBB47_53:
	s_lshl_b32 s2, s26, 3
	s_add_u32 s2, s34, s2
	s_addc_u32 s3, s35, 0
	s_add_u32 s2, s2, 0xc4
	s_addc_u32 s3, s3, 0
	s_mul_i32 s4, s26, 12
	s_add_u32 s4, s34, s4
	s_addc_u32 s5, s35, 0
.LBB47_54:                              ; =>This Inner Loop Header: Depth=1
	s_load_dwordx2 s[8:9], s[4:5], 0x4
	s_load_dword s7, s[4:5], 0xc
	s_load_dwordx2 s[10:11], s[2:3], 0x0
	s_add_u32 s4, s4, 12
	s_addc_u32 s5, s5, 0
	s_waitcnt lgkmcnt(0)
	v_mul_hi_u32 v6, s9, v3
	s_add_u32 s2, s2, 8
	s_addc_u32 s3, s3, 0
	s_add_i32 s6, s6, -1
	v_add_u32_e32 v6, v3, v6
	v_lshrrev_b32_e32 v6, s7, v6
	v_mul_lo_u32 v8, v6, s8
	s_cmp_lg_u32 s6, 0
	v_sub_u32_e32 v8, v3, v8
	v_mad_u64_u32 v[2:3], s[8:9], v8, s10, v[2:3]
	v_mad_u64_u32 v[15:16], s[8:9], v8, s11, v[15:16]
	v_mov_b32_e32 v3, v6
	s_cbranch_scc1 .LBB47_54
.LBB47_55:
	s_cbranch_execnz .LBB47_58
.LBB47_56:
	s_load_dwordx4 s[4:7], s[34:35], 0x4
	s_load_dwordx2 s[2:3], s[34:35], 0xc4
	s_cmp_lt_u32 s33, 2
	s_waitcnt lgkmcnt(0)
	v_mul_hi_u32 v2, s5, v4
	v_add_u32_e32 v2, v4, v2
	v_lshrrev_b32_e32 v3, s6, v2
	v_mul_lo_u32 v2, v3, s4
	v_sub_u32_e32 v4, v4, v2
	v_mul_lo_u32 v2, v4, s2
	v_mul_lo_u32 v15, v4, s3
	s_cbranch_scc1 .LBB47_58
; %bb.57:
	s_load_dwordx4 s[4:7], s[34:35], 0x10
	s_load_dwordx2 s[2:3], s[34:35], 0xcc
	s_waitcnt lgkmcnt(0)
	v_mul_hi_u32 v4, s5, v3
	v_add_u32_e32 v4, v3, v4
	v_lshrrev_b32_e32 v4, s6, v4
	v_mul_lo_u32 v4, v4, s4
	v_sub_u32_e32 v4, v3, v4
	v_mad_u64_u32 v[2:3], s[4:5], v4, s2, v[2:3]
	v_mad_u64_u32 v[15:16], s[2:3], v4, s3, v[15:16]
.LBB47_58:
	s_and_b64 vcc, exec, s[0:1]
	s_cbranch_vccnz .LBB47_64
; %bb.59:
	s_cmp_lg_u32 s33, 0
	s_waitcnt lgkmcnt(0)
	s_mov_b32 s24, 0
	s_cbranch_scc0 .LBB47_65
; %bb.60:
	s_min_u32 s25, s54, 15
	s_add_i32 s25, s25, 1
	s_cmp_eq_u32 s54, 2
	s_cbranch_scc1 .LBB47_66
; %bb.61:
	s_and_b32 s24, s25, 28
	s_add_u32 s20, s34, 0xc4
	s_addc_u32 s21, s35, 0
	v_mov_b32_e32 v12, 0
	s_mov_b32 s26, 0
	s_mov_b64 s[22:23], s[34:35]
	v_mov_b32_e32 v3, 0
	v_mov_b32_e32 v4, v7
.LBB47_62:                              ; =>This Inner Loop Header: Depth=1
	s_load_dwordx8 s[8:15], s[22:23], 0x4
	s_load_dwordx4 s[16:19], s[22:23], 0x24
	s_load_dwordx8 s[0:7], s[20:21], 0x0
	s_add_u32 s22, s22, 48
	s_addc_u32 s23, s23, 0
	s_waitcnt lgkmcnt(0)
	v_mul_hi_u32 v6, s9, v4
	s_add_i32 s26, s26, 4
	s_add_u32 s20, s20, 32
	s_addc_u32 s21, s21, 0
	v_add_u32_e32 v6, v4, v6
	v_lshrrev_b32_e32 v6, s10, v6
	v_mul_lo_u32 v8, v6, s8
	v_mul_hi_u32 v9, s12, v6
	s_cmp_lg_u32 s24, s26
	v_sub_u32_e32 v4, v4, v8
	v_add_u32_e32 v8, v6, v9
	v_mul_lo_u32 v9, v4, s0
	v_mul_lo_u32 v11, v4, s1
	v_lshrrev_b32_e32 v4, s13, v8
	v_mul_lo_u32 v8, v4, s11
	v_mul_hi_u32 v13, s15, v4
	v_sub_u32_e32 v6, v6, v8
	v_add_u32_e32 v8, v4, v13
	v_lshrrev_b32_e32 v8, s16, v8
	v_mul_hi_u32 v14, s18, v8
	v_mul_lo_u32 v16, v8, s14
	v_mul_lo_u32 v13, v6, s2
	;; [unrolled: 1-line block ×3, first 2 shown]
	v_sub_u32_e32 v16, v4, v16
	v_add_u32_e32 v4, v8, v14
	v_lshrrev_b32_e32 v4, s19, v4
	v_mul_lo_u32 v14, v4, s17
	v_mul_lo_u32 v17, v16, s4
	;; [unrolled: 1-line block ×3, first 2 shown]
	v_add3_u32 v3, v9, v3, v13
	v_sub_u32_e32 v8, v8, v14
	v_mul_lo_u32 v14, v8, s6
	v_mul_lo_u32 v8, v8, s7
	v_add3_u32 v6, v11, v12, v6
	v_add3_u32 v3, v17, v3, v14
	v_add3_u32 v12, v16, v6, v8
	s_cbranch_scc1 .LBB47_62
; %bb.63:
	s_and_b32 s4, s25, 3
	s_cmp_eq_u32 s4, 0
	s_cbranch_scc0 .LBB47_67
	s_branch .LBB47_69
.LBB47_64:
                                        ; implicit-def: $vgpr3
                                        ; implicit-def: $vgpr12
	s_branch .LBB47_70
.LBB47_65:
	v_mov_b32_e32 v3, 0
	v_mov_b32_e32 v12, 0
	s_branch .LBB47_69
.LBB47_66:
	v_mov_b32_e32 v3, 0
	v_mov_b32_e32 v12, 0
	v_mov_b32_e32 v4, v7
	s_and_b32 s4, s25, 3
	s_cmp_eq_u32 s4, 0
	s_cbranch_scc1 .LBB47_69
.LBB47_67:
	s_lshl_b32 s0, s24, 3
	s_add_u32 s0, s34, s0
	s_addc_u32 s1, s35, 0
	s_add_u32 s0, s0, 0xc4
	s_addc_u32 s1, s1, 0
	s_mul_i32 s2, s24, 12
	s_add_u32 s2, s34, s2
	s_addc_u32 s3, s35, 0
.LBB47_68:                              ; =>This Inner Loop Header: Depth=1
	s_load_dwordx2 s[6:7], s[2:3], 0x4
	s_load_dword s5, s[2:3], 0xc
	s_load_dwordx2 s[8:9], s[0:1], 0x0
	s_add_u32 s2, s2, 12
	s_addc_u32 s3, s3, 0
	s_waitcnt lgkmcnt(0)
	v_mul_hi_u32 v6, s7, v4
	s_add_u32 s0, s0, 8
	s_addc_u32 s1, s1, 0
	s_add_i32 s4, s4, -1
	v_add_u32_e32 v6, v4, v6
	v_lshrrev_b32_e32 v6, s5, v6
	v_mul_lo_u32 v8, v6, s6
	s_cmp_lg_u32 s4, 0
	v_sub_u32_e32 v8, v4, v8
	v_mad_u64_u32 v[3:4], s[6:7], v8, s8, v[3:4]
	v_mad_u64_u32 v[12:13], s[6:7], v8, s9, v[12:13]
	v_mov_b32_e32 v4, v6
	s_cbranch_scc1 .LBB47_68
.LBB47_69:
	s_cbranch_execnz .LBB47_72
.LBB47_70:
	s_load_dwordx4 s[0:3], s[34:35], 0x4
	s_load_dwordx2 s[4:5], s[34:35], 0xc4
	s_cmp_lt_u32 s33, 2
	s_waitcnt lgkmcnt(0)
	v_mul_hi_u32 v3, s1, v7
	v_add_u32_e32 v3, v7, v3
	v_lshrrev_b32_e32 v4, s2, v3
	v_mul_lo_u32 v3, v4, s0
	v_sub_u32_e32 v6, v7, v3
	v_mul_lo_u32 v3, v6, s4
	v_mul_lo_u32 v12, v6, s5
	s_cbranch_scc1 .LBB47_72
; %bb.71:
	s_load_dwordx4 s[0:3], s[34:35], 0x10
	s_load_dwordx2 s[4:5], s[34:35], 0xcc
	s_waitcnt lgkmcnt(0)
	v_mul_hi_u32 v6, s1, v4
	v_add_u32_e32 v6, v4, v6
	v_lshrrev_b32_e32 v6, s2, v6
	v_mul_lo_u32 v6, v6, s0
	v_sub_u32_e32 v6, v4, v6
	v_mad_u64_u32 v[3:4], s[0:1], v6, s4, v[3:4]
	v_mad_u64_u32 v[12:13], s[0:1], v6, s5, v[12:13]
.LBB47_72:
	s_load_dwordx4 s[4:7], s[34:35], 0x148
	v_mov_b32_e32 v8, 0
	v_mov_b32_e32 v6, 0
	;; [unrolled: 1-line block ×4, first 2 shown]
	s_waitcnt lgkmcnt(0)
	global_load_dwordx2 v[4:5], v5, s[6:7]
	s_waitcnt vmcnt(0)
	v_cmp_gt_f64_e32 vcc, 0.5, v[4:5]
	s_and_saveexec_b64 s[2:3], vcc
	s_cbranch_execz .LBB47_78
; %bb.73:
	s_mov_b32 s9, 0x400921fb
	s_mov_b32 s8, 0x54442d18
	v_mul_f64 v[6:7], v[4:5], s[8:9]
	s_mov_b32 s0, 0
	s_mov_b32 s1, 0x41d00000
                                        ; implicit-def: $vgpr11
                                        ; implicit-def: $vgpr8_vgpr9
                                        ; implicit-def: $vgpr13_vgpr14
	v_cmp_nlt_f64_e64 s[0:1], |v[6:7]|, s[0:1]
	s_and_saveexec_b64 s[10:11], s[0:1]
	s_xor_b64 s[10:11], exec, s[10:11]
	s_cbranch_execz .LBB47_75
; %bb.74:
	v_trig_preop_f64 v[8:9], |v[6:7]|, 0
	s_mov_b32 s0, 0
	s_mov_b32 s1, 0x7b000000
	s_movk_i32 s9, 0xff80
	v_ldexp_f64 v[16:17], |v[6:7]|, s9
	v_cmp_ge_f64_e64 vcc, |v[6:7]|, s[0:1]
	v_trig_preop_f64 v[13:14], |v[6:7]|, 1
	v_and_b32_e32 v11, 0x7fffffff, v7
	v_trig_preop_f64 v[24:25], |v[6:7]|, 2
	s_mov_b32 s0, 0
	s_mov_b32 s1, 0x7ff00000
	v_mov_b32_e32 v34, 0
	s_mov_b32 s9, 0x3ff921fb
	v_cndmask_b32_e32 v17, v11, v17, vcc
	v_cndmask_b32_e32 v16, v6, v16, vcc
	v_mov_b32_e32 v11, 0x40100000
	v_mul_f64 v[18:19], v[8:9], v[16:17]
	v_mul_f64 v[20:21], v[13:14], v[16:17]
	;; [unrolled: 1-line block ×3, first 2 shown]
	v_fma_f64 v[8:9], v[8:9], v[16:17], -v[18:19]
	v_fma_f64 v[13:14], v[13:14], v[16:17], -v[20:21]
	;; [unrolled: 1-line block ×3, first 2 shown]
	v_add_f64 v[22:23], v[20:21], v[8:9]
	v_add_f64 v[26:27], v[22:23], -v[20:21]
	v_add_f64 v[32:33], v[18:19], v[22:23]
	v_add_f64 v[28:29], v[22:23], -v[26:27]
	v_add_f64 v[8:9], v[8:9], -v[26:27]
	v_add_f64 v[26:27], v[30:31], v[13:14]
	v_add_f64 v[18:19], v[32:33], -v[18:19]
	v_add_f64 v[20:21], v[20:21], -v[28:29]
	v_ldexp_f64 v[28:29], v[32:33], -2
	v_add_f64 v[36:37], v[26:27], -v[30:31]
	v_add_f64 v[18:19], v[22:23], -v[18:19]
	v_add_f64 v[8:9], v[8:9], v[20:21]
	v_fract_f64_e32 v[20:21], v[28:29]
	v_cmp_neq_f64_e64 vcc, |v[28:29]|, s[0:1]
	v_add_f64 v[13:14], v[13:14], -v[36:37]
	v_add_f64 v[22:23], v[26:27], v[8:9]
	v_ldexp_f64 v[20:21], v[20:21], 2
	v_add_f64 v[28:29], v[18:19], v[22:23]
	v_cndmask_b32_e32 v21, 0, v21, vcc
	v_cndmask_b32_e32 v20, 0, v20, vcc
	v_add_f64 v[38:39], v[22:23], -v[26:27]
	v_add_f64 v[32:33], v[28:29], v[20:21]
	v_add_f64 v[18:19], v[28:29], -v[18:19]
	v_add_f64 v[40:41], v[22:23], -v[38:39]
	;; [unrolled: 1-line block ×3, first 2 shown]
	v_cmp_gt_f64_e32 vcc, 0, v[32:33]
	v_add_f64 v[32:33], v[26:27], -v[36:37]
	v_add_f64 v[18:19], v[22:23], -v[18:19]
	;; [unrolled: 1-line block ×3, first 2 shown]
	v_cndmask_b32_e32 v35, 0, v11, vcc
	v_add_f64 v[20:21], v[20:21], v[34:35]
	v_add_f64 v[32:33], v[30:31], -v[32:33]
	v_add_f64 v[8:9], v[8:9], v[26:27]
	v_add_f64 v[42:43], v[28:29], v[20:21]
	;; [unrolled: 1-line block ×3, first 2 shown]
	v_cvt_i32_f64_e32 v11, v[42:43]
	v_add_f64 v[8:9], v[13:14], v[8:9]
	v_cvt_f64_i32_e32 v[35:36], v11
	v_add_f64 v[20:21], v[20:21], -v[35:36]
	v_add_f64 v[8:9], v[16:17], v[8:9]
	v_add_f64 v[13:14], v[28:29], v[20:21]
	;; [unrolled: 1-line block ×3, first 2 shown]
	v_mov_b32_e32 v18, 0x3ff00000
	v_add_f64 v[16:17], v[13:14], -v[20:21]
	v_cmp_le_f64_e32 vcc, 0.5, v[13:14]
	v_add_f64 v[16:17], v[28:29], -v[16:17]
	v_cndmask_b32_e32 v35, 0, v18, vcc
	v_add_f64 v[13:14], v[13:14], -v[34:35]
	v_addc_co_u32_e64 v11, s[0:1], 0, v11, vcc
	s_mov_b32 s0, 0x33145c07
	s_mov_b32 s1, 0x3c91a626
	v_add_f64 v[8:9], v[8:9], v[16:17]
	v_add_f64 v[16:17], v[13:14], v[8:9]
	v_mul_f64 v[18:19], v[16:17], s[8:9]
	v_add_f64 v[13:14], v[16:17], -v[13:14]
	v_fma_f64 v[20:21], v[16:17], s[8:9], -v[18:19]
	v_add_f64 v[8:9], v[8:9], -v[13:14]
	v_fma_f64 v[13:14], v[16:17], s[0:1], v[20:21]
	v_fma_f64 v[13:14], v[8:9], s[8:9], v[13:14]
	v_add_f64 v[8:9], v[18:19], v[13:14]
	v_add_f64 v[16:17], v[8:9], -v[18:19]
	v_add_f64 v[13:14], v[13:14], -v[16:17]
.LBB47_75:
	s_andn2_saveexec_b64 s[0:1], s[10:11]
	s_cbranch_execz .LBB47_77
; %bb.76:
	s_mov_b32 s8, 0x6dc9c883
	s_mov_b32 s9, 0x3fe45f30
	v_mul_f64 v[8:9], |v[6:7]|, s[8:9]
	s_mov_b32 s8, 0x54442d18
	s_mov_b32 s9, 0xbff921fb
	;; [unrolled: 1-line block ×4, first 2 shown]
	v_rndne_f64_e32 v[16:17], v[8:9]
	v_fma_f64 v[8:9], v[16:17], s[8:9], |v[6:7]|
	v_mul_f64 v[13:14], v[16:17], s[10:11]
	s_mov_b32 s8, 0x252049c0
	s_mov_b32 s9, 0xb97b839a
	v_cvt_i32_f64_e32 v11, v[16:17]
	v_fma_f64 v[22:23], v[16:17], s[10:11], v[8:9]
	v_add_f64 v[18:19], v[8:9], v[13:14]
	s_mov_b32 s11, 0x3c91a626
	v_add_f64 v[20:21], v[8:9], -v[18:19]
	v_add_f64 v[18:19], v[18:19], -v[22:23]
	v_add_f64 v[8:9], v[20:21], v[13:14]
	v_fma_f64 v[13:14], v[16:17], s[10:11], v[13:14]
	v_add_f64 v[8:9], v[18:19], v[8:9]
	v_add_f64 v[8:9], v[8:9], -v[13:14]
	v_fma_f64 v[13:14], v[16:17], s[8:9], v[8:9]
	v_add_f64 v[8:9], v[22:23], v[13:14]
	v_add_f64 v[18:19], v[8:9], -v[22:23]
	v_add_f64 v[13:14], v[13:14], -v[18:19]
.LBB47_77:
	s_or_b64 exec, exec, s[0:1]
	v_mul_f64 v[16:17], v[8:9], v[8:9]
	s_mov_b32 s0, 0xf9a43bb8
	v_mov_b32_e32 v19, 0xb42fdfa7
	v_mov_b32_e32 v20, 0xbe5ae600
	s_mov_b32 s1, 0x3de5e0b2
	s_mov_b32 s8, 0x796cde01
	v_mov_b32_e32 v18, 0x9037ab78
	s_mov_b32 s9, 0x3ec71de3
	v_fma_f64 v[20:21], v[16:17], s[0:1], v[19:20]
	s_mov_b32 s0, 0x46cc5e42
	v_mov_b32_e32 v19, 0x3e21eeb6
	s_mov_b32 s1, 0xbda907db
	v_fma_f64 v[18:19], v[16:17], s[0:1], v[18:19]
	v_mul_f64 v[22:23], v[16:17], 0.5
	s_mov_b32 s0, 0xa17f65f6
	s_mov_b32 s10, 0x19e83e5c
	v_fma_f64 v[20:21], v[16:17], v[20:21], s[8:9]
	s_mov_b32 s1, 0xbe927e4f
	s_mov_b32 s11, 0xbf2a01a0
	s_mov_b32 s8, 0x19f4ec90
	v_fma_f64 v[18:19], v[16:17], v[18:19], s[0:1]
	v_add_f64 v[24:25], -v[22:23], 1.0
	s_mov_b32 s0, 0x11110bb3
	s_mov_b32 s9, 0x3efa01a0
	v_fma_f64 v[20:21], v[16:17], v[20:21], s[10:11]
	s_mov_b32 s1, 0x3f811111
	v_mul_f64 v[26:27], v[13:14], 0.5
	v_mul_f64 v[28:29], v[8:9], -v[16:17]
	v_fma_f64 v[18:19], v[16:17], v[18:19], s[8:9]
	v_add_f64 v[30:31], -v[24:25], 1.0
	v_add_f64 v[4:5], -v[4:5], 1.0
	v_fma_f64 v[20:21], v[16:17], v[20:21], s[0:1]
	s_mov_b32 s0, 0x16c16967
	s_mov_b32 s1, 0xbf56c16c
	v_fma_f64 v[18:19], v[16:17], v[18:19], s[0:1]
	v_add_f64 v[22:23], v[30:31], -v[22:23]
	s_mov_b32 s1, 0x3fa55555
	s_mov_b32 s0, 0x55555555
	v_fma_f64 v[20:21], v[28:29], v[20:21], v[26:27]
	v_mul_f64 v[26:27], v[16:17], v[16:17]
	v_fma_f64 v[18:19], v[16:17], v[18:19], s[0:1]
	v_fma_f64 v[22:23], v[8:9], -v[13:14], v[22:23]
	s_mov_b32 s1, 0xbfc55555
	v_fma_f64 v[13:14], v[16:17], v[20:21], -v[13:14]
	v_fma_f64 v[16:17], v[26:27], v[18:19], v[22:23]
	v_fma_f64 v[13:14], v[28:29], s[0:1], v[13:14]
	s_movk_i32 s0, 0x1f8
	v_cmp_class_f64_e64 s[0:1], v[6:7], s0
	v_lshlrev_b32_e32 v6, 30, v11
	v_xor_b32_e32 v6, v6, v7
	v_add_f64 v[16:17], v[24:25], v[16:17]
	v_and_b32_e32 v6, 0x80000000, v6
	v_add_f64 v[8:9], v[8:9], -v[13:14]
	v_and_b32_e32 v13, 1, v11
	v_cmp_eq_u32_e32 vcc, 0, v13
	v_mov_b32_e32 v11, 0x7ff80000
	v_cndmask_b32_e32 v7, v17, v9, vcc
	v_cndmask_b32_e32 v8, v16, v8, vcc
	v_xor_b32_e32 v7, v7, v6
	v_cndmask_b32_e64 v6, 0, v8, s[0:1]
	v_cndmask_b32_e64 v7, v11, v7, s[0:1]
	v_mul_f64 v[6:7], v[6:7], v[6:7]
	s_mov_b32 s0, 0xc9be45de
	s_mov_b32 s1, 0xc023bd3c
	v_div_scale_f64 v[8:9], s[8:9], v[6:7], v[6:7], s[0:1]
	v_rcp_f64_e32 v[13:14], v[8:9]
	v_fma_f64 v[16:17], -v[8:9], v[13:14], 1.0
	v_fma_f64 v[13:14], v[13:14], v[16:17], v[13:14]
	v_div_scale_f64 v[16:17], vcc, s[0:1], v[6:7], s[0:1]
	v_fma_f64 v[18:19], -v[8:9], v[13:14], 1.0
	v_fma_f64 v[13:14], v[13:14], v[18:19], v[13:14]
	v_mul_f64 v[18:19], v[16:17], v[13:14]
	v_fma_f64 v[8:9], -v[8:9], v[18:19], v[16:17]
	v_div_fmas_f64 v[8:9], v[8:9], v[13:14], v[18:19]
	v_div_fixup_f64 v[6:7], v[8:9], v[6:7], s[0:1]
	v_add_f64 v[8:9], v[6:7], 0
	v_mov_b32_e32 v6, 0
	v_mov_b32_e32 v7, 0xbff00000
.LBB47_78:
	s_or_b64 exec, exec, s[2:3]
	global_load_dwordx2 v[10:11], v10, s[6:7]
	v_mov_b32_e32 v16, 0
	v_mov_b32_e32 v13, 0
	;; [unrolled: 1-line block ×4, first 2 shown]
	s_waitcnt vmcnt(0)
	v_cmp_gt_f64_e32 vcc, 0.5, v[10:11]
	s_and_saveexec_b64 s[2:3], vcc
	s_cbranch_execz .LBB47_84
; %bb.79:
	s_mov_b32 s9, 0x400921fb
	s_mov_b32 s8, 0x54442d18
	v_mul_f64 v[13:14], v[10:11], s[8:9]
	s_mov_b32 s0, 0
	s_mov_b32 s1, 0x41d00000
                                        ; implicit-def: $vgpr20
                                        ; implicit-def: $vgpr16_vgpr17
                                        ; implicit-def: $vgpr18_vgpr19
	v_cmp_nlt_f64_e64 s[0:1], |v[13:14]|, s[0:1]
	s_and_saveexec_b64 s[10:11], s[0:1]
	s_xor_b64 s[10:11], exec, s[10:11]
	s_cbranch_execz .LBB47_81
; %bb.80:
	v_trig_preop_f64 v[16:17], |v[13:14]|, 0
	s_mov_b32 s0, 0
	s_mov_b32 s1, 0x7b000000
	s_movk_i32 s9, 0xff80
	v_ldexp_f64 v[20:21], |v[13:14]|, s9
	v_cmp_ge_f64_e64 vcc, |v[13:14]|, s[0:1]
	v_trig_preop_f64 v[18:19], |v[13:14]|, 1
	v_and_b32_e32 v22, 0x7fffffff, v14
	v_trig_preop_f64 v[28:29], |v[13:14]|, 2
	s_mov_b32 s0, 0
	s_mov_b32 s1, 0x7ff00000
	v_mov_b32_e32 v39, 0x40100000
	v_mov_b32_e32 v38, 0
	v_cndmask_b32_e32 v21, v22, v21, vcc
	v_cndmask_b32_e32 v20, v13, v20, vcc
	s_mov_b32 s9, 0x3ff921fb
	v_mul_f64 v[22:23], v[16:17], v[20:21]
	v_mul_f64 v[24:25], v[18:19], v[20:21]
	;; [unrolled: 1-line block ×3, first 2 shown]
	v_fma_f64 v[16:17], v[16:17], v[20:21], -v[22:23]
	v_fma_f64 v[18:19], v[18:19], v[20:21], -v[24:25]
	;; [unrolled: 1-line block ×3, first 2 shown]
	v_add_f64 v[26:27], v[24:25], v[16:17]
	v_add_f64 v[30:31], v[26:27], -v[24:25]
	v_add_f64 v[36:37], v[22:23], v[26:27]
	v_add_f64 v[32:33], v[26:27], -v[30:31]
	v_add_f64 v[16:17], v[16:17], -v[30:31]
	v_add_f64 v[30:31], v[34:35], v[18:19]
	v_add_f64 v[22:23], v[36:37], -v[22:23]
	v_add_f64 v[24:25], v[24:25], -v[32:33]
	v_ldexp_f64 v[32:33], v[36:37], -2
	v_add_f64 v[40:41], v[30:31], -v[34:35]
	v_add_f64 v[22:23], v[26:27], -v[22:23]
	v_add_f64 v[16:17], v[16:17], v[24:25]
	v_fract_f64_e32 v[24:25], v[32:33]
	v_cmp_neq_f64_e64 vcc, |v[32:33]|, s[0:1]
	v_add_f64 v[18:19], v[18:19], -v[40:41]
	v_add_f64 v[26:27], v[30:31], v[16:17]
	v_ldexp_f64 v[24:25], v[24:25], 2
	v_add_f64 v[32:33], v[22:23], v[26:27]
	v_cndmask_b32_e32 v25, 0, v25, vcc
	v_cndmask_b32_e32 v24, 0, v24, vcc
	v_add_f64 v[42:43], v[26:27], -v[30:31]
	v_add_f64 v[36:37], v[32:33], v[24:25]
	v_add_f64 v[22:23], v[32:33], -v[22:23]
	v_add_f64 v[44:45], v[26:27], -v[42:43]
	;; [unrolled: 1-line block ×3, first 2 shown]
	v_cmp_gt_f64_e32 vcc, 0, v[36:37]
	v_add_f64 v[36:37], v[30:31], -v[40:41]
	v_add_f64 v[22:23], v[26:27], -v[22:23]
	;; [unrolled: 1-line block ×3, first 2 shown]
	v_cndmask_b32_e32 v39, 0, v39, vcc
	v_add_f64 v[24:25], v[24:25], v[38:39]
	v_add_f64 v[36:37], v[34:35], -v[36:37]
	v_add_f64 v[16:17], v[16:17], v[30:31]
	v_add_f64 v[46:47], v[32:33], v[24:25]
	;; [unrolled: 1-line block ×3, first 2 shown]
	v_cvt_i32_f64_e32 v41, v[46:47]
	v_add_f64 v[16:17], v[18:19], v[16:17]
	v_cvt_f64_i32_e32 v[39:40], v41
	v_add_f64 v[24:25], v[24:25], -v[39:40]
	v_add_f64 v[16:17], v[20:21], v[16:17]
	v_add_f64 v[18:19], v[32:33], v[24:25]
	;; [unrolled: 1-line block ×3, first 2 shown]
	v_mov_b32_e32 v23, 0x3ff00000
	v_add_f64 v[20:21], v[18:19], -v[24:25]
	v_cmp_le_f64_e32 vcc, 0.5, v[18:19]
	v_add_f64 v[21:22], v[32:33], -v[20:21]
	v_cndmask_b32_e32 v39, 0, v23, vcc
	v_add_f64 v[18:19], v[18:19], -v[38:39]
	v_addc_co_u32_e64 v20, s[0:1], 0, v41, vcc
	s_mov_b32 s0, 0x33145c07
	s_mov_b32 s1, 0x3c91a626
	v_add_f64 v[16:17], v[16:17], v[21:22]
	v_add_f64 v[21:22], v[18:19], v[16:17]
	v_mul_f64 v[23:24], v[21:22], s[8:9]
	v_add_f64 v[18:19], v[21:22], -v[18:19]
	v_fma_f64 v[25:26], v[21:22], s[8:9], -v[23:24]
	v_add_f64 v[16:17], v[16:17], -v[18:19]
	v_fma_f64 v[18:19], v[21:22], s[0:1], v[25:26]
	v_fma_f64 v[18:19], v[16:17], s[8:9], v[18:19]
	v_add_f64 v[16:17], v[23:24], v[18:19]
	v_add_f64 v[21:22], v[16:17], -v[23:24]
	v_add_f64 v[18:19], v[18:19], -v[21:22]
.LBB47_81:
	s_andn2_saveexec_b64 s[0:1], s[10:11]
	s_cbranch_execz .LBB47_83
; %bb.82:
	s_mov_b32 s8, 0x6dc9c883
	s_mov_b32 s9, 0x3fe45f30
	v_mul_f64 v[16:17], |v[13:14]|, s[8:9]
	s_mov_b32 s8, 0x54442d18
	s_mov_b32 s9, 0xbff921fb
	s_mov_b32 s11, 0xbc91a626
	s_mov_b32 s10, 0x33145c00
	v_rndne_f64_e32 v[20:21], v[16:17]
	v_fma_f64 v[16:17], v[20:21], s[8:9], |v[13:14]|
	v_mul_f64 v[18:19], v[20:21], s[10:11]
	s_mov_b32 s8, 0x252049c0
	s_mov_b32 s9, 0xb97b839a
	v_fma_f64 v[26:27], v[20:21], s[10:11], v[16:17]
	v_add_f64 v[22:23], v[16:17], v[18:19]
	s_mov_b32 s11, 0x3c91a626
	v_add_f64 v[24:25], v[16:17], -v[22:23]
	v_add_f64 v[22:23], v[22:23], -v[26:27]
	v_add_f64 v[16:17], v[24:25], v[18:19]
	v_fma_f64 v[18:19], v[20:21], s[10:11], v[18:19]
	v_add_f64 v[16:17], v[22:23], v[16:17]
	v_add_f64 v[16:17], v[16:17], -v[18:19]
	v_fma_f64 v[18:19], v[20:21], s[8:9], v[16:17]
	v_cvt_i32_f64_e32 v20, v[20:21]
	v_add_f64 v[16:17], v[26:27], v[18:19]
	v_add_f64 v[22:23], v[16:17], -v[26:27]
	v_add_f64 v[18:19], v[18:19], -v[22:23]
.LBB47_83:
	s_or_b64 exec, exec, s[0:1]
	v_mul_f64 v[21:22], v[16:17], v[16:17]
	s_mov_b32 s0, 0xf9a43bb8
	v_mov_b32_e32 v24, 0xb42fdfa7
	v_mov_b32_e32 v25, 0xbe5ae600
	s_mov_b32 s1, 0x3de5e0b2
	s_mov_b32 s8, 0x796cde01
	v_mov_b32_e32 v23, 0x9037ab78
	s_mov_b32 s9, 0x3ec71de3
	v_fma_f64 v[25:26], v[21:22], s[0:1], v[24:25]
	s_mov_b32 s0, 0x46cc5e42
	v_mov_b32_e32 v24, 0x3e21eeb6
	s_mov_b32 s1, 0xbda907db
	v_fma_f64 v[23:24], v[21:22], s[0:1], v[23:24]
	v_mul_f64 v[27:28], v[21:22], 0.5
	s_mov_b32 s0, 0xa17f65f6
	s_mov_b32 s10, 0x19e83e5c
	v_fma_f64 v[25:26], v[21:22], v[25:26], s[8:9]
	s_mov_b32 s1, 0xbe927e4f
	s_mov_b32 s11, 0xbf2a01a0
	;; [unrolled: 1-line block ×3, first 2 shown]
	v_fma_f64 v[23:24], v[21:22], v[23:24], s[0:1]
	v_add_f64 v[29:30], -v[27:28], 1.0
	s_mov_b32 s0, 0x11110bb3
	s_mov_b32 s9, 0x3efa01a0
	v_fma_f64 v[25:26], v[21:22], v[25:26], s[10:11]
	s_mov_b32 s1, 0x3f811111
	v_mul_f64 v[31:32], v[18:19], 0.5
	v_mul_f64 v[33:34], v[16:17], -v[21:22]
	v_fma_f64 v[23:24], v[21:22], v[23:24], s[8:9]
	v_add_f64 v[35:36], -v[29:30], 1.0
	v_add_f64 v[10:11], -v[10:11], 1.0
	v_fma_f64 v[25:26], v[21:22], v[25:26], s[0:1]
	s_mov_b32 s0, 0x16c16967
	s_mov_b32 s1, 0xbf56c16c
	v_fma_f64 v[23:24], v[21:22], v[23:24], s[0:1]
	v_add_f64 v[27:28], v[35:36], -v[27:28]
	s_mov_b32 s1, 0x3fa55555
	s_mov_b32 s0, 0x55555555
	v_fma_f64 v[25:26], v[33:34], v[25:26], v[31:32]
	v_mul_f64 v[31:32], v[21:22], v[21:22]
	v_fma_f64 v[23:24], v[21:22], v[23:24], s[0:1]
	v_fma_f64 v[27:28], v[16:17], -v[18:19], v[27:28]
	s_mov_b32 s1, 0xbfc55555
	v_fma_f64 v[18:19], v[21:22], v[25:26], -v[18:19]
	v_fma_f64 v[21:22], v[31:32], v[23:24], v[27:28]
	v_fma_f64 v[18:19], v[33:34], s[0:1], v[18:19]
	s_movk_i32 s0, 0x1f8
	v_cmp_class_f64_e64 s[0:1], v[13:14], s0
	v_lshlrev_b32_e32 v13, 30, v20
	v_xor_b32_e32 v13, v13, v14
	v_add_f64 v[21:22], v[29:30], v[21:22]
	v_and_b32_e32 v13, 0x80000000, v13
	v_add_f64 v[16:17], v[16:17], -v[18:19]
	v_and_b32_e32 v18, 1, v20
	v_cmp_eq_u32_e32 vcc, 0, v18
	v_mov_b32_e32 v18, 0x7ff80000
	v_cndmask_b32_e32 v14, v22, v17, vcc
	v_cndmask_b32_e32 v16, v21, v16, vcc
	v_xor_b32_e32 v14, v14, v13
	v_cndmask_b32_e64 v13, 0, v16, s[0:1]
	v_cndmask_b32_e64 v14, v18, v14, s[0:1]
	v_mul_f64 v[13:14], v[13:14], v[13:14]
	s_mov_b32 s0, 0xc9be45de
	s_mov_b32 s1, 0xc023bd3c
	v_div_scale_f64 v[16:17], s[8:9], v[13:14], v[13:14], s[0:1]
	v_rcp_f64_e32 v[18:19], v[16:17]
	v_fma_f64 v[20:21], -v[16:17], v[18:19], 1.0
	v_fma_f64 v[18:19], v[18:19], v[20:21], v[18:19]
	v_div_scale_f64 v[20:21], vcc, s[0:1], v[13:14], s[0:1]
	v_fma_f64 v[22:23], -v[16:17], v[18:19], 1.0
	v_fma_f64 v[18:19], v[18:19], v[22:23], v[18:19]
	v_mul_f64 v[22:23], v[20:21], v[18:19]
	v_fma_f64 v[16:17], -v[16:17], v[22:23], v[20:21]
	v_div_fmas_f64 v[16:17], v[16:17], v[18:19], v[22:23]
	v_div_fixup_f64 v[13:14], v[16:17], v[13:14], s[0:1]
	v_add_f64 v[16:17], v[13:14], 0
	v_mov_b32_e32 v13, 0
	v_mov_b32_e32 v14, 0xbff00000
.LBB47_84:
	s_or_b64 exec, exec, s[2:3]
	global_load_dwordx2 v[26:27], v15, s[6:7]
	v_mov_b32_e32 v28, 0
	v_mov_b32_e32 v24, 0
	;; [unrolled: 1-line block ×4, first 2 shown]
	s_waitcnt vmcnt(0)
	v_cmp_gt_f64_e32 vcc, 0.5, v[26:27]
	s_and_saveexec_b64 s[2:3], vcc
	s_cbranch_execz .LBB47_90
; %bb.85:
	s_mov_b32 s1, 0x400921fb
	s_mov_b32 s0, 0x54442d18
	v_mul_f64 v[18:19], v[26:27], s[0:1]
	s_mov_b32 s8, 0
	s_mov_b32 s9, 0x41d00000
                                        ; implicit-def: $vgpr15
                                        ; implicit-def: $vgpr20_vgpr21
                                        ; implicit-def: $vgpr22_vgpr23
	v_cmp_nlt_f64_e64 s[8:9], |v[18:19]|, s[8:9]
	s_and_saveexec_b64 s[10:11], s[8:9]
	s_xor_b64 s[8:9], exec, s[10:11]
	s_cbranch_execz .LBB47_87
; %bb.86:
	v_trig_preop_f64 v[20:21], |v[18:19]|, 0
	s_mov_b32 s10, 0
	s_mov_b32 s11, 0x7b000000
	s_movk_i32 s1, 0xff80
	v_ldexp_f64 v[22:23], |v[18:19]|, s1
	v_cmp_ge_f64_e64 vcc, |v[18:19]|, s[10:11]
	v_trig_preop_f64 v[24:25], |v[18:19]|, 1
	v_and_b32_e32 v15, 0x7fffffff, v19
	v_trig_preop_f64 v[34:35], |v[18:19]|, 2
	s_mov_b32 s10, 0
	s_mov_b32 s11, 0x7ff00000
	v_mov_b32_e32 v44, 0
	s_mov_b32 s1, 0x3ff921fb
	v_cndmask_b32_e32 v23, v15, v23, vcc
	v_cndmask_b32_e32 v22, v18, v22, vcc
	v_mov_b32_e32 v15, 0x40100000
	v_mul_f64 v[28:29], v[20:21], v[22:23]
	v_mul_f64 v[30:31], v[24:25], v[22:23]
	;; [unrolled: 1-line block ×3, first 2 shown]
	v_fma_f64 v[20:21], v[20:21], v[22:23], -v[28:29]
	v_fma_f64 v[24:25], v[24:25], v[22:23], -v[30:31]
	;; [unrolled: 1-line block ×3, first 2 shown]
	v_add_f64 v[32:33], v[30:31], v[20:21]
	v_add_f64 v[36:37], v[32:33], -v[30:31]
	v_add_f64 v[42:43], v[28:29], v[32:33]
	v_add_f64 v[38:39], v[32:33], -v[36:37]
	v_add_f64 v[20:21], v[20:21], -v[36:37]
	v_add_f64 v[36:37], v[40:41], v[24:25]
	v_add_f64 v[28:29], v[42:43], -v[28:29]
	v_add_f64 v[30:31], v[30:31], -v[38:39]
	v_ldexp_f64 v[38:39], v[42:43], -2
	v_add_f64 v[28:29], v[32:33], -v[28:29]
	v_add_f64 v[20:21], v[20:21], v[30:31]
	v_fract_f64_e32 v[30:31], v[38:39]
	v_cmp_neq_f64_e64 vcc, |v[38:39]|, s[10:11]
	s_mov_b32 s10, 0x33145c07
	s_mov_b32 s11, 0x3c91a626
	v_add_f64 v[32:33], v[36:37], v[20:21]
	v_ldexp_f64 v[30:31], v[30:31], 2
	v_add_f64 v[38:39], v[28:29], v[32:33]
	v_cndmask_b32_e32 v31, 0, v31, vcc
	v_cndmask_b32_e32 v30, 0, v30, vcc
	v_add_f64 v[46:47], v[32:33], -v[36:37]
	v_add_f64 v[42:43], v[38:39], v[30:31]
	v_add_f64 v[28:29], v[38:39], -v[28:29]
	v_add_f64 v[50:51], v[32:33], -v[46:47]
	;; [unrolled: 1-line block ×3, first 2 shown]
	v_cmp_gt_f64_e32 vcc, 0, v[42:43]
	v_add_f64 v[42:43], v[36:37], -v[40:41]
	v_add_f64 v[28:29], v[32:33], -v[28:29]
	v_cndmask_b32_e32 v45, 0, v15, vcc
	v_add_f64 v[30:31], v[30:31], v[44:45]
	v_add_f64 v[48:49], v[36:37], -v[42:43]
	v_add_f64 v[24:25], v[24:25], -v[42:43]
	;; [unrolled: 1-line block ×3, first 2 shown]
	v_add_f64 v[52:53], v[38:39], v[30:31]
	v_add_f64 v[42:43], v[40:41], -v[48:49]
	v_add_f64 v[20:21], v[20:21], v[36:37]
	v_cvt_i32_f64_e32 v15, v[52:53]
	v_add_f64 v[24:25], v[24:25], v[42:43]
	v_cvt_f64_i32_e32 v[45:46], v15
	v_add_f64 v[30:31], v[30:31], -v[45:46]
	v_add_f64 v[20:21], v[24:25], v[20:21]
	v_add_f64 v[24:25], v[38:39], v[30:31]
	;; [unrolled: 1-line block ×3, first 2 shown]
	v_add_f64 v[22:23], v[24:25], -v[30:31]
	v_cmp_le_f64_e32 vcc, 0.5, v[24:25]
	v_add_f64 v[20:21], v[28:29], v[20:21]
	v_mov_b32_e32 v28, 0x3ff00000
	v_add_f64 v[22:23], v[38:39], -v[22:23]
	v_cndmask_b32_e32 v45, 0, v28, vcc
	v_addc_co_u32_e32 v15, vcc, 0, v15, vcc
	v_add_f64 v[20:21], v[20:21], v[22:23]
	v_add_f64 v[22:23], v[24:25], -v[44:45]
	v_add_f64 v[24:25], v[22:23], v[20:21]
	v_mul_f64 v[28:29], v[24:25], s[0:1]
	v_add_f64 v[22:23], v[24:25], -v[22:23]
	v_fma_f64 v[30:31], v[24:25], s[0:1], -v[28:29]
	v_add_f64 v[20:21], v[20:21], -v[22:23]
	v_fma_f64 v[22:23], v[24:25], s[10:11], v[30:31]
	v_fma_f64 v[22:23], v[20:21], s[0:1], v[22:23]
	v_add_f64 v[20:21], v[28:29], v[22:23]
	v_add_f64 v[24:25], v[20:21], -v[28:29]
	v_add_f64 v[22:23], v[22:23], -v[24:25]
.LBB47_87:
	s_andn2_saveexec_b64 s[0:1], s[8:9]
	s_cbranch_execz .LBB47_89
; %bb.88:
	s_mov_b32 s8, 0x6dc9c883
	s_mov_b32 s9, 0x3fe45f30
	v_mul_f64 v[20:21], |v[18:19]|, s[8:9]
	s_mov_b32 s8, 0x54442d18
	s_mov_b32 s9, 0xbff921fb
	;; [unrolled: 1-line block ×4, first 2 shown]
	v_rndne_f64_e32 v[24:25], v[20:21]
	v_fma_f64 v[20:21], v[24:25], s[8:9], |v[18:19]|
	v_mul_f64 v[22:23], v[24:25], s[10:11]
	s_mov_b32 s8, 0x252049c0
	s_mov_b32 s9, 0xb97b839a
	v_cvt_i32_f64_e32 v15, v[24:25]
	v_fma_f64 v[32:33], v[24:25], s[10:11], v[20:21]
	v_add_f64 v[28:29], v[20:21], v[22:23]
	s_mov_b32 s11, 0x3c91a626
	v_add_f64 v[30:31], v[20:21], -v[28:29]
	v_add_f64 v[28:29], v[28:29], -v[32:33]
	v_add_f64 v[20:21], v[30:31], v[22:23]
	v_fma_f64 v[22:23], v[24:25], s[10:11], v[22:23]
	v_add_f64 v[20:21], v[28:29], v[20:21]
	v_add_f64 v[20:21], v[20:21], -v[22:23]
	v_fma_f64 v[22:23], v[24:25], s[8:9], v[20:21]
	v_add_f64 v[20:21], v[32:33], v[22:23]
	v_add_f64 v[28:29], v[20:21], -v[32:33]
	v_add_f64 v[22:23], v[22:23], -v[28:29]
.LBB47_89:
	s_or_b64 exec, exec, s[0:1]
	v_mul_f64 v[24:25], v[20:21], v[20:21]
	s_mov_b32 s0, 0xf9a43bb8
	v_mov_b32_e32 v29, 0xb42fdfa7
	v_mov_b32_e32 v30, 0xbe5ae600
	s_mov_b32 s1, 0x3de5e0b2
	s_mov_b32 s8, 0x796cde01
	v_mov_b32_e32 v28, 0x9037ab78
	s_mov_b32 s9, 0x3ec71de3
	v_fma_f64 v[30:31], v[24:25], s[0:1], v[29:30]
	s_mov_b32 s0, 0x46cc5e42
	v_mov_b32_e32 v29, 0x3e21eeb6
	s_mov_b32 s1, 0xbda907db
	v_fma_f64 v[28:29], v[24:25], s[0:1], v[28:29]
	v_mul_f64 v[32:33], v[24:25], 0.5
	s_mov_b32 s0, 0xa17f65f6
	s_mov_b32 s10, 0x19e83e5c
	v_fma_f64 v[30:31], v[24:25], v[30:31], s[8:9]
	s_mov_b32 s1, 0xbe927e4f
	s_mov_b32 s11, 0xbf2a01a0
	;; [unrolled: 1-line block ×3, first 2 shown]
	v_fma_f64 v[28:29], v[24:25], v[28:29], s[0:1]
	v_add_f64 v[34:35], -v[32:33], 1.0
	s_mov_b32 s0, 0x11110bb3
	s_mov_b32 s9, 0x3efa01a0
	v_fma_f64 v[30:31], v[24:25], v[30:31], s[10:11]
	s_mov_b32 s1, 0x3f811111
	v_mul_f64 v[36:37], v[22:23], 0.5
	v_mul_f64 v[38:39], v[20:21], -v[24:25]
	v_fma_f64 v[28:29], v[24:25], v[28:29], s[8:9]
	v_add_f64 v[40:41], -v[34:35], 1.0
	v_add_f64 v[26:27], -v[26:27], 1.0
	v_fma_f64 v[30:31], v[24:25], v[30:31], s[0:1]
	s_mov_b32 s0, 0x16c16967
	s_mov_b32 s1, 0xbf56c16c
	v_fma_f64 v[28:29], v[24:25], v[28:29], s[0:1]
	v_add_f64 v[32:33], v[40:41], -v[32:33]
	s_mov_b32 s1, 0x3fa55555
	s_mov_b32 s0, 0x55555555
	v_fma_f64 v[30:31], v[38:39], v[30:31], v[36:37]
	v_mul_f64 v[36:37], v[24:25], v[24:25]
	v_fma_f64 v[28:29], v[24:25], v[28:29], s[0:1]
	v_fma_f64 v[32:33], v[20:21], -v[22:23], v[32:33]
	s_mov_b32 s1, 0xbfc55555
	v_fma_f64 v[22:23], v[24:25], v[30:31], -v[22:23]
	v_fma_f64 v[24:25], v[36:37], v[28:29], v[32:33]
	v_fma_f64 v[22:23], v[38:39], s[0:1], v[22:23]
	s_movk_i32 s0, 0x1f8
	v_cmp_class_f64_e64 s[0:1], v[18:19], s0
	v_add_f64 v[24:25], v[34:35], v[24:25]
	v_add_f64 v[20:21], v[20:21], -v[22:23]
	v_and_b32_e32 v22, 1, v15
	v_lshlrev_b32_e32 v15, 30, v15
	v_cmp_eq_u32_e32 vcc, 0, v22
	v_xor_b32_e32 v15, v15, v19
	v_and_b32_e32 v15, 0x80000000, v15
	v_mov_b32_e32 v22, 0x7ff80000
	v_cndmask_b32_e32 v18, v25, v21, vcc
	v_cndmask_b32_e32 v20, v24, v20, vcc
	v_xor_b32_e32 v15, v18, v15
	v_cndmask_b32_e64 v18, 0, v20, s[0:1]
	v_cndmask_b32_e64 v19, v22, v15, s[0:1]
	v_mul_f64 v[18:19], v[18:19], v[18:19]
	s_mov_b32 s0, 0xc9be45de
	s_mov_b32 s1, 0xc023bd3c
	v_div_scale_f64 v[20:21], s[8:9], v[18:19], v[18:19], s[0:1]
	v_rcp_f64_e32 v[22:23], v[20:21]
	v_fma_f64 v[24:25], -v[20:21], v[22:23], 1.0
	v_fma_f64 v[22:23], v[22:23], v[24:25], v[22:23]
	v_div_scale_f64 v[24:25], vcc, s[0:1], v[18:19], s[0:1]
	v_fma_f64 v[28:29], -v[20:21], v[22:23], 1.0
	v_fma_f64 v[22:23], v[22:23], v[28:29], v[22:23]
	v_mul_f64 v[28:29], v[24:25], v[22:23]
	v_fma_f64 v[20:21], -v[20:21], v[28:29], v[24:25]
	v_mov_b32_e32 v24, 0
	v_mov_b32_e32 v25, 0xbff00000
	v_div_fmas_f64 v[20:21], v[20:21], v[22:23], v[28:29]
	v_div_fixup_f64 v[18:19], v[20:21], v[18:19], s[0:1]
	v_add_f64 v[28:29], v[18:19], 0
.LBB47_90:
	s_or_b64 exec, exec, s[2:3]
	global_load_dwordx2 v[18:19], v12, s[6:7]
	v_mov_b32_e32 v22, 0
	v_mov_b32_e32 v20, 0
	;; [unrolled: 1-line block ×4, first 2 shown]
	s_waitcnt vmcnt(0)
	v_cmp_gt_f64_e32 vcc, 0.5, v[18:19]
	s_and_saveexec_b64 s[2:3], vcc
	s_cbranch_execz .LBB47_96
; %bb.91:
	s_mov_b32 s7, 0x400921fb
	s_mov_b32 s6, 0x54442d18
	v_mul_f64 v[20:21], v[18:19], s[6:7]
	s_mov_b32 s0, 0
	s_mov_b32 s1, 0x41d00000
                                        ; implicit-def: $vgpr12
                                        ; implicit-def: $vgpr22_vgpr23
                                        ; implicit-def: $vgpr30_vgpr31
	v_cmp_nlt_f64_e64 s[0:1], |v[20:21]|, s[0:1]
	s_and_saveexec_b64 s[8:9], s[0:1]
	s_xor_b64 s[8:9], exec, s[8:9]
	s_cbranch_execz .LBB47_93
; %bb.92:
	v_trig_preop_f64 v[22:23], |v[20:21]|, 0
	s_mov_b32 s0, 0
	s_mov_b32 s1, 0x7b000000
	s_movk_i32 s7, 0xff80
	v_ldexp_f64 v[32:33], |v[20:21]|, s7
	v_cmp_ge_f64_e64 vcc, |v[20:21]|, s[0:1]
	v_trig_preop_f64 v[30:31], |v[20:21]|, 1
	v_and_b32_e32 v12, 0x7fffffff, v21
	v_trig_preop_f64 v[40:41], |v[20:21]|, 2
	s_mov_b32 s0, 0
	s_mov_b32 s1, 0x7ff00000
	v_mov_b32_e32 v50, 0
	v_mov_b32_e32 v15, 0x3ff00000
	v_cndmask_b32_e32 v33, v12, v33, vcc
	v_cndmask_b32_e32 v32, v20, v32, vcc
	v_mov_b32_e32 v12, 0x40100000
	v_mul_f64 v[34:35], v[22:23], v[32:33]
	s_mov_b32 s7, 0x3ff921fb
	v_mul_f64 v[36:37], v[30:31], v[32:33]
	v_mul_f64 v[46:47], v[40:41], v[32:33]
	v_fma_f64 v[22:23], v[22:23], v[32:33], -v[34:35]
	v_fma_f64 v[30:31], v[30:31], v[32:33], -v[36:37]
	v_fma_f64 v[32:33], v[40:41], v[32:33], -v[46:47]
	v_add_f64 v[38:39], v[36:37], v[22:23]
	v_add_f64 v[42:43], v[38:39], -v[36:37]
	v_add_f64 v[48:49], v[34:35], v[38:39]
	v_add_f64 v[44:45], v[38:39], -v[42:43]
	v_add_f64 v[22:23], v[22:23], -v[42:43]
	v_add_f64 v[42:43], v[46:47], v[30:31]
	v_add_f64 v[34:35], v[48:49], -v[34:35]
	v_add_f64 v[36:37], v[36:37], -v[44:45]
	v_ldexp_f64 v[44:45], v[48:49], -2
	v_add_f64 v[52:53], v[42:43], -v[46:47]
	v_add_f64 v[34:35], v[38:39], -v[34:35]
	v_add_f64 v[22:23], v[22:23], v[36:37]
	v_fract_f64_e32 v[36:37], v[44:45]
	v_cmp_neq_f64_e64 vcc, |v[44:45]|, s[0:1]
	v_add_f64 v[30:31], v[30:31], -v[52:53]
	v_add_f64 v[38:39], v[42:43], v[22:23]
	v_ldexp_f64 v[36:37], v[36:37], 2
	v_add_f64 v[44:45], v[34:35], v[38:39]
	v_cndmask_b32_e32 v37, 0, v37, vcc
	v_cndmask_b32_e32 v36, 0, v36, vcc
	v_add_f64 v[54:55], v[38:39], -v[42:43]
	v_add_f64 v[48:49], v[44:45], v[36:37]
	v_add_f64 v[34:35], v[44:45], -v[34:35]
	v_add_f64 v[56:57], v[38:39], -v[54:55]
	;; [unrolled: 1-line block ×3, first 2 shown]
	v_cmp_gt_f64_e32 vcc, 0, v[48:49]
	v_add_f64 v[48:49], v[42:43], -v[52:53]
	v_add_f64 v[34:35], v[38:39], -v[34:35]
	;; [unrolled: 1-line block ×3, first 2 shown]
	v_cndmask_b32_e32 v51, 0, v12, vcc
	v_add_f64 v[36:37], v[36:37], v[50:51]
	v_add_f64 v[48:49], v[46:47], -v[48:49]
	v_add_f64 v[22:23], v[22:23], v[42:43]
	v_add_f64 v[58:59], v[44:45], v[36:37]
	;; [unrolled: 1-line block ×3, first 2 shown]
	v_cvt_i32_f64_e32 v12, v[58:59]
	v_add_f64 v[22:23], v[30:31], v[22:23]
	v_cvt_f64_i32_e32 v[51:52], v12
	v_add_f64 v[36:37], v[36:37], -v[51:52]
	v_add_f64 v[22:23], v[32:33], v[22:23]
	v_add_f64 v[30:31], v[44:45], v[36:37]
	;; [unrolled: 1-line block ×3, first 2 shown]
	v_add_f64 v[32:33], v[30:31], -v[36:37]
	v_cmp_le_f64_e32 vcc, 0.5, v[30:31]
	v_add_f64 v[32:33], v[44:45], -v[32:33]
	v_cndmask_b32_e32 v51, 0, v15, vcc
	v_add_f64 v[30:31], v[30:31], -v[50:51]
	v_addc_co_u32_e64 v12, s[0:1], 0, v12, vcc
	s_mov_b32 s0, 0x33145c07
	s_mov_b32 s1, 0x3c91a626
	v_add_f64 v[22:23], v[22:23], v[32:33]
	v_add_f64 v[32:33], v[30:31], v[22:23]
	v_mul_f64 v[34:35], v[32:33], s[6:7]
	v_add_f64 v[30:31], v[32:33], -v[30:31]
	v_fma_f64 v[36:37], v[32:33], s[6:7], -v[34:35]
	v_add_f64 v[22:23], v[22:23], -v[30:31]
	v_fma_f64 v[30:31], v[32:33], s[0:1], v[36:37]
	v_fma_f64 v[30:31], v[22:23], s[6:7], v[30:31]
	v_add_f64 v[22:23], v[34:35], v[30:31]
	v_add_f64 v[32:33], v[22:23], -v[34:35]
	v_add_f64 v[30:31], v[30:31], -v[32:33]
.LBB47_93:
	s_andn2_saveexec_b64 s[0:1], s[8:9]
	s_cbranch_execz .LBB47_95
; %bb.94:
	s_mov_b32 s6, 0x6dc9c883
	s_mov_b32 s7, 0x3fe45f30
	v_mul_f64 v[22:23], |v[20:21]|, s[6:7]
	s_mov_b32 s6, 0x54442d18
	s_mov_b32 s7, 0xbff921fb
	;; [unrolled: 1-line block ×4, first 2 shown]
	v_rndne_f64_e32 v[32:33], v[22:23]
	v_fma_f64 v[22:23], v[32:33], s[6:7], |v[20:21]|
	v_mul_f64 v[30:31], v[32:33], s[8:9]
	s_mov_b32 s6, 0x252049c0
	s_mov_b32 s7, 0xb97b839a
	v_cvt_i32_f64_e32 v12, v[32:33]
	v_fma_f64 v[38:39], v[32:33], s[8:9], v[22:23]
	v_add_f64 v[34:35], v[22:23], v[30:31]
	s_mov_b32 s9, 0x3c91a626
	v_add_f64 v[36:37], v[22:23], -v[34:35]
	v_add_f64 v[34:35], v[34:35], -v[38:39]
	v_add_f64 v[22:23], v[36:37], v[30:31]
	v_fma_f64 v[30:31], v[32:33], s[8:9], v[30:31]
	v_add_f64 v[22:23], v[34:35], v[22:23]
	v_add_f64 v[22:23], v[22:23], -v[30:31]
	v_fma_f64 v[30:31], v[32:33], s[6:7], v[22:23]
	v_add_f64 v[22:23], v[38:39], v[30:31]
	v_add_f64 v[34:35], v[22:23], -v[38:39]
	v_add_f64 v[30:31], v[30:31], -v[34:35]
.LBB47_95:
	s_or_b64 exec, exec, s[0:1]
	v_mul_f64 v[32:33], v[22:23], v[22:23]
	s_mov_b32 s0, 0xf9a43bb8
	v_mov_b32_e32 v35, 0xb42fdfa7
	v_mov_b32_e32 v36, 0xbe5ae600
	s_mov_b32 s1, 0x3de5e0b2
	s_mov_b32 s6, 0x796cde01
	v_mov_b32_e32 v34, 0x9037ab78
	s_mov_b32 s7, 0x3ec71de3
	v_fma_f64 v[36:37], v[32:33], s[0:1], v[35:36]
	s_mov_b32 s0, 0x46cc5e42
	v_mov_b32_e32 v35, 0x3e21eeb6
	s_mov_b32 s1, 0xbda907db
	v_fma_f64 v[34:35], v[32:33], s[0:1], v[34:35]
	v_mul_f64 v[38:39], v[32:33], 0.5
	s_mov_b32 s0, 0xa17f65f6
	s_mov_b32 s8, 0x19e83e5c
	v_fma_f64 v[36:37], v[32:33], v[36:37], s[6:7]
	s_mov_b32 s1, 0xbe927e4f
	s_mov_b32 s9, 0xbf2a01a0
	;; [unrolled: 1-line block ×3, first 2 shown]
	v_fma_f64 v[34:35], v[32:33], v[34:35], s[0:1]
	v_add_f64 v[40:41], -v[38:39], 1.0
	s_mov_b32 s0, 0x11110bb3
	s_mov_b32 s7, 0x3efa01a0
	v_fma_f64 v[36:37], v[32:33], v[36:37], s[8:9]
	s_mov_b32 s1, 0x3f811111
	v_mul_f64 v[42:43], v[30:31], 0.5
	v_mul_f64 v[44:45], v[22:23], -v[32:33]
	v_fma_f64 v[34:35], v[32:33], v[34:35], s[6:7]
	v_add_f64 v[46:47], -v[40:41], 1.0
	v_and_b32_e32 v15, 1, v12
	v_lshlrev_b32_e32 v12, 30, v12
	v_fma_f64 v[36:37], v[32:33], v[36:37], s[0:1]
	s_mov_b32 s0, 0x16c16967
	s_mov_b32 s1, 0xbf56c16c
	v_cmp_eq_u32_e32 vcc, 0, v15
	v_fma_f64 v[34:35], v[32:33], v[34:35], s[0:1]
	v_add_f64 v[38:39], v[46:47], -v[38:39]
	s_mov_b32 s1, 0x3fa55555
	s_mov_b32 s0, 0x55555555
	v_fma_f64 v[36:37], v[44:45], v[36:37], v[42:43]
	v_mul_f64 v[42:43], v[32:33], v[32:33]
	v_xor_b32_e32 v12, v12, v21
	v_and_b32_e32 v12, 0x80000000, v12
	v_fma_f64 v[34:35], v[32:33], v[34:35], s[0:1]
	v_fma_f64 v[38:39], v[22:23], -v[30:31], v[38:39]
	s_mov_b32 s1, 0xbfc55555
	v_add_f64 v[18:19], -v[18:19], 1.0
	v_fma_f64 v[30:31], v[32:33], v[36:37], -v[30:31]
	v_fma_f64 v[32:33], v[42:43], v[34:35], v[38:39]
	v_fma_f64 v[30:31], v[44:45], s[0:1], v[30:31]
	s_movk_i32 s0, 0x1f8
	v_cmp_class_f64_e64 s[0:1], v[20:21], s0
	v_add_f64 v[32:33], v[40:41], v[32:33]
	v_add_f64 v[22:23], v[22:23], -v[30:31]
	v_cndmask_b32_e32 v20, v33, v23, vcc
	v_cndmask_b32_e32 v15, v32, v22, vcc
	v_mov_b32_e32 v22, 0x7ff80000
	v_xor_b32_e32 v12, v20, v12
	v_cndmask_b32_e64 v20, 0, v15, s[0:1]
	v_cndmask_b32_e64 v21, v22, v12, s[0:1]
	v_mul_f64 v[20:21], v[20:21], v[20:21]
	s_mov_b32 s0, 0xc9be45de
	s_mov_b32 s1, 0xc023bd3c
	v_div_scale_f64 v[22:23], s[6:7], v[20:21], v[20:21], s[0:1]
	v_rcp_f64_e32 v[30:31], v[22:23]
	v_fma_f64 v[32:33], -v[22:23], v[30:31], 1.0
	v_fma_f64 v[30:31], v[30:31], v[32:33], v[30:31]
	v_div_scale_f64 v[32:33], vcc, s[0:1], v[20:21], s[0:1]
	v_fma_f64 v[34:35], -v[22:23], v[30:31], 1.0
	v_fma_f64 v[30:31], v[30:31], v[34:35], v[30:31]
	v_mul_f64 v[34:35], v[32:33], v[30:31]
	v_fma_f64 v[22:23], -v[22:23], v[34:35], v[32:33]
	v_div_fmas_f64 v[22:23], v[22:23], v[30:31], v[34:35]
	v_div_fixup_f64 v[20:21], v[22:23], v[20:21], s[0:1]
	v_add_f64 v[22:23], v[20:21], 0
	v_mov_b32_e32 v20, 0
	v_mov_b32_e32 v21, 0xbff00000
.LBB47_96:
	s_or_b64 exec, exec, s[2:3]
	v_mul_f64 v[30:31], v[26:27], v[26:27]
	v_add_f64 v[26:27], v[26:27], 1.0
	s_mov_b32 s2, 0x11111111
	s_mov_b32 s3, 0x3fa11111
	v_div_scale_f64 v[32:33], s[0:1], v[30:31], v[30:31], 1.0
	v_rcp_f64_e32 v[34:35], v[32:33]
	v_fma_f64 v[36:37], -v[32:33], v[34:35], 1.0
	v_fma_f64 v[34:35], v[34:35], v[36:37], v[34:35]
	v_fma_f64 v[36:37], -v[32:33], v[34:35], 1.0
	v_fma_f64 v[34:35], v[34:35], v[36:37], v[34:35]
	v_div_scale_f64 v[36:37], vcc, 1.0, v[30:31], 1.0
	v_mul_f64 v[38:39], v[36:37], v[34:35]
	v_fma_f64 v[32:33], -v[32:33], v[38:39], v[36:37]
	s_nop 1
	v_div_fmas_f64 v[32:33], v[32:33], v[34:35], v[38:39]
	v_div_fixup_f64 v[30:31], v[32:33], v[30:31], 1.0
	v_add_f64 v[28:29], v[28:29], v[30:31]
	v_mul_f64 v[30:31], v[26:27], v[26:27]
	v_add_f64 v[26:27], v[26:27], 1.0
	v_div_scale_f64 v[32:33], s[0:1], v[30:31], v[30:31], 1.0
	v_rcp_f64_e32 v[34:35], v[32:33]
	v_fma_f64 v[36:37], -v[32:33], v[34:35], 1.0
	v_fma_f64 v[34:35], v[34:35], v[36:37], v[34:35]
	v_fma_f64 v[36:37], -v[32:33], v[34:35], 1.0
	v_fma_f64 v[34:35], v[34:35], v[36:37], v[34:35]
	v_div_scale_f64 v[36:37], vcc, 1.0, v[30:31], 1.0
	v_mul_f64 v[38:39], v[36:37], v[34:35]
	v_fma_f64 v[32:33], -v[32:33], v[38:39], v[36:37]
	s_nop 1
	v_div_fmas_f64 v[32:33], v[32:33], v[34:35], v[38:39]
	v_div_fixup_f64 v[30:31], v[32:33], v[30:31], 1.0
	v_add_f64 v[28:29], v[28:29], v[30:31]
	v_mul_f64 v[30:31], v[26:27], v[26:27]
	v_add_f64 v[26:27], v[26:27], 1.0
	;; [unrolled: 15-line block ×4, first 2 shown]
	v_div_scale_f64 v[32:33], s[0:1], v[30:31], v[30:31], 1.0
	v_rcp_f64_e32 v[34:35], v[32:33]
	v_fma_f64 v[36:37], -v[32:33], v[34:35], 1.0
	v_fma_f64 v[34:35], v[34:35], v[36:37], v[34:35]
	v_fma_f64 v[36:37], -v[32:33], v[34:35], 1.0
	v_fma_f64 v[34:35], v[34:35], v[36:37], v[34:35]
	v_div_scale_f64 v[36:37], vcc, 1.0, v[30:31], 1.0
	v_mul_f64 v[38:39], v[36:37], v[34:35]
	v_fma_f64 v[32:33], -v[32:33], v[38:39], v[36:37]
	s_nop 1
	v_div_fmas_f64 v[32:33], v[32:33], v[34:35], v[38:39]
	v_div_fixup_f64 v[30:31], v[32:33], v[30:31], 1.0
	v_add_f64 v[28:29], v[28:29], v[30:31]
	v_mul_f64 v[30:31], v[26:27], v[26:27]
	v_div_scale_f64 v[32:33], s[0:1], v[30:31], v[30:31], 1.0
	v_rcp_f64_e32 v[34:35], v[32:33]
	v_fma_f64 v[36:37], -v[32:33], v[34:35], 1.0
	v_fma_f64 v[34:35], v[34:35], v[36:37], v[34:35]
	v_fma_f64 v[36:37], -v[32:33], v[34:35], 1.0
	v_fma_f64 v[34:35], v[34:35], v[36:37], v[34:35]
	v_div_scale_f64 v[36:37], vcc, 1.0, v[30:31], 1.0
	v_mul_f64 v[38:39], v[36:37], v[34:35]
	v_fma_f64 v[32:33], -v[32:33], v[38:39], v[36:37]
	s_nop 1
	v_div_fmas_f64 v[32:33], v[32:33], v[34:35], v[38:39]
	v_div_fixup_f64 v[30:31], v[32:33], v[30:31], 1.0
	v_add_f64 v[28:29], v[28:29], v[30:31]
	v_add_f64 v[30:31], v[26:27], 1.0
	v_mul_f64 v[26:27], v[30:31], v[30:31]
	v_div_scale_f64 v[32:33], s[0:1], v[26:27], v[26:27], 1.0
	v_rcp_f64_e32 v[34:35], v[32:33]
	v_fma_f64 v[36:37], -v[32:33], v[34:35], 1.0
	v_fma_f64 v[34:35], v[34:35], v[36:37], v[34:35]
	v_fma_f64 v[36:37], -v[32:33], v[34:35], 1.0
	v_fma_f64 v[34:35], v[34:35], v[36:37], v[34:35]
	v_div_scale_f64 v[36:37], vcc, 1.0, v[26:27], 1.0
	v_mul_f64 v[38:39], v[36:37], v[34:35]
	v_fma_f64 v[32:33], -v[32:33], v[38:39], v[36:37]
	s_nop 1
	v_div_fmas_f64 v[32:33], v[32:33], v[34:35], v[38:39]
	v_div_fixup_f64 v[32:33], v[32:33], v[26:27], 1.0
	v_add_f64 v[26:27], v[30:31], v[30:31]
	v_div_scale_f64 v[34:35], s[0:1], v[26:27], v[26:27], 1.0
	s_mov_b32 s0, 0x18618618
	s_mov_b32 s1, 0xbf986186
	v_rcp_f64_e32 v[36:37], v[34:35]
	v_fma_f64 v[38:39], -v[34:35], v[36:37], 1.0
	v_fma_f64 v[36:37], v[36:37], v[38:39], v[36:37]
	v_fma_f64 v[38:39], -v[34:35], v[36:37], 1.0
	v_fma_f64 v[36:37], v[36:37], v[38:39], v[36:37]
	v_div_scale_f64 v[38:39], vcc, 1.0, v[26:27], 1.0
	v_mul_f64 v[40:41], v[38:39], v[36:37]
	v_fma_f64 v[34:35], -v[34:35], v[40:41], v[38:39]
	s_nop 1
	v_div_fmas_f64 v[34:35], v[34:35], v[36:37], v[40:41]
	v_div_fixup_f64 v[26:27], v[34:35], v[26:27], 1.0
	v_add_f64 v[34:35], v[26:27], 1.0
	v_mov_b32_e32 v27, s3
	v_mov_b32_e32 v26, s2
	v_fma_f64 v[36:37], v[32:33], s[0:1], v[26:27]
	s_mov_b32 s2, 0x55555555
	s_mov_b32 s3, 0x3fc55555
	v_fma_f64 v[36:37], -v[32:33], v[36:37], s[2:3]
	v_fma_f64 v[32:33], v[32:33], v[36:37], v[34:35]
	v_div_scale_f64 v[34:35], s[6:7], v[30:31], v[30:31], v[32:33]
	v_rcp_f64_e32 v[36:37], v[34:35]
	v_fma_f64 v[38:39], -v[34:35], v[36:37], 1.0
	v_fma_f64 v[36:37], v[36:37], v[38:39], v[36:37]
	v_fma_f64 v[38:39], -v[34:35], v[36:37], 1.0
	v_fma_f64 v[36:37], v[36:37], v[38:39], v[36:37]
	v_div_scale_f64 v[38:39], vcc, v[32:33], v[30:31], v[32:33]
	v_mul_f64 v[40:41], v[38:39], v[36:37]
	v_fma_f64 v[34:35], -v[34:35], v[40:41], v[38:39]
	s_nop 1
	v_div_fmas_f64 v[34:35], v[34:35], v[36:37], v[40:41]
	v_div_fixup_f64 v[30:31], v[34:35], v[30:31], v[32:33]
	v_add_f64 v[28:29], v[28:29], v[30:31]
	v_mul_f64 v[24:25], v[24:25], v[28:29]
	v_mul_f64 v[28:29], v[10:11], v[10:11]
	v_add_f64 v[10:11], v[10:11], 1.0
	v_div_scale_f64 v[30:31], s[6:7], v[28:29], v[28:29], 1.0
	v_rcp_f64_e32 v[32:33], v[30:31]
	v_fma_f64 v[34:35], -v[30:31], v[32:33], 1.0
	v_fma_f64 v[32:33], v[32:33], v[34:35], v[32:33]
	v_fma_f64 v[34:35], -v[30:31], v[32:33], 1.0
	v_fma_f64 v[32:33], v[32:33], v[34:35], v[32:33]
	v_div_scale_f64 v[34:35], vcc, 1.0, v[28:29], 1.0
	v_mul_f64 v[36:37], v[34:35], v[32:33]
	v_fma_f64 v[30:31], -v[30:31], v[36:37], v[34:35]
	s_nop 1
	v_div_fmas_f64 v[30:31], v[30:31], v[32:33], v[36:37]
	v_div_fixup_f64 v[28:29], v[30:31], v[28:29], 1.0
	v_add_f64 v[15:16], v[16:17], v[28:29]
	v_mul_f64 v[28:29], v[10:11], v[10:11]
	v_add_f64 v[10:11], v[10:11], 1.0
	v_div_scale_f64 v[30:31], s[6:7], v[28:29], v[28:29], 1.0
	v_rcp_f64_e32 v[32:33], v[30:31]
	v_fma_f64 v[34:35], -v[30:31], v[32:33], 1.0
	v_fma_f64 v[32:33], v[32:33], v[34:35], v[32:33]
	v_fma_f64 v[34:35], -v[30:31], v[32:33], 1.0
	v_fma_f64 v[32:33], v[32:33], v[34:35], v[32:33]
	v_div_scale_f64 v[34:35], vcc, 1.0, v[28:29], 1.0
	v_mul_f64 v[36:37], v[34:35], v[32:33]
	v_fma_f64 v[30:31], -v[30:31], v[36:37], v[34:35]
	s_nop 1
	v_div_fmas_f64 v[30:31], v[30:31], v[32:33], v[36:37]
	v_div_fixup_f64 v[28:29], v[30:31], v[28:29], 1.0
	v_add_f64 v[15:16], v[15:16], v[28:29]
	;; [unrolled: 15-line block ×6, first 2 shown]
	v_mul_f64 v[28:29], v[10:11], v[10:11]
	v_div_scale_f64 v[30:31], s[6:7], v[28:29], v[28:29], 1.0
	v_rcp_f64_e32 v[32:33], v[30:31]
	v_fma_f64 v[34:35], -v[30:31], v[32:33], 1.0
	v_fma_f64 v[32:33], v[32:33], v[34:35], v[32:33]
	v_fma_f64 v[34:35], -v[30:31], v[32:33], 1.0
	v_fma_f64 v[32:33], v[32:33], v[34:35], v[32:33]
	v_div_scale_f64 v[34:35], vcc, 1.0, v[28:29], 1.0
	v_mul_f64 v[36:37], v[34:35], v[32:33]
	v_fma_f64 v[30:31], -v[30:31], v[36:37], v[34:35]
	s_nop 1
	v_div_fmas_f64 v[30:31], v[30:31], v[32:33], v[36:37]
	v_div_fixup_f64 v[28:29], v[30:31], v[28:29], 1.0
	v_add_f64 v[30:31], v[10:11], v[10:11]
	v_div_scale_f64 v[32:33], s[6:7], v[30:31], v[30:31], 1.0
	v_rcp_f64_e32 v[34:35], v[32:33]
	v_fma_f64 v[36:37], -v[32:33], v[34:35], 1.0
	v_fma_f64 v[34:35], v[34:35], v[36:37], v[34:35]
	v_fma_f64 v[36:37], -v[32:33], v[34:35], 1.0
	v_fma_f64 v[34:35], v[34:35], v[36:37], v[34:35]
	v_div_scale_f64 v[36:37], vcc, 1.0, v[30:31], 1.0
	v_mul_f64 v[38:39], v[36:37], v[34:35]
	v_fma_f64 v[32:33], -v[32:33], v[38:39], v[36:37]
	s_nop 1
	v_div_fmas_f64 v[32:33], v[32:33], v[34:35], v[38:39]
	v_div_fixup_f64 v[30:31], v[32:33], v[30:31], 1.0
	v_fma_f64 v[32:33], v[28:29], s[0:1], v[26:27]
	v_add_f64 v[30:31], v[30:31], 1.0
	v_fma_f64 v[32:33], -v[28:29], v[32:33], s[2:3]
	v_fma_f64 v[28:29], v[28:29], v[32:33], v[30:31]
	v_div_scale_f64 v[30:31], s[6:7], v[10:11], v[10:11], v[28:29]
	v_rcp_f64_e32 v[32:33], v[30:31]
	v_fma_f64 v[34:35], -v[30:31], v[32:33], 1.0
	v_fma_f64 v[32:33], v[32:33], v[34:35], v[32:33]
	v_fma_f64 v[34:35], -v[30:31], v[32:33], 1.0
	v_fma_f64 v[32:33], v[32:33], v[34:35], v[32:33]
	v_div_scale_f64 v[34:35], vcc, v[28:29], v[10:11], v[28:29]
	v_mul_f64 v[36:37], v[34:35], v[32:33]
	v_fma_f64 v[30:31], -v[30:31], v[36:37], v[34:35]
	s_nop 1
	v_div_fmas_f64 v[30:31], v[30:31], v[32:33], v[36:37]
	v_div_fixup_f64 v[10:11], v[30:31], v[10:11], v[28:29]
	v_add_f64 v[10:11], v[15:16], v[10:11]
	v_mul_f64 v[10:11], v[13:14], v[10:11]
	v_mul_f64 v[12:13], v[4:5], v[4:5]
	v_add_f64 v[4:5], v[4:5], 1.0
	v_div_scale_f64 v[14:15], s[6:7], v[12:13], v[12:13], 1.0
	v_rcp_f64_e32 v[16:17], v[14:15]
	v_fma_f64 v[28:29], -v[14:15], v[16:17], 1.0
	v_fma_f64 v[16:17], v[16:17], v[28:29], v[16:17]
	v_fma_f64 v[28:29], -v[14:15], v[16:17], 1.0
	v_fma_f64 v[16:17], v[16:17], v[28:29], v[16:17]
	v_div_scale_f64 v[28:29], vcc, 1.0, v[12:13], 1.0
	v_mul_f64 v[30:31], v[28:29], v[16:17]
	v_fma_f64 v[14:15], -v[14:15], v[30:31], v[28:29]
	s_nop 1
	v_div_fmas_f64 v[14:15], v[14:15], v[16:17], v[30:31]
	v_div_fixup_f64 v[12:13], v[14:15], v[12:13], 1.0
	v_add_f64 v[8:9], v[8:9], v[12:13]
	v_mul_f64 v[12:13], v[4:5], v[4:5]
	v_add_f64 v[4:5], v[4:5], 1.0
	v_div_scale_f64 v[14:15], s[6:7], v[12:13], v[12:13], 1.0
	v_rcp_f64_e32 v[16:17], v[14:15]
	v_fma_f64 v[28:29], -v[14:15], v[16:17], 1.0
	v_fma_f64 v[16:17], v[16:17], v[28:29], v[16:17]
	v_fma_f64 v[28:29], -v[14:15], v[16:17], 1.0
	v_fma_f64 v[16:17], v[16:17], v[28:29], v[16:17]
	v_div_scale_f64 v[28:29], vcc, 1.0, v[12:13], 1.0
	v_mul_f64 v[30:31], v[28:29], v[16:17]
	v_fma_f64 v[14:15], -v[14:15], v[30:31], v[28:29]
	s_nop 1
	v_div_fmas_f64 v[14:15], v[14:15], v[16:17], v[30:31]
	v_div_fixup_f64 v[12:13], v[14:15], v[12:13], 1.0
	v_add_f64 v[8:9], v[8:9], v[12:13]
	;; [unrolled: 15-line block ×6, first 2 shown]
	v_mul_f64 v[12:13], v[4:5], v[4:5]
	v_div_scale_f64 v[14:15], s[6:7], v[12:13], v[12:13], 1.0
	v_rcp_f64_e32 v[16:17], v[14:15]
	v_fma_f64 v[28:29], -v[14:15], v[16:17], 1.0
	v_fma_f64 v[16:17], v[16:17], v[28:29], v[16:17]
	v_fma_f64 v[28:29], -v[14:15], v[16:17], 1.0
	v_fma_f64 v[16:17], v[16:17], v[28:29], v[16:17]
	v_div_scale_f64 v[28:29], vcc, 1.0, v[12:13], 1.0
	v_mul_f64 v[30:31], v[28:29], v[16:17]
	v_fma_f64 v[14:15], -v[14:15], v[30:31], v[28:29]
	s_nop 1
	v_div_fmas_f64 v[14:15], v[14:15], v[16:17], v[30:31]
	v_div_fixup_f64 v[12:13], v[14:15], v[12:13], 1.0
	v_add_f64 v[14:15], v[4:5], v[4:5]
	v_div_scale_f64 v[16:17], s[6:7], v[14:15], v[14:15], 1.0
	v_rcp_f64_e32 v[28:29], v[16:17]
	v_fma_f64 v[30:31], -v[16:17], v[28:29], 1.0
	v_fma_f64 v[28:29], v[28:29], v[30:31], v[28:29]
	v_fma_f64 v[30:31], -v[16:17], v[28:29], 1.0
	v_fma_f64 v[28:29], v[28:29], v[30:31], v[28:29]
	v_div_scale_f64 v[30:31], vcc, 1.0, v[14:15], 1.0
	v_mul_f64 v[32:33], v[30:31], v[28:29]
	v_fma_f64 v[16:17], -v[16:17], v[32:33], v[30:31]
	s_nop 1
	v_div_fmas_f64 v[16:17], v[16:17], v[28:29], v[32:33]
	v_div_fixup_f64 v[14:15], v[16:17], v[14:15], 1.0
	v_fma_f64 v[16:17], v[12:13], s[0:1], v[26:27]
	v_add_f64 v[14:15], v[14:15], 1.0
	v_fma_f64 v[16:17], -v[12:13], v[16:17], s[2:3]
	v_fma_f64 v[12:13], v[12:13], v[16:17], v[14:15]
	v_div_scale_f64 v[14:15], s[6:7], v[4:5], v[4:5], v[12:13]
	v_rcp_f64_e32 v[16:17], v[14:15]
	v_fma_f64 v[28:29], -v[14:15], v[16:17], 1.0
	v_fma_f64 v[16:17], v[16:17], v[28:29], v[16:17]
	v_fma_f64 v[28:29], -v[14:15], v[16:17], 1.0
	v_fma_f64 v[16:17], v[16:17], v[28:29], v[16:17]
	v_div_scale_f64 v[28:29], vcc, v[12:13], v[4:5], v[12:13]
	v_mul_f64 v[30:31], v[28:29], v[16:17]
	v_fma_f64 v[14:15], -v[14:15], v[30:31], v[28:29]
	s_nop 1
	v_div_fmas_f64 v[14:15], v[14:15], v[16:17], v[30:31]
	v_div_fixup_f64 v[4:5], v[14:15], v[4:5], v[12:13]
	v_add_f64 v[4:5], v[8:9], v[4:5]
	v_mul_f64 v[4:5], v[6:7], v[4:5]
	v_mul_f64 v[6:7], v[18:19], v[18:19]
	v_div_scale_f64 v[8:9], s[6:7], v[6:7], v[6:7], 1.0
	v_rcp_f64_e32 v[12:13], v[8:9]
	v_fma_f64 v[14:15], -v[8:9], v[12:13], 1.0
	v_fma_f64 v[12:13], v[12:13], v[14:15], v[12:13]
	v_fma_f64 v[14:15], -v[8:9], v[12:13], 1.0
	v_fma_f64 v[12:13], v[12:13], v[14:15], v[12:13]
	v_div_scale_f64 v[14:15], vcc, 1.0, v[6:7], 1.0
	v_mul_f64 v[16:17], v[14:15], v[12:13]
	v_fma_f64 v[8:9], -v[8:9], v[16:17], v[14:15]
	s_nop 1
	v_div_fmas_f64 v[8:9], v[8:9], v[12:13], v[16:17]
	v_div_fixup_f64 v[6:7], v[8:9], v[6:7], 1.0
	v_add_f64 v[8:9], v[18:19], 1.0
	v_add_f64 v[6:7], v[22:23], v[6:7]
	v_mul_f64 v[12:13], v[8:9], v[8:9]
	v_add_f64 v[8:9], v[8:9], 1.0
	v_div_scale_f64 v[14:15], s[6:7], v[12:13], v[12:13], 1.0
	v_rcp_f64_e32 v[16:17], v[14:15]
	v_fma_f64 v[18:19], -v[14:15], v[16:17], 1.0
	v_fma_f64 v[16:17], v[16:17], v[18:19], v[16:17]
	v_fma_f64 v[18:19], -v[14:15], v[16:17], 1.0
	v_fma_f64 v[16:17], v[16:17], v[18:19], v[16:17]
	v_div_scale_f64 v[18:19], vcc, 1.0, v[12:13], 1.0
	v_mul_f64 v[22:23], v[18:19], v[16:17]
	v_fma_f64 v[14:15], -v[14:15], v[22:23], v[18:19]
	s_nop 1
	v_div_fmas_f64 v[14:15], v[14:15], v[16:17], v[22:23]
	v_div_fixup_f64 v[12:13], v[14:15], v[12:13], 1.0
	v_add_f64 v[6:7], v[6:7], v[12:13]
	v_mul_f64 v[12:13], v[8:9], v[8:9]
	v_add_f64 v[8:9], v[8:9], 1.0
	v_div_scale_f64 v[14:15], s[6:7], v[12:13], v[12:13], 1.0
	v_rcp_f64_e32 v[16:17], v[14:15]
	v_fma_f64 v[18:19], -v[14:15], v[16:17], 1.0
	v_fma_f64 v[16:17], v[16:17], v[18:19], v[16:17]
	v_fma_f64 v[18:19], -v[14:15], v[16:17], 1.0
	v_fma_f64 v[16:17], v[16:17], v[18:19], v[16:17]
	v_div_scale_f64 v[18:19], vcc, 1.0, v[12:13], 1.0
	v_mul_f64 v[22:23], v[18:19], v[16:17]
	v_fma_f64 v[14:15], -v[14:15], v[22:23], v[18:19]
	s_nop 1
	v_div_fmas_f64 v[14:15], v[14:15], v[16:17], v[22:23]
	v_div_fixup_f64 v[12:13], v[14:15], v[12:13], 1.0
	;; [unrolled: 15-line block ×5, first 2 shown]
	v_add_f64 v[6:7], v[6:7], v[12:13]
	v_mul_f64 v[12:13], v[8:9], v[8:9]
	v_div_scale_f64 v[14:15], s[6:7], v[12:13], v[12:13], 1.0
	v_rcp_f64_e32 v[16:17], v[14:15]
	v_fma_f64 v[18:19], -v[14:15], v[16:17], 1.0
	v_fma_f64 v[16:17], v[16:17], v[18:19], v[16:17]
	v_fma_f64 v[18:19], -v[14:15], v[16:17], 1.0
	v_fma_f64 v[16:17], v[16:17], v[18:19], v[16:17]
	v_div_scale_f64 v[18:19], vcc, 1.0, v[12:13], 1.0
	v_mul_f64 v[22:23], v[18:19], v[16:17]
	v_fma_f64 v[14:15], -v[14:15], v[22:23], v[18:19]
	s_nop 1
	v_div_fmas_f64 v[14:15], v[14:15], v[16:17], v[22:23]
	v_div_fixup_f64 v[12:13], v[14:15], v[12:13], 1.0
	v_add_f64 v[14:15], v[8:9], v[8:9]
	v_div_scale_f64 v[16:17], s[6:7], v[14:15], v[14:15], 1.0
	v_rcp_f64_e32 v[18:19], v[16:17]
	v_fma_f64 v[22:23], -v[16:17], v[18:19], 1.0
	v_fma_f64 v[18:19], v[18:19], v[22:23], v[18:19]
	v_fma_f64 v[22:23], -v[16:17], v[18:19], 1.0
	v_fma_f64 v[18:19], v[18:19], v[22:23], v[18:19]
	v_div_scale_f64 v[22:23], vcc, 1.0, v[14:15], 1.0
	v_mul_f64 v[28:29], v[22:23], v[18:19]
	v_fma_f64 v[16:17], -v[16:17], v[28:29], v[22:23]
	s_nop 1
	v_div_fmas_f64 v[16:17], v[16:17], v[18:19], v[28:29]
	v_div_fixup_f64 v[14:15], v[16:17], v[14:15], 1.0
	v_fma_f64 v[16:17], v[12:13], s[0:1], v[26:27]
	v_add_f64 v[14:15], v[14:15], 1.0
	v_fma_f64 v[16:17], -v[12:13], v[16:17], s[2:3]
	v_fma_f64 v[12:13], v[12:13], v[16:17], v[14:15]
	v_div_scale_f64 v[14:15], s[0:1], v[8:9], v[8:9], v[12:13]
	v_rcp_f64_e32 v[16:17], v[14:15]
	v_fma_f64 v[18:19], -v[14:15], v[16:17], 1.0
	v_fma_f64 v[16:17], v[16:17], v[18:19], v[16:17]
	v_fma_f64 v[18:19], -v[14:15], v[16:17], 1.0
	v_fma_f64 v[16:17], v[16:17], v[18:19], v[16:17]
	v_div_scale_f64 v[18:19], vcc, v[12:13], v[8:9], v[12:13]
	v_mul_f64 v[22:23], v[18:19], v[16:17]
	v_fma_f64 v[14:15], -v[14:15], v[22:23], v[18:19]
	s_nop 1
	v_div_fmas_f64 v[14:15], v[14:15], v[16:17], v[22:23]
	v_div_fixup_f64 v[8:9], v[14:15], v[8:9], v[12:13]
	v_add_f64 v[6:7], v[6:7], v[8:9]
	v_mul_f64 v[6:7], v[20:21], v[6:7]
	global_store_dwordx2 v0, v[4:5], s[4:5]
	global_store_dwordx2 v1, v[10:11], s[4:5]
	;; [unrolled: 1-line block ×4, first 2 shown]
	s_endpgm
.LBB47_97:
	v_mov_b32_e32 v0, 0
	v_mov_b32_e32 v2, 0
	s_branch .LBB47_103
.LBB47_98:
	v_mov_b32_e32 v0, 0
	v_mov_b32_e32 v2, 0
	s_branch .LBB47_125
.LBB47_99:
	s_mov_b32 s57, 0
	v_mov_b32_e32 v0, 0
	v_mov_b32_e32 v2, 0
	;; [unrolled: 1-line block ×3, first 2 shown]
.LBB47_100:
	s_and_b32 s4, s58, 3
	s_cmp_eq_u32 s4, 0
	s_cbranch_scc1 .LBB47_103
; %bb.101:
	s_lshl_b32 s0, s57, 3
	s_add_u32 s0, s34, s0
	s_addc_u32 s1, s35, 0
	s_add_u32 s0, s0, 0xc4
	s_addc_u32 s1, s1, 0
	s_mul_i32 s2, s57, 12
	s_add_u32 s2, s34, s2
	s_addc_u32 s3, s35, 0
.LBB47_102:                             ; =>This Inner Loop Header: Depth=1
	s_load_dwordx2 s[6:7], s[2:3], 0x4
	s_load_dword s5, s[2:3], 0xc
	s_load_dwordx2 s[8:9], s[0:1], 0x0
	s_add_u32 s2, s2, 12
	s_addc_u32 s3, s3, 0
	s_waitcnt lgkmcnt(0)
	v_mul_hi_u32 v3, s7, v1
	s_add_u32 s0, s0, 8
	s_addc_u32 s1, s1, 0
	s_add_i32 s4, s4, -1
	v_add_u32_e32 v3, v1, v3
	v_lshrrev_b32_e32 v4, s5, v3
	v_mul_lo_u32 v3, v4, s6
	s_cmp_lg_u32 s4, 0
	v_sub_u32_e32 v3, v1, v3
	v_mad_u64_u32 v[0:1], s[6:7], v3, s8, v[0:1]
	v_mad_u64_u32 v[2:3], s[6:7], v3, s9, v[2:3]
	v_mov_b32_e32 v1, v4
	s_cbranch_scc1 .LBB47_102
.LBB47_103:
	s_cbranch_execnz .LBB47_106
.LBB47_104:
	s_waitcnt lgkmcnt(0)
	v_mul_hi_u32 v0, s25, v19
	s_andn2_b64 vcc, exec, s[42:43]
	v_add_u32_e32 v0, v19, v0
	v_lshrrev_b32_e32 v1, s26, v0
	v_mul_lo_u32 v0, v1, s24
	v_sub_u32_e32 v2, v19, v0
	v_mul_lo_u32 v0, v2, s20
	v_mul_lo_u32 v2, v2, s21
	s_cbranch_vccnz .LBB47_106
; %bb.105:
	v_mul_hi_u32 v3, s40, v1
	v_add_u32_e32 v3, v1, v3
	v_lshrrev_b32_e32 v3, s41, v3
	v_mul_lo_u32 v3, v3, s27
	v_sub_u32_e32 v3, v1, v3
	v_mad_u64_u32 v[0:1], s[0:1], v3, s22, v[0:1]
	v_mad_u64_u32 v[2:3], s[0:1], v3, s23, v[2:3]
.LBB47_106:
	s_waitcnt lgkmcnt(0)
	global_load_dwordx2 v[1:2], v2, s[18:19]
	v_mov_b32_e32 v5, 0
	v_mov_b32_e32 v3, 0
	;; [unrolled: 1-line block ×4, first 2 shown]
	s_waitcnt vmcnt(0)
	v_cmp_gt_f64_e32 vcc, 0.5, v[1:2]
	s_and_saveexec_b64 s[2:3], vcc
	s_cbranch_execz .LBB47_112
; %bb.107:
	s_mov_b32 s5, 0x400921fb
	s_mov_b32 s4, 0x54442d18
	v_mul_f64 v[3:4], v[1:2], s[4:5]
	s_mov_b32 s0, 0
	s_mov_b32 s1, 0x41d00000
                                        ; implicit-def: $vgpr9
                                        ; implicit-def: $vgpr5_vgpr6
                                        ; implicit-def: $vgpr7_vgpr8
	v_cmp_nlt_f64_e64 s[0:1], |v[3:4]|, s[0:1]
	s_and_saveexec_b64 s[6:7], s[0:1]
	s_xor_b64 s[6:7], exec, s[6:7]
	s_cbranch_execz .LBB47_109
; %bb.108:
	v_trig_preop_f64 v[5:6], |v[3:4]|, 0
	s_mov_b32 s0, 0
	s_mov_b32 s1, 0x7b000000
	s_movk_i32 s5, 0xff80
	v_ldexp_f64 v[9:10], |v[3:4]|, s5
	v_cmp_ge_f64_e64 vcc, |v[3:4]|, s[0:1]
	v_trig_preop_f64 v[7:8], |v[3:4]|, 1
	v_and_b32_e32 v11, 0x7fffffff, v4
	v_trig_preop_f64 v[17:18], |v[3:4]|, 2
	s_mov_b32 s0, 0
	s_mov_b32 s1, 0x7ff00000
	v_mov_b32_e32 v29, 0x40100000
	v_mov_b32_e32 v28, 0
	v_cndmask_b32_e32 v10, v11, v10, vcc
	v_cndmask_b32_e32 v9, v3, v9, vcc
	s_mov_b32 s5, 0x3ff921fb
	v_mul_f64 v[11:12], v[5:6], v[9:10]
	v_mul_f64 v[13:14], v[7:8], v[9:10]
	;; [unrolled: 1-line block ×3, first 2 shown]
	v_fma_f64 v[5:6], v[5:6], v[9:10], -v[11:12]
	v_fma_f64 v[7:8], v[7:8], v[9:10], -v[13:14]
	;; [unrolled: 1-line block ×3, first 2 shown]
	v_add_f64 v[15:16], v[13:14], v[5:6]
	v_add_f64 v[20:21], v[15:16], -v[13:14]
	v_add_f64 v[26:27], v[11:12], v[15:16]
	v_add_f64 v[22:23], v[15:16], -v[20:21]
	v_add_f64 v[5:6], v[5:6], -v[20:21]
	v_add_f64 v[20:21], v[24:25], v[7:8]
	v_add_f64 v[11:12], v[26:27], -v[11:12]
	v_add_f64 v[13:14], v[13:14], -v[22:23]
	v_ldexp_f64 v[22:23], v[26:27], -2
	v_add_f64 v[30:31], v[20:21], -v[24:25]
	v_add_f64 v[11:12], v[15:16], -v[11:12]
	v_add_f64 v[5:6], v[5:6], v[13:14]
	v_fract_f64_e32 v[13:14], v[22:23]
	v_cmp_neq_f64_e64 vcc, |v[22:23]|, s[0:1]
	v_add_f64 v[7:8], v[7:8], -v[30:31]
	v_add_f64 v[15:16], v[20:21], v[5:6]
	v_ldexp_f64 v[13:14], v[13:14], 2
	v_add_f64 v[22:23], v[11:12], v[15:16]
	v_cndmask_b32_e32 v14, 0, v14, vcc
	v_cndmask_b32_e32 v13, 0, v13, vcc
	v_add_f64 v[32:33], v[15:16], -v[20:21]
	v_add_f64 v[26:27], v[22:23], v[13:14]
	v_add_f64 v[11:12], v[22:23], -v[11:12]
	v_add_f64 v[34:35], v[15:16], -v[32:33]
	;; [unrolled: 1-line block ×3, first 2 shown]
	v_cmp_gt_f64_e32 vcc, 0, v[26:27]
	v_add_f64 v[26:27], v[20:21], -v[30:31]
	v_add_f64 v[11:12], v[15:16], -v[11:12]
	;; [unrolled: 1-line block ×3, first 2 shown]
	v_cndmask_b32_e32 v29, 0, v29, vcc
	v_add_f64 v[13:14], v[13:14], v[28:29]
	v_add_f64 v[26:27], v[24:25], -v[26:27]
	v_add_f64 v[5:6], v[5:6], v[20:21]
	v_add_f64 v[36:37], v[22:23], v[13:14]
	;; [unrolled: 1-line block ×3, first 2 shown]
	v_cvt_i32_f64_e32 v31, v[36:37]
	v_add_f64 v[5:6], v[7:8], v[5:6]
	v_cvt_f64_i32_e32 v[29:30], v31
	v_add_f64 v[13:14], v[13:14], -v[29:30]
	v_add_f64 v[5:6], v[9:10], v[5:6]
	v_add_f64 v[7:8], v[22:23], v[13:14]
	;; [unrolled: 1-line block ×3, first 2 shown]
	v_mov_b32_e32 v12, 0x3ff00000
	v_add_f64 v[9:10], v[7:8], -v[13:14]
	v_cmp_le_f64_e32 vcc, 0.5, v[7:8]
	v_add_f64 v[10:11], v[22:23], -v[9:10]
	v_cndmask_b32_e32 v29, 0, v12, vcc
	v_add_f64 v[7:8], v[7:8], -v[28:29]
	v_addc_co_u32_e64 v9, s[0:1], 0, v31, vcc
	s_mov_b32 s0, 0x33145c07
	s_mov_b32 s1, 0x3c91a626
	v_add_f64 v[5:6], v[5:6], v[10:11]
	v_add_f64 v[10:11], v[7:8], v[5:6]
	v_mul_f64 v[12:13], v[10:11], s[4:5]
	v_add_f64 v[7:8], v[10:11], -v[7:8]
	v_fma_f64 v[14:15], v[10:11], s[4:5], -v[12:13]
	v_add_f64 v[5:6], v[5:6], -v[7:8]
	v_fma_f64 v[7:8], v[10:11], s[0:1], v[14:15]
	v_fma_f64 v[7:8], v[5:6], s[4:5], v[7:8]
	v_add_f64 v[5:6], v[12:13], v[7:8]
	v_add_f64 v[10:11], v[5:6], -v[12:13]
	v_add_f64 v[7:8], v[7:8], -v[10:11]
.LBB47_109:
	s_andn2_saveexec_b64 s[0:1], s[6:7]
	s_cbranch_execz .LBB47_111
; %bb.110:
	s_mov_b32 s4, 0x6dc9c883
	s_mov_b32 s5, 0x3fe45f30
	v_mul_f64 v[5:6], |v[3:4]|, s[4:5]
	s_mov_b32 s4, 0x54442d18
	s_mov_b32 s5, 0xbff921fb
	;; [unrolled: 1-line block ×4, first 2 shown]
	v_rndne_f64_e32 v[9:10], v[5:6]
	v_fma_f64 v[5:6], v[9:10], s[4:5], |v[3:4]|
	v_mul_f64 v[7:8], v[9:10], s[6:7]
	s_mov_b32 s4, 0x252049c0
	s_mov_b32 s5, 0xb97b839a
	v_fma_f64 v[15:16], v[9:10], s[6:7], v[5:6]
	v_add_f64 v[11:12], v[5:6], v[7:8]
	s_mov_b32 s7, 0x3c91a626
	v_add_f64 v[13:14], v[5:6], -v[11:12]
	v_add_f64 v[11:12], v[11:12], -v[15:16]
	v_add_f64 v[5:6], v[13:14], v[7:8]
	v_fma_f64 v[7:8], v[9:10], s[6:7], v[7:8]
	v_add_f64 v[5:6], v[11:12], v[5:6]
	v_add_f64 v[5:6], v[5:6], -v[7:8]
	v_fma_f64 v[7:8], v[9:10], s[4:5], v[5:6]
	v_cvt_i32_f64_e32 v9, v[9:10]
	v_add_f64 v[5:6], v[15:16], v[7:8]
	v_add_f64 v[11:12], v[5:6], -v[15:16]
	v_add_f64 v[7:8], v[7:8], -v[11:12]
.LBB47_111:
	s_or_b64 exec, exec, s[0:1]
	v_mul_f64 v[10:11], v[5:6], v[5:6]
	s_mov_b32 s0, 0xf9a43bb8
	v_mov_b32_e32 v13, 0xb42fdfa7
	v_mov_b32_e32 v14, 0xbe5ae600
	s_mov_b32 s1, 0x3de5e0b2
	s_mov_b32 s4, 0x796cde01
	v_mov_b32_e32 v12, 0x9037ab78
	s_mov_b32 s5, 0x3ec71de3
	v_fma_f64 v[14:15], v[10:11], s[0:1], v[13:14]
	s_mov_b32 s0, 0x46cc5e42
	v_mov_b32_e32 v13, 0x3e21eeb6
	s_mov_b32 s1, 0xbda907db
	v_fma_f64 v[12:13], v[10:11], s[0:1], v[12:13]
	v_mul_f64 v[16:17], v[10:11], 0.5
	s_mov_b32 s0, 0xa17f65f6
	s_mov_b32 s6, 0x19e83e5c
	v_fma_f64 v[14:15], v[10:11], v[14:15], s[4:5]
	s_mov_b32 s1, 0xbe927e4f
	s_mov_b32 s7, 0xbf2a01a0
	;; [unrolled: 1-line block ×3, first 2 shown]
	v_fma_f64 v[12:13], v[10:11], v[12:13], s[0:1]
	v_add_f64 v[20:21], -v[16:17], 1.0
	s_mov_b32 s0, 0x11110bb3
	s_mov_b32 s5, 0x3efa01a0
	v_fma_f64 v[14:15], v[10:11], v[14:15], s[6:7]
	s_mov_b32 s1, 0x3f811111
	v_mul_f64 v[22:23], v[7:8], 0.5
	v_mul_f64 v[24:25], v[5:6], -v[10:11]
	v_fma_f64 v[12:13], v[10:11], v[12:13], s[4:5]
	v_add_f64 v[26:27], -v[20:21], 1.0
	v_add_f64 v[1:2], -v[1:2], 1.0
	v_fma_f64 v[14:15], v[10:11], v[14:15], s[0:1]
	s_mov_b32 s0, 0x16c16967
	s_mov_b32 s1, 0xbf56c16c
	v_fma_f64 v[12:13], v[10:11], v[12:13], s[0:1]
	v_add_f64 v[16:17], v[26:27], -v[16:17]
	s_mov_b32 s1, 0x3fa55555
	s_mov_b32 s0, 0x55555555
	v_fma_f64 v[14:15], v[24:25], v[14:15], v[22:23]
	v_mul_f64 v[22:23], v[10:11], v[10:11]
	v_fma_f64 v[12:13], v[10:11], v[12:13], s[0:1]
	v_fma_f64 v[16:17], v[5:6], -v[7:8], v[16:17]
	s_mov_b32 s1, 0xbfc55555
	v_fma_f64 v[7:8], v[10:11], v[14:15], -v[7:8]
	v_fma_f64 v[10:11], v[22:23], v[12:13], v[16:17]
	v_fma_f64 v[7:8], v[24:25], s[0:1], v[7:8]
	s_movk_i32 s0, 0x1f8
	v_cmp_class_f64_e64 s[0:1], v[3:4], s0
	v_lshlrev_b32_e32 v3, 30, v9
	v_xor_b32_e32 v3, v3, v4
	v_add_f64 v[10:11], v[20:21], v[10:11]
	v_and_b32_e32 v3, 0x80000000, v3
	v_add_f64 v[5:6], v[5:6], -v[7:8]
	v_and_b32_e32 v7, 1, v9
	v_cmp_eq_u32_e32 vcc, 0, v7
	v_mov_b32_e32 v7, 0x7ff80000
	v_cndmask_b32_e32 v4, v11, v6, vcc
	v_cndmask_b32_e32 v5, v10, v5, vcc
	v_xor_b32_e32 v4, v4, v3
	v_cndmask_b32_e64 v3, 0, v5, s[0:1]
	v_cndmask_b32_e64 v4, v7, v4, s[0:1]
	v_mul_f64 v[3:4], v[3:4], v[3:4]
	s_mov_b32 s0, 0xc9be45de
	s_mov_b32 s1, 0xc023bd3c
	v_div_scale_f64 v[5:6], s[4:5], v[3:4], v[3:4], s[0:1]
	v_rcp_f64_e32 v[7:8], v[5:6]
	v_fma_f64 v[9:10], -v[5:6], v[7:8], 1.0
	v_fma_f64 v[7:8], v[7:8], v[9:10], v[7:8]
	v_div_scale_f64 v[9:10], vcc, s[0:1], v[3:4], s[0:1]
	v_fma_f64 v[11:12], -v[5:6], v[7:8], 1.0
	v_fma_f64 v[7:8], v[7:8], v[11:12], v[7:8]
	v_mul_f64 v[11:12], v[9:10], v[7:8]
	v_fma_f64 v[5:6], -v[5:6], v[11:12], v[9:10]
	v_div_fmas_f64 v[5:6], v[5:6], v[7:8], v[11:12]
	v_div_fixup_f64 v[3:4], v[5:6], v[3:4], s[0:1]
	v_add_f64 v[5:6], v[3:4], 0
	v_mov_b32_e32 v3, 0
	v_mov_b32_e32 v4, 0xbff00000
.LBB47_112:
	s_or_b64 exec, exec, s[2:3]
	v_mul_f64 v[7:8], v[1:2], v[1:2]
	v_add_f64 v[9:10], v[1:2], 1.0
	v_add_u32_e32 v19, 0x80, v19
	v_div_scale_f64 v[20:21], s[0:1], v[7:8], v[7:8], 1.0
	v_mul_f64 v[1:2], v[9:10], v[9:10]
	v_add_f64 v[11:12], v[9:10], 1.0
	v_div_scale_f64 v[34:35], vcc, 1.0, v[7:8], 1.0
	v_div_scale_f64 v[22:23], s[0:1], v[1:2], v[1:2], 1.0
	v_mul_f64 v[9:10], v[11:12], v[11:12]
	v_add_f64 v[13:14], v[11:12], 1.0
	v_rcp_f64_e32 v[15:16], v[20:21]
	v_div_scale_f64 v[24:25], s[0:1], v[9:10], v[9:10], 1.0
	v_mul_f64 v[11:12], v[13:14], v[13:14]
	v_add_f64 v[26:27], v[13:14], 1.0
	v_div_scale_f64 v[46:47], s[2:3], 1.0, v[9:10], 1.0
	v_rcp_f64_e32 v[17:18], v[22:23]
	v_div_scale_f64 v[28:29], s[0:1], v[11:12], v[11:12], 1.0
	v_fma_f64 v[30:31], -v[20:21], v[15:16], 1.0
	v_mul_f64 v[13:14], v[26:27], v[26:27]
	v_add_f64 v[26:27], v[26:27], 1.0
	v_rcp_f64_e32 v[32:33], v[24:25]
	v_fma_f64 v[30:31], v[15:16], v[30:31], v[15:16]
	v_div_scale_f64 v[36:37], s[0:1], v[13:14], v[13:14], 1.0
	v_fma_f64 v[15:16], -v[22:23], v[17:18], 1.0
	v_div_scale_f64 v[44:45], s[0:1], 1.0, v[1:2], 1.0
	v_rcp_f64_e32 v[38:39], v[28:29]
	v_fma_f64 v[40:41], -v[20:21], v[30:31], 1.0
	v_fma_f64 v[42:43], v[17:18], v[15:16], v[17:18]
	v_fma_f64 v[17:18], -v[24:25], v[32:33], 1.0
	v_add_f64 v[15:16], v[26:27], 1.0
	v_fma_f64 v[30:31], v[30:31], v[40:41], v[30:31]
	v_rcp_f64_e32 v[50:51], v[36:37]
	v_fma_f64 v[40:41], -v[22:23], v[42:43], 1.0
	v_fma_f64 v[32:33], v[32:33], v[17:18], v[32:33]
	v_mul_f64 v[17:18], v[26:27], v[26:27]
	v_mul_f64 v[26:27], v[15:16], v[15:16]
	v_fma_f64 v[48:49], -v[28:29], v[38:39], 1.0
	v_mul_f64 v[52:53], v[34:35], v[30:31]
	v_add_f64 v[56:57], v[15:16], v[15:16]
	v_fma_f64 v[40:41], v[42:43], v[40:41], v[42:43]
	v_fma_f64 v[42:43], -v[24:25], v[32:33], 1.0
	v_div_scale_f64 v[54:55], s[4:5], v[17:18], v[17:18], 1.0
	v_fma_f64 v[38:39], v[38:39], v[48:49], v[38:39]
	v_div_scale_f64 v[48:49], s[4:5], v[26:27], v[26:27], 1.0
	v_fma_f64 v[20:21], -v[20:21], v[52:53], v[34:35]
	v_mul_f64 v[34:35], v[44:45], v[40:41]
	v_fma_f64 v[32:33], v[32:33], v[42:43], v[32:33]
	v_div_scale_f64 v[42:43], s[4:5], v[56:57], v[56:57], 1.0
	v_div_fmas_f64 v[20:21], v[20:21], v[30:31], v[52:53]
	v_fma_f64 v[30:31], -v[36:37], v[50:51], 1.0
	v_fma_f64 v[22:23], -v[22:23], v[34:35], v[44:45]
	v_mul_f64 v[44:45], v[46:47], v[32:33]
	v_rcp_f64_e32 v[52:53], v[54:55]
	s_mov_b64 vcc, s[0:1]
	v_fma_f64 v[30:31], v[50:51], v[30:31], v[50:51]
	v_rcp_f64_e32 v[50:51], v[48:49]
	v_fma_f64 v[24:25], -v[24:25], v[44:45], v[46:47]
	v_rcp_f64_e32 v[46:47], v[42:43]
	v_div_fmas_f64 v[22:23], v[22:23], v[40:41], v[34:35]
	s_mov_b64 vcc, s[2:3]
	v_div_scale_f64 v[34:35], s[0:1], 1.0, v[11:12], 1.0
	v_fma_f64 v[40:41], -v[28:29], v[38:39], 1.0
	v_div_fixup_f64 v[7:8], v[20:21], v[7:8], 1.0
	v_div_fmas_f64 v[24:25], v[24:25], v[32:33], v[44:45]
	v_fma_f64 v[32:33], -v[54:55], v[52:53], 1.0
	v_fma_f64 v[44:45], -v[36:37], v[30:31], 1.0
	s_mov_b64 vcc, s[0:1]
	v_fma_f64 v[38:39], v[38:39], v[40:41], v[38:39]
	v_fma_f64 v[40:41], -v[48:49], v[50:51], 1.0
	v_add_f64 v[5:6], v[5:6], v[7:8]
	v_fma_f64 v[32:33], v[52:53], v[32:33], v[52:53]
	v_fma_f64 v[52:53], -v[42:43], v[46:47], 1.0
	v_fma_f64 v[30:31], v[30:31], v[44:45], v[30:31]
	v_div_scale_f64 v[44:45], s[2:3], 1.0, v[13:14], 1.0
	v_div_fixup_f64 v[1:2], v[22:23], v[1:2], 1.0
	v_fma_f64 v[40:41], v[50:51], v[40:41], v[50:51]
	v_mul_f64 v[50:51], v[34:35], v[38:39]
	v_fma_f64 v[46:47], v[46:47], v[52:53], v[46:47]
	v_fma_f64 v[52:53], -v[54:55], v[32:33], 1.0
	v_add_f64 v[1:2], v[5:6], v[1:2]
	v_div_fixup_f64 v[5:6], v[24:25], v[9:10], 1.0
	v_fma_f64 v[28:29], -v[28:29], v[50:51], v[34:35]
	v_div_scale_f64 v[34:35], s[4:5], 1.0, v[17:18], 1.0
	v_fma_f64 v[32:33], v[32:33], v[52:53], v[32:33]
	v_mul_f64 v[52:53], v[44:45], v[30:31]
	v_add_f64 v[1:2], v[1:2], v[5:6]
	v_div_fmas_f64 v[28:29], v[28:29], v[38:39], v[50:51]
	v_fma_f64 v[38:39], -v[48:49], v[40:41], 1.0
	v_fma_f64 v[50:51], -v[42:43], v[46:47], 1.0
	s_mov_b64 vcc, s[2:3]
	v_fma_f64 v[36:37], -v[36:37], v[52:53], v[44:45]
	v_div_scale_f64 v[44:45], s[0:1], 1.0, v[26:27], 1.0
	v_fma_f64 v[38:39], v[40:41], v[38:39], v[40:41]
	v_mul_f64 v[40:41], v[34:35], v[32:33]
	v_fma_f64 v[46:47], v[46:47], v[50:51], v[46:47]
	v_div_scale_f64 v[50:51], s[6:7], 1.0, v[56:57], 1.0
	v_div_fmas_f64 v[30:31], v[36:37], v[30:31], v[52:53]
	s_mov_b64 vcc, s[4:5]
	v_div_fixup_f64 v[5:6], v[28:29], v[11:12], 1.0
	v_fma_f64 v[34:35], -v[54:55], v[40:41], v[34:35]
	v_mul_f64 v[54:55], v[44:45], v[38:39]
	v_add_f64 v[1:2], v[1:2], v[5:6]
	v_div_fmas_f64 v[32:33], v[34:35], v[32:33], v[40:41]
	s_mov_b64 vcc, s[0:1]
	s_mov_b32 s0, 0x18618618
	v_fma_f64 v[44:45], -v[48:49], v[54:55], v[44:45]
	v_mul_f64 v[48:49], v[50:51], v[46:47]
	s_mov_b32 s1, 0xbf986186
	v_div_fixup_f64 v[5:6], v[30:31], v[13:14], 1.0
	v_div_fmas_f64 v[36:37], v[44:45], v[38:39], v[54:55]
	v_fma_f64 v[34:35], -v[42:43], v[48:49], v[50:51]
	s_mov_b64 vcc, s[6:7]
	v_add_f64 v[1:2], v[1:2], v[5:6]
	v_div_fixup_f64 v[5:6], v[32:33], v[17:18], 1.0
	v_div_fmas_f64 v[34:35], v[34:35], v[46:47], v[48:49]
	v_add_f64 v[1:2], v[1:2], v[5:6]
	v_div_fixup_f64 v[26:27], v[36:37], v[26:27], 1.0
	v_mov_b32_e32 v36, 0x11111111
	v_mov_b32_e32 v37, 0x3fa11111
	v_fma_f64 v[36:37], v[26:27], s[0:1], v[36:37]
	v_div_fixup_f64 v[34:35], v[34:35], v[56:57], 1.0
	s_mov_b32 s0, 0x55555555
	s_mov_b32 s1, 0x3fc55555
	v_fma_f64 v[36:37], -v[26:27], v[36:37], s[0:1]
	v_add_f64 v[34:35], v[34:35], 1.0
	v_fma_f64 v[26:27], v[26:27], v[36:37], v[34:35]
	v_div_scale_f64 v[34:35], s[0:1], v[15:16], v[15:16], v[26:27]
	v_div_scale_f64 v[20:21], vcc, v[26:27], v[15:16], v[26:27]
	v_rcp_f64_e32 v[36:37], v[34:35]
	v_fma_f64 v[38:39], -v[34:35], v[36:37], 1.0
	v_fma_f64 v[36:37], v[36:37], v[38:39], v[36:37]
	v_fma_f64 v[38:39], -v[34:35], v[36:37], 1.0
	v_fma_f64 v[7:8], v[36:37], v[38:39], v[36:37]
	v_mul_f64 v[9:10], v[20:21], v[7:8]
	v_fma_f64 v[11:12], -v[34:35], v[9:10], v[20:21]
	v_div_fmas_f64 v[7:8], v[11:12], v[7:8], v[9:10]
	v_div_fixup_f64 v[5:6], v[7:8], v[15:16], v[26:27]
	v_add_f64 v[1:2], v[1:2], v[5:6]
	v_mul_f64 v[1:2], v[3:4], v[1:2]
	global_store_dwordx2 v0, v[1:2], s[16:17]
	s_or_b64 exec, exec, s[48:49]
	v_cmp_gt_i32_e32 vcc, s55, v19
	s_and_saveexec_b64 s[48:49], vcc
	s_cbranch_execnz .LBB47_15
.LBB47_113:
	s_or_b64 exec, exec, s[48:49]
	v_cmp_gt_i32_e32 vcc, s55, v19
	s_and_saveexec_b64 s[48:49], vcc
	s_cbranch_execz .LBB47_135
.LBB47_114:
	s_andn2_b64 vcc, exec, s[36:37]
	s_cbranch_vccnz .LBB47_119
; %bb.115:
	s_andn2_b64 vcc, exec, s[46:47]
	s_cbranch_vccnz .LBB47_120
; %bb.116:
	s_add_i32 s58, s56, 1
	s_cmp_eq_u32 s54, 2
	s_cbranch_scc1 .LBB47_138
; %bb.117:
	s_and_b32 s57, s58, 28
	v_mov_b32_e32 v2, 0
	s_mov_b32 s59, 0
	s_mov_b64 s[50:51], s[34:35]
	s_mov_b64 s[52:53], s[44:45]
	v_mov_b32_e32 v0, 0
	v_mov_b32_e32 v1, v19
.LBB47_118:                             ; =>This Inner Loop Header: Depth=1
	s_load_dwordx8 s[8:15], s[50:51], 0x4
	s_load_dwordx4 s[28:31], s[50:51], 0x24
	s_load_dwordx8 s[0:7], s[52:53], 0x0
	s_add_u32 s50, s50, 48
	s_addc_u32 s51, s51, 0
	s_waitcnt lgkmcnt(0)
	v_mul_hi_u32 v3, s9, v1
	s_add_i32 s59, s59, 4
	s_add_u32 s52, s52, 32
	s_addc_u32 s53, s53, 0
	v_add_u32_e32 v3, v1, v3
	v_lshrrev_b32_e32 v3, s10, v3
	v_mul_lo_u32 v4, v3, s8
	v_mul_hi_u32 v5, s12, v3
	s_cmp_eq_u32 s57, s59
	v_sub_u32_e32 v1, v1, v4
	v_add_u32_e32 v4, v3, v5
	v_mul_lo_u32 v5, v1, s0
	v_mul_lo_u32 v6, v1, s1
	v_lshrrev_b32_e32 v1, s13, v4
	v_mul_lo_u32 v4, v1, s11
	v_mul_hi_u32 v7, s15, v1
	v_sub_u32_e32 v3, v3, v4
	v_add_u32_e32 v4, v1, v7
	v_lshrrev_b32_e32 v4, s28, v4
	v_mul_hi_u32 v8, s30, v4
	v_mul_lo_u32 v9, v4, s14
	v_mul_lo_u32 v7, v3, s2
	;; [unrolled: 1-line block ×3, first 2 shown]
	v_sub_u32_e32 v9, v1, v9
	v_add_u32_e32 v1, v4, v8
	v_lshrrev_b32_e32 v1, s31, v1
	v_mul_lo_u32 v8, v1, s29
	v_mul_lo_u32 v10, v9, s4
	;; [unrolled: 1-line block ×3, first 2 shown]
	v_add3_u32 v0, v5, v0, v7
	v_sub_u32_e32 v4, v4, v8
	v_mul_lo_u32 v8, v4, s6
	v_mul_lo_u32 v4, v4, s7
	v_add3_u32 v2, v6, v2, v3
	v_add3_u32 v0, v10, v0, v8
	;; [unrolled: 1-line block ×3, first 2 shown]
	s_cbranch_scc0 .LBB47_118
	s_branch .LBB47_139
.LBB47_119:
                                        ; implicit-def: $vgpr0
                                        ; implicit-def: $vgpr2
	s_branch .LBB47_143
.LBB47_120:
	v_mov_b32_e32 v0, 0
	v_mov_b32_e32 v2, 0
	s_branch .LBB47_142
.LBB47_121:
	s_mov_b32 s57, 0
	v_mov_b32_e32 v0, 0
	v_mov_b32_e32 v2, 0
	;; [unrolled: 1-line block ×3, first 2 shown]
.LBB47_122:
	s_and_b32 s4, s58, 3
	s_cmp_eq_u32 s4, 0
	s_cbranch_scc1 .LBB47_125
; %bb.123:
	s_lshl_b32 s0, s57, 3
	s_add_u32 s0, s34, s0
	s_addc_u32 s1, s35, 0
	s_add_u32 s0, s0, 0xc4
	s_addc_u32 s1, s1, 0
	s_mul_i32 s2, s57, 12
	s_add_u32 s2, s34, s2
	s_addc_u32 s3, s35, 0
.LBB47_124:                             ; =>This Inner Loop Header: Depth=1
	s_load_dwordx2 s[6:7], s[2:3], 0x4
	s_load_dword s5, s[2:3], 0xc
	s_load_dwordx2 s[8:9], s[0:1], 0x0
	s_add_u32 s2, s2, 12
	s_addc_u32 s3, s3, 0
	s_waitcnt lgkmcnt(0)
	v_mul_hi_u32 v3, s7, v1
	s_add_u32 s0, s0, 8
	s_addc_u32 s1, s1, 0
	s_add_i32 s4, s4, -1
	v_add_u32_e32 v3, v1, v3
	v_lshrrev_b32_e32 v4, s5, v3
	v_mul_lo_u32 v3, v4, s6
	s_cmp_lg_u32 s4, 0
	v_sub_u32_e32 v3, v1, v3
	v_mad_u64_u32 v[0:1], s[6:7], v3, s8, v[0:1]
	v_mad_u64_u32 v[2:3], s[6:7], v3, s9, v[2:3]
	v_mov_b32_e32 v1, v4
	s_cbranch_scc1 .LBB47_124
.LBB47_125:
	s_cbranch_execnz .LBB47_128
.LBB47_126:
	s_waitcnt lgkmcnt(0)
	v_mul_hi_u32 v0, s25, v19
	s_andn2_b64 vcc, exec, s[42:43]
	v_add_u32_e32 v0, v19, v0
	v_lshrrev_b32_e32 v1, s26, v0
	v_mul_lo_u32 v0, v1, s24
	v_sub_u32_e32 v2, v19, v0
	v_mul_lo_u32 v0, v2, s20
	v_mul_lo_u32 v2, v2, s21
	s_cbranch_vccnz .LBB47_128
; %bb.127:
	v_mul_hi_u32 v3, s40, v1
	v_add_u32_e32 v3, v1, v3
	v_lshrrev_b32_e32 v3, s41, v3
	v_mul_lo_u32 v3, v3, s27
	v_sub_u32_e32 v3, v1, v3
	v_mad_u64_u32 v[0:1], s[0:1], v3, s22, v[0:1]
	v_mad_u64_u32 v[2:3], s[0:1], v3, s23, v[2:3]
.LBB47_128:
	s_waitcnt lgkmcnt(0)
	global_load_dwordx2 v[1:2], v2, s[18:19]
	v_mov_b32_e32 v5, 0
	v_mov_b32_e32 v3, 0
	;; [unrolled: 1-line block ×4, first 2 shown]
	s_waitcnt vmcnt(0)
	v_cmp_gt_f64_e32 vcc, 0.5, v[1:2]
	s_and_saveexec_b64 s[2:3], vcc
	s_cbranch_execz .LBB47_134
; %bb.129:
	s_mov_b32 s5, 0x400921fb
	s_mov_b32 s4, 0x54442d18
	v_mul_f64 v[3:4], v[1:2], s[4:5]
	s_mov_b32 s0, 0
	s_mov_b32 s1, 0x41d00000
                                        ; implicit-def: $vgpr9
                                        ; implicit-def: $vgpr5_vgpr6
                                        ; implicit-def: $vgpr7_vgpr8
	v_cmp_nlt_f64_e64 s[0:1], |v[3:4]|, s[0:1]
	s_and_saveexec_b64 s[6:7], s[0:1]
	s_xor_b64 s[6:7], exec, s[6:7]
	s_cbranch_execz .LBB47_131
; %bb.130:
	v_trig_preop_f64 v[5:6], |v[3:4]|, 0
	s_mov_b32 s0, 0
	s_mov_b32 s1, 0x7b000000
	s_movk_i32 s5, 0xff80
	v_ldexp_f64 v[9:10], |v[3:4]|, s5
	v_cmp_ge_f64_e64 vcc, |v[3:4]|, s[0:1]
	v_trig_preop_f64 v[7:8], |v[3:4]|, 1
	v_and_b32_e32 v11, 0x7fffffff, v4
	v_trig_preop_f64 v[17:18], |v[3:4]|, 2
	s_mov_b32 s0, 0
	s_mov_b32 s1, 0x7ff00000
	v_mov_b32_e32 v29, 0x40100000
	v_mov_b32_e32 v28, 0
	v_cndmask_b32_e32 v10, v11, v10, vcc
	v_cndmask_b32_e32 v9, v3, v9, vcc
	s_mov_b32 s5, 0x3ff921fb
	v_mul_f64 v[11:12], v[5:6], v[9:10]
	v_mul_f64 v[13:14], v[7:8], v[9:10]
	;; [unrolled: 1-line block ×3, first 2 shown]
	v_fma_f64 v[5:6], v[5:6], v[9:10], -v[11:12]
	v_fma_f64 v[7:8], v[7:8], v[9:10], -v[13:14]
	v_fma_f64 v[9:10], v[17:18], v[9:10], -v[24:25]
	v_add_f64 v[15:16], v[13:14], v[5:6]
	v_add_f64 v[20:21], v[15:16], -v[13:14]
	v_add_f64 v[26:27], v[11:12], v[15:16]
	v_add_f64 v[22:23], v[15:16], -v[20:21]
	v_add_f64 v[5:6], v[5:6], -v[20:21]
	v_add_f64 v[20:21], v[24:25], v[7:8]
	v_add_f64 v[11:12], v[26:27], -v[11:12]
	v_add_f64 v[13:14], v[13:14], -v[22:23]
	v_ldexp_f64 v[22:23], v[26:27], -2
	v_add_f64 v[30:31], v[20:21], -v[24:25]
	v_add_f64 v[11:12], v[15:16], -v[11:12]
	v_add_f64 v[5:6], v[5:6], v[13:14]
	v_fract_f64_e32 v[13:14], v[22:23]
	v_cmp_neq_f64_e64 vcc, |v[22:23]|, s[0:1]
	v_add_f64 v[7:8], v[7:8], -v[30:31]
	v_add_f64 v[15:16], v[20:21], v[5:6]
	v_ldexp_f64 v[13:14], v[13:14], 2
	v_add_f64 v[22:23], v[11:12], v[15:16]
	v_cndmask_b32_e32 v14, 0, v14, vcc
	v_cndmask_b32_e32 v13, 0, v13, vcc
	v_add_f64 v[32:33], v[15:16], -v[20:21]
	v_add_f64 v[26:27], v[22:23], v[13:14]
	v_add_f64 v[11:12], v[22:23], -v[11:12]
	v_add_f64 v[34:35], v[15:16], -v[32:33]
	;; [unrolled: 1-line block ×3, first 2 shown]
	v_cmp_gt_f64_e32 vcc, 0, v[26:27]
	v_add_f64 v[26:27], v[20:21], -v[30:31]
	v_add_f64 v[11:12], v[15:16], -v[11:12]
	;; [unrolled: 1-line block ×3, first 2 shown]
	v_cndmask_b32_e32 v29, 0, v29, vcc
	v_add_f64 v[13:14], v[13:14], v[28:29]
	v_add_f64 v[26:27], v[24:25], -v[26:27]
	v_add_f64 v[5:6], v[5:6], v[20:21]
	v_add_f64 v[36:37], v[22:23], v[13:14]
	;; [unrolled: 1-line block ×3, first 2 shown]
	v_cvt_i32_f64_e32 v31, v[36:37]
	v_add_f64 v[5:6], v[7:8], v[5:6]
	v_cvt_f64_i32_e32 v[29:30], v31
	v_add_f64 v[13:14], v[13:14], -v[29:30]
	v_add_f64 v[5:6], v[9:10], v[5:6]
	v_add_f64 v[7:8], v[22:23], v[13:14]
	;; [unrolled: 1-line block ×3, first 2 shown]
	v_mov_b32_e32 v12, 0x3ff00000
	v_add_f64 v[9:10], v[7:8], -v[13:14]
	v_cmp_le_f64_e32 vcc, 0.5, v[7:8]
	v_add_f64 v[10:11], v[22:23], -v[9:10]
	v_cndmask_b32_e32 v29, 0, v12, vcc
	v_add_f64 v[7:8], v[7:8], -v[28:29]
	v_addc_co_u32_e64 v9, s[0:1], 0, v31, vcc
	s_mov_b32 s0, 0x33145c07
	s_mov_b32 s1, 0x3c91a626
	v_add_f64 v[5:6], v[5:6], v[10:11]
	v_add_f64 v[10:11], v[7:8], v[5:6]
	v_mul_f64 v[12:13], v[10:11], s[4:5]
	v_add_f64 v[7:8], v[10:11], -v[7:8]
	v_fma_f64 v[14:15], v[10:11], s[4:5], -v[12:13]
	v_add_f64 v[5:6], v[5:6], -v[7:8]
	v_fma_f64 v[7:8], v[10:11], s[0:1], v[14:15]
	v_fma_f64 v[7:8], v[5:6], s[4:5], v[7:8]
	v_add_f64 v[5:6], v[12:13], v[7:8]
	v_add_f64 v[10:11], v[5:6], -v[12:13]
	v_add_f64 v[7:8], v[7:8], -v[10:11]
.LBB47_131:
	s_andn2_saveexec_b64 s[0:1], s[6:7]
	s_cbranch_execz .LBB47_133
; %bb.132:
	s_mov_b32 s4, 0x6dc9c883
	s_mov_b32 s5, 0x3fe45f30
	v_mul_f64 v[5:6], |v[3:4]|, s[4:5]
	s_mov_b32 s4, 0x54442d18
	s_mov_b32 s5, 0xbff921fb
	;; [unrolled: 1-line block ×4, first 2 shown]
	v_rndne_f64_e32 v[9:10], v[5:6]
	v_fma_f64 v[5:6], v[9:10], s[4:5], |v[3:4]|
	v_mul_f64 v[7:8], v[9:10], s[6:7]
	s_mov_b32 s4, 0x252049c0
	s_mov_b32 s5, 0xb97b839a
	v_fma_f64 v[15:16], v[9:10], s[6:7], v[5:6]
	v_add_f64 v[11:12], v[5:6], v[7:8]
	s_mov_b32 s7, 0x3c91a626
	v_add_f64 v[13:14], v[5:6], -v[11:12]
	v_add_f64 v[11:12], v[11:12], -v[15:16]
	v_add_f64 v[5:6], v[13:14], v[7:8]
	v_fma_f64 v[7:8], v[9:10], s[6:7], v[7:8]
	v_add_f64 v[5:6], v[11:12], v[5:6]
	v_add_f64 v[5:6], v[5:6], -v[7:8]
	v_fma_f64 v[7:8], v[9:10], s[4:5], v[5:6]
	v_cvt_i32_f64_e32 v9, v[9:10]
	v_add_f64 v[5:6], v[15:16], v[7:8]
	v_add_f64 v[11:12], v[5:6], -v[15:16]
	v_add_f64 v[7:8], v[7:8], -v[11:12]
.LBB47_133:
	s_or_b64 exec, exec, s[0:1]
	v_mul_f64 v[10:11], v[5:6], v[5:6]
	s_mov_b32 s0, 0xf9a43bb8
	v_mov_b32_e32 v13, 0xb42fdfa7
	v_mov_b32_e32 v14, 0xbe5ae600
	s_mov_b32 s1, 0x3de5e0b2
	s_mov_b32 s4, 0x796cde01
	v_mov_b32_e32 v12, 0x9037ab78
	s_mov_b32 s5, 0x3ec71de3
	v_fma_f64 v[14:15], v[10:11], s[0:1], v[13:14]
	s_mov_b32 s0, 0x46cc5e42
	v_mov_b32_e32 v13, 0x3e21eeb6
	s_mov_b32 s1, 0xbda907db
	v_fma_f64 v[12:13], v[10:11], s[0:1], v[12:13]
	v_mul_f64 v[16:17], v[10:11], 0.5
	s_mov_b32 s0, 0xa17f65f6
	s_mov_b32 s6, 0x19e83e5c
	v_fma_f64 v[14:15], v[10:11], v[14:15], s[4:5]
	s_mov_b32 s1, 0xbe927e4f
	s_mov_b32 s7, 0xbf2a01a0
	;; [unrolled: 1-line block ×3, first 2 shown]
	v_fma_f64 v[12:13], v[10:11], v[12:13], s[0:1]
	v_add_f64 v[20:21], -v[16:17], 1.0
	s_mov_b32 s0, 0x11110bb3
	s_mov_b32 s5, 0x3efa01a0
	v_fma_f64 v[14:15], v[10:11], v[14:15], s[6:7]
	s_mov_b32 s1, 0x3f811111
	v_mul_f64 v[22:23], v[7:8], 0.5
	v_mul_f64 v[24:25], v[5:6], -v[10:11]
	v_fma_f64 v[12:13], v[10:11], v[12:13], s[4:5]
	v_add_f64 v[26:27], -v[20:21], 1.0
	v_add_f64 v[1:2], -v[1:2], 1.0
	v_fma_f64 v[14:15], v[10:11], v[14:15], s[0:1]
	s_mov_b32 s0, 0x16c16967
	s_mov_b32 s1, 0xbf56c16c
	v_fma_f64 v[12:13], v[10:11], v[12:13], s[0:1]
	v_add_f64 v[16:17], v[26:27], -v[16:17]
	s_mov_b32 s1, 0x3fa55555
	s_mov_b32 s0, 0x55555555
	v_fma_f64 v[14:15], v[24:25], v[14:15], v[22:23]
	v_mul_f64 v[22:23], v[10:11], v[10:11]
	v_fma_f64 v[12:13], v[10:11], v[12:13], s[0:1]
	v_fma_f64 v[16:17], v[5:6], -v[7:8], v[16:17]
	s_mov_b32 s1, 0xbfc55555
	v_fma_f64 v[7:8], v[10:11], v[14:15], -v[7:8]
	v_fma_f64 v[10:11], v[22:23], v[12:13], v[16:17]
	v_fma_f64 v[7:8], v[24:25], s[0:1], v[7:8]
	s_movk_i32 s0, 0x1f8
	v_cmp_class_f64_e64 s[0:1], v[3:4], s0
	v_lshlrev_b32_e32 v3, 30, v9
	v_xor_b32_e32 v3, v3, v4
	v_add_f64 v[10:11], v[20:21], v[10:11]
	v_and_b32_e32 v3, 0x80000000, v3
	v_add_f64 v[5:6], v[5:6], -v[7:8]
	v_and_b32_e32 v7, 1, v9
	v_cmp_eq_u32_e32 vcc, 0, v7
	v_mov_b32_e32 v7, 0x7ff80000
	v_cndmask_b32_e32 v4, v11, v6, vcc
	v_cndmask_b32_e32 v5, v10, v5, vcc
	v_xor_b32_e32 v4, v4, v3
	v_cndmask_b32_e64 v3, 0, v5, s[0:1]
	v_cndmask_b32_e64 v4, v7, v4, s[0:1]
	v_mul_f64 v[3:4], v[3:4], v[3:4]
	s_mov_b32 s0, 0xc9be45de
	s_mov_b32 s1, 0xc023bd3c
	v_div_scale_f64 v[5:6], s[4:5], v[3:4], v[3:4], s[0:1]
	v_rcp_f64_e32 v[7:8], v[5:6]
	v_fma_f64 v[9:10], -v[5:6], v[7:8], 1.0
	v_fma_f64 v[7:8], v[7:8], v[9:10], v[7:8]
	v_div_scale_f64 v[9:10], vcc, s[0:1], v[3:4], s[0:1]
	v_fma_f64 v[11:12], -v[5:6], v[7:8], 1.0
	v_fma_f64 v[7:8], v[7:8], v[11:12], v[7:8]
	v_mul_f64 v[11:12], v[9:10], v[7:8]
	v_fma_f64 v[5:6], -v[5:6], v[11:12], v[9:10]
	v_div_fmas_f64 v[5:6], v[5:6], v[7:8], v[11:12]
	v_div_fixup_f64 v[3:4], v[5:6], v[3:4], s[0:1]
	v_add_f64 v[5:6], v[3:4], 0
	v_mov_b32_e32 v3, 0
	v_mov_b32_e32 v4, 0xbff00000
.LBB47_134:
	s_or_b64 exec, exec, s[2:3]
	v_mul_f64 v[7:8], v[1:2], v[1:2]
	v_add_f64 v[9:10], v[1:2], 1.0
	v_add_u32_e32 v19, 0x80, v19
	v_div_scale_f64 v[20:21], s[0:1], v[7:8], v[7:8], 1.0
	v_mul_f64 v[1:2], v[9:10], v[9:10]
	v_add_f64 v[11:12], v[9:10], 1.0
	v_div_scale_f64 v[34:35], vcc, 1.0, v[7:8], 1.0
	v_div_scale_f64 v[22:23], s[0:1], v[1:2], v[1:2], 1.0
	v_mul_f64 v[9:10], v[11:12], v[11:12]
	v_add_f64 v[13:14], v[11:12], 1.0
	v_rcp_f64_e32 v[15:16], v[20:21]
	v_div_scale_f64 v[24:25], s[0:1], v[9:10], v[9:10], 1.0
	v_mul_f64 v[11:12], v[13:14], v[13:14]
	v_add_f64 v[26:27], v[13:14], 1.0
	v_div_scale_f64 v[46:47], s[2:3], 1.0, v[9:10], 1.0
	v_rcp_f64_e32 v[17:18], v[22:23]
	v_div_scale_f64 v[28:29], s[0:1], v[11:12], v[11:12], 1.0
	v_fma_f64 v[30:31], -v[20:21], v[15:16], 1.0
	v_mul_f64 v[13:14], v[26:27], v[26:27]
	v_add_f64 v[26:27], v[26:27], 1.0
	v_rcp_f64_e32 v[32:33], v[24:25]
	v_fma_f64 v[30:31], v[15:16], v[30:31], v[15:16]
	v_div_scale_f64 v[36:37], s[0:1], v[13:14], v[13:14], 1.0
	v_fma_f64 v[15:16], -v[22:23], v[17:18], 1.0
	v_div_scale_f64 v[44:45], s[0:1], 1.0, v[1:2], 1.0
	v_rcp_f64_e32 v[38:39], v[28:29]
	v_fma_f64 v[40:41], -v[20:21], v[30:31], 1.0
	v_fma_f64 v[42:43], v[17:18], v[15:16], v[17:18]
	v_fma_f64 v[17:18], -v[24:25], v[32:33], 1.0
	v_add_f64 v[15:16], v[26:27], 1.0
	v_fma_f64 v[30:31], v[30:31], v[40:41], v[30:31]
	v_rcp_f64_e32 v[50:51], v[36:37]
	v_fma_f64 v[40:41], -v[22:23], v[42:43], 1.0
	v_fma_f64 v[32:33], v[32:33], v[17:18], v[32:33]
	v_mul_f64 v[17:18], v[26:27], v[26:27]
	v_mul_f64 v[26:27], v[15:16], v[15:16]
	v_fma_f64 v[48:49], -v[28:29], v[38:39], 1.0
	v_mul_f64 v[52:53], v[34:35], v[30:31]
	v_add_f64 v[56:57], v[15:16], v[15:16]
	v_fma_f64 v[40:41], v[42:43], v[40:41], v[42:43]
	v_fma_f64 v[42:43], -v[24:25], v[32:33], 1.0
	v_div_scale_f64 v[54:55], s[4:5], v[17:18], v[17:18], 1.0
	v_fma_f64 v[38:39], v[38:39], v[48:49], v[38:39]
	v_div_scale_f64 v[48:49], s[4:5], v[26:27], v[26:27], 1.0
	v_fma_f64 v[20:21], -v[20:21], v[52:53], v[34:35]
	v_mul_f64 v[34:35], v[44:45], v[40:41]
	v_fma_f64 v[32:33], v[32:33], v[42:43], v[32:33]
	v_div_scale_f64 v[42:43], s[4:5], v[56:57], v[56:57], 1.0
	v_div_fmas_f64 v[20:21], v[20:21], v[30:31], v[52:53]
	v_fma_f64 v[30:31], -v[36:37], v[50:51], 1.0
	v_fma_f64 v[22:23], -v[22:23], v[34:35], v[44:45]
	v_mul_f64 v[44:45], v[46:47], v[32:33]
	v_rcp_f64_e32 v[52:53], v[54:55]
	s_mov_b64 vcc, s[0:1]
	v_fma_f64 v[30:31], v[50:51], v[30:31], v[50:51]
	v_rcp_f64_e32 v[50:51], v[48:49]
	v_fma_f64 v[24:25], -v[24:25], v[44:45], v[46:47]
	v_rcp_f64_e32 v[46:47], v[42:43]
	v_div_fmas_f64 v[22:23], v[22:23], v[40:41], v[34:35]
	s_mov_b64 vcc, s[2:3]
	v_div_scale_f64 v[34:35], s[0:1], 1.0, v[11:12], 1.0
	v_fma_f64 v[40:41], -v[28:29], v[38:39], 1.0
	v_div_fixup_f64 v[7:8], v[20:21], v[7:8], 1.0
	v_div_fmas_f64 v[24:25], v[24:25], v[32:33], v[44:45]
	v_fma_f64 v[32:33], -v[54:55], v[52:53], 1.0
	v_fma_f64 v[44:45], -v[36:37], v[30:31], 1.0
	s_mov_b64 vcc, s[0:1]
	v_fma_f64 v[38:39], v[38:39], v[40:41], v[38:39]
	v_fma_f64 v[40:41], -v[48:49], v[50:51], 1.0
	v_add_f64 v[5:6], v[5:6], v[7:8]
	v_fma_f64 v[32:33], v[52:53], v[32:33], v[52:53]
	v_fma_f64 v[52:53], -v[42:43], v[46:47], 1.0
	v_fma_f64 v[30:31], v[30:31], v[44:45], v[30:31]
	v_div_scale_f64 v[44:45], s[2:3], 1.0, v[13:14], 1.0
	v_div_fixup_f64 v[1:2], v[22:23], v[1:2], 1.0
	v_fma_f64 v[40:41], v[50:51], v[40:41], v[50:51]
	v_mul_f64 v[50:51], v[34:35], v[38:39]
	v_fma_f64 v[46:47], v[46:47], v[52:53], v[46:47]
	v_fma_f64 v[52:53], -v[54:55], v[32:33], 1.0
	v_add_f64 v[1:2], v[5:6], v[1:2]
	v_div_fixup_f64 v[5:6], v[24:25], v[9:10], 1.0
	v_fma_f64 v[28:29], -v[28:29], v[50:51], v[34:35]
	v_div_scale_f64 v[34:35], s[4:5], 1.0, v[17:18], 1.0
	v_fma_f64 v[32:33], v[32:33], v[52:53], v[32:33]
	v_mul_f64 v[52:53], v[44:45], v[30:31]
	v_add_f64 v[1:2], v[1:2], v[5:6]
	v_div_fmas_f64 v[28:29], v[28:29], v[38:39], v[50:51]
	v_fma_f64 v[38:39], -v[48:49], v[40:41], 1.0
	v_fma_f64 v[50:51], -v[42:43], v[46:47], 1.0
	s_mov_b64 vcc, s[2:3]
	v_fma_f64 v[36:37], -v[36:37], v[52:53], v[44:45]
	v_div_scale_f64 v[44:45], s[0:1], 1.0, v[26:27], 1.0
	v_fma_f64 v[38:39], v[40:41], v[38:39], v[40:41]
	v_mul_f64 v[40:41], v[34:35], v[32:33]
	v_fma_f64 v[46:47], v[46:47], v[50:51], v[46:47]
	v_div_scale_f64 v[50:51], s[6:7], 1.0, v[56:57], 1.0
	v_div_fmas_f64 v[30:31], v[36:37], v[30:31], v[52:53]
	s_mov_b64 vcc, s[4:5]
	v_div_fixup_f64 v[5:6], v[28:29], v[11:12], 1.0
	v_fma_f64 v[34:35], -v[54:55], v[40:41], v[34:35]
	v_mul_f64 v[54:55], v[44:45], v[38:39]
	v_add_f64 v[1:2], v[1:2], v[5:6]
	v_div_fmas_f64 v[32:33], v[34:35], v[32:33], v[40:41]
	s_mov_b64 vcc, s[0:1]
	s_mov_b32 s0, 0x18618618
	v_fma_f64 v[44:45], -v[48:49], v[54:55], v[44:45]
	v_mul_f64 v[48:49], v[50:51], v[46:47]
	s_mov_b32 s1, 0xbf986186
	v_div_fixup_f64 v[5:6], v[30:31], v[13:14], 1.0
	v_div_fmas_f64 v[36:37], v[44:45], v[38:39], v[54:55]
	v_fma_f64 v[34:35], -v[42:43], v[48:49], v[50:51]
	s_mov_b64 vcc, s[6:7]
	v_add_f64 v[1:2], v[1:2], v[5:6]
	v_div_fixup_f64 v[5:6], v[32:33], v[17:18], 1.0
	v_div_fmas_f64 v[34:35], v[34:35], v[46:47], v[48:49]
	v_add_f64 v[1:2], v[1:2], v[5:6]
	v_div_fixup_f64 v[26:27], v[36:37], v[26:27], 1.0
	v_mov_b32_e32 v36, 0x11111111
	v_mov_b32_e32 v37, 0x3fa11111
	v_fma_f64 v[36:37], v[26:27], s[0:1], v[36:37]
	v_div_fixup_f64 v[34:35], v[34:35], v[56:57], 1.0
	s_mov_b32 s0, 0x55555555
	s_mov_b32 s1, 0x3fc55555
	v_fma_f64 v[36:37], -v[26:27], v[36:37], s[0:1]
	v_add_f64 v[34:35], v[34:35], 1.0
	v_fma_f64 v[26:27], v[26:27], v[36:37], v[34:35]
	v_div_scale_f64 v[34:35], s[0:1], v[15:16], v[15:16], v[26:27]
	v_div_scale_f64 v[20:21], vcc, v[26:27], v[15:16], v[26:27]
	v_rcp_f64_e32 v[36:37], v[34:35]
	v_fma_f64 v[38:39], -v[34:35], v[36:37], 1.0
	v_fma_f64 v[36:37], v[36:37], v[38:39], v[36:37]
	v_fma_f64 v[38:39], -v[34:35], v[36:37], 1.0
	v_fma_f64 v[7:8], v[36:37], v[38:39], v[36:37]
	v_mul_f64 v[9:10], v[20:21], v[7:8]
	v_fma_f64 v[11:12], -v[34:35], v[9:10], v[20:21]
	v_div_fmas_f64 v[7:8], v[11:12], v[7:8], v[9:10]
	v_div_fixup_f64 v[5:6], v[7:8], v[15:16], v[26:27]
	v_add_f64 v[1:2], v[1:2], v[5:6]
	v_mul_f64 v[1:2], v[3:4], v[1:2]
	global_store_dwordx2 v0, v[1:2], s[16:17]
	s_or_b64 exec, exec, s[48:49]
	v_cmp_gt_i32_e32 vcc, s55, v19
	s_and_saveexec_b64 s[48:49], vcc
	s_cbranch_execnz .LBB47_114
.LBB47_135:
	s_or_b64 exec, exec, s[48:49]
	v_cmp_gt_i32_e32 vcc, s55, v19
	s_and_saveexec_b64 s[48:49], vcc
	s_cbranch_execnz .LBB47_152
.LBB47_136:
	s_or_b64 exec, exec, s[48:49]
                                        ; implicit-def: $vgpr7
                                        ; implicit-def: $vgpr19
	s_andn2_saveexec_b64 s[0:1], s[38:39]
	s_cbranch_execnz .LBB47_8
.LBB47_137:
	s_endpgm
.LBB47_138:
	s_mov_b32 s57, 0
	v_mov_b32_e32 v0, 0
	v_mov_b32_e32 v2, 0
	v_mov_b32_e32 v1, v19
.LBB47_139:
	s_and_b32 s4, s58, 3
	s_cmp_eq_u32 s4, 0
	s_cbranch_scc1 .LBB47_142
; %bb.140:
	s_lshl_b32 s0, s57, 3
	s_add_u32 s0, s34, s0
	s_addc_u32 s1, s35, 0
	s_add_u32 s0, s0, 0xc4
	s_addc_u32 s1, s1, 0
	s_mul_i32 s2, s57, 12
	s_add_u32 s2, s34, s2
	s_addc_u32 s3, s35, 0
.LBB47_141:                             ; =>This Inner Loop Header: Depth=1
	s_load_dwordx2 s[6:7], s[2:3], 0x4
	s_load_dword s5, s[2:3], 0xc
	s_load_dwordx2 s[8:9], s[0:1], 0x0
	s_add_u32 s2, s2, 12
	s_addc_u32 s3, s3, 0
	s_waitcnt lgkmcnt(0)
	v_mul_hi_u32 v3, s7, v1
	s_add_u32 s0, s0, 8
	s_addc_u32 s1, s1, 0
	s_add_i32 s4, s4, -1
	v_add_u32_e32 v3, v1, v3
	v_lshrrev_b32_e32 v4, s5, v3
	v_mul_lo_u32 v3, v4, s6
	s_cmp_lg_u32 s4, 0
	v_sub_u32_e32 v3, v1, v3
	v_mad_u64_u32 v[0:1], s[6:7], v3, s8, v[0:1]
	v_mad_u64_u32 v[2:3], s[6:7], v3, s9, v[2:3]
	v_mov_b32_e32 v1, v4
	s_cbranch_scc1 .LBB47_141
.LBB47_142:
	s_cbranch_execnz .LBB47_145
.LBB47_143:
	s_waitcnt lgkmcnt(0)
	v_mul_hi_u32 v0, s25, v19
	s_andn2_b64 vcc, exec, s[42:43]
	v_add_u32_e32 v0, v19, v0
	v_lshrrev_b32_e32 v1, s26, v0
	v_mul_lo_u32 v0, v1, s24
	v_sub_u32_e32 v2, v19, v0
	v_mul_lo_u32 v0, v2, s20
	v_mul_lo_u32 v2, v2, s21
	s_cbranch_vccnz .LBB47_145
; %bb.144:
	v_mul_hi_u32 v3, s40, v1
	v_add_u32_e32 v3, v1, v3
	v_lshrrev_b32_e32 v3, s41, v3
	v_mul_lo_u32 v3, v3, s27
	v_sub_u32_e32 v3, v1, v3
	v_mad_u64_u32 v[0:1], s[0:1], v3, s22, v[0:1]
	v_mad_u64_u32 v[2:3], s[0:1], v3, s23, v[2:3]
.LBB47_145:
	s_waitcnt lgkmcnt(0)
	global_load_dwordx2 v[1:2], v2, s[18:19]
	v_mov_b32_e32 v5, 0
	v_mov_b32_e32 v3, 0
	;; [unrolled: 1-line block ×4, first 2 shown]
	s_waitcnt vmcnt(0)
	v_cmp_gt_f64_e32 vcc, 0.5, v[1:2]
	s_and_saveexec_b64 s[2:3], vcc
	s_cbranch_execz .LBB47_151
; %bb.146:
	s_mov_b32 s5, 0x400921fb
	s_mov_b32 s4, 0x54442d18
	v_mul_f64 v[3:4], v[1:2], s[4:5]
	s_mov_b32 s0, 0
	s_mov_b32 s1, 0x41d00000
                                        ; implicit-def: $vgpr9
                                        ; implicit-def: $vgpr5_vgpr6
                                        ; implicit-def: $vgpr7_vgpr8
	v_cmp_nlt_f64_e64 s[0:1], |v[3:4]|, s[0:1]
	s_and_saveexec_b64 s[6:7], s[0:1]
	s_xor_b64 s[6:7], exec, s[6:7]
	s_cbranch_execz .LBB47_148
; %bb.147:
	v_trig_preop_f64 v[5:6], |v[3:4]|, 0
	s_mov_b32 s0, 0
	s_mov_b32 s1, 0x7b000000
	s_movk_i32 s5, 0xff80
	v_ldexp_f64 v[9:10], |v[3:4]|, s5
	v_cmp_ge_f64_e64 vcc, |v[3:4]|, s[0:1]
	v_trig_preop_f64 v[7:8], |v[3:4]|, 1
	v_and_b32_e32 v11, 0x7fffffff, v4
	v_trig_preop_f64 v[17:18], |v[3:4]|, 2
	s_mov_b32 s0, 0
	s_mov_b32 s1, 0x7ff00000
	v_mov_b32_e32 v29, 0x40100000
	v_mov_b32_e32 v28, 0
	v_cndmask_b32_e32 v10, v11, v10, vcc
	v_cndmask_b32_e32 v9, v3, v9, vcc
	s_mov_b32 s5, 0x3ff921fb
	v_mul_f64 v[11:12], v[5:6], v[9:10]
	v_mul_f64 v[13:14], v[7:8], v[9:10]
	;; [unrolled: 1-line block ×3, first 2 shown]
	v_fma_f64 v[5:6], v[5:6], v[9:10], -v[11:12]
	v_fma_f64 v[7:8], v[7:8], v[9:10], -v[13:14]
	;; [unrolled: 1-line block ×3, first 2 shown]
	v_add_f64 v[15:16], v[13:14], v[5:6]
	v_add_f64 v[20:21], v[15:16], -v[13:14]
	v_add_f64 v[26:27], v[11:12], v[15:16]
	v_add_f64 v[22:23], v[15:16], -v[20:21]
	v_add_f64 v[5:6], v[5:6], -v[20:21]
	v_add_f64 v[20:21], v[24:25], v[7:8]
	v_add_f64 v[11:12], v[26:27], -v[11:12]
	v_add_f64 v[13:14], v[13:14], -v[22:23]
	v_ldexp_f64 v[22:23], v[26:27], -2
	v_add_f64 v[30:31], v[20:21], -v[24:25]
	v_add_f64 v[11:12], v[15:16], -v[11:12]
	v_add_f64 v[5:6], v[5:6], v[13:14]
	v_fract_f64_e32 v[13:14], v[22:23]
	v_cmp_neq_f64_e64 vcc, |v[22:23]|, s[0:1]
	v_add_f64 v[7:8], v[7:8], -v[30:31]
	v_add_f64 v[15:16], v[20:21], v[5:6]
	v_ldexp_f64 v[13:14], v[13:14], 2
	v_add_f64 v[22:23], v[11:12], v[15:16]
	v_cndmask_b32_e32 v14, 0, v14, vcc
	v_cndmask_b32_e32 v13, 0, v13, vcc
	v_add_f64 v[32:33], v[15:16], -v[20:21]
	v_add_f64 v[26:27], v[22:23], v[13:14]
	v_add_f64 v[11:12], v[22:23], -v[11:12]
	v_add_f64 v[34:35], v[15:16], -v[32:33]
	;; [unrolled: 1-line block ×3, first 2 shown]
	v_cmp_gt_f64_e32 vcc, 0, v[26:27]
	v_add_f64 v[26:27], v[20:21], -v[30:31]
	v_add_f64 v[11:12], v[15:16], -v[11:12]
	;; [unrolled: 1-line block ×3, first 2 shown]
	v_cndmask_b32_e32 v29, 0, v29, vcc
	v_add_f64 v[13:14], v[13:14], v[28:29]
	v_add_f64 v[26:27], v[24:25], -v[26:27]
	v_add_f64 v[5:6], v[5:6], v[20:21]
	v_add_f64 v[36:37], v[22:23], v[13:14]
	;; [unrolled: 1-line block ×3, first 2 shown]
	v_cvt_i32_f64_e32 v31, v[36:37]
	v_add_f64 v[5:6], v[7:8], v[5:6]
	v_cvt_f64_i32_e32 v[29:30], v31
	v_add_f64 v[13:14], v[13:14], -v[29:30]
	v_add_f64 v[5:6], v[9:10], v[5:6]
	v_add_f64 v[7:8], v[22:23], v[13:14]
	v_add_f64 v[5:6], v[11:12], v[5:6]
	v_mov_b32_e32 v12, 0x3ff00000
	v_add_f64 v[9:10], v[7:8], -v[13:14]
	v_cmp_le_f64_e32 vcc, 0.5, v[7:8]
	v_add_f64 v[10:11], v[22:23], -v[9:10]
	v_cndmask_b32_e32 v29, 0, v12, vcc
	v_add_f64 v[7:8], v[7:8], -v[28:29]
	v_addc_co_u32_e64 v9, s[0:1], 0, v31, vcc
	s_mov_b32 s0, 0x33145c07
	s_mov_b32 s1, 0x3c91a626
	v_add_f64 v[5:6], v[5:6], v[10:11]
	v_add_f64 v[10:11], v[7:8], v[5:6]
	v_mul_f64 v[12:13], v[10:11], s[4:5]
	v_add_f64 v[7:8], v[10:11], -v[7:8]
	v_fma_f64 v[14:15], v[10:11], s[4:5], -v[12:13]
	v_add_f64 v[5:6], v[5:6], -v[7:8]
	v_fma_f64 v[7:8], v[10:11], s[0:1], v[14:15]
	v_fma_f64 v[7:8], v[5:6], s[4:5], v[7:8]
	v_add_f64 v[5:6], v[12:13], v[7:8]
	v_add_f64 v[10:11], v[5:6], -v[12:13]
	v_add_f64 v[7:8], v[7:8], -v[10:11]
.LBB47_148:
	s_andn2_saveexec_b64 s[0:1], s[6:7]
	s_cbranch_execz .LBB47_150
; %bb.149:
	s_mov_b32 s4, 0x6dc9c883
	s_mov_b32 s5, 0x3fe45f30
	v_mul_f64 v[5:6], |v[3:4]|, s[4:5]
	s_mov_b32 s4, 0x54442d18
	s_mov_b32 s5, 0xbff921fb
	;; [unrolled: 1-line block ×4, first 2 shown]
	v_rndne_f64_e32 v[9:10], v[5:6]
	v_fma_f64 v[5:6], v[9:10], s[4:5], |v[3:4]|
	v_mul_f64 v[7:8], v[9:10], s[6:7]
	s_mov_b32 s4, 0x252049c0
	s_mov_b32 s5, 0xb97b839a
	v_fma_f64 v[15:16], v[9:10], s[6:7], v[5:6]
	v_add_f64 v[11:12], v[5:6], v[7:8]
	s_mov_b32 s7, 0x3c91a626
	v_add_f64 v[13:14], v[5:6], -v[11:12]
	v_add_f64 v[11:12], v[11:12], -v[15:16]
	v_add_f64 v[5:6], v[13:14], v[7:8]
	v_fma_f64 v[7:8], v[9:10], s[6:7], v[7:8]
	v_add_f64 v[5:6], v[11:12], v[5:6]
	v_add_f64 v[5:6], v[5:6], -v[7:8]
	v_fma_f64 v[7:8], v[9:10], s[4:5], v[5:6]
	v_cvt_i32_f64_e32 v9, v[9:10]
	v_add_f64 v[5:6], v[15:16], v[7:8]
	v_add_f64 v[11:12], v[5:6], -v[15:16]
	v_add_f64 v[7:8], v[7:8], -v[11:12]
.LBB47_150:
	s_or_b64 exec, exec, s[0:1]
	v_mul_f64 v[10:11], v[5:6], v[5:6]
	s_mov_b32 s0, 0xf9a43bb8
	v_mov_b32_e32 v13, 0xb42fdfa7
	v_mov_b32_e32 v14, 0xbe5ae600
	s_mov_b32 s1, 0x3de5e0b2
	s_mov_b32 s4, 0x796cde01
	v_mov_b32_e32 v12, 0x9037ab78
	s_mov_b32 s5, 0x3ec71de3
	v_fma_f64 v[14:15], v[10:11], s[0:1], v[13:14]
	s_mov_b32 s0, 0x46cc5e42
	v_mov_b32_e32 v13, 0x3e21eeb6
	s_mov_b32 s1, 0xbda907db
	v_fma_f64 v[12:13], v[10:11], s[0:1], v[12:13]
	v_mul_f64 v[16:17], v[10:11], 0.5
	s_mov_b32 s0, 0xa17f65f6
	s_mov_b32 s6, 0x19e83e5c
	v_fma_f64 v[14:15], v[10:11], v[14:15], s[4:5]
	s_mov_b32 s1, 0xbe927e4f
	s_mov_b32 s7, 0xbf2a01a0
	;; [unrolled: 1-line block ×3, first 2 shown]
	v_fma_f64 v[12:13], v[10:11], v[12:13], s[0:1]
	v_add_f64 v[20:21], -v[16:17], 1.0
	s_mov_b32 s0, 0x11110bb3
	s_mov_b32 s5, 0x3efa01a0
	v_fma_f64 v[14:15], v[10:11], v[14:15], s[6:7]
	s_mov_b32 s1, 0x3f811111
	v_mul_f64 v[22:23], v[7:8], 0.5
	v_mul_f64 v[24:25], v[5:6], -v[10:11]
	v_fma_f64 v[12:13], v[10:11], v[12:13], s[4:5]
	v_add_f64 v[26:27], -v[20:21], 1.0
	v_add_f64 v[1:2], -v[1:2], 1.0
	v_fma_f64 v[14:15], v[10:11], v[14:15], s[0:1]
	s_mov_b32 s0, 0x16c16967
	s_mov_b32 s1, 0xbf56c16c
	v_fma_f64 v[12:13], v[10:11], v[12:13], s[0:1]
	v_add_f64 v[16:17], v[26:27], -v[16:17]
	s_mov_b32 s1, 0x3fa55555
	s_mov_b32 s0, 0x55555555
	v_fma_f64 v[14:15], v[24:25], v[14:15], v[22:23]
	v_mul_f64 v[22:23], v[10:11], v[10:11]
	v_fma_f64 v[12:13], v[10:11], v[12:13], s[0:1]
	v_fma_f64 v[16:17], v[5:6], -v[7:8], v[16:17]
	s_mov_b32 s1, 0xbfc55555
	v_fma_f64 v[7:8], v[10:11], v[14:15], -v[7:8]
	v_fma_f64 v[10:11], v[22:23], v[12:13], v[16:17]
	v_fma_f64 v[7:8], v[24:25], s[0:1], v[7:8]
	s_movk_i32 s0, 0x1f8
	v_cmp_class_f64_e64 s[0:1], v[3:4], s0
	v_lshlrev_b32_e32 v3, 30, v9
	v_xor_b32_e32 v3, v3, v4
	v_add_f64 v[10:11], v[20:21], v[10:11]
	v_and_b32_e32 v3, 0x80000000, v3
	v_add_f64 v[5:6], v[5:6], -v[7:8]
	v_and_b32_e32 v7, 1, v9
	v_cmp_eq_u32_e32 vcc, 0, v7
	v_mov_b32_e32 v7, 0x7ff80000
	v_cndmask_b32_e32 v4, v11, v6, vcc
	v_cndmask_b32_e32 v5, v10, v5, vcc
	v_xor_b32_e32 v4, v4, v3
	v_cndmask_b32_e64 v3, 0, v5, s[0:1]
	v_cndmask_b32_e64 v4, v7, v4, s[0:1]
	v_mul_f64 v[3:4], v[3:4], v[3:4]
	s_mov_b32 s0, 0xc9be45de
	s_mov_b32 s1, 0xc023bd3c
	v_div_scale_f64 v[5:6], s[4:5], v[3:4], v[3:4], s[0:1]
	v_rcp_f64_e32 v[7:8], v[5:6]
	v_fma_f64 v[9:10], -v[5:6], v[7:8], 1.0
	v_fma_f64 v[7:8], v[7:8], v[9:10], v[7:8]
	v_div_scale_f64 v[9:10], vcc, s[0:1], v[3:4], s[0:1]
	v_fma_f64 v[11:12], -v[5:6], v[7:8], 1.0
	v_fma_f64 v[7:8], v[7:8], v[11:12], v[7:8]
	v_mul_f64 v[11:12], v[9:10], v[7:8]
	v_fma_f64 v[5:6], -v[5:6], v[11:12], v[9:10]
	v_div_fmas_f64 v[5:6], v[5:6], v[7:8], v[11:12]
	v_div_fixup_f64 v[3:4], v[5:6], v[3:4], s[0:1]
	v_add_f64 v[5:6], v[3:4], 0
	v_mov_b32_e32 v3, 0
	v_mov_b32_e32 v4, 0xbff00000
.LBB47_151:
	s_or_b64 exec, exec, s[2:3]
	v_mul_f64 v[7:8], v[1:2], v[1:2]
	v_add_f64 v[9:10], v[1:2], 1.0
	v_add_u32_e32 v19, 0x80, v19
	v_div_scale_f64 v[20:21], s[0:1], v[7:8], v[7:8], 1.0
	v_mul_f64 v[1:2], v[9:10], v[9:10]
	v_add_f64 v[11:12], v[9:10], 1.0
	v_div_scale_f64 v[34:35], vcc, 1.0, v[7:8], 1.0
	v_div_scale_f64 v[22:23], s[0:1], v[1:2], v[1:2], 1.0
	v_mul_f64 v[9:10], v[11:12], v[11:12]
	v_add_f64 v[13:14], v[11:12], 1.0
	v_rcp_f64_e32 v[15:16], v[20:21]
	v_div_scale_f64 v[24:25], s[0:1], v[9:10], v[9:10], 1.0
	v_mul_f64 v[11:12], v[13:14], v[13:14]
	v_add_f64 v[26:27], v[13:14], 1.0
	v_div_scale_f64 v[46:47], s[2:3], 1.0, v[9:10], 1.0
	v_rcp_f64_e32 v[17:18], v[22:23]
	v_div_scale_f64 v[28:29], s[0:1], v[11:12], v[11:12], 1.0
	v_fma_f64 v[30:31], -v[20:21], v[15:16], 1.0
	v_mul_f64 v[13:14], v[26:27], v[26:27]
	v_add_f64 v[26:27], v[26:27], 1.0
	v_rcp_f64_e32 v[32:33], v[24:25]
	v_fma_f64 v[30:31], v[15:16], v[30:31], v[15:16]
	v_div_scale_f64 v[36:37], s[0:1], v[13:14], v[13:14], 1.0
	v_fma_f64 v[15:16], -v[22:23], v[17:18], 1.0
	v_div_scale_f64 v[44:45], s[0:1], 1.0, v[1:2], 1.0
	v_rcp_f64_e32 v[38:39], v[28:29]
	v_fma_f64 v[40:41], -v[20:21], v[30:31], 1.0
	v_fma_f64 v[42:43], v[17:18], v[15:16], v[17:18]
	v_fma_f64 v[17:18], -v[24:25], v[32:33], 1.0
	v_add_f64 v[15:16], v[26:27], 1.0
	v_fma_f64 v[30:31], v[30:31], v[40:41], v[30:31]
	v_rcp_f64_e32 v[50:51], v[36:37]
	v_fma_f64 v[40:41], -v[22:23], v[42:43], 1.0
	v_fma_f64 v[32:33], v[32:33], v[17:18], v[32:33]
	v_mul_f64 v[17:18], v[26:27], v[26:27]
	v_mul_f64 v[26:27], v[15:16], v[15:16]
	v_fma_f64 v[48:49], -v[28:29], v[38:39], 1.0
	v_mul_f64 v[52:53], v[34:35], v[30:31]
	v_add_f64 v[56:57], v[15:16], v[15:16]
	v_fma_f64 v[40:41], v[42:43], v[40:41], v[42:43]
	v_fma_f64 v[42:43], -v[24:25], v[32:33], 1.0
	v_div_scale_f64 v[54:55], s[4:5], v[17:18], v[17:18], 1.0
	v_fma_f64 v[38:39], v[38:39], v[48:49], v[38:39]
	v_div_scale_f64 v[48:49], s[4:5], v[26:27], v[26:27], 1.0
	v_fma_f64 v[20:21], -v[20:21], v[52:53], v[34:35]
	v_mul_f64 v[34:35], v[44:45], v[40:41]
	v_fma_f64 v[32:33], v[32:33], v[42:43], v[32:33]
	v_div_scale_f64 v[42:43], s[4:5], v[56:57], v[56:57], 1.0
	v_div_fmas_f64 v[20:21], v[20:21], v[30:31], v[52:53]
	v_fma_f64 v[30:31], -v[36:37], v[50:51], 1.0
	v_fma_f64 v[22:23], -v[22:23], v[34:35], v[44:45]
	v_mul_f64 v[44:45], v[46:47], v[32:33]
	v_rcp_f64_e32 v[52:53], v[54:55]
	s_mov_b64 vcc, s[0:1]
	v_fma_f64 v[30:31], v[50:51], v[30:31], v[50:51]
	v_rcp_f64_e32 v[50:51], v[48:49]
	v_fma_f64 v[24:25], -v[24:25], v[44:45], v[46:47]
	v_rcp_f64_e32 v[46:47], v[42:43]
	v_div_fmas_f64 v[22:23], v[22:23], v[40:41], v[34:35]
	s_mov_b64 vcc, s[2:3]
	v_div_scale_f64 v[34:35], s[0:1], 1.0, v[11:12], 1.0
	v_fma_f64 v[40:41], -v[28:29], v[38:39], 1.0
	v_div_fixup_f64 v[7:8], v[20:21], v[7:8], 1.0
	v_div_fmas_f64 v[24:25], v[24:25], v[32:33], v[44:45]
	v_fma_f64 v[32:33], -v[54:55], v[52:53], 1.0
	v_fma_f64 v[44:45], -v[36:37], v[30:31], 1.0
	s_mov_b64 vcc, s[0:1]
	v_fma_f64 v[38:39], v[38:39], v[40:41], v[38:39]
	v_fma_f64 v[40:41], -v[48:49], v[50:51], 1.0
	v_add_f64 v[5:6], v[5:6], v[7:8]
	v_fma_f64 v[32:33], v[52:53], v[32:33], v[52:53]
	v_fma_f64 v[52:53], -v[42:43], v[46:47], 1.0
	v_fma_f64 v[30:31], v[30:31], v[44:45], v[30:31]
	v_div_scale_f64 v[44:45], s[2:3], 1.0, v[13:14], 1.0
	v_div_fixup_f64 v[1:2], v[22:23], v[1:2], 1.0
	v_fma_f64 v[40:41], v[50:51], v[40:41], v[50:51]
	v_mul_f64 v[50:51], v[34:35], v[38:39]
	v_fma_f64 v[46:47], v[46:47], v[52:53], v[46:47]
	v_fma_f64 v[52:53], -v[54:55], v[32:33], 1.0
	v_add_f64 v[1:2], v[5:6], v[1:2]
	v_div_fixup_f64 v[5:6], v[24:25], v[9:10], 1.0
	v_fma_f64 v[28:29], -v[28:29], v[50:51], v[34:35]
	v_div_scale_f64 v[34:35], s[4:5], 1.0, v[17:18], 1.0
	v_fma_f64 v[32:33], v[32:33], v[52:53], v[32:33]
	v_mul_f64 v[52:53], v[44:45], v[30:31]
	v_add_f64 v[1:2], v[1:2], v[5:6]
	v_div_fmas_f64 v[28:29], v[28:29], v[38:39], v[50:51]
	v_fma_f64 v[38:39], -v[48:49], v[40:41], 1.0
	v_fma_f64 v[50:51], -v[42:43], v[46:47], 1.0
	s_mov_b64 vcc, s[2:3]
	v_fma_f64 v[36:37], -v[36:37], v[52:53], v[44:45]
	v_div_scale_f64 v[44:45], s[0:1], 1.0, v[26:27], 1.0
	v_fma_f64 v[38:39], v[40:41], v[38:39], v[40:41]
	v_mul_f64 v[40:41], v[34:35], v[32:33]
	v_fma_f64 v[46:47], v[46:47], v[50:51], v[46:47]
	v_div_scale_f64 v[50:51], s[6:7], 1.0, v[56:57], 1.0
	v_div_fmas_f64 v[30:31], v[36:37], v[30:31], v[52:53]
	s_mov_b64 vcc, s[4:5]
	v_div_fixup_f64 v[5:6], v[28:29], v[11:12], 1.0
	v_fma_f64 v[34:35], -v[54:55], v[40:41], v[34:35]
	v_mul_f64 v[54:55], v[44:45], v[38:39]
	v_add_f64 v[1:2], v[1:2], v[5:6]
	v_div_fmas_f64 v[32:33], v[34:35], v[32:33], v[40:41]
	s_mov_b64 vcc, s[0:1]
	s_mov_b32 s0, 0x18618618
	v_fma_f64 v[44:45], -v[48:49], v[54:55], v[44:45]
	v_mul_f64 v[48:49], v[50:51], v[46:47]
	s_mov_b32 s1, 0xbf986186
	v_div_fixup_f64 v[5:6], v[30:31], v[13:14], 1.0
	v_div_fmas_f64 v[36:37], v[44:45], v[38:39], v[54:55]
	v_fma_f64 v[34:35], -v[42:43], v[48:49], v[50:51]
	s_mov_b64 vcc, s[6:7]
	v_add_f64 v[1:2], v[1:2], v[5:6]
	v_div_fixup_f64 v[5:6], v[32:33], v[17:18], 1.0
	v_div_fmas_f64 v[34:35], v[34:35], v[46:47], v[48:49]
	v_add_f64 v[1:2], v[1:2], v[5:6]
	v_div_fixup_f64 v[26:27], v[36:37], v[26:27], 1.0
	v_mov_b32_e32 v36, 0x11111111
	v_mov_b32_e32 v37, 0x3fa11111
	v_fma_f64 v[36:37], v[26:27], s[0:1], v[36:37]
	v_div_fixup_f64 v[34:35], v[34:35], v[56:57], 1.0
	s_mov_b32 s0, 0x55555555
	s_mov_b32 s1, 0x3fc55555
	v_fma_f64 v[36:37], -v[26:27], v[36:37], s[0:1]
	v_add_f64 v[34:35], v[34:35], 1.0
	v_fma_f64 v[26:27], v[26:27], v[36:37], v[34:35]
	v_div_scale_f64 v[34:35], s[0:1], v[15:16], v[15:16], v[26:27]
	v_div_scale_f64 v[20:21], vcc, v[26:27], v[15:16], v[26:27]
	v_rcp_f64_e32 v[36:37], v[34:35]
	v_fma_f64 v[38:39], -v[34:35], v[36:37], 1.0
	v_fma_f64 v[36:37], v[36:37], v[38:39], v[36:37]
	v_fma_f64 v[38:39], -v[34:35], v[36:37], 1.0
	v_fma_f64 v[7:8], v[36:37], v[38:39], v[36:37]
	v_mul_f64 v[9:10], v[20:21], v[7:8]
	v_fma_f64 v[11:12], -v[34:35], v[9:10], v[20:21]
	v_div_fmas_f64 v[7:8], v[11:12], v[7:8], v[9:10]
	v_div_fixup_f64 v[5:6], v[7:8], v[15:16], v[26:27]
	v_add_f64 v[1:2], v[1:2], v[5:6]
	v_mul_f64 v[1:2], v[3:4], v[1:2]
	global_store_dwordx2 v0, v[1:2], s[16:17]
	s_or_b64 exec, exec, s[48:49]
	v_cmp_gt_i32_e32 vcc, s55, v19
	s_and_saveexec_b64 s[48:49], vcc
	s_cbranch_execz .LBB47_136
.LBB47_152:
	s_andn2_b64 vcc, exec, s[36:37]
	s_cbranch_vccnz .LBB47_157
; %bb.153:
	s_andn2_b64 vcc, exec, s[46:47]
	s_cbranch_vccnz .LBB47_158
; %bb.154:
	s_add_i32 s56, s56, 1
	s_cmp_eq_u32 s54, 2
	s_cbranch_scc1 .LBB47_159
; %bb.155:
	s_and_b32 s50, s56, 28
	v_mov_b32_e32 v2, 0
	s_mov_b32 s51, 0
	s_mov_b64 s[46:47], s[34:35]
	v_mov_b32_e32 v0, 0
	v_mov_b32_e32 v1, v19
.LBB47_156:                             ; =>This Inner Loop Header: Depth=1
	s_load_dwordx8 s[8:15], s[46:47], 0x4
	s_load_dwordx4 s[28:31], s[46:47], 0x24
	s_load_dwordx8 s[0:7], s[44:45], 0x0
	s_add_u32 s46, s46, 48
	s_addc_u32 s47, s47, 0
	s_waitcnt lgkmcnt(0)
	v_mul_hi_u32 v3, s9, v1
	s_add_i32 s51, s51, 4
	s_add_u32 s44, s44, 32
	s_addc_u32 s45, s45, 0
	v_add_u32_e32 v3, v1, v3
	v_lshrrev_b32_e32 v3, s10, v3
	v_mul_lo_u32 v4, v3, s8
	v_mul_hi_u32 v5, s12, v3
	s_cmp_eq_u32 s50, s51
	v_sub_u32_e32 v1, v1, v4
	v_add_u32_e32 v4, v3, v5
	v_mul_lo_u32 v5, v1, s0
	v_mul_lo_u32 v6, v1, s1
	v_lshrrev_b32_e32 v1, s13, v4
	v_mul_lo_u32 v4, v1, s11
	v_mul_hi_u32 v7, s15, v1
	v_sub_u32_e32 v3, v3, v4
	v_add_u32_e32 v4, v1, v7
	v_lshrrev_b32_e32 v4, s28, v4
	v_mul_hi_u32 v8, s30, v4
	v_mul_lo_u32 v9, v4, s14
	v_mul_lo_u32 v7, v3, s2
	v_mul_lo_u32 v3, v3, s3
	v_sub_u32_e32 v9, v1, v9
	v_add_u32_e32 v1, v4, v8
	v_lshrrev_b32_e32 v1, s31, v1
	v_mul_lo_u32 v8, v1, s29
	v_mul_lo_u32 v10, v9, s4
	;; [unrolled: 1-line block ×3, first 2 shown]
	v_add3_u32 v0, v5, v0, v7
	v_sub_u32_e32 v4, v4, v8
	v_mul_lo_u32 v8, v4, s6
	v_mul_lo_u32 v4, v4, s7
	v_add3_u32 v2, v6, v2, v3
	v_add3_u32 v0, v10, v0, v8
	;; [unrolled: 1-line block ×3, first 2 shown]
	s_cbranch_scc0 .LBB47_156
	s_branch .LBB47_160
.LBB47_157:
                                        ; implicit-def: $vgpr0
                                        ; implicit-def: $vgpr2
	s_branch .LBB47_164
.LBB47_158:
	v_mov_b32_e32 v0, 0
	v_mov_b32_e32 v2, 0
	s_branch .LBB47_163
.LBB47_159:
	s_mov_b32 s50, 0
	v_mov_b32_e32 v0, 0
	v_mov_b32_e32 v2, 0
	;; [unrolled: 1-line block ×3, first 2 shown]
.LBB47_160:
	s_and_b32 s4, s56, 3
	s_cmp_eq_u32 s4, 0
	s_cbranch_scc1 .LBB47_163
; %bb.161:
	s_lshl_b32 s0, s50, 3
	s_add_u32 s0, s34, s0
	s_addc_u32 s1, s35, 0
	s_add_u32 s0, s0, 0xc4
	s_addc_u32 s1, s1, 0
	s_mul_i32 s2, s50, 12
	s_add_u32 s2, s34, s2
	s_addc_u32 s3, s35, 0
.LBB47_162:                             ; =>This Inner Loop Header: Depth=1
	s_load_dwordx2 s[6:7], s[2:3], 0x4
	s_load_dword s5, s[2:3], 0xc
	s_load_dwordx2 s[8:9], s[0:1], 0x0
	s_add_u32 s2, s2, 12
	s_addc_u32 s3, s3, 0
	s_waitcnt lgkmcnt(0)
	v_mul_hi_u32 v3, s7, v1
	s_add_u32 s0, s0, 8
	s_addc_u32 s1, s1, 0
	s_add_i32 s4, s4, -1
	v_add_u32_e32 v3, v1, v3
	v_lshrrev_b32_e32 v4, s5, v3
	v_mul_lo_u32 v3, v4, s6
	s_cmp_lg_u32 s4, 0
	v_sub_u32_e32 v3, v1, v3
	v_mad_u64_u32 v[0:1], s[6:7], v3, s8, v[0:1]
	v_mad_u64_u32 v[2:3], s[6:7], v3, s9, v[2:3]
	v_mov_b32_e32 v1, v4
	s_cbranch_scc1 .LBB47_162
.LBB47_163:
	s_cbranch_execnz .LBB47_166
.LBB47_164:
	s_waitcnt lgkmcnt(0)
	v_mul_hi_u32 v0, s25, v19
	s_andn2_b64 vcc, exec, s[42:43]
	v_add_u32_e32 v0, v19, v0
	v_lshrrev_b32_e32 v1, s26, v0
	v_mul_lo_u32 v0, v1, s24
	v_sub_u32_e32 v2, v19, v0
	v_mul_lo_u32 v0, v2, s20
	v_mul_lo_u32 v2, v2, s21
	s_cbranch_vccnz .LBB47_166
; %bb.165:
	v_mul_hi_u32 v3, s40, v1
	v_add_u32_e32 v3, v1, v3
	v_lshrrev_b32_e32 v3, s41, v3
	v_mul_lo_u32 v3, v3, s27
	v_sub_u32_e32 v3, v1, v3
	v_mad_u64_u32 v[0:1], s[0:1], v3, s22, v[0:1]
	v_mad_u64_u32 v[2:3], s[0:1], v3, s23, v[2:3]
.LBB47_166:
	s_waitcnt lgkmcnt(0)
	global_load_dwordx2 v[1:2], v2, s[18:19]
	v_mov_b32_e32 v5, 0
	v_mov_b32_e32 v3, 0
	;; [unrolled: 1-line block ×4, first 2 shown]
	s_waitcnt vmcnt(0)
	v_cmp_gt_f64_e32 vcc, 0.5, v[1:2]
	s_and_saveexec_b64 s[2:3], vcc
	s_cbranch_execz .LBB47_172
; %bb.167:
	s_mov_b32 s5, 0x400921fb
	s_mov_b32 s4, 0x54442d18
	v_mul_f64 v[3:4], v[1:2], s[4:5]
	s_mov_b32 s0, 0
	s_mov_b32 s1, 0x41d00000
                                        ; implicit-def: $vgpr9
                                        ; implicit-def: $vgpr5_vgpr6
                                        ; implicit-def: $vgpr7_vgpr8
	v_cmp_nlt_f64_e64 s[0:1], |v[3:4]|, s[0:1]
	s_and_saveexec_b64 s[6:7], s[0:1]
	s_xor_b64 s[6:7], exec, s[6:7]
	s_cbranch_execz .LBB47_169
; %bb.168:
	v_trig_preop_f64 v[5:6], |v[3:4]|, 0
	s_mov_b32 s0, 0
	s_mov_b32 s1, 0x7b000000
	s_movk_i32 s5, 0xff80
	v_ldexp_f64 v[9:10], |v[3:4]|, s5
	v_cmp_ge_f64_e64 vcc, |v[3:4]|, s[0:1]
	v_trig_preop_f64 v[7:8], |v[3:4]|, 1
	v_and_b32_e32 v11, 0x7fffffff, v4
	v_trig_preop_f64 v[17:18], |v[3:4]|, 2
	s_mov_b32 s0, 0
	s_mov_b32 s1, 0x7ff00000
	v_mov_b32_e32 v28, 0x40100000
	v_mov_b32_e32 v27, 0
	v_cndmask_b32_e32 v10, v11, v10, vcc
	v_cndmask_b32_e32 v9, v3, v9, vcc
	s_mov_b32 s5, 0x3ff921fb
	v_mul_f64 v[11:12], v[5:6], v[9:10]
	v_mul_f64 v[13:14], v[7:8], v[9:10]
	;; [unrolled: 1-line block ×3, first 2 shown]
	v_fma_f64 v[5:6], v[5:6], v[9:10], -v[11:12]
	v_fma_f64 v[7:8], v[7:8], v[9:10], -v[13:14]
	;; [unrolled: 1-line block ×3, first 2 shown]
	v_add_f64 v[15:16], v[13:14], v[5:6]
	v_add_f64 v[19:20], v[15:16], -v[13:14]
	v_add_f64 v[25:26], v[11:12], v[15:16]
	v_add_f64 v[21:22], v[15:16], -v[19:20]
	v_add_f64 v[5:6], v[5:6], -v[19:20]
	v_add_f64 v[19:20], v[23:24], v[7:8]
	v_add_f64 v[11:12], v[25:26], -v[11:12]
	v_add_f64 v[13:14], v[13:14], -v[21:22]
	v_ldexp_f64 v[21:22], v[25:26], -2
	v_add_f64 v[29:30], v[19:20], -v[23:24]
	v_add_f64 v[11:12], v[15:16], -v[11:12]
	v_add_f64 v[5:6], v[5:6], v[13:14]
	v_fract_f64_e32 v[13:14], v[21:22]
	v_cmp_neq_f64_e64 vcc, |v[21:22]|, s[0:1]
	v_add_f64 v[7:8], v[7:8], -v[29:30]
	v_add_f64 v[15:16], v[19:20], v[5:6]
	v_ldexp_f64 v[13:14], v[13:14], 2
	v_add_f64 v[21:22], v[11:12], v[15:16]
	v_cndmask_b32_e32 v14, 0, v14, vcc
	v_cndmask_b32_e32 v13, 0, v13, vcc
	v_add_f64 v[31:32], v[15:16], -v[19:20]
	v_add_f64 v[25:26], v[21:22], v[13:14]
	v_add_f64 v[11:12], v[21:22], -v[11:12]
	v_add_f64 v[33:34], v[15:16], -v[31:32]
	;; [unrolled: 1-line block ×3, first 2 shown]
	v_cmp_gt_f64_e32 vcc, 0, v[25:26]
	v_add_f64 v[25:26], v[19:20], -v[29:30]
	v_add_f64 v[11:12], v[15:16], -v[11:12]
	;; [unrolled: 1-line block ×3, first 2 shown]
	v_cndmask_b32_e32 v28, 0, v28, vcc
	v_add_f64 v[13:14], v[13:14], v[27:28]
	v_add_f64 v[25:26], v[23:24], -v[25:26]
	v_add_f64 v[5:6], v[5:6], v[19:20]
	v_add_f64 v[35:36], v[21:22], v[13:14]
	;; [unrolled: 1-line block ×3, first 2 shown]
	v_cvt_i32_f64_e32 v30, v[35:36]
	v_add_f64 v[5:6], v[7:8], v[5:6]
	v_cvt_f64_i32_e32 v[28:29], v30
	v_add_f64 v[13:14], v[13:14], -v[28:29]
	v_add_f64 v[5:6], v[9:10], v[5:6]
	v_add_f64 v[7:8], v[21:22], v[13:14]
	;; [unrolled: 1-line block ×3, first 2 shown]
	v_mov_b32_e32 v12, 0x3ff00000
	v_add_f64 v[9:10], v[7:8], -v[13:14]
	v_cmp_le_f64_e32 vcc, 0.5, v[7:8]
	v_add_f64 v[10:11], v[21:22], -v[9:10]
	v_cndmask_b32_e32 v28, 0, v12, vcc
	v_add_f64 v[7:8], v[7:8], -v[27:28]
	v_addc_co_u32_e64 v9, s[0:1], 0, v30, vcc
	s_mov_b32 s0, 0x33145c07
	s_mov_b32 s1, 0x3c91a626
	v_add_f64 v[5:6], v[5:6], v[10:11]
	v_add_f64 v[10:11], v[7:8], v[5:6]
	v_mul_f64 v[12:13], v[10:11], s[4:5]
	v_add_f64 v[7:8], v[10:11], -v[7:8]
	v_fma_f64 v[14:15], v[10:11], s[4:5], -v[12:13]
	v_add_f64 v[5:6], v[5:6], -v[7:8]
	v_fma_f64 v[7:8], v[10:11], s[0:1], v[14:15]
	v_fma_f64 v[7:8], v[5:6], s[4:5], v[7:8]
	v_add_f64 v[5:6], v[12:13], v[7:8]
	v_add_f64 v[10:11], v[5:6], -v[12:13]
	v_add_f64 v[7:8], v[7:8], -v[10:11]
.LBB47_169:
	s_andn2_saveexec_b64 s[0:1], s[6:7]
	s_cbranch_execz .LBB47_171
; %bb.170:
	s_mov_b32 s4, 0x6dc9c883
	s_mov_b32 s5, 0x3fe45f30
	v_mul_f64 v[5:6], |v[3:4]|, s[4:5]
	s_mov_b32 s4, 0x54442d18
	s_mov_b32 s5, 0xbff921fb
	s_mov_b32 s7, 0xbc91a626
	s_mov_b32 s6, 0x33145c00
	v_rndne_f64_e32 v[9:10], v[5:6]
	v_fma_f64 v[5:6], v[9:10], s[4:5], |v[3:4]|
	v_mul_f64 v[7:8], v[9:10], s[6:7]
	s_mov_b32 s4, 0x252049c0
	s_mov_b32 s5, 0xb97b839a
	v_fma_f64 v[15:16], v[9:10], s[6:7], v[5:6]
	v_add_f64 v[11:12], v[5:6], v[7:8]
	s_mov_b32 s7, 0x3c91a626
	v_add_f64 v[13:14], v[5:6], -v[11:12]
	v_add_f64 v[11:12], v[11:12], -v[15:16]
	v_add_f64 v[5:6], v[13:14], v[7:8]
	v_fma_f64 v[7:8], v[9:10], s[6:7], v[7:8]
	v_add_f64 v[5:6], v[11:12], v[5:6]
	v_add_f64 v[5:6], v[5:6], -v[7:8]
	v_fma_f64 v[7:8], v[9:10], s[4:5], v[5:6]
	v_cvt_i32_f64_e32 v9, v[9:10]
	v_add_f64 v[5:6], v[15:16], v[7:8]
	v_add_f64 v[11:12], v[5:6], -v[15:16]
	v_add_f64 v[7:8], v[7:8], -v[11:12]
.LBB47_171:
	s_or_b64 exec, exec, s[0:1]
	v_mul_f64 v[10:11], v[5:6], v[5:6]
	s_mov_b32 s0, 0xf9a43bb8
	v_mov_b32_e32 v13, 0xb42fdfa7
	v_mov_b32_e32 v14, 0xbe5ae600
	s_mov_b32 s1, 0x3de5e0b2
	s_mov_b32 s4, 0x796cde01
	v_mov_b32_e32 v12, 0x9037ab78
	s_mov_b32 s5, 0x3ec71de3
	v_fma_f64 v[14:15], v[10:11], s[0:1], v[13:14]
	s_mov_b32 s0, 0x46cc5e42
	v_mov_b32_e32 v13, 0x3e21eeb6
	s_mov_b32 s1, 0xbda907db
	v_fma_f64 v[12:13], v[10:11], s[0:1], v[12:13]
	v_mul_f64 v[16:17], v[10:11], 0.5
	s_mov_b32 s0, 0xa17f65f6
	s_mov_b32 s6, 0x19e83e5c
	v_fma_f64 v[14:15], v[10:11], v[14:15], s[4:5]
	s_mov_b32 s1, 0xbe927e4f
	s_mov_b32 s7, 0xbf2a01a0
	;; [unrolled: 1-line block ×3, first 2 shown]
	v_fma_f64 v[12:13], v[10:11], v[12:13], s[0:1]
	v_add_f64 v[18:19], -v[16:17], 1.0
	s_mov_b32 s0, 0x11110bb3
	s_mov_b32 s5, 0x3efa01a0
	v_fma_f64 v[14:15], v[10:11], v[14:15], s[6:7]
	s_mov_b32 s1, 0x3f811111
	v_mul_f64 v[20:21], v[7:8], 0.5
	v_mul_f64 v[22:23], v[5:6], -v[10:11]
	v_fma_f64 v[12:13], v[10:11], v[12:13], s[4:5]
	v_add_f64 v[24:25], -v[18:19], 1.0
	v_add_f64 v[1:2], -v[1:2], 1.0
	v_fma_f64 v[14:15], v[10:11], v[14:15], s[0:1]
	s_mov_b32 s0, 0x16c16967
	s_mov_b32 s1, 0xbf56c16c
	v_fma_f64 v[12:13], v[10:11], v[12:13], s[0:1]
	v_add_f64 v[16:17], v[24:25], -v[16:17]
	s_mov_b32 s1, 0x3fa55555
	s_mov_b32 s0, 0x55555555
	v_fma_f64 v[14:15], v[22:23], v[14:15], v[20:21]
	v_mul_f64 v[20:21], v[10:11], v[10:11]
	v_fma_f64 v[12:13], v[10:11], v[12:13], s[0:1]
	v_fma_f64 v[16:17], v[5:6], -v[7:8], v[16:17]
	s_mov_b32 s1, 0xbfc55555
	v_fma_f64 v[7:8], v[10:11], v[14:15], -v[7:8]
	v_fma_f64 v[10:11], v[20:21], v[12:13], v[16:17]
	v_fma_f64 v[7:8], v[22:23], s[0:1], v[7:8]
	s_movk_i32 s0, 0x1f8
	v_cmp_class_f64_e64 s[0:1], v[3:4], s0
	v_lshlrev_b32_e32 v3, 30, v9
	v_xor_b32_e32 v3, v3, v4
	v_add_f64 v[10:11], v[18:19], v[10:11]
	v_and_b32_e32 v3, 0x80000000, v3
	v_add_f64 v[5:6], v[5:6], -v[7:8]
	v_and_b32_e32 v7, 1, v9
	v_cmp_eq_u32_e32 vcc, 0, v7
	v_mov_b32_e32 v7, 0x7ff80000
	v_cndmask_b32_e32 v4, v11, v6, vcc
	v_cndmask_b32_e32 v5, v10, v5, vcc
	v_xor_b32_e32 v4, v4, v3
	v_cndmask_b32_e64 v3, 0, v5, s[0:1]
	v_cndmask_b32_e64 v4, v7, v4, s[0:1]
	v_mul_f64 v[3:4], v[3:4], v[3:4]
	s_mov_b32 s0, 0xc9be45de
	s_mov_b32 s1, 0xc023bd3c
	v_div_scale_f64 v[5:6], s[4:5], v[3:4], v[3:4], s[0:1]
	v_rcp_f64_e32 v[7:8], v[5:6]
	v_fma_f64 v[9:10], -v[5:6], v[7:8], 1.0
	v_fma_f64 v[7:8], v[7:8], v[9:10], v[7:8]
	v_div_scale_f64 v[9:10], vcc, s[0:1], v[3:4], s[0:1]
	v_fma_f64 v[11:12], -v[5:6], v[7:8], 1.0
	v_fma_f64 v[7:8], v[7:8], v[11:12], v[7:8]
	v_mul_f64 v[11:12], v[9:10], v[7:8]
	v_fma_f64 v[5:6], -v[5:6], v[11:12], v[9:10]
	v_div_fmas_f64 v[5:6], v[5:6], v[7:8], v[11:12]
	v_div_fixup_f64 v[3:4], v[5:6], v[3:4], s[0:1]
	v_add_f64 v[5:6], v[3:4], 0
	v_mov_b32_e32 v3, 0
	v_mov_b32_e32 v4, 0xbff00000
.LBB47_172:
	s_or_b64 exec, exec, s[2:3]
	v_add_f64 v[9:10], v[1:2], 1.0
	v_mul_f64 v[7:8], v[1:2], v[1:2]
	v_mul_f64 v[1:2], v[9:10], v[9:10]
	v_div_scale_f64 v[19:20], s[0:1], v[7:8], v[7:8], 1.0
	v_add_f64 v[11:12], v[9:10], 1.0
	v_div_scale_f64 v[35:36], vcc, 1.0, v[7:8], 1.0
	v_div_scale_f64 v[21:22], s[0:1], v[1:2], v[1:2], 1.0
	v_mul_f64 v[9:10], v[11:12], v[11:12]
	v_add_f64 v[13:14], v[11:12], 1.0
	v_rcp_f64_e32 v[15:16], v[19:20]
	v_div_scale_f64 v[23:24], s[0:1], v[9:10], v[9:10], 1.0
	v_mul_f64 v[11:12], v[13:14], v[13:14]
	v_add_f64 v[13:14], v[13:14], 1.0
	v_rcp_f64_e32 v[17:18], v[21:22]
	v_div_scale_f64 v[25:26], s[0:1], v[11:12], v[11:12], 1.0
	v_add_f64 v[31:32], v[13:14], 1.0
	v_mul_f64 v[13:14], v[13:14], v[13:14]
	v_fma_f64 v[27:28], -v[19:20], v[15:16], 1.0
	v_div_scale_f64 v[39:40], s[0:1], 1.0, v[1:2], 1.0
	v_rcp_f64_e32 v[29:30], v[23:24]
	v_div_scale_f64 v[43:44], s[2:3], v[13:14], v[13:14], 1.0
	v_fma_f64 v[33:34], -v[21:22], v[17:18], 1.0
	v_fma_f64 v[27:28], v[15:16], v[27:28], v[15:16]
	v_add_f64 v[15:16], v[31:32], 1.0
	v_rcp_f64_e32 v[37:38], v[25:26]
	v_fma_f64 v[33:34], v[17:18], v[33:34], v[17:18]
	v_mul_f64 v[17:18], v[31:32], v[31:32]
	v_fma_f64 v[31:32], -v[19:20], v[27:28], 1.0
	v_fma_f64 v[41:42], -v[23:24], v[29:30], 1.0
	v_mul_f64 v[47:48], v[15:16], v[15:16]
	v_add_f64 v[51:52], v[15:16], v[15:16]
	v_fma_f64 v[45:46], -v[21:22], v[33:34], 1.0
	v_div_scale_f64 v[49:50], s[2:3], v[17:18], v[17:18], 1.0
	v_fma_f64 v[27:28], v[27:28], v[31:32], v[27:28]
	v_fma_f64 v[29:30], v[29:30], v[41:42], v[29:30]
	v_fma_f64 v[31:32], -v[25:26], v[37:38], 1.0
	v_div_scale_f64 v[41:42], s[2:3], v[47:48], v[47:48], 1.0
	v_fma_f64 v[33:34], v[33:34], v[45:46], v[33:34]
	v_div_scale_f64 v[45:46], s[2:3], 1.0, v[9:10], 1.0
	v_mul_f64 v[53:54], v[35:36], v[27:28]
	v_fma_f64 v[55:56], -v[23:24], v[29:30], 1.0
	v_fma_f64 v[31:32], v[37:38], v[31:32], v[37:38]
	v_div_scale_f64 v[57:58], s[4:5], v[51:52], v[51:52], 1.0
	v_mul_f64 v[37:38], v[39:40], v[33:34]
	v_fma_f64 v[19:20], -v[19:20], v[53:54], v[35:36]
	v_rcp_f64_e32 v[35:36], v[43:44]
	v_fma_f64 v[29:30], v[29:30], v[55:56], v[29:30]
	v_rcp_f64_e32 v[55:56], v[49:50]
	v_fma_f64 v[21:22], -v[21:22], v[37:38], v[39:40]
	v_rcp_f64_e32 v[39:40], v[41:42]
	v_div_fmas_f64 v[19:20], v[19:20], v[27:28], v[53:54]
	s_mov_b64 vcc, s[0:1]
	v_fma_f64 v[27:28], -v[25:26], v[31:32], 1.0
	v_mul_f64 v[53:54], v[45:46], v[29:30]
	v_div_fmas_f64 v[21:22], v[21:22], v[33:34], v[37:38]
	v_rcp_f64_e32 v[33:34], v[57:58]
	v_div_scale_f64 v[37:38], s[0:1], 1.0, v[11:12], 1.0
	s_mov_b64 vcc, s[2:3]
	v_fma_f64 v[27:28], v[31:32], v[27:28], v[31:32]
	v_fma_f64 v[31:32], -v[43:44], v[35:36], 1.0
	v_fma_f64 v[23:24], -v[23:24], v[53:54], v[45:46]
	v_fma_f64 v[45:46], -v[49:50], v[55:56], 1.0
	v_div_fixup_f64 v[7:8], v[19:20], v[7:8], 1.0
	v_fma_f64 v[31:32], v[35:36], v[31:32], v[35:36]
	v_fma_f64 v[35:36], -v[41:42], v[39:40], 1.0
	v_fma_f64 v[45:46], v[55:56], v[45:46], v[55:56]
	v_fma_f64 v[55:56], -v[57:58], v[33:34], 1.0
	v_div_fmas_f64 v[23:24], v[23:24], v[29:30], v[53:54]
	v_mul_f64 v[29:30], v[37:38], v[27:28]
	s_mov_b64 vcc, s[0:1]
	v_add_f64 v[5:6], v[5:6], v[7:8]
	v_fma_f64 v[53:54], -v[43:44], v[31:32], 1.0
	v_fma_f64 v[35:36], v[39:40], v[35:36], v[39:40]
	v_fma_f64 v[39:40], -v[49:50], v[45:46], 1.0
	v_fma_f64 v[33:34], v[33:34], v[55:56], v[33:34]
	v_div_scale_f64 v[55:56], s[2:3], 1.0, v[13:14], 1.0
	v_fma_f64 v[25:26], -v[25:26], v[29:30], v[37:38]
	v_div_scale_f64 v[37:38], s[4:5], 1.0, v[17:18], 1.0
	v_fma_f64 v[31:32], v[31:32], v[53:54], v[31:32]
	v_fma_f64 v[39:40], v[45:46], v[39:40], v[45:46]
	v_fma_f64 v[45:46], -v[41:42], v[35:36], 1.0
	v_div_scale_f64 v[53:54], s[6:7], 1.0, v[47:48], 1.0
	v_div_fmas_f64 v[25:26], v[25:26], v[27:28], v[29:30]
	v_fma_f64 v[27:28], -v[57:58], v[33:34], 1.0
	v_div_scale_f64 v[29:30], s[0:1], 1.0, v[51:52], 1.0
	s_mov_b64 vcc, s[2:3]
	v_fma_f64 v[35:36], v[35:36], v[45:46], v[35:36]
	v_mul_f64 v[45:46], v[55:56], v[31:32]
	v_div_fixup_f64 v[1:2], v[21:22], v[1:2], 1.0
	v_fma_f64 v[27:28], v[33:34], v[27:28], v[33:34]
	v_mul_f64 v[33:34], v[37:38], v[39:40]
	v_fma_f64 v[43:44], -v[43:44], v[45:46], v[55:56]
	v_mul_f64 v[55:56], v[53:54], v[35:36]
	v_add_f64 v[1:2], v[5:6], v[1:2]
	v_div_fixup_f64 v[5:6], v[23:24], v[9:10], 1.0
	v_fma_f64 v[37:38], -v[49:50], v[33:34], v[37:38]
	v_mul_f64 v[49:50], v[29:30], v[27:28]
	v_div_fmas_f64 v[31:32], v[43:44], v[31:32], v[45:46]
	v_fma_f64 v[41:42], -v[41:42], v[55:56], v[53:54]
	s_mov_b64 vcc, s[4:5]
	v_add_f64 v[1:2], v[1:2], v[5:6]
	v_div_fmas_f64 v[33:34], v[37:38], v[39:40], v[33:34]
	s_mov_b64 vcc, s[6:7]
	v_fma_f64 v[29:30], -v[57:58], v[49:50], v[29:30]
	v_div_fixup_f64 v[5:6], v[25:26], v[11:12], 1.0
	v_div_fmas_f64 v[35:36], v[41:42], v[35:36], v[55:56]
	s_mov_b64 vcc, s[0:1]
	s_mov_b32 s0, 0x18618618
	s_mov_b32 s1, 0xbf986186
	v_div_fmas_f64 v[27:28], v[29:30], v[27:28], v[49:50]
	v_add_f64 v[1:2], v[1:2], v[5:6]
	v_div_fixup_f64 v[5:6], v[31:32], v[13:14], 1.0
	v_add_f64 v[1:2], v[1:2], v[5:6]
	v_div_fixup_f64 v[29:30], v[35:36], v[47:48], 1.0
	v_mov_b32_e32 v35, 0x11111111
	v_mov_b32_e32 v36, 0x3fa11111
	v_div_fixup_f64 v[5:6], v[33:34], v[17:18], 1.0
	v_div_fixup_f64 v[27:28], v[27:28], v[51:52], 1.0
	v_fma_f64 v[35:36], v[29:30], s[0:1], v[35:36]
	s_mov_b32 s0, 0x55555555
	s_mov_b32 s1, 0x3fc55555
	v_add_f64 v[1:2], v[1:2], v[5:6]
	v_add_f64 v[27:28], v[27:28], 1.0
	v_fma_f64 v[35:36], -v[29:30], v[35:36], s[0:1]
	v_fma_f64 v[27:28], v[29:30], v[35:36], v[27:28]
	v_div_scale_f64 v[29:30], s[0:1], v[15:16], v[15:16], v[27:28]
	v_rcp_f64_e32 v[35:36], v[29:30]
	v_fma_f64 v[37:38], -v[29:30], v[35:36], 1.0
	v_fma_f64 v[35:36], v[35:36], v[37:38], v[35:36]
	v_div_scale_f64 v[37:38], vcc, v[27:28], v[15:16], v[27:28]
	v_fma_f64 v[19:20], -v[29:30], v[35:36], 1.0
	v_fma_f64 v[7:8], v[35:36], v[19:20], v[35:36]
	v_mul_f64 v[9:10], v[37:38], v[7:8]
	v_fma_f64 v[11:12], -v[29:30], v[9:10], v[37:38]
	v_div_fmas_f64 v[7:8], v[11:12], v[7:8], v[9:10]
	v_div_fixup_f64 v[5:6], v[7:8], v[15:16], v[27:28]
	v_add_f64 v[1:2], v[1:2], v[5:6]
	v_mul_f64 v[1:2], v[3:4], v[1:2]
	global_store_dwordx2 v0, v[1:2], s[16:17]
	s_or_b64 exec, exec, s[48:49]
                                        ; implicit-def: $vgpr7
                                        ; implicit-def: $vgpr19
	s_andn2_saveexec_b64 s[0:1], s[38:39]
	s_cbranch_execz .LBB47_137
	s_branch .LBB47_8
	.section	.rodata,"a",@progbits
	.p2align	6, 0x0
	.amdhsa_kernel _ZN2at6native32elementwise_kernel_manual_unrollILi128ELi4EZNS0_22gpu_kernel_impl_nocastIZZZNS0_20trigamma_kernel_cudaERNS_18TensorIteratorBaseEENKUlvE_clEvENKUlvE_clEvEUldE_EEvS4_RKT_EUlibE_EEviT1_
		.amdhsa_group_segment_fixed_size 0
		.amdhsa_private_segment_fixed_size 0
		.amdhsa_kernarg_size 360
		.amdhsa_user_sgpr_count 6
		.amdhsa_user_sgpr_private_segment_buffer 1
		.amdhsa_user_sgpr_dispatch_ptr 0
		.amdhsa_user_sgpr_queue_ptr 0
		.amdhsa_user_sgpr_kernarg_segment_ptr 1
		.amdhsa_user_sgpr_dispatch_id 0
		.amdhsa_user_sgpr_flat_scratch_init 0
		.amdhsa_user_sgpr_private_segment_size 0
		.amdhsa_uses_dynamic_stack 0
		.amdhsa_system_sgpr_private_segment_wavefront_offset 0
		.amdhsa_system_sgpr_workgroup_id_x 1
		.amdhsa_system_sgpr_workgroup_id_y 0
		.amdhsa_system_sgpr_workgroup_id_z 0
		.amdhsa_system_sgpr_workgroup_info 0
		.amdhsa_system_vgpr_workitem_id 0
		.amdhsa_next_free_vgpr 60
		.amdhsa_next_free_sgpr 60
		.amdhsa_reserve_vcc 1
		.amdhsa_reserve_flat_scratch 0
		.amdhsa_float_round_mode_32 0
		.amdhsa_float_round_mode_16_64 0
		.amdhsa_float_denorm_mode_32 3
		.amdhsa_float_denorm_mode_16_64 3
		.amdhsa_dx10_clamp 1
		.amdhsa_ieee_mode 1
		.amdhsa_fp16_overflow 0
		.amdhsa_exception_fp_ieee_invalid_op 0
		.amdhsa_exception_fp_denorm_src 0
		.amdhsa_exception_fp_ieee_div_zero 0
		.amdhsa_exception_fp_ieee_overflow 0
		.amdhsa_exception_fp_ieee_underflow 0
		.amdhsa_exception_fp_ieee_inexact 0
		.amdhsa_exception_int_div_zero 0
	.end_amdhsa_kernel
	.section	.text._ZN2at6native32elementwise_kernel_manual_unrollILi128ELi4EZNS0_22gpu_kernel_impl_nocastIZZZNS0_20trigamma_kernel_cudaERNS_18TensorIteratorBaseEENKUlvE_clEvENKUlvE_clEvEUldE_EEvS4_RKT_EUlibE_EEviT1_,"axG",@progbits,_ZN2at6native32elementwise_kernel_manual_unrollILi128ELi4EZNS0_22gpu_kernel_impl_nocastIZZZNS0_20trigamma_kernel_cudaERNS_18TensorIteratorBaseEENKUlvE_clEvENKUlvE_clEvEUldE_EEvS4_RKT_EUlibE_EEviT1_,comdat
.Lfunc_end47:
	.size	_ZN2at6native32elementwise_kernel_manual_unrollILi128ELi4EZNS0_22gpu_kernel_impl_nocastIZZZNS0_20trigamma_kernel_cudaERNS_18TensorIteratorBaseEENKUlvE_clEvENKUlvE_clEvEUldE_EEvS4_RKT_EUlibE_EEviT1_, .Lfunc_end47-_ZN2at6native32elementwise_kernel_manual_unrollILi128ELi4EZNS0_22gpu_kernel_impl_nocastIZZZNS0_20trigamma_kernel_cudaERNS_18TensorIteratorBaseEENKUlvE_clEvENKUlvE_clEvEUldE_EEvS4_RKT_EUlibE_EEviT1_
                                        ; -- End function
	.set _ZN2at6native32elementwise_kernel_manual_unrollILi128ELi4EZNS0_22gpu_kernel_impl_nocastIZZZNS0_20trigamma_kernel_cudaERNS_18TensorIteratorBaseEENKUlvE_clEvENKUlvE_clEvEUldE_EEvS4_RKT_EUlibE_EEviT1_.num_vgpr, 60
	.set _ZN2at6native32elementwise_kernel_manual_unrollILi128ELi4EZNS0_22gpu_kernel_impl_nocastIZZZNS0_20trigamma_kernel_cudaERNS_18TensorIteratorBaseEENKUlvE_clEvENKUlvE_clEvEUldE_EEvS4_RKT_EUlibE_EEviT1_.num_agpr, 0
	.set _ZN2at6native32elementwise_kernel_manual_unrollILi128ELi4EZNS0_22gpu_kernel_impl_nocastIZZZNS0_20trigamma_kernel_cudaERNS_18TensorIteratorBaseEENKUlvE_clEvENKUlvE_clEvEUldE_EEvS4_RKT_EUlibE_EEviT1_.numbered_sgpr, 60
	.set _ZN2at6native32elementwise_kernel_manual_unrollILi128ELi4EZNS0_22gpu_kernel_impl_nocastIZZZNS0_20trigamma_kernel_cudaERNS_18TensorIteratorBaseEENKUlvE_clEvENKUlvE_clEvEUldE_EEvS4_RKT_EUlibE_EEviT1_.num_named_barrier, 0
	.set _ZN2at6native32elementwise_kernel_manual_unrollILi128ELi4EZNS0_22gpu_kernel_impl_nocastIZZZNS0_20trigamma_kernel_cudaERNS_18TensorIteratorBaseEENKUlvE_clEvENKUlvE_clEvEUldE_EEvS4_RKT_EUlibE_EEviT1_.private_seg_size, 0
	.set _ZN2at6native32elementwise_kernel_manual_unrollILi128ELi4EZNS0_22gpu_kernel_impl_nocastIZZZNS0_20trigamma_kernel_cudaERNS_18TensorIteratorBaseEENKUlvE_clEvENKUlvE_clEvEUldE_EEvS4_RKT_EUlibE_EEviT1_.uses_vcc, 1
	.set _ZN2at6native32elementwise_kernel_manual_unrollILi128ELi4EZNS0_22gpu_kernel_impl_nocastIZZZNS0_20trigamma_kernel_cudaERNS_18TensorIteratorBaseEENKUlvE_clEvENKUlvE_clEvEUldE_EEvS4_RKT_EUlibE_EEviT1_.uses_flat_scratch, 0
	.set _ZN2at6native32elementwise_kernel_manual_unrollILi128ELi4EZNS0_22gpu_kernel_impl_nocastIZZZNS0_20trigamma_kernel_cudaERNS_18TensorIteratorBaseEENKUlvE_clEvENKUlvE_clEvEUldE_EEvS4_RKT_EUlibE_EEviT1_.has_dyn_sized_stack, 0
	.set _ZN2at6native32elementwise_kernel_manual_unrollILi128ELi4EZNS0_22gpu_kernel_impl_nocastIZZZNS0_20trigamma_kernel_cudaERNS_18TensorIteratorBaseEENKUlvE_clEvENKUlvE_clEvEUldE_EEvS4_RKT_EUlibE_EEviT1_.has_recursion, 0
	.set _ZN2at6native32elementwise_kernel_manual_unrollILi128ELi4EZNS0_22gpu_kernel_impl_nocastIZZZNS0_20trigamma_kernel_cudaERNS_18TensorIteratorBaseEENKUlvE_clEvENKUlvE_clEvEUldE_EEvS4_RKT_EUlibE_EEviT1_.has_indirect_call, 0
	.section	.AMDGPU.csdata,"",@progbits
; Kernel info:
; codeLenInByte = 25892
; TotalNumSgprs: 64
; NumVgprs: 60
; ScratchSize: 0
; MemoryBound: 0
; FloatMode: 240
; IeeeMode: 1
; LDSByteSize: 0 bytes/workgroup (compile time only)
; SGPRBlocks: 7
; VGPRBlocks: 14
; NumSGPRsForWavesPerEU: 64
; NumVGPRsForWavesPerEU: 60
; Occupancy: 4
; WaveLimiterHint : 1
; COMPUTE_PGM_RSRC2:SCRATCH_EN: 0
; COMPUTE_PGM_RSRC2:USER_SGPR: 6
; COMPUTE_PGM_RSRC2:TRAP_HANDLER: 0
; COMPUTE_PGM_RSRC2:TGID_X_EN: 1
; COMPUTE_PGM_RSRC2:TGID_Y_EN: 0
; COMPUTE_PGM_RSRC2:TGID_Z_EN: 0
; COMPUTE_PGM_RSRC2:TIDIG_COMP_CNT: 0
	.section	.text._ZN2at6native32elementwise_kernel_manual_unrollILi128ELi4EZNS0_15gpu_kernel_implIZZZNS0_20trigamma_kernel_cudaERNS_18TensorIteratorBaseEENKUlvE_clEvENKUlvE_clEvEUldE_EEvS4_RKT_EUlibE_EEviT1_,"axG",@progbits,_ZN2at6native32elementwise_kernel_manual_unrollILi128ELi4EZNS0_15gpu_kernel_implIZZZNS0_20trigamma_kernel_cudaERNS_18TensorIteratorBaseEENKUlvE_clEvENKUlvE_clEvEUldE_EEvS4_RKT_EUlibE_EEviT1_,comdat
	.globl	_ZN2at6native32elementwise_kernel_manual_unrollILi128ELi4EZNS0_15gpu_kernel_implIZZZNS0_20trigamma_kernel_cudaERNS_18TensorIteratorBaseEENKUlvE_clEvENKUlvE_clEvEUldE_EEvS4_RKT_EUlibE_EEviT1_ ; -- Begin function _ZN2at6native32elementwise_kernel_manual_unrollILi128ELi4EZNS0_15gpu_kernel_implIZZZNS0_20trigamma_kernel_cudaERNS_18TensorIteratorBaseEENKUlvE_clEvENKUlvE_clEvEUldE_EEvS4_RKT_EUlibE_EEviT1_
	.p2align	8
	.type	_ZN2at6native32elementwise_kernel_manual_unrollILi128ELi4EZNS0_15gpu_kernel_implIZZZNS0_20trigamma_kernel_cudaERNS_18TensorIteratorBaseEENKUlvE_clEvENKUlvE_clEvEUldE_EEvS4_RKT_EUlibE_EEviT1_,@function
_ZN2at6native32elementwise_kernel_manual_unrollILi128ELi4EZNS0_15gpu_kernel_implIZZZNS0_20trigamma_kernel_cudaERNS_18TensorIteratorBaseEENKUlvE_clEvENKUlvE_clEvEUldE_EEvS4_RKT_EUlibE_EEviT1_: ; @_ZN2at6native32elementwise_kernel_manual_unrollILi128ELi4EZNS0_15gpu_kernel_implIZZZNS0_20trigamma_kernel_cudaERNS_18TensorIteratorBaseEENKUlvE_clEvENKUlvE_clEvEUldE_EEvS4_RKT_EUlibE_EEviT1_
; %bb.0:
	v_mov_b32_e32 v1, 0
	global_load_ushort v1, v1, s[4:5] offset:33
	s_load_dwordx4 s[8:11], s[4:5], 0x8
	s_load_dwordx2 s[12:13], s[4:5], 0x18
	s_load_dword s38, s[4:5], 0x0
	v_lshl_or_b32 v30, s6, 9, v0
	v_or_b32_e32 v0, 0x180, v30
	s_mov_b64 s[20:21], 0
	s_mov_b64 s[14:15], 0
	s_waitcnt lgkmcnt(0)
	v_cmp_le_i32_e32 vcc, s38, v0
	s_waitcnt vmcnt(0)
	v_readfirstlane_b32 s33, v1
	s_and_b32 s0, 0xffff, s33
	s_lshr_b32 s42, s0, 8
	s_and_saveexec_b64 s[0:1], vcc
	s_xor_b64 s[16:17], exec, s[0:1]
	s_cbranch_execz .LBB48_1050
; %bb.1:
	v_cmp_gt_i32_e32 vcc, s38, v30
	s_mov_b64 s[2:3], -1
	s_mov_b64 s[26:27], 0
	s_mov_b64 s[18:19], 0
	s_and_saveexec_b64 s[22:23], vcc
	s_cbranch_execz .LBB48_257
; %bb.2:
	v_mul_lo_u32 v0, v30, s13
	v_mov_b32_e32 v1, s11
	s_and_b32 s6, 0xffff, s42
	s_cmp_lt_i32 s6, 11
	v_ashrrev_i32_e32 v3, 31, v0
	v_add_co_u32_e32 v2, vcc, s10, v0
	v_addc_co_u32_e32 v3, vcc, v1, v3, vcc
	s_cbranch_scc1 .LBB48_9
; %bb.3:
	s_cmp_gt_i32 s6, 25
	s_cbranch_scc0 .LBB48_24
; %bb.4:
	s_cmp_gt_i32 s6, 28
	s_cbranch_scc0 .LBB48_28
	;; [unrolled: 3-line block ×4, first 2 shown]
; %bb.7:
	s_cmp_eq_u32 s6, 46
	s_mov_b64 s[2:3], 0
	s_cbranch_scc0 .LBB48_33
; %bb.8:
	global_load_dword v0, v[2:3], off
	s_mov_b64 s[0:1], -1
	s_waitcnt vmcnt(0)
	v_lshlrev_b32_e32 v0, 16, v0
	v_cvt_f64_f32_e32 v[0:1], v0
	s_branch .LBB48_35
.LBB48_9:
                                        ; implicit-def: $vgpr0_vgpr1
	s_mov_b64 s[0:1], 0
	s_and_b64 vcc, exec, s[2:3]
	s_cbranch_vccnz .LBB48_208
.LBB48_10:
	s_andn2_b64 vcc, exec, s[0:1]
	s_cbranch_vccnz .LBB48_255
.LBB48_11:
	s_waitcnt vmcnt(0)
	v_cmp_gt_f64_e32 vcc, 0.5, v[0:1]
	v_mov_b32_e32 v4, 0
	v_mov_b32_e32 v2, 0
	;; [unrolled: 1-line block ×4, first 2 shown]
	s_and_saveexec_b64 s[2:3], vcc
	s_cbranch_execz .LBB48_17
; %bb.12:
	s_mov_b32 s5, 0x400921fb
	s_mov_b32 s4, 0x54442d18
	v_mul_f64 v[2:3], v[0:1], s[4:5]
	s_mov_b32 s0, 0
	s_mov_b32 s1, 0x41d00000
                                        ; implicit-def: $vgpr8
                                        ; implicit-def: $vgpr4_vgpr5
                                        ; implicit-def: $vgpr6_vgpr7
	v_cmp_nlt_f64_e64 s[0:1], |v[2:3]|, s[0:1]
	s_and_saveexec_b64 s[6:7], s[0:1]
	s_xor_b64 s[6:7], exec, s[6:7]
	s_cbranch_execz .LBB48_14
; %bb.13:
	v_trig_preop_f64 v[4:5], |v[2:3]|, 0
	s_mov_b32 s0, 0
	s_mov_b32 s1, 0x7b000000
	s_movk_i32 s5, 0xff80
	v_ldexp_f64 v[8:9], |v[2:3]|, s5
	v_cmp_ge_f64_e64 vcc, |v[2:3]|, s[0:1]
	v_trig_preop_f64 v[6:7], |v[2:3]|, 1
	v_and_b32_e32 v10, 0x7fffffff, v3
	v_trig_preop_f64 v[16:17], |v[2:3]|, 2
	s_mov_b32 s0, 0
	s_mov_b32 s1, 0x7ff00000
	v_mov_b32_e32 v27, 0x40100000
	v_mov_b32_e32 v26, 0
	v_cndmask_b32_e32 v9, v10, v9, vcc
	v_cndmask_b32_e32 v8, v2, v8, vcc
	s_mov_b32 s5, 0x3ff921fb
	v_mul_f64 v[10:11], v[4:5], v[8:9]
	v_mul_f64 v[12:13], v[6:7], v[8:9]
	;; [unrolled: 1-line block ×3, first 2 shown]
	v_fma_f64 v[4:5], v[4:5], v[8:9], -v[10:11]
	v_fma_f64 v[6:7], v[6:7], v[8:9], -v[12:13]
	;; [unrolled: 1-line block ×3, first 2 shown]
	v_add_f64 v[14:15], v[12:13], v[4:5]
	v_add_f64 v[18:19], v[14:15], -v[12:13]
	v_add_f64 v[24:25], v[10:11], v[14:15]
	v_add_f64 v[20:21], v[14:15], -v[18:19]
	v_add_f64 v[4:5], v[4:5], -v[18:19]
	v_add_f64 v[18:19], v[22:23], v[6:7]
	v_add_f64 v[10:11], v[24:25], -v[10:11]
	v_add_f64 v[12:13], v[12:13], -v[20:21]
	v_ldexp_f64 v[20:21], v[24:25], -2
	v_add_f64 v[28:29], v[18:19], -v[22:23]
	v_add_f64 v[10:11], v[14:15], -v[10:11]
	v_add_f64 v[4:5], v[4:5], v[12:13]
	v_fract_f64_e32 v[12:13], v[20:21]
	v_cmp_neq_f64_e64 vcc, |v[20:21]|, s[0:1]
	v_add_f64 v[6:7], v[6:7], -v[28:29]
	v_add_f64 v[14:15], v[18:19], v[4:5]
	v_ldexp_f64 v[12:13], v[12:13], 2
	v_add_f64 v[20:21], v[10:11], v[14:15]
	v_cndmask_b32_e32 v13, 0, v13, vcc
	v_cndmask_b32_e32 v12, 0, v12, vcc
	v_add_f64 v[31:32], v[14:15], -v[18:19]
	v_add_f64 v[24:25], v[20:21], v[12:13]
	v_add_f64 v[10:11], v[20:21], -v[10:11]
	v_add_f64 v[33:34], v[14:15], -v[31:32]
	;; [unrolled: 1-line block ×3, first 2 shown]
	v_cmp_gt_f64_e32 vcc, 0, v[24:25]
	v_add_f64 v[24:25], v[18:19], -v[28:29]
	v_add_f64 v[10:11], v[14:15], -v[10:11]
	;; [unrolled: 1-line block ×3, first 2 shown]
	v_cndmask_b32_e32 v27, 0, v27, vcc
	v_add_f64 v[12:13], v[12:13], v[26:27]
	v_add_f64 v[24:25], v[22:23], -v[24:25]
	v_add_f64 v[4:5], v[4:5], v[18:19]
	v_add_f64 v[35:36], v[20:21], v[12:13]
	;; [unrolled: 1-line block ×3, first 2 shown]
	v_cvt_i32_f64_e32 v29, v[35:36]
	v_add_f64 v[4:5], v[6:7], v[4:5]
	v_cvt_f64_i32_e32 v[27:28], v29
	v_add_f64 v[12:13], v[12:13], -v[27:28]
	v_add_f64 v[4:5], v[8:9], v[4:5]
	v_add_f64 v[6:7], v[20:21], v[12:13]
	;; [unrolled: 1-line block ×3, first 2 shown]
	v_mov_b32_e32 v11, 0x3ff00000
	v_add_f64 v[8:9], v[6:7], -v[12:13]
	v_cmp_le_f64_e32 vcc, 0.5, v[6:7]
	v_add_f64 v[9:10], v[20:21], -v[8:9]
	v_cndmask_b32_e32 v27, 0, v11, vcc
	v_add_f64 v[6:7], v[6:7], -v[26:27]
	v_addc_co_u32_e64 v8, s[0:1], 0, v29, vcc
	s_mov_b32 s0, 0x33145c07
	s_mov_b32 s1, 0x3c91a626
	v_add_f64 v[4:5], v[4:5], v[9:10]
	v_add_f64 v[9:10], v[6:7], v[4:5]
	v_mul_f64 v[11:12], v[9:10], s[4:5]
	v_add_f64 v[6:7], v[9:10], -v[6:7]
	v_fma_f64 v[13:14], v[9:10], s[4:5], -v[11:12]
	v_add_f64 v[4:5], v[4:5], -v[6:7]
	v_fma_f64 v[6:7], v[9:10], s[0:1], v[13:14]
	v_fma_f64 v[6:7], v[4:5], s[4:5], v[6:7]
	v_add_f64 v[4:5], v[11:12], v[6:7]
	v_add_f64 v[9:10], v[4:5], -v[11:12]
	v_add_f64 v[6:7], v[6:7], -v[9:10]
.LBB48_14:
	s_andn2_saveexec_b64 s[0:1], s[6:7]
	s_cbranch_execz .LBB48_16
; %bb.15:
	s_mov_b32 s4, 0x6dc9c883
	s_mov_b32 s5, 0x3fe45f30
	v_mul_f64 v[4:5], |v[2:3]|, s[4:5]
	s_mov_b32 s4, 0x54442d18
	s_mov_b32 s5, 0xbff921fb
	;; [unrolled: 1-line block ×4, first 2 shown]
	v_rndne_f64_e32 v[8:9], v[4:5]
	v_fma_f64 v[4:5], v[8:9], s[4:5], |v[2:3]|
	v_mul_f64 v[6:7], v[8:9], s[6:7]
	s_mov_b32 s4, 0x252049c0
	s_mov_b32 s5, 0xb97b839a
	v_fma_f64 v[14:15], v[8:9], s[6:7], v[4:5]
	v_add_f64 v[10:11], v[4:5], v[6:7]
	s_mov_b32 s7, 0x3c91a626
	v_add_f64 v[12:13], v[4:5], -v[10:11]
	v_add_f64 v[10:11], v[10:11], -v[14:15]
	v_add_f64 v[4:5], v[12:13], v[6:7]
	v_fma_f64 v[6:7], v[8:9], s[6:7], v[6:7]
	v_add_f64 v[4:5], v[10:11], v[4:5]
	v_add_f64 v[4:5], v[4:5], -v[6:7]
	v_fma_f64 v[6:7], v[8:9], s[4:5], v[4:5]
	v_cvt_i32_f64_e32 v8, v[8:9]
	v_add_f64 v[4:5], v[14:15], v[6:7]
	v_add_f64 v[10:11], v[4:5], -v[14:15]
	v_add_f64 v[6:7], v[6:7], -v[10:11]
.LBB48_16:
	s_or_b64 exec, exec, s[0:1]
	v_mul_f64 v[9:10], v[4:5], v[4:5]
	s_mov_b32 s0, 0xf9a43bb8
	v_mov_b32_e32 v12, 0xb42fdfa7
	v_mov_b32_e32 v13, 0xbe5ae600
	s_mov_b32 s1, 0x3de5e0b2
	s_mov_b32 s4, 0x796cde01
	v_mov_b32_e32 v11, 0x9037ab78
	s_mov_b32 s5, 0x3ec71de3
	v_fma_f64 v[13:14], v[9:10], s[0:1], v[12:13]
	s_mov_b32 s0, 0x46cc5e42
	v_mov_b32_e32 v12, 0x3e21eeb6
	s_mov_b32 s1, 0xbda907db
	v_fma_f64 v[11:12], v[9:10], s[0:1], v[11:12]
	v_mul_f64 v[15:16], v[9:10], 0.5
	s_mov_b32 s0, 0xa17f65f6
	s_mov_b32 s6, 0x19e83e5c
	v_fma_f64 v[13:14], v[9:10], v[13:14], s[4:5]
	s_mov_b32 s1, 0xbe927e4f
	s_mov_b32 s7, 0xbf2a01a0
	s_mov_b32 s4, 0x19f4ec90
	v_fma_f64 v[11:12], v[9:10], v[11:12], s[0:1]
	v_add_f64 v[17:18], -v[15:16], 1.0
	s_mov_b32 s0, 0x11110bb3
	s_mov_b32 s5, 0x3efa01a0
	v_fma_f64 v[13:14], v[9:10], v[13:14], s[6:7]
	s_mov_b32 s1, 0x3f811111
	v_mul_f64 v[19:20], v[6:7], 0.5
	v_mul_f64 v[21:22], v[4:5], -v[9:10]
	v_fma_f64 v[11:12], v[9:10], v[11:12], s[4:5]
	v_add_f64 v[23:24], -v[17:18], 1.0
	v_add_f64 v[0:1], -v[0:1], 1.0
	v_fma_f64 v[13:14], v[9:10], v[13:14], s[0:1]
	s_mov_b32 s0, 0x16c16967
	s_mov_b32 s1, 0xbf56c16c
	v_fma_f64 v[11:12], v[9:10], v[11:12], s[0:1]
	v_add_f64 v[15:16], v[23:24], -v[15:16]
	s_mov_b32 s1, 0x3fa55555
	s_mov_b32 s0, 0x55555555
	v_fma_f64 v[13:14], v[21:22], v[13:14], v[19:20]
	v_mul_f64 v[19:20], v[9:10], v[9:10]
	v_fma_f64 v[11:12], v[9:10], v[11:12], s[0:1]
	v_fma_f64 v[15:16], v[4:5], -v[6:7], v[15:16]
	s_mov_b32 s1, 0xbfc55555
	v_fma_f64 v[6:7], v[9:10], v[13:14], -v[6:7]
	v_fma_f64 v[9:10], v[19:20], v[11:12], v[15:16]
	v_fma_f64 v[6:7], v[21:22], s[0:1], v[6:7]
	s_movk_i32 s0, 0x1f8
	v_cmp_class_f64_e64 s[0:1], v[2:3], s0
	v_lshlrev_b32_e32 v2, 30, v8
	v_xor_b32_e32 v2, v2, v3
	v_add_f64 v[9:10], v[17:18], v[9:10]
	v_and_b32_e32 v2, 0x80000000, v2
	v_add_f64 v[4:5], v[4:5], -v[6:7]
	v_and_b32_e32 v6, 1, v8
	v_cmp_eq_u32_e32 vcc, 0, v6
	v_mov_b32_e32 v6, 0x7ff80000
	v_cndmask_b32_e32 v3, v10, v5, vcc
	v_cndmask_b32_e32 v4, v9, v4, vcc
	v_xor_b32_e32 v3, v3, v2
	v_cndmask_b32_e64 v2, 0, v4, s[0:1]
	v_cndmask_b32_e64 v3, v6, v3, s[0:1]
	v_mul_f64 v[2:3], v[2:3], v[2:3]
	s_mov_b32 s0, 0xc9be45de
	s_mov_b32 s1, 0xc023bd3c
	v_div_scale_f64 v[4:5], s[4:5], v[2:3], v[2:3], s[0:1]
	v_rcp_f64_e32 v[6:7], v[4:5]
	v_fma_f64 v[8:9], -v[4:5], v[6:7], 1.0
	v_fma_f64 v[6:7], v[6:7], v[8:9], v[6:7]
	v_div_scale_f64 v[8:9], vcc, s[0:1], v[2:3], s[0:1]
	v_fma_f64 v[10:11], -v[4:5], v[6:7], 1.0
	v_fma_f64 v[6:7], v[6:7], v[10:11], v[6:7]
	v_mul_f64 v[10:11], v[8:9], v[6:7]
	v_fma_f64 v[4:5], -v[4:5], v[10:11], v[8:9]
	v_div_fmas_f64 v[4:5], v[4:5], v[6:7], v[10:11]
	v_div_fixup_f64 v[2:3], v[4:5], v[2:3], s[0:1]
	v_add_f64 v[4:5], v[2:3], 0
	v_mov_b32_e32 v2, 0
	v_mov_b32_e32 v3, 0xbff00000
.LBB48_17:
	s_or_b64 exec, exec, s[2:3]
	v_add_f64 v[8:9], v[0:1], 1.0
	v_mul_f64 v[6:7], v[0:1], v[0:1]
	s_and_b32 s14, s33, 0xff
	s_cmp_lt_i32 s14, 11
	v_mul_f64 v[0:1], v[8:9], v[8:9]
	v_div_scale_f64 v[18:19], s[0:1], v[6:7], v[6:7], 1.0
	v_add_f64 v[10:11], v[8:9], 1.0
	v_div_scale_f64 v[35:36], vcc, 1.0, v[6:7], 1.0
	v_div_scale_f64 v[20:21], s[0:1], v[0:1], v[0:1], 1.0
	v_mul_f64 v[8:9], v[10:11], v[10:11]
	v_add_f64 v[12:13], v[10:11], 1.0
	v_rcp_f64_e32 v[14:15], v[18:19]
	v_div_scale_f64 v[22:23], s[0:1], v[8:9], v[8:9], 1.0
	v_mul_f64 v[10:11], v[12:13], v[12:13]
	v_add_f64 v[12:13], v[12:13], 1.0
	v_rcp_f64_e32 v[16:17], v[20:21]
	v_div_scale_f64 v[24:25], s[0:1], v[10:11], v[10:11], 1.0
	v_add_f64 v[31:32], v[12:13], 1.0
	v_mul_f64 v[12:13], v[12:13], v[12:13]
	v_fma_f64 v[26:27], -v[18:19], v[14:15], 1.0
	v_div_scale_f64 v[39:40], s[0:1], 1.0, v[0:1], 1.0
	v_rcp_f64_e32 v[28:29], v[22:23]
	v_div_scale_f64 v[43:44], s[2:3], v[12:13], v[12:13], 1.0
	v_fma_f64 v[33:34], -v[20:21], v[16:17], 1.0
	v_fma_f64 v[26:27], v[14:15], v[26:27], v[14:15]
	v_add_f64 v[14:15], v[31:32], 1.0
	v_rcp_f64_e32 v[37:38], v[24:25]
	v_fma_f64 v[33:34], v[16:17], v[33:34], v[16:17]
	v_mul_f64 v[16:17], v[31:32], v[31:32]
	v_fma_f64 v[31:32], -v[18:19], v[26:27], 1.0
	v_fma_f64 v[41:42], -v[22:23], v[28:29], 1.0
	v_mul_f64 v[47:48], v[14:15], v[14:15]
	v_add_f64 v[51:52], v[14:15], v[14:15]
	v_fma_f64 v[45:46], -v[20:21], v[33:34], 1.0
	v_div_scale_f64 v[49:50], s[2:3], v[16:17], v[16:17], 1.0
	v_fma_f64 v[26:27], v[26:27], v[31:32], v[26:27]
	v_fma_f64 v[28:29], v[28:29], v[41:42], v[28:29]
	v_fma_f64 v[31:32], -v[24:25], v[37:38], 1.0
	v_div_scale_f64 v[41:42], s[2:3], v[47:48], v[47:48], 1.0
	v_fma_f64 v[33:34], v[33:34], v[45:46], v[33:34]
	v_div_scale_f64 v[45:46], s[2:3], 1.0, v[8:9], 1.0
	v_mul_f64 v[53:54], v[35:36], v[26:27]
	v_fma_f64 v[55:56], -v[22:23], v[28:29], 1.0
	v_fma_f64 v[31:32], v[37:38], v[31:32], v[37:38]
	v_div_scale_f64 v[57:58], s[4:5], v[51:52], v[51:52], 1.0
	v_mul_f64 v[37:38], v[39:40], v[33:34]
	v_fma_f64 v[18:19], -v[18:19], v[53:54], v[35:36]
	v_rcp_f64_e32 v[35:36], v[43:44]
	v_fma_f64 v[28:29], v[28:29], v[55:56], v[28:29]
	v_rcp_f64_e32 v[55:56], v[49:50]
	v_fma_f64 v[20:21], -v[20:21], v[37:38], v[39:40]
	v_rcp_f64_e32 v[39:40], v[41:42]
	v_div_fmas_f64 v[18:19], v[18:19], v[26:27], v[53:54]
	s_mov_b64 vcc, s[0:1]
	v_fma_f64 v[26:27], -v[24:25], v[31:32], 1.0
	v_mul_f64 v[53:54], v[45:46], v[28:29]
	v_div_fmas_f64 v[20:21], v[20:21], v[33:34], v[37:38]
	v_rcp_f64_e32 v[33:34], v[57:58]
	v_div_scale_f64 v[37:38], s[0:1], 1.0, v[10:11], 1.0
	s_mov_b64 vcc, s[2:3]
	v_fma_f64 v[26:27], v[31:32], v[26:27], v[31:32]
	v_fma_f64 v[31:32], -v[43:44], v[35:36], 1.0
	v_fma_f64 v[22:23], -v[22:23], v[53:54], v[45:46]
	v_fma_f64 v[45:46], -v[49:50], v[55:56], 1.0
	v_div_fixup_f64 v[6:7], v[18:19], v[6:7], 1.0
	v_fma_f64 v[31:32], v[35:36], v[31:32], v[35:36]
	v_fma_f64 v[35:36], -v[41:42], v[39:40], 1.0
	v_fma_f64 v[45:46], v[55:56], v[45:46], v[55:56]
	v_fma_f64 v[55:56], -v[57:58], v[33:34], 1.0
	v_div_fmas_f64 v[22:23], v[22:23], v[28:29], v[53:54]
	v_mul_f64 v[28:29], v[37:38], v[26:27]
	s_mov_b64 vcc, s[0:1]
	v_add_f64 v[4:5], v[4:5], v[6:7]
	v_fma_f64 v[53:54], -v[43:44], v[31:32], 1.0
	v_fma_f64 v[35:36], v[39:40], v[35:36], v[39:40]
	v_fma_f64 v[39:40], -v[49:50], v[45:46], 1.0
	v_fma_f64 v[33:34], v[33:34], v[55:56], v[33:34]
	v_div_scale_f64 v[55:56], s[2:3], 1.0, v[12:13], 1.0
	v_fma_f64 v[24:25], -v[24:25], v[28:29], v[37:38]
	v_div_scale_f64 v[37:38], s[4:5], 1.0, v[16:17], 1.0
	v_fma_f64 v[31:32], v[31:32], v[53:54], v[31:32]
	v_fma_f64 v[39:40], v[45:46], v[39:40], v[45:46]
	v_fma_f64 v[45:46], -v[41:42], v[35:36], 1.0
	v_div_scale_f64 v[53:54], s[6:7], 1.0, v[47:48], 1.0
	v_div_fmas_f64 v[24:25], v[24:25], v[26:27], v[28:29]
	v_fma_f64 v[26:27], -v[57:58], v[33:34], 1.0
	v_div_scale_f64 v[28:29], s[0:1], 1.0, v[51:52], 1.0
	s_mov_b64 vcc, s[2:3]
	v_fma_f64 v[35:36], v[35:36], v[45:46], v[35:36]
	v_mul_f64 v[45:46], v[55:56], v[31:32]
	v_div_fixup_f64 v[0:1], v[20:21], v[0:1], 1.0
	v_fma_f64 v[26:27], v[33:34], v[26:27], v[33:34]
	v_mul_f64 v[33:34], v[37:38], v[39:40]
	v_fma_f64 v[43:44], -v[43:44], v[45:46], v[55:56]
	v_mul_f64 v[55:56], v[53:54], v[35:36]
	v_add_f64 v[0:1], v[4:5], v[0:1]
	v_div_fixup_f64 v[4:5], v[22:23], v[8:9], 1.0
	v_fma_f64 v[37:38], -v[49:50], v[33:34], v[37:38]
	v_mul_f64 v[49:50], v[28:29], v[26:27]
	v_div_fmas_f64 v[31:32], v[43:44], v[31:32], v[45:46]
	v_fma_f64 v[41:42], -v[41:42], v[55:56], v[53:54]
	s_mov_b64 vcc, s[4:5]
	v_add_f64 v[0:1], v[0:1], v[4:5]
	v_div_fmas_f64 v[33:34], v[37:38], v[39:40], v[33:34]
	s_mov_b64 vcc, s[6:7]
	v_fma_f64 v[28:29], -v[57:58], v[49:50], v[28:29]
	v_div_fixup_f64 v[4:5], v[24:25], v[10:11], 1.0
	v_div_fmas_f64 v[35:36], v[41:42], v[35:36], v[55:56]
	s_mov_b64 vcc, s[0:1]
	s_mov_b32 s0, 0x18618618
	s_mov_b32 s1, 0xbf986186
	v_div_fmas_f64 v[26:27], v[28:29], v[26:27], v[49:50]
	v_add_f64 v[0:1], v[0:1], v[4:5]
	v_div_fixup_f64 v[4:5], v[31:32], v[12:13], 1.0
	v_add_f64 v[0:1], v[0:1], v[4:5]
	v_div_fixup_f64 v[28:29], v[35:36], v[47:48], 1.0
	v_mov_b32_e32 v35, 0x11111111
	v_mov_b32_e32 v36, 0x3fa11111
	v_div_fixup_f64 v[4:5], v[33:34], v[16:17], 1.0
	v_div_fixup_f64 v[26:27], v[26:27], v[51:52], 1.0
	v_fma_f64 v[35:36], v[28:29], s[0:1], v[35:36]
	s_mov_b32 s0, 0x55555555
	s_mov_b32 s1, 0x3fc55555
	v_add_f64 v[0:1], v[0:1], v[4:5]
	v_add_f64 v[26:27], v[26:27], 1.0
	v_fma_f64 v[35:36], -v[28:29], v[35:36], s[0:1]
	v_fma_f64 v[26:27], v[28:29], v[35:36], v[26:27]
	v_div_scale_f64 v[28:29], s[0:1], v[14:15], v[14:15], v[26:27]
	v_div_scale_f64 v[18:19], vcc, v[26:27], v[14:15], v[26:27]
	v_rcp_f64_e32 v[35:36], v[28:29]
	v_fma_f64 v[37:38], -v[28:29], v[35:36], 1.0
	v_fma_f64 v[35:36], v[35:36], v[37:38], v[35:36]
	v_fma_f64 v[37:38], -v[28:29], v[35:36], 1.0
	v_fma_f64 v[6:7], v[35:36], v[37:38], v[35:36]
	v_mul_f64 v[8:9], v[18:19], v[6:7]
	v_fma_f64 v[10:11], -v[28:29], v[8:9], v[18:19]
	v_div_fmas_f64 v[6:7], v[10:11], v[6:7], v[8:9]
	v_div_fixup_f64 v[4:5], v[6:7], v[14:15], v[26:27]
	v_add_f64 v[0:1], v[0:1], v[4:5]
	v_mul_lo_u32 v4, v30, s12
	v_mul_f64 v[0:1], v[2:3], v[0:1]
	v_ashrrev_i32_e32 v2, 31, v4
	v_mov_b32_e32 v3, s9
	v_add_co_u32_e32 v4, vcc, s8, v4
	v_addc_co_u32_e32 v5, vcc, v3, v2, vcc
	s_cbranch_scc1 .LBB48_25
; %bb.18:
	s_and_b32 s15, 0xffff, s14
	s_cmp_gt_i32 s15, 25
	s_cbranch_scc0 .LBB48_29
; %bb.19:
	s_cmp_gt_i32 s15, 28
	s_cbranch_scc0 .LBB48_31
; %bb.20:
	;; [unrolled: 3-line block ×4, first 2 shown]
	s_mov_b64 s[4:5], 0
	s_mov_b64 s[0:1], -1
	s_cmp_eq_u32 s15, 46
	s_mov_b64 s[2:3], 0
	s_cbranch_scc0 .LBB48_39
; %bb.23:
	v_cvt_f32_f64_e32 v2, v[0:1]
	s_movk_i32 s0, 0x7fff
	v_mov_b32_e32 v3, 0x7fc0
	s_mov_b64 s[2:3], -1
	v_bfe_u32 v6, v2, 16, 1
	v_cmp_o_f32_e32 vcc, v2, v2
	v_add3_u32 v2, v2, v6, s0
	v_cndmask_b32_sdwa v2, v3, v2, vcc dst_sel:DWORD dst_unused:UNUSED_PAD src0_sel:DWORD src1_sel:WORD_1
	global_store_dword v[4:5], v2, off
	s_mov_b64 s[0:1], 0
	s_branch .LBB48_39
.LBB48_24:
	s_mov_b64 s[0:1], 0
                                        ; implicit-def: $vgpr0_vgpr1
	s_and_b64 vcc, exec, s[2:3]
	s_cbranch_vccnz .LBB48_175
	s_branch .LBB48_207
.LBB48_25:
	s_mov_b64 s[0:1], 0
	s_mov_b64 s[2:3], 0
	s_cbranch_execnz .LBB48_108
.LBB48_26:
	s_andn2_b64 vcc, exec, s[2:3]
	s_cbranch_vccnz .LBB48_146
.LBB48_27:
	v_add_u32_e32 v30, 0x80, v30
	s_mov_b64 s[2:3], -1
	s_branch .LBB48_256
.LBB48_28:
	s_mov_b64 s[0:1], 0
                                        ; implicit-def: $vgpr0_vgpr1
	s_branch .LBB48_154
.LBB48_29:
	s_mov_b64 s[4:5], -1
	s_mov_b64 s[0:1], 0
	s_mov_b64 s[2:3], 0
	s_branch .LBB48_66
.LBB48_30:
	s_mov_b64 s[0:1], 0
                                        ; implicit-def: $vgpr0_vgpr1
	s_branch .LBB48_149
.LBB48_31:
	s_mov_b64 s[4:5], -1
	s_mov_b64 s[0:1], 0
	s_mov_b64 s[2:3], 0
	s_branch .LBB48_49
.LBB48_32:
	s_mov_b64 s[4:5], -1
	s_mov_b64 s[0:1], 0
	s_mov_b64 s[2:3], 0
	s_branch .LBB48_45
.LBB48_33:
	s_mov_b64 s[18:19], -1
.LBB48_34:
	s_mov_b64 s[0:1], 0
                                        ; implicit-def: $vgpr0_vgpr1
.LBB48_35:
	s_and_b64 vcc, exec, s[2:3]
	s_cbranch_vccz .LBB48_148
; %bb.36:
	s_cmp_eq_u32 s6, 44
	s_cbranch_scc0 .LBB48_147
; %bb.37:
	global_load_ubyte v4, v[2:3], off
	s_movk_i32 s2, 0xff
	v_bfrev_b32_e32 v5, 4
	v_mov_b32_e32 v6, 0x7ff80000
	v_bfrev_b32_e32 v7, 28
	s_mov_b64 s[0:1], -1
	s_mov_b64 s[18:19], 0
	s_waitcnt vmcnt(0)
	v_lshlrev_b32_e32 v0, 23, v4
	v_cvt_f64_f32_e32 v[0:1], v0
	v_cmp_ne_u32_e32 vcc, s2, v4
	v_cndmask_b32_e32 v0, v5, v0, vcc
	v_cndmask_b32_e32 v1, v6, v1, vcc
	v_cmp_ne_u32_e32 vcc, 0, v4
	v_cndmask_b32_e32 v1, v7, v1, vcc
	v_cndmask_b32_e32 v0, 0, v0, vcc
	s_branch .LBB48_148
.LBB48_38:
	s_mov_b64 s[4:5], -1
	s_mov_b64 s[0:1], 0
	s_mov_b64 s[2:3], 0
.LBB48_39:
	s_and_b64 vcc, exec, s[4:5]
	s_cbranch_vccz .LBB48_44
; %bb.40:
	s_cmp_eq_u32 s15, 44
	s_mov_b64 s[0:1], -1
	s_cbranch_scc0 .LBB48_44
; %bb.41:
	v_cvt_f32_f64_e32 v2, v[0:1]
	s_movk_i32 s0, 0xff
	v_mov_b32_e32 v6, 0xff
	v_bfe_u32 v3, v2, 23, 8
	v_cmp_ne_u32_e32 vcc, s0, v3
	s_and_saveexec_b64 s[2:3], vcc
; %bb.42:
	s_mov_b32 s0, 0x3fffff
	v_lshrrev_b32_e32 v6, 23, v2
	v_and_b32_e32 v7, 0x400000, v2
	v_and_or_b32 v2, v2, s0, v3
	v_cmp_ne_u32_e32 vcc, 0, v7
	v_cmp_ne_u32_e64 s[0:1], 0, v2
	s_and_b64 s[0:1], vcc, s[0:1]
	v_cndmask_b32_e64 v2, 0, 1, s[0:1]
	v_add_u32_e32 v6, v6, v2
; %bb.43:
	s_or_b64 exec, exec, s[2:3]
	s_mov_b64 s[2:3], -1
	s_mov_b64 s[0:1], 0
	global_store_byte v[4:5], v6, off
.LBB48_44:
	s_mov_b64 s[4:5], 0
.LBB48_45:
	s_and_b64 vcc, exec, s[4:5]
	s_cbranch_vccz .LBB48_48
; %bb.46:
	s_cmp_eq_u32 s15, 29
	s_mov_b64 s[0:1], -1
	s_cbranch_scc0 .LBB48_48
; %bb.47:
	v_trunc_f64_e32 v[2:3], v[0:1]
	s_movk_i32 s0, 0xffe0
	s_mov_b64 s[2:3], -1
	s_mov_b64 s[4:5], 0
	v_ldexp_f64 v[6:7], v[2:3], s0
	s_mov_b32 s0, 0
	s_mov_b32 s1, 0xc1f00000
	v_floor_f64_e32 v[6:7], v[6:7]
	v_fma_f64 v[2:3], v[6:7], s[0:1], v[2:3]
	v_cvt_u32_f64_e32 v7, v[6:7]
	s_mov_b64 s[0:1], 0
	v_cvt_u32_f64_e32 v6, v[2:3]
	global_store_dwordx2 v[4:5], v[6:7], off
	s_branch .LBB48_49
.LBB48_48:
	s_mov_b64 s[4:5], 0
.LBB48_49:
	s_and_b64 vcc, exec, s[4:5]
	s_cbranch_vccz .LBB48_65
; %bb.50:
	s_cmp_lt_i32 s15, 27
	s_mov_b64 s[2:3], -1
	s_cbranch_scc1 .LBB48_56
; %bb.51:
	v_cvt_u32_f64_e32 v2, v[0:1]
	s_cmp_gt_i32 s15, 27
	s_cbranch_scc0 .LBB48_53
; %bb.52:
	s_mov_b64 s[2:3], 0
	global_store_dword v[4:5], v2, off
.LBB48_53:
	s_andn2_b64 vcc, exec, s[2:3]
	s_cbranch_vccnz .LBB48_55
; %bb.54:
	global_store_short v[4:5], v2, off
.LBB48_55:
	s_mov_b64 s[2:3], 0
.LBB48_56:
	s_andn2_b64 vcc, exec, s[2:3]
	s_cbranch_vccnz .LBB48_64
; %bb.57:
	v_cvt_f32_f64_e32 v2, v[0:1]
	s_mov_b32 s2, 0x43800000
	v_mov_b32_e32 v6, 0x80
	v_and_b32_e32 v3, 0x7fffffff, v2
	v_cmp_gt_u32_e32 vcc, s2, v3
	s_and_saveexec_b64 s[2:3], vcc
	s_cbranch_execz .LBB48_63
; %bb.58:
	s_mov_b32 s4, 0x3bffffff
	v_cmp_lt_u32_e32 vcc, s4, v3
	s_mov_b64 s[4:5], 0
                                        ; implicit-def: $vgpr3
	s_and_saveexec_b64 s[6:7], vcc
	s_xor_b64 s[6:7], exec, s[6:7]
	s_cbranch_execz .LBB48_290
; %bb.59:
	v_bfe_u32 v3, v2, 20, 1
	s_mov_b32 s24, 0x487ffff
	v_add3_u32 v3, v2, v3, s24
	s_mov_b64 s[4:5], exec
	v_lshrrev_b32_e32 v3, 20, v3
	s_andn2_saveexec_b64 s[6:7], s[6:7]
	s_cbranch_execnz .LBB48_291
.LBB48_60:
	s_or_b64 exec, exec, s[6:7]
	v_mov_b32_e32 v6, 0
	s_and_saveexec_b64 s[6:7], s[4:5]
.LBB48_61:
	v_lshrrev_b32_e32 v2, 24, v2
	s_movk_i32 s4, 0x80
	v_and_or_b32 v6, v2, s4, v3
.LBB48_62:
	s_or_b64 exec, exec, s[6:7]
.LBB48_63:
	s_or_b64 exec, exec, s[2:3]
	global_store_byte v[4:5], v6, off
.LBB48_64:
	s_mov_b64 s[2:3], -1
.LBB48_65:
	s_mov_b64 s[4:5], 0
.LBB48_66:
	s_and_b64 vcc, exec, s[4:5]
	s_cbranch_vccz .LBB48_107
; %bb.67:
	s_cmp_gt_i32 s15, 22
	s_mov_b64 s[4:5], -1
	s_cbranch_scc0 .LBB48_99
; %bb.68:
	s_cmp_lt_i32 s15, 24
	s_mov_b64 s[2:3], -1
	s_cbranch_scc1 .LBB48_88
; %bb.69:
	s_cmp_gt_i32 s15, 24
	s_cbranch_scc0 .LBB48_77
; %bb.70:
	v_cvt_f32_f64_e32 v2, v[0:1]
	s_mov_b32 s2, 0x47800000
	v_mov_b32_e32 v6, 0x80
	v_and_b32_e32 v3, 0x7fffffff, v2
	v_cmp_gt_u32_e32 vcc, s2, v3
	s_and_saveexec_b64 s[2:3], vcc
	s_cbranch_execz .LBB48_76
; %bb.71:
	s_mov_b32 s4, 0x37ffffff
	v_cmp_lt_u32_e32 vcc, s4, v3
	s_mov_b64 s[4:5], 0
                                        ; implicit-def: $vgpr3
	s_and_saveexec_b64 s[6:7], vcc
	s_xor_b64 s[6:7], exec, s[6:7]
	s_cbranch_execz .LBB48_294
; %bb.72:
	v_bfe_u32 v3, v2, 21, 1
	s_mov_b32 s24, 0x88fffff
	v_add3_u32 v3, v2, v3, s24
	s_mov_b64 s[4:5], exec
	v_lshrrev_b32_e32 v3, 21, v3
	s_andn2_saveexec_b64 s[6:7], s[6:7]
	s_cbranch_execnz .LBB48_295
.LBB48_73:
	s_or_b64 exec, exec, s[6:7]
	v_mov_b32_e32 v6, 0
	s_and_saveexec_b64 s[6:7], s[4:5]
.LBB48_74:
	v_lshrrev_b32_e32 v2, 24, v2
	s_movk_i32 s4, 0x80
	v_and_or_b32 v6, v2, s4, v3
.LBB48_75:
	s_or_b64 exec, exec, s[6:7]
.LBB48_76:
	s_or_b64 exec, exec, s[2:3]
	s_mov_b64 s[2:3], 0
	global_store_byte v[4:5], v6, off
.LBB48_77:
	s_and_b64 vcc, exec, s[2:3]
	s_cbranch_vccz .LBB48_87
; %bb.78:
	v_cvt_f32_f64_e32 v2, v[0:1]
	s_mov_b32 s2, 0x43f00000
                                        ; implicit-def: $vgpr3
	v_and_b32_e32 v6, 0x7fffffff, v2
	v_cmp_gt_u32_e32 vcc, s2, v6
	s_and_saveexec_b64 s[2:3], vcc
	s_xor_b64 s[2:3], exec, s[2:3]
	s_cbranch_execz .LBB48_84
; %bb.79:
	s_mov_b32 s4, 0x3c7fffff
	v_cmp_lt_u32_e32 vcc, s4, v6
                                        ; implicit-def: $vgpr3
	s_and_saveexec_b64 s[4:5], vcc
	s_xor_b64 s[4:5], exec, s[4:5]
; %bb.80:
	v_bfe_u32 v3, v2, 20, 1
	s_mov_b32 s6, 0x407ffff
	v_add3_u32 v3, v2, v3, s6
	v_lshrrev_b32_e32 v6, 20, v3
	v_and_b32_e32 v3, 0xff00000, v3
	s_mov_b32 s6, 0x7f00000
	v_mov_b32_e32 v7, 0x7e
	v_cmp_ne_u32_e32 vcc, s6, v3
	v_cndmask_b32_e32 v3, v7, v6, vcc
; %bb.81:
	s_andn2_saveexec_b64 s[4:5], s[4:5]
; %bb.82:
	s_mov_b32 s6, 0x46800000
	v_add_f32_e64 v3, |v2|, s6
; %bb.83:
	s_or_b64 exec, exec, s[4:5]
                                        ; implicit-def: $vgpr6
.LBB48_84:
	s_andn2_saveexec_b64 s[2:3], s[2:3]
; %bb.85:
	s_mov_b32 s4, 0x7f800000
	v_mov_b32_e32 v3, 0x7e
	v_mov_b32_e32 v7, 0x7f
	v_cmp_lt_u32_e32 vcc, s4, v6
	v_cndmask_b32_e32 v3, v3, v7, vcc
; %bb.86:
	s_or_b64 exec, exec, s[2:3]
	v_lshrrev_b32_e32 v2, 24, v2
	s_movk_i32 s2, 0x80
	v_and_or_b32 v2, v2, s2, v3
	global_store_byte v[4:5], v2, off
.LBB48_87:
	s_mov_b64 s[2:3], 0
.LBB48_88:
	s_andn2_b64 vcc, exec, s[2:3]
	s_cbranch_vccnz .LBB48_98
; %bb.89:
	v_cvt_f32_f64_e32 v2, v[0:1]
	s_mov_b32 s2, 0x47800000
                                        ; implicit-def: $vgpr3
	v_and_b32_e32 v6, 0x7fffffff, v2
	v_cmp_gt_u32_e32 vcc, s2, v6
	s_and_saveexec_b64 s[2:3], vcc
	s_xor_b64 s[2:3], exec, s[2:3]
	s_cbranch_execz .LBB48_95
; %bb.90:
	s_mov_b32 s4, 0x387fffff
	v_cmp_lt_u32_e32 vcc, s4, v6
                                        ; implicit-def: $vgpr3
	s_and_saveexec_b64 s[4:5], vcc
	s_xor_b64 s[4:5], exec, s[4:5]
; %bb.91:
	v_bfe_u32 v3, v2, 21, 1
	s_mov_b32 s6, 0x80fffff
	v_add3_u32 v3, v2, v3, s6
	v_lshrrev_b32_e32 v3, 21, v3
; %bb.92:
	s_andn2_saveexec_b64 s[4:5], s[4:5]
; %bb.93:
	s_mov_b32 s6, 0x43000000
	v_add_f32_e64 v3, |v2|, s6
; %bb.94:
	s_or_b64 exec, exec, s[4:5]
                                        ; implicit-def: $vgpr6
.LBB48_95:
	s_andn2_saveexec_b64 s[2:3], s[2:3]
; %bb.96:
	s_mov_b32 s4, 0x7f800000
	v_mov_b32_e32 v3, 0x7c
	v_mov_b32_e32 v7, 0x7f
	v_cmp_lt_u32_e32 vcc, s4, v6
	v_cndmask_b32_e32 v3, v3, v7, vcc
; %bb.97:
	s_or_b64 exec, exec, s[2:3]
	v_lshrrev_b32_e32 v2, 24, v2
	s_movk_i32 s2, 0x80
	v_and_or_b32 v2, v2, s2, v3
	global_store_byte v[4:5], v2, off
.LBB48_98:
	s_mov_b64 s[4:5], 0
	s_mov_b64 s[2:3], -1
.LBB48_99:
	s_andn2_b64 vcc, exec, s[4:5]
	s_cbranch_vccnz .LBB48_107
; %bb.100:
	s_cmp_gt_i32 s15, 14
	s_mov_b64 s[4:5], -1
	s_cbranch_scc0 .LBB48_104
; %bb.101:
	s_cmp_eq_u32 s15, 15
	s_mov_b64 s[0:1], -1
	s_cbranch_scc0 .LBB48_103
; %bb.102:
	v_cvt_f32_f64_e32 v2, v[0:1]
	s_movk_i32 s0, 0x7fff
	v_mov_b32_e32 v3, 0x7fc0
	s_mov_b64 s[2:3], -1
	v_bfe_u32 v6, v2, 16, 1
	v_cmp_o_f32_e32 vcc, v2, v2
	v_add3_u32 v2, v2, v6, s0
	v_cndmask_b32_sdwa v2, v3, v2, vcc dst_sel:DWORD dst_unused:UNUSED_PAD src0_sel:DWORD src1_sel:WORD_1
	global_store_short v[4:5], v2, off
	s_mov_b64 s[0:1], 0
.LBB48_103:
	s_mov_b64 s[4:5], 0
.LBB48_104:
	s_and_b64 vcc, exec, s[4:5]
	s_cbranch_vccz .LBB48_107
; %bb.105:
	s_cmp_eq_u32 s15, 11
	s_mov_b64 s[0:1], -1
	s_cbranch_scc0 .LBB48_107
; %bb.106:
	v_cmp_neq_f64_e32 vcc, 0, v[0:1]
	s_mov_b64 s[0:1], 0
	s_mov_b64 s[2:3], -1
	v_cndmask_b32_e64 v2, 0, 1, vcc
	global_store_byte v[4:5], v2, off
.LBB48_107:
	s_branch .LBB48_26
.LBB48_108:
	s_and_b32 s4, 0xffff, s14
	s_cmp_lt_i32 s4, 5
	s_mov_b64 s[2:3], -1
	s_cbranch_scc1 .LBB48_129
; %bb.109:
	s_cmp_lt_i32 s4, 8
	s_cbranch_scc1 .LBB48_119
; %bb.110:
	s_cmp_lt_i32 s4, 9
	s_cbranch_scc1 .LBB48_116
; %bb.111:
	s_cmp_gt_i32 s4, 9
	s_cbranch_scc0 .LBB48_113
; %bb.112:
	v_mov_b32_e32 v2, 0
	v_mov_b32_e32 v3, v2
	global_store_dwordx4 v[4:5], v[0:3], off
	s_mov_b64 s[2:3], 0
.LBB48_113:
	s_andn2_b64 vcc, exec, s[2:3]
	s_cbranch_vccnz .LBB48_115
; %bb.114:
	v_cvt_f32_f64_e32 v2, v[0:1]
	v_mov_b32_e32 v3, 0
	global_store_dwordx2 v[4:5], v[2:3], off
.LBB48_115:
	s_mov_b64 s[2:3], 0
.LBB48_116:
	s_andn2_b64 vcc, exec, s[2:3]
	s_cbranch_vccnz .LBB48_118
; %bb.117:
	s_movk_i32 s2, 0x1ff
	v_and_or_b32 v2, v1, s2, v0
	v_cmp_ne_u32_e32 vcc, 0, v2
	v_cndmask_b32_e64 v2, 0, 1, vcc
	v_lshrrev_b32_e32 v3, 8, v1
	s_movk_i32 s2, 0xffe
	v_bfe_u32 v6, v1, 20, 11
	v_and_or_b32 v2, v3, s2, v2
	v_sub_u32_e32 v7, 0x3f1, v6
	v_or_b32_e32 v3, 0x1000, v2
	v_med3_i32 v7, v7, 0, 13
	v_lshrrev_b32_e32 v8, v7, v3
	v_lshlrev_b32_e32 v7, v7, v8
	v_cmp_ne_u32_e32 vcc, v7, v3
	v_cndmask_b32_e64 v3, 0, 1, vcc
	v_add_u32_e32 v6, 0xfffffc10, v6
	v_or_b32_e32 v3, v8, v3
	v_lshl_or_b32 v7, v6, 12, v2
	v_cmp_gt_i32_e32 vcc, 1, v6
	v_cndmask_b32_e32 v3, v7, v3, vcc
	v_and_b32_e32 v7, 7, v3
	v_cmp_lt_i32_e32 vcc, 5, v7
	v_cndmask_b32_e64 v8, 0, 1, vcc
	v_cmp_eq_u32_e32 vcc, 3, v7
	v_cndmask_b32_e64 v7, 0, 1, vcc
	v_or_b32_e32 v7, v7, v8
	v_lshrrev_b32_e32 v3, 2, v3
	v_add_u32_e32 v3, v3, v7
	v_mov_b32_e32 v7, 0x7c00
	v_cmp_gt_i32_e32 vcc, 31, v6
	v_cndmask_b32_e32 v3, v7, v3, vcc
	v_mov_b32_e32 v8, 0x7e00
	v_cmp_ne_u32_e32 vcc, 0, v2
	s_movk_i32 s2, 0x40f
	v_cndmask_b32_e32 v2, v7, v8, vcc
	v_cmp_eq_u32_e32 vcc, s2, v6
	v_cndmask_b32_e32 v2, v3, v2, vcc
	v_lshrrev_b32_e32 v3, 16, v1
	s_mov_b32 s2, 0x8000
	v_and_or_b32 v2, v3, s2, v2
	v_and_b32_e32 v2, 0xffff, v2
	global_store_dword v[4:5], v2, off
.LBB48_118:
	s_mov_b64 s[2:3], 0
.LBB48_119:
	s_andn2_b64 vcc, exec, s[2:3]
	s_cbranch_vccnz .LBB48_128
; %bb.120:
	s_cmp_lt_i32 s4, 6
	s_mov_b64 s[2:3], -1
	s_cbranch_scc1 .LBB48_126
; %bb.121:
	s_cmp_gt_i32 s4, 6
	s_cbranch_scc0 .LBB48_123
; %bb.122:
	global_store_dwordx2 v[4:5], v[0:1], off
	s_mov_b64 s[2:3], 0
.LBB48_123:
	s_andn2_b64 vcc, exec, s[2:3]
	s_cbranch_vccnz .LBB48_125
; %bb.124:
	v_cvt_f32_f64_e32 v2, v[0:1]
	global_store_dword v[4:5], v2, off
.LBB48_125:
	s_mov_b64 s[2:3], 0
.LBB48_126:
	s_andn2_b64 vcc, exec, s[2:3]
	s_cbranch_vccnz .LBB48_128
; %bb.127:
	s_movk_i32 s2, 0x1ff
	v_and_or_b32 v2, v1, s2, v0
	v_cmp_ne_u32_e32 vcc, 0, v2
	v_cndmask_b32_e64 v2, 0, 1, vcc
	v_lshrrev_b32_e32 v3, 8, v1
	s_movk_i32 s2, 0xffe
	v_bfe_u32 v6, v1, 20, 11
	v_and_or_b32 v2, v3, s2, v2
	v_sub_u32_e32 v7, 0x3f1, v6
	v_or_b32_e32 v3, 0x1000, v2
	v_med3_i32 v7, v7, 0, 13
	v_lshrrev_b32_e32 v8, v7, v3
	v_lshlrev_b32_e32 v7, v7, v8
	v_cmp_ne_u32_e32 vcc, v7, v3
	v_cndmask_b32_e64 v3, 0, 1, vcc
	v_add_u32_e32 v6, 0xfffffc10, v6
	v_or_b32_e32 v3, v8, v3
	v_lshl_or_b32 v7, v6, 12, v2
	v_cmp_gt_i32_e32 vcc, 1, v6
	v_cndmask_b32_e32 v3, v7, v3, vcc
	v_and_b32_e32 v7, 7, v3
	v_cmp_lt_i32_e32 vcc, 5, v7
	v_cndmask_b32_e64 v8, 0, 1, vcc
	v_cmp_eq_u32_e32 vcc, 3, v7
	v_cndmask_b32_e64 v7, 0, 1, vcc
	v_or_b32_e32 v7, v7, v8
	v_lshrrev_b32_e32 v3, 2, v3
	v_add_u32_e32 v3, v3, v7
	v_mov_b32_e32 v7, 0x7c00
	v_cmp_gt_i32_e32 vcc, 31, v6
	v_cndmask_b32_e32 v3, v7, v3, vcc
	v_mov_b32_e32 v8, 0x7e00
	v_cmp_ne_u32_e32 vcc, 0, v2
	s_movk_i32 s2, 0x40f
	v_cndmask_b32_e32 v2, v7, v8, vcc
	v_cmp_eq_u32_e32 vcc, s2, v6
	v_cndmask_b32_e32 v2, v3, v2, vcc
	v_lshrrev_b32_e32 v3, 16, v1
	s_mov_b32 s2, 0x8000
	v_and_or_b32 v2, v3, s2, v2
	global_store_short v[4:5], v2, off
.LBB48_128:
	s_mov_b64 s[2:3], 0
.LBB48_129:
	s_andn2_b64 vcc, exec, s[2:3]
	s_cbranch_vccnz .LBB48_145
; %bb.130:
	s_cmp_lt_i32 s4, 2
	s_mov_b64 s[2:3], -1
	s_cbranch_scc1 .LBB48_140
; %bb.131:
	s_cmp_lt_i32 s4, 3
	s_cbranch_scc1 .LBB48_137
; %bb.132:
	s_cmp_gt_i32 s4, 3
	s_cbranch_scc0 .LBB48_134
; %bb.133:
	v_trunc_f64_e32 v[2:3], v[0:1]
	s_movk_i32 s2, 0xffe0
	v_ldexp_f64 v[6:7], v[2:3], s2
	s_mov_b32 s2, 0
	s_mov_b32 s3, 0xc1f00000
	v_floor_f64_e32 v[6:7], v[6:7]
	v_fma_f64 v[2:3], v[6:7], s[2:3], v[2:3]
	v_cvt_i32_f64_e32 v7, v[6:7]
	s_mov_b64 s[2:3], 0
	v_cvt_u32_f64_e32 v6, v[2:3]
	global_store_dwordx2 v[4:5], v[6:7], off
.LBB48_134:
	s_andn2_b64 vcc, exec, s[2:3]
	s_cbranch_vccnz .LBB48_136
; %bb.135:
	v_cvt_i32_f64_e32 v2, v[0:1]
	global_store_dword v[4:5], v2, off
.LBB48_136:
	s_mov_b64 s[2:3], 0
.LBB48_137:
	s_andn2_b64 vcc, exec, s[2:3]
	s_cbranch_vccnz .LBB48_139
; %bb.138:
	v_cvt_i32_f64_e32 v2, v[0:1]
	global_store_short v[4:5], v2, off
.LBB48_139:
	s_mov_b64 s[2:3], 0
.LBB48_140:
	s_andn2_b64 vcc, exec, s[2:3]
	s_cbranch_vccnz .LBB48_145
; %bb.141:
	s_cmp_gt_i32 s4, 0
	s_mov_b64 s[2:3], -1
	s_cbranch_scc0 .LBB48_143
; %bb.142:
	v_cvt_i32_f64_e32 v2, v[0:1]
	s_mov_b64 s[2:3], 0
	global_store_byte v[4:5], v2, off
.LBB48_143:
	s_andn2_b64 vcc, exec, s[2:3]
	s_cbranch_vccnz .LBB48_145
; %bb.144:
	v_trunc_f64_e32 v[0:1], v[0:1]
	s_movk_i32 s2, 0xffe0
	v_ldexp_f64 v[2:3], v[0:1], s2
	s_mov_b32 s2, 0
	s_mov_b32 s3, 0xc1f00000
	v_floor_f64_e32 v[2:3], v[2:3]
	v_fma_f64 v[0:1], v[2:3], s[2:3], v[0:1]
	v_cvt_u32_f64_e32 v0, v[0:1]
	global_store_byte v[4:5], v0, off
.LBB48_145:
	s_branch .LBB48_27
.LBB48_146:
	s_mov_b64 s[2:3], 0
                                        ; implicit-def: $vgpr30
	s_branch .LBB48_256
.LBB48_147:
	s_mov_b64 s[18:19], -1
                                        ; implicit-def: $vgpr0_vgpr1
.LBB48_148:
	s_mov_b64 s[2:3], 0
.LBB48_149:
	s_and_b64 vcc, exec, s[2:3]
	s_cbranch_vccz .LBB48_153
; %bb.150:
	s_cmp_eq_u32 s6, 29
	s_cbranch_scc0 .LBB48_152
; %bb.151:
	global_load_dwordx2 v[0:1], v[2:3], off
	s_mov_b64 s[0:1], -1
	s_mov_b64 s[18:19], 0
	s_mov_b64 s[2:3], 0
	s_waitcnt vmcnt(0)
	v_cvt_f64_u32_e32 v[4:5], v1
	v_cvt_f64_u32_e32 v[0:1], v0
	v_ldexp_f64 v[4:5], v[4:5], 32
	v_add_f64 v[0:1], v[4:5], v[0:1]
	s_branch .LBB48_154
.LBB48_152:
	s_mov_b64 s[18:19], -1
                                        ; implicit-def: $vgpr0_vgpr1
.LBB48_153:
	s_mov_b64 s[2:3], 0
.LBB48_154:
	s_and_b64 vcc, exec, s[2:3]
	s_cbranch_vccz .LBB48_174
; %bb.155:
	s_cmp_lt_i32 s6, 27
	s_cbranch_scc1 .LBB48_158
; %bb.156:
	s_cmp_gt_i32 s6, 27
	s_cbranch_scc0 .LBB48_159
; %bb.157:
	global_load_dword v0, v[2:3], off
	s_mov_b64 s[0:1], 0
	s_waitcnt vmcnt(0)
	v_cvt_f64_u32_e32 v[0:1], v0
	s_branch .LBB48_160
.LBB48_158:
	s_mov_b64 s[0:1], -1
                                        ; implicit-def: $vgpr0_vgpr1
	s_branch .LBB48_163
.LBB48_159:
	s_mov_b64 s[0:1], -1
                                        ; implicit-def: $vgpr0_vgpr1
.LBB48_160:
	s_andn2_b64 vcc, exec, s[0:1]
	s_cbranch_vccnz .LBB48_162
; %bb.161:
	global_load_ushort v0, v[2:3], off
	s_waitcnt vmcnt(0)
	v_cvt_f64_u32_e32 v[0:1], v0
.LBB48_162:
	s_mov_b64 s[0:1], 0
.LBB48_163:
	s_andn2_b64 vcc, exec, s[0:1]
	s_cbranch_vccnz .LBB48_173
; %bb.164:
	global_load_ubyte v4, v[2:3], off
	s_movk_i32 s0, 0x7f
	s_waitcnt vmcnt(0)
	v_cmp_lt_i16_e32 vcc, s0, v4
	s_mov_b64 s[0:1], 0
	s_and_saveexec_b64 s[2:3], vcc
	s_xor_b64 s[2:3], exec, s[2:3]
	s_cbranch_execz .LBB48_168
; %bb.165:
	s_movk_i32 s0, 0x80
	v_cmp_eq_u16_e32 vcc, s0, v4
	s_mov_b64 s[0:1], -1
	s_and_saveexec_b64 s[4:5], vcc
; %bb.166:
	s_xor_b64 s[0:1], exec, -1
; %bb.167:
	s_or_b64 exec, exec, s[4:5]
	s_and_b64 s[0:1], s[0:1], exec
.LBB48_168:
	s_or_saveexec_b64 s[2:3], s[2:3]
	v_bfrev_b32_e32 v0, 4
	v_mov_b32_e32 v1, 0x7ff80000
	s_xor_b64 exec, exec, s[2:3]
; %bb.169:
	v_cmp_ne_u16_e32 vcc, 0, v4
	v_mov_b32_e32 v0, 0
	s_andn2_b64 s[0:1], s[0:1], exec
	s_and_b64 s[4:5], vcc, exec
	v_mov_b32_e32 v1, 0
	s_or_b64 s[0:1], s[0:1], s[4:5]
; %bb.170:
	s_or_b64 exec, exec, s[2:3]
	s_and_saveexec_b64 s[2:3], s[0:1]
	s_cbranch_execz .LBB48_172
; %bb.171:
	v_and_b32_e32 v1, 0xffff, v4
	v_lshlrev_b32_e32 v0, 24, v4
	v_and_b32_e32 v4, 7, v1
	v_ffbh_u32_e32 v6, v4
	v_min_u32_e32 v6, 32, v6
	v_subrev_u32_e32 v7, 28, v6
	v_bfe_u32 v5, v1, 3, 4
	v_lshlrev_b32_e32 v1, v7, v1
	v_sub_u32_e32 v6, 29, v6
	v_and_b32_e32 v1, 7, v1
	v_cmp_eq_u32_e32 vcc, 0, v5
	v_cndmask_b32_e32 v5, v5, v6, vcc
	v_cndmask_b32_e32 v1, v4, v1, vcc
	v_mov_b32_e32 v4, 0x3b800000
	v_lshlrev_b32_e32 v1, 20, v1
	v_and_b32_e32 v0, 0x80000000, v0
	v_lshl_add_u32 v4, v5, 23, v4
	v_or3_b32 v0, v0, v4, v1
	v_cvt_f64_f32_e32 v[0:1], v0
.LBB48_172:
	s_or_b64 exec, exec, s[2:3]
.LBB48_173:
	s_mov_b64 s[0:1], -1
.LBB48_174:
	s_branch .LBB48_207
.LBB48_175:
	s_cmp_gt_i32 s6, 22
	s_cbranch_scc0 .LBB48_187
; %bb.176:
	s_cmp_lt_i32 s6, 24
	s_cbranch_scc1 .LBB48_188
; %bb.177:
	s_cmp_gt_i32 s6, 24
	s_cbranch_scc0 .LBB48_189
; %bb.178:
	global_load_ubyte v4, v[2:3], off
	s_movk_i32 s0, 0x7f
	s_waitcnt vmcnt(0)
	v_cmp_lt_i16_e32 vcc, s0, v4
	s_mov_b64 s[0:1], 0
	s_and_saveexec_b64 s[2:3], vcc
	s_xor_b64 s[2:3], exec, s[2:3]
	s_cbranch_execz .LBB48_182
; %bb.179:
	s_movk_i32 s0, 0x80
	v_cmp_eq_u16_e32 vcc, s0, v4
	s_mov_b64 s[0:1], -1
	s_and_saveexec_b64 s[4:5], vcc
; %bb.180:
	s_xor_b64 s[0:1], exec, -1
; %bb.181:
	s_or_b64 exec, exec, s[4:5]
	s_and_b64 s[0:1], s[0:1], exec
.LBB48_182:
	s_or_saveexec_b64 s[2:3], s[2:3]
	v_bfrev_b32_e32 v0, 4
	v_mov_b32_e32 v1, 0x7ff80000
	s_xor_b64 exec, exec, s[2:3]
; %bb.183:
	v_cmp_ne_u16_e32 vcc, 0, v4
	v_mov_b32_e32 v0, 0
	s_andn2_b64 s[0:1], s[0:1], exec
	s_and_b64 s[4:5], vcc, exec
	v_mov_b32_e32 v1, 0
	s_or_b64 s[0:1], s[0:1], s[4:5]
; %bb.184:
	s_or_b64 exec, exec, s[2:3]
	s_and_saveexec_b64 s[2:3], s[0:1]
	s_cbranch_execz .LBB48_186
; %bb.185:
	v_and_b32_e32 v1, 0xffff, v4
	v_lshlrev_b32_e32 v0, 24, v4
	v_and_b32_e32 v4, 3, v1
	v_ffbh_u32_e32 v6, v4
	v_min_u32_e32 v6, 32, v6
	v_subrev_u32_e32 v7, 29, v6
	v_bfe_u32 v5, v1, 2, 5
	v_lshlrev_b32_e32 v1, v7, v1
	v_sub_u32_e32 v6, 30, v6
	v_and_b32_e32 v1, 3, v1
	v_cmp_eq_u32_e32 vcc, 0, v5
	v_cndmask_b32_e32 v5, v5, v6, vcc
	v_cndmask_b32_e32 v1, v4, v1, vcc
	v_mov_b32_e32 v4, 0x37800000
	v_lshlrev_b32_e32 v1, 21, v1
	v_and_b32_e32 v0, 0x80000000, v0
	v_lshl_add_u32 v4, v5, 23, v4
	v_or3_b32 v0, v0, v4, v1
	v_cvt_f64_f32_e32 v[0:1], v0
.LBB48_186:
	s_or_b64 exec, exec, s[2:3]
	s_mov_b64 s[0:1], 0
	s_branch .LBB48_190
.LBB48_187:
	s_mov_b64 s[2:3], -1
                                        ; implicit-def: $vgpr0_vgpr1
	s_branch .LBB48_196
.LBB48_188:
	s_mov_b64 s[0:1], -1
                                        ; implicit-def: $vgpr0_vgpr1
	s_branch .LBB48_193
.LBB48_189:
	s_mov_b64 s[0:1], -1
                                        ; implicit-def: $vgpr0_vgpr1
.LBB48_190:
	s_and_b64 vcc, exec, s[0:1]
	s_cbranch_vccz .LBB48_192
; %bb.191:
	global_load_ubyte v0, v[2:3], off
	s_mov_b32 s0, 0x7f800000
	s_waitcnt vmcnt(0)
	v_lshlrev_b32_e32 v0, 24, v0
	v_and_b32_e32 v1, 0x7f000000, v0
	v_ffbh_u32_e32 v4, v1
	v_min_u32_e32 v4, 32, v4
	v_sub_u32_e64 v4, v4, 4 clamp
	v_lshlrev_b32_e32 v6, v4, v1
	v_lshlrev_b32_e32 v4, 23, v4
	v_lshrrev_b32_e32 v6, 4, v6
	v_add_u32_e32 v5, 0x1000000, v1
	v_sub_u32_e32 v4, v6, v4
	v_ashrrev_i32_e32 v5, 8, v5
	v_add_u32_e32 v4, 0x3c000000, v4
	v_and_or_b32 v4, v5, s0, v4
	v_cmp_ne_u32_e32 vcc, 0, v1
	v_cndmask_b32_e32 v1, 0, v4, vcc
	s_brev_b32 s0, 1
	v_and_or_b32 v0, v0, s0, v1
	v_cvt_f64_f32_e32 v[0:1], v0
.LBB48_192:
	s_mov_b64 s[0:1], 0
.LBB48_193:
	s_andn2_b64 vcc, exec, s[0:1]
	s_cbranch_vccnz .LBB48_195
; %bb.194:
	global_load_ubyte v0, v[2:3], off
	s_movk_i32 s0, 0x7f00
	s_brev_b32 s1, 16
	s_waitcnt vmcnt(0)
	v_lshlrev_b16_e32 v1, 8, v0
	v_lshlrev_b32_e32 v0, 25, v0
	v_lshrrev_b32_e32 v4, 4, v0
	v_and_or_b32 v5, v1, s0, 0.5
	v_or_b32_e32 v4, 0x70000000, v4
	v_add_f32_e32 v5, -0.5, v5
	v_mul_f32_e32 v4, 0x7800000, v4
	v_cmp_gt_u32_e32 vcc, s1, v0
	v_bfe_i32 v1, v1, 0, 16
	v_cndmask_b32_e32 v0, v4, v5, vcc
	s_brev_b32 s0, 1
	v_and_or_b32 v0, v1, s0, v0
	v_cvt_f64_f32_e32 v[0:1], v0
.LBB48_195:
	s_mov_b64 s[2:3], 0
	s_mov_b64 s[0:1], -1
.LBB48_196:
	s_andn2_b64 vcc, exec, s[2:3]
	s_cbranch_vccnz .LBB48_207
; %bb.197:
	s_cmp_gt_i32 s6, 14
	s_cbranch_scc0 .LBB48_200
; %bb.198:
	s_cmp_eq_u32 s6, 15
	s_cbranch_scc0 .LBB48_201
; %bb.199:
	global_load_ushort v0, v[2:3], off
	s_mov_b64 s[0:1], -1
	s_mov_b64 s[18:19], 0
	s_waitcnt vmcnt(0)
	v_lshlrev_b32_e32 v0, 16, v0
	v_cvt_f64_f32_e32 v[0:1], v0
	s_branch .LBB48_202
.LBB48_200:
	s_mov_b64 s[2:3], -1
                                        ; implicit-def: $vgpr0_vgpr1
	s_branch .LBB48_203
.LBB48_201:
	s_mov_b64 s[18:19], -1
                                        ; implicit-def: $vgpr0_vgpr1
.LBB48_202:
	s_mov_b64 s[2:3], 0
.LBB48_203:
	s_and_b64 vcc, exec, s[2:3]
	s_cbranch_vccz .LBB48_207
; %bb.204:
	s_cmp_eq_u32 s6, 11
	s_cbranch_scc0 .LBB48_206
; %bb.205:
	global_load_ubyte v1, v[2:3], off
	v_mov_b32_e32 v4, 0x3ff00000
	v_mov_b32_e32 v0, 0
	s_mov_b64 s[0:1], -1
	s_mov_b64 s[18:19], 0
	s_waitcnt vmcnt(0)
	v_cmp_ne_u16_e32 vcc, 0, v1
	v_cndmask_b32_e32 v1, 0, v4, vcc
	s_branch .LBB48_207
.LBB48_206:
	s_mov_b64 s[18:19], -1
                                        ; implicit-def: $vgpr0_vgpr1
.LBB48_207:
	s_branch .LBB48_10
.LBB48_208:
	s_cmp_lt_i32 s6, 5
	s_cbranch_scc1 .LBB48_213
; %bb.209:
	s_cmp_lt_i32 s6, 8
	s_cbranch_scc1 .LBB48_214
; %bb.210:
	;; [unrolled: 3-line block ×3, first 2 shown]
	s_cmp_gt_i32 s6, 9
	s_cbranch_scc0 .LBB48_216
; %bb.212:
	global_load_dwordx2 v[0:1], v[2:3], off
	s_mov_b64 s[0:1], 0
	s_branch .LBB48_217
.LBB48_213:
                                        ; implicit-def: $vgpr0_vgpr1
	s_branch .LBB48_235
.LBB48_214:
	s_mov_b64 s[0:1], -1
                                        ; implicit-def: $vgpr0_vgpr1
	s_branch .LBB48_223
.LBB48_215:
	s_mov_b64 s[0:1], -1
                                        ; implicit-def: $vgpr0_vgpr1
	s_branch .LBB48_220
.LBB48_216:
	s_mov_b64 s[0:1], -1
                                        ; implicit-def: $vgpr0_vgpr1
.LBB48_217:
	s_andn2_b64 vcc, exec, s[0:1]
	s_cbranch_vccnz .LBB48_219
; %bb.218:
	global_load_dword v0, v[2:3], off
	s_waitcnt vmcnt(0)
	v_cvt_f64_f32_e32 v[0:1], v0
.LBB48_219:
	s_mov_b64 s[0:1], 0
.LBB48_220:
	s_andn2_b64 vcc, exec, s[0:1]
	s_cbranch_vccnz .LBB48_222
; %bb.221:
	global_load_dword v0, v[2:3], off
	s_waitcnt vmcnt(0)
	v_cvt_f32_f16_e32 v0, v0
	v_cvt_f64_f32_e32 v[0:1], v0
.LBB48_222:
	s_mov_b64 s[0:1], 0
.LBB48_223:
	s_andn2_b64 vcc, exec, s[0:1]
	s_cbranch_vccnz .LBB48_234
; %bb.224:
	s_cmp_lt_i32 s6, 6
	s_cbranch_scc1 .LBB48_227
; %bb.225:
	s_cmp_gt_i32 s6, 6
	s_cbranch_scc0 .LBB48_228
; %bb.226:
	global_load_dwordx2 v[0:1], v[2:3], off
	s_mov_b64 s[0:1], 0
	s_branch .LBB48_229
.LBB48_227:
	s_mov_b64 s[0:1], -1
                                        ; implicit-def: $vgpr0_vgpr1
	s_branch .LBB48_232
.LBB48_228:
	s_mov_b64 s[0:1], -1
                                        ; implicit-def: $vgpr0_vgpr1
.LBB48_229:
	s_andn2_b64 vcc, exec, s[0:1]
	s_cbranch_vccnz .LBB48_231
; %bb.230:
	global_load_dword v0, v[2:3], off
	s_waitcnt vmcnt(0)
	v_cvt_f64_f32_e32 v[0:1], v0
.LBB48_231:
	s_mov_b64 s[0:1], 0
.LBB48_232:
	s_andn2_b64 vcc, exec, s[0:1]
	s_cbranch_vccnz .LBB48_234
; %bb.233:
	global_load_ushort v0, v[2:3], off
	s_waitcnt vmcnt(0)
	v_cvt_f32_f16_e32 v0, v0
	v_cvt_f64_f32_e32 v[0:1], v0
.LBB48_234:
	s_cbranch_execnz .LBB48_254
.LBB48_235:
	s_cmp_lt_i32 s6, 2
	s_cbranch_scc1 .LBB48_239
; %bb.236:
	s_cmp_lt_i32 s6, 3
	s_cbranch_scc1 .LBB48_240
; %bb.237:
	s_cmp_gt_i32 s6, 3
	s_cbranch_scc0 .LBB48_241
; %bb.238:
	global_load_dwordx2 v[0:1], v[2:3], off
	s_mov_b64 s[0:1], 0
	s_waitcnt vmcnt(0)
	v_cvt_f64_i32_e32 v[4:5], v1
	v_cvt_f64_u32_e32 v[0:1], v0
	v_ldexp_f64 v[4:5], v[4:5], 32
	v_add_f64 v[0:1], v[4:5], v[0:1]
	s_branch .LBB48_242
.LBB48_239:
	s_mov_b64 s[0:1], -1
                                        ; implicit-def: $vgpr0_vgpr1
	s_branch .LBB48_248
.LBB48_240:
	s_mov_b64 s[0:1], -1
                                        ; implicit-def: $vgpr0_vgpr1
	s_branch .LBB48_245
.LBB48_241:
	s_mov_b64 s[0:1], -1
                                        ; implicit-def: $vgpr0_vgpr1
.LBB48_242:
	s_andn2_b64 vcc, exec, s[0:1]
	s_cbranch_vccnz .LBB48_244
; %bb.243:
	global_load_dword v0, v[2:3], off
	s_waitcnt vmcnt(0)
	v_cvt_f64_i32_e32 v[0:1], v0
.LBB48_244:
	s_mov_b64 s[0:1], 0
.LBB48_245:
	s_andn2_b64 vcc, exec, s[0:1]
	s_cbranch_vccnz .LBB48_247
; %bb.246:
	global_load_sshort v0, v[2:3], off
	s_waitcnt vmcnt(0)
	v_cvt_f64_i32_e32 v[0:1], v0
.LBB48_247:
	s_mov_b64 s[0:1], 0
.LBB48_248:
	s_andn2_b64 vcc, exec, s[0:1]
	s_cbranch_vccnz .LBB48_254
; %bb.249:
	s_cmp_gt_i32 s6, 0
	s_cbranch_scc0 .LBB48_251
; %bb.250:
	global_load_sbyte v0, v[2:3], off
	s_mov_b64 s[0:1], 0
	s_waitcnt vmcnt(0)
	v_cvt_f64_i32_e32 v[0:1], v0
	s_branch .LBB48_252
.LBB48_251:
	s_mov_b64 s[0:1], -1
                                        ; implicit-def: $vgpr0_vgpr1
.LBB48_252:
	s_andn2_b64 vcc, exec, s[0:1]
	s_cbranch_vccnz .LBB48_254
; %bb.253:
	global_load_ubyte v0, v[2:3], off
	s_waitcnt vmcnt(0)
	v_cvt_f64_u32_e32 v[0:1], v0
.LBB48_254:
	s_branch .LBB48_11
.LBB48_255:
	s_mov_b64 s[0:1], 0
                                        ; implicit-def: $vgpr30
	s_mov_b64 s[2:3], 0
.LBB48_256:
	s_and_b64 s[14:15], s[0:1], exec
	s_and_b64 s[18:19], s[18:19], exec
	s_orn2_b64 s[2:3], s[2:3], exec
.LBB48_257:
	s_or_b64 exec, exec, s[22:23]
	s_mov_b64 s[4:5], 0
	s_mov_b64 s[0:1], 0
                                        ; implicit-def: $vgpr0_vgpr1
                                        ; implicit-def: $vgpr2_vgpr3
	s_and_saveexec_b64 s[22:23], s[2:3]
	s_cbranch_execz .LBB48_266
; %bb.258:
	v_cmp_gt_i32_e32 vcc, s38, v30
	s_mov_b64 s[0:1], -1
	s_mov_b64 s[24:25], s[18:19]
	s_mov_b64 s[26:27], s[14:15]
	s_and_saveexec_b64 s[28:29], vcc
	s_cbranch_execz .LBB48_524
; %bb.259:
	s_waitcnt vmcnt(0)
	v_mul_lo_u32 v0, v30, s13
	v_mov_b32_e32 v1, s11
	s_and_b32 s6, 0xffff, s42
	s_cmp_lt_i32 s6, 11
	v_ashrrev_i32_e32 v3, 31, v0
	v_add_co_u32_e32 v2, vcc, s10, v0
	v_addc_co_u32_e32 v3, vcc, v1, v3, vcc
	s_cbranch_scc1 .LBB48_269
; %bb.260:
	s_cmp_gt_i32 s6, 25
	s_cbranch_scc0 .LBB48_284
; %bb.261:
	s_cmp_gt_i32 s6, 28
	s_cbranch_scc0 .LBB48_286
	;; [unrolled: 3-line block ×4, first 2 shown]
; %bb.264:
	s_cmp_eq_u32 s6, 46
	s_mov_b64 s[2:3], 0
	s_cbranch_scc0 .LBB48_296
; %bb.265:
	global_load_dword v0, v[2:3], off
	s_mov_b64 s[24:25], 0
	s_waitcnt vmcnt(0)
	v_lshlrev_b32_e32 v0, 16, v0
	v_cvt_f64_f32_e32 v[0:1], v0
	s_branch .LBB48_297
.LBB48_266:
	s_or_b64 exec, exec, s[22:23]
	s_mov_b64 s[22:23], 0
	s_and_saveexec_b64 s[2:3], s[18:19]
	s_cbranch_execnz .LBB48_876
.LBB48_267:
	s_or_b64 exec, exec, s[2:3]
	s_and_saveexec_b64 s[2:3], s[26:27]
	s_xor_b64 s[2:3], exec, s[2:3]
	s_cbranch_execz .LBB48_877
.LBB48_268:
	s_waitcnt vmcnt(0)
	global_load_ubyte v3, v[0:1], off
	v_mov_b32_e32 v4, 0x3ff00000
	v_mov_b32_e32 v2, 0
	s_or_b64 s[0:1], s[0:1], exec
	s_waitcnt vmcnt(0)
	v_cmp_ne_u16_e32 vcc, 0, v3
	v_cndmask_b32_e32 v3, 0, v4, vcc
	s_or_b64 exec, exec, s[2:3]
	s_and_saveexec_b64 s[2:3], s[4:5]
	s_cbranch_execz .LBB48_923
	s_branch .LBB48_878
.LBB48_269:
	s_mov_b64 s[0:1], 0
                                        ; implicit-def: $vgpr0_vgpr1
	s_mov_b64 s[24:25], s[18:19]
	s_cbranch_execnz .LBB48_474
.LBB48_270:
	s_andn2_b64 vcc, exec, s[0:1]
	s_cbranch_vccnz .LBB48_522
.LBB48_271:
	s_waitcnt vmcnt(0)
	v_cmp_gt_f64_e32 vcc, 0.5, v[0:1]
	v_mov_b32_e32 v4, 0
	v_mov_b32_e32 v2, 0
	;; [unrolled: 1-line block ×4, first 2 shown]
	s_and_saveexec_b64 s[2:3], vcc
	s_cbranch_execz .LBB48_277
; %bb.272:
	s_mov_b32 s5, 0x400921fb
	s_mov_b32 s4, 0x54442d18
	v_mul_f64 v[2:3], v[0:1], s[4:5]
	s_mov_b32 s0, 0
	s_mov_b32 s1, 0x41d00000
                                        ; implicit-def: $vgpr8
                                        ; implicit-def: $vgpr4_vgpr5
                                        ; implicit-def: $vgpr6_vgpr7
	v_cmp_nlt_f64_e64 s[0:1], |v[2:3]|, s[0:1]
	s_and_saveexec_b64 s[6:7], s[0:1]
	s_xor_b64 s[6:7], exec, s[6:7]
	s_cbranch_execz .LBB48_274
; %bb.273:
	v_trig_preop_f64 v[4:5], |v[2:3]|, 0
	s_mov_b32 s0, 0
	s_mov_b32 s1, 0x7b000000
	s_movk_i32 s5, 0xff80
	v_ldexp_f64 v[8:9], |v[2:3]|, s5
	v_cmp_ge_f64_e64 vcc, |v[2:3]|, s[0:1]
	v_trig_preop_f64 v[6:7], |v[2:3]|, 1
	v_and_b32_e32 v10, 0x7fffffff, v3
	v_trig_preop_f64 v[16:17], |v[2:3]|, 2
	s_mov_b32 s0, 0
	s_mov_b32 s1, 0x7ff00000
	v_mov_b32_e32 v27, 0x40100000
	v_mov_b32_e32 v26, 0
	v_cndmask_b32_e32 v9, v10, v9, vcc
	v_cndmask_b32_e32 v8, v2, v8, vcc
	s_mov_b32 s5, 0x3ff921fb
	v_mul_f64 v[10:11], v[4:5], v[8:9]
	v_mul_f64 v[12:13], v[6:7], v[8:9]
	;; [unrolled: 1-line block ×3, first 2 shown]
	v_fma_f64 v[4:5], v[4:5], v[8:9], -v[10:11]
	v_fma_f64 v[6:7], v[6:7], v[8:9], -v[12:13]
	;; [unrolled: 1-line block ×3, first 2 shown]
	v_add_f64 v[14:15], v[12:13], v[4:5]
	v_add_f64 v[18:19], v[14:15], -v[12:13]
	v_add_f64 v[24:25], v[10:11], v[14:15]
	v_add_f64 v[20:21], v[14:15], -v[18:19]
	v_add_f64 v[4:5], v[4:5], -v[18:19]
	v_add_f64 v[18:19], v[22:23], v[6:7]
	v_add_f64 v[10:11], v[24:25], -v[10:11]
	v_add_f64 v[12:13], v[12:13], -v[20:21]
	v_ldexp_f64 v[20:21], v[24:25], -2
	v_add_f64 v[28:29], v[18:19], -v[22:23]
	v_add_f64 v[10:11], v[14:15], -v[10:11]
	v_add_f64 v[4:5], v[4:5], v[12:13]
	v_fract_f64_e32 v[12:13], v[20:21]
	v_cmp_neq_f64_e64 vcc, |v[20:21]|, s[0:1]
	v_add_f64 v[6:7], v[6:7], -v[28:29]
	v_add_f64 v[14:15], v[18:19], v[4:5]
	v_ldexp_f64 v[12:13], v[12:13], 2
	v_add_f64 v[20:21], v[10:11], v[14:15]
	v_cndmask_b32_e32 v13, 0, v13, vcc
	v_cndmask_b32_e32 v12, 0, v12, vcc
	v_add_f64 v[31:32], v[14:15], -v[18:19]
	v_add_f64 v[24:25], v[20:21], v[12:13]
	v_add_f64 v[10:11], v[20:21], -v[10:11]
	v_add_f64 v[33:34], v[14:15], -v[31:32]
	v_add_f64 v[4:5], v[4:5], -v[31:32]
	v_cmp_gt_f64_e32 vcc, 0, v[24:25]
	v_add_f64 v[24:25], v[18:19], -v[28:29]
	v_add_f64 v[10:11], v[14:15], -v[10:11]
	;; [unrolled: 1-line block ×3, first 2 shown]
	v_cndmask_b32_e32 v27, 0, v27, vcc
	v_add_f64 v[12:13], v[12:13], v[26:27]
	v_add_f64 v[24:25], v[22:23], -v[24:25]
	v_add_f64 v[4:5], v[4:5], v[18:19]
	v_add_f64 v[35:36], v[20:21], v[12:13]
	;; [unrolled: 1-line block ×3, first 2 shown]
	v_cvt_i32_f64_e32 v29, v[35:36]
	v_add_f64 v[4:5], v[6:7], v[4:5]
	v_cvt_f64_i32_e32 v[27:28], v29
	v_add_f64 v[12:13], v[12:13], -v[27:28]
	v_add_f64 v[4:5], v[8:9], v[4:5]
	v_add_f64 v[6:7], v[20:21], v[12:13]
	;; [unrolled: 1-line block ×3, first 2 shown]
	v_mov_b32_e32 v11, 0x3ff00000
	v_add_f64 v[8:9], v[6:7], -v[12:13]
	v_cmp_le_f64_e32 vcc, 0.5, v[6:7]
	v_add_f64 v[9:10], v[20:21], -v[8:9]
	v_cndmask_b32_e32 v27, 0, v11, vcc
	v_add_f64 v[6:7], v[6:7], -v[26:27]
	v_addc_co_u32_e64 v8, s[0:1], 0, v29, vcc
	s_mov_b32 s0, 0x33145c07
	s_mov_b32 s1, 0x3c91a626
	v_add_f64 v[4:5], v[4:5], v[9:10]
	v_add_f64 v[9:10], v[6:7], v[4:5]
	v_mul_f64 v[11:12], v[9:10], s[4:5]
	v_add_f64 v[6:7], v[9:10], -v[6:7]
	v_fma_f64 v[13:14], v[9:10], s[4:5], -v[11:12]
	v_add_f64 v[4:5], v[4:5], -v[6:7]
	v_fma_f64 v[6:7], v[9:10], s[0:1], v[13:14]
	v_fma_f64 v[6:7], v[4:5], s[4:5], v[6:7]
	v_add_f64 v[4:5], v[11:12], v[6:7]
	v_add_f64 v[9:10], v[4:5], -v[11:12]
	v_add_f64 v[6:7], v[6:7], -v[9:10]
.LBB48_274:
	s_andn2_saveexec_b64 s[0:1], s[6:7]
	s_cbranch_execz .LBB48_276
; %bb.275:
	s_mov_b32 s4, 0x6dc9c883
	s_mov_b32 s5, 0x3fe45f30
	v_mul_f64 v[4:5], |v[2:3]|, s[4:5]
	s_mov_b32 s4, 0x54442d18
	s_mov_b32 s5, 0xbff921fb
	;; [unrolled: 1-line block ×4, first 2 shown]
	v_rndne_f64_e32 v[8:9], v[4:5]
	v_fma_f64 v[4:5], v[8:9], s[4:5], |v[2:3]|
	v_mul_f64 v[6:7], v[8:9], s[6:7]
	s_mov_b32 s4, 0x252049c0
	s_mov_b32 s5, 0xb97b839a
	v_fma_f64 v[14:15], v[8:9], s[6:7], v[4:5]
	v_add_f64 v[10:11], v[4:5], v[6:7]
	s_mov_b32 s7, 0x3c91a626
	v_add_f64 v[12:13], v[4:5], -v[10:11]
	v_add_f64 v[10:11], v[10:11], -v[14:15]
	v_add_f64 v[4:5], v[12:13], v[6:7]
	v_fma_f64 v[6:7], v[8:9], s[6:7], v[6:7]
	v_add_f64 v[4:5], v[10:11], v[4:5]
	v_add_f64 v[4:5], v[4:5], -v[6:7]
	v_fma_f64 v[6:7], v[8:9], s[4:5], v[4:5]
	v_cvt_i32_f64_e32 v8, v[8:9]
	v_add_f64 v[4:5], v[14:15], v[6:7]
	v_add_f64 v[10:11], v[4:5], -v[14:15]
	v_add_f64 v[6:7], v[6:7], -v[10:11]
.LBB48_276:
	s_or_b64 exec, exec, s[0:1]
	v_mul_f64 v[9:10], v[4:5], v[4:5]
	s_mov_b32 s0, 0xf9a43bb8
	v_mov_b32_e32 v12, 0xb42fdfa7
	v_mov_b32_e32 v13, 0xbe5ae600
	s_mov_b32 s1, 0x3de5e0b2
	s_mov_b32 s4, 0x796cde01
	v_mov_b32_e32 v11, 0x9037ab78
	s_mov_b32 s5, 0x3ec71de3
	v_fma_f64 v[13:14], v[9:10], s[0:1], v[12:13]
	s_mov_b32 s0, 0x46cc5e42
	v_mov_b32_e32 v12, 0x3e21eeb6
	s_mov_b32 s1, 0xbda907db
	v_fma_f64 v[11:12], v[9:10], s[0:1], v[11:12]
	v_mul_f64 v[15:16], v[9:10], 0.5
	s_mov_b32 s0, 0xa17f65f6
	s_mov_b32 s6, 0x19e83e5c
	v_fma_f64 v[13:14], v[9:10], v[13:14], s[4:5]
	s_mov_b32 s1, 0xbe927e4f
	s_mov_b32 s7, 0xbf2a01a0
	;; [unrolled: 1-line block ×3, first 2 shown]
	v_fma_f64 v[11:12], v[9:10], v[11:12], s[0:1]
	v_add_f64 v[17:18], -v[15:16], 1.0
	s_mov_b32 s0, 0x11110bb3
	s_mov_b32 s5, 0x3efa01a0
	v_fma_f64 v[13:14], v[9:10], v[13:14], s[6:7]
	s_mov_b32 s1, 0x3f811111
	v_mul_f64 v[19:20], v[6:7], 0.5
	v_mul_f64 v[21:22], v[4:5], -v[9:10]
	v_fma_f64 v[11:12], v[9:10], v[11:12], s[4:5]
	v_add_f64 v[23:24], -v[17:18], 1.0
	v_add_f64 v[0:1], -v[0:1], 1.0
	v_fma_f64 v[13:14], v[9:10], v[13:14], s[0:1]
	s_mov_b32 s0, 0x16c16967
	s_mov_b32 s1, 0xbf56c16c
	v_fma_f64 v[11:12], v[9:10], v[11:12], s[0:1]
	v_add_f64 v[15:16], v[23:24], -v[15:16]
	s_mov_b32 s1, 0x3fa55555
	s_mov_b32 s0, 0x55555555
	v_fma_f64 v[13:14], v[21:22], v[13:14], v[19:20]
	v_mul_f64 v[19:20], v[9:10], v[9:10]
	v_fma_f64 v[11:12], v[9:10], v[11:12], s[0:1]
	v_fma_f64 v[15:16], v[4:5], -v[6:7], v[15:16]
	s_mov_b32 s1, 0xbfc55555
	v_fma_f64 v[6:7], v[9:10], v[13:14], -v[6:7]
	v_fma_f64 v[9:10], v[19:20], v[11:12], v[15:16]
	v_fma_f64 v[6:7], v[21:22], s[0:1], v[6:7]
	s_movk_i32 s0, 0x1f8
	v_cmp_class_f64_e64 s[0:1], v[2:3], s0
	v_lshlrev_b32_e32 v2, 30, v8
	v_xor_b32_e32 v2, v2, v3
	v_add_f64 v[9:10], v[17:18], v[9:10]
	v_and_b32_e32 v2, 0x80000000, v2
	v_add_f64 v[4:5], v[4:5], -v[6:7]
	v_and_b32_e32 v6, 1, v8
	v_cmp_eq_u32_e32 vcc, 0, v6
	v_mov_b32_e32 v6, 0x7ff80000
	v_cndmask_b32_e32 v3, v10, v5, vcc
	v_cndmask_b32_e32 v4, v9, v4, vcc
	v_xor_b32_e32 v3, v3, v2
	v_cndmask_b32_e64 v2, 0, v4, s[0:1]
	v_cndmask_b32_e64 v3, v6, v3, s[0:1]
	v_mul_f64 v[2:3], v[2:3], v[2:3]
	s_mov_b32 s0, 0xc9be45de
	s_mov_b32 s1, 0xc023bd3c
	v_div_scale_f64 v[4:5], s[4:5], v[2:3], v[2:3], s[0:1]
	v_rcp_f64_e32 v[6:7], v[4:5]
	v_fma_f64 v[8:9], -v[4:5], v[6:7], 1.0
	v_fma_f64 v[6:7], v[6:7], v[8:9], v[6:7]
	v_div_scale_f64 v[8:9], vcc, s[0:1], v[2:3], s[0:1]
	v_fma_f64 v[10:11], -v[4:5], v[6:7], 1.0
	v_fma_f64 v[6:7], v[6:7], v[10:11], v[6:7]
	v_mul_f64 v[10:11], v[8:9], v[6:7]
	v_fma_f64 v[4:5], -v[4:5], v[10:11], v[8:9]
	v_div_fmas_f64 v[4:5], v[4:5], v[6:7], v[10:11]
	v_div_fixup_f64 v[2:3], v[4:5], v[2:3], s[0:1]
	v_add_f64 v[4:5], v[2:3], 0
	v_mov_b32_e32 v2, 0
	v_mov_b32_e32 v3, 0xbff00000
.LBB48_277:
	s_or_b64 exec, exec, s[2:3]
	v_add_f64 v[8:9], v[0:1], 1.0
	v_mul_f64 v[6:7], v[0:1], v[0:1]
	s_and_b32 s26, s33, 0xff
	s_cmp_lt_i32 s26, 11
	v_mul_f64 v[0:1], v[8:9], v[8:9]
	v_div_scale_f64 v[18:19], s[0:1], v[6:7], v[6:7], 1.0
	v_add_f64 v[10:11], v[8:9], 1.0
	v_div_scale_f64 v[35:36], vcc, 1.0, v[6:7], 1.0
	v_div_scale_f64 v[20:21], s[0:1], v[0:1], v[0:1], 1.0
	v_mul_f64 v[8:9], v[10:11], v[10:11]
	v_add_f64 v[12:13], v[10:11], 1.0
	v_rcp_f64_e32 v[14:15], v[18:19]
	v_div_scale_f64 v[22:23], s[0:1], v[8:9], v[8:9], 1.0
	v_mul_f64 v[10:11], v[12:13], v[12:13]
	v_add_f64 v[12:13], v[12:13], 1.0
	v_rcp_f64_e32 v[16:17], v[20:21]
	v_div_scale_f64 v[24:25], s[0:1], v[10:11], v[10:11], 1.0
	v_add_f64 v[31:32], v[12:13], 1.0
	v_mul_f64 v[12:13], v[12:13], v[12:13]
	v_fma_f64 v[26:27], -v[18:19], v[14:15], 1.0
	v_div_scale_f64 v[39:40], s[0:1], 1.0, v[0:1], 1.0
	v_rcp_f64_e32 v[28:29], v[22:23]
	v_div_scale_f64 v[43:44], s[2:3], v[12:13], v[12:13], 1.0
	v_fma_f64 v[33:34], -v[20:21], v[16:17], 1.0
	v_fma_f64 v[26:27], v[14:15], v[26:27], v[14:15]
	v_add_f64 v[14:15], v[31:32], 1.0
	v_rcp_f64_e32 v[37:38], v[24:25]
	v_fma_f64 v[33:34], v[16:17], v[33:34], v[16:17]
	v_mul_f64 v[16:17], v[31:32], v[31:32]
	v_fma_f64 v[31:32], -v[18:19], v[26:27], 1.0
	v_fma_f64 v[41:42], -v[22:23], v[28:29], 1.0
	v_mul_f64 v[47:48], v[14:15], v[14:15]
	v_add_f64 v[51:52], v[14:15], v[14:15]
	v_fma_f64 v[45:46], -v[20:21], v[33:34], 1.0
	v_div_scale_f64 v[49:50], s[2:3], v[16:17], v[16:17], 1.0
	v_fma_f64 v[26:27], v[26:27], v[31:32], v[26:27]
	v_fma_f64 v[28:29], v[28:29], v[41:42], v[28:29]
	v_fma_f64 v[31:32], -v[24:25], v[37:38], 1.0
	v_div_scale_f64 v[41:42], s[2:3], v[47:48], v[47:48], 1.0
	v_fma_f64 v[33:34], v[33:34], v[45:46], v[33:34]
	v_div_scale_f64 v[45:46], s[2:3], 1.0, v[8:9], 1.0
	v_mul_f64 v[53:54], v[35:36], v[26:27]
	v_fma_f64 v[55:56], -v[22:23], v[28:29], 1.0
	v_fma_f64 v[31:32], v[37:38], v[31:32], v[37:38]
	v_div_scale_f64 v[57:58], s[4:5], v[51:52], v[51:52], 1.0
	v_mul_f64 v[37:38], v[39:40], v[33:34]
	v_fma_f64 v[18:19], -v[18:19], v[53:54], v[35:36]
	v_rcp_f64_e32 v[35:36], v[43:44]
	v_fma_f64 v[28:29], v[28:29], v[55:56], v[28:29]
	v_rcp_f64_e32 v[55:56], v[49:50]
	v_fma_f64 v[20:21], -v[20:21], v[37:38], v[39:40]
	v_rcp_f64_e32 v[39:40], v[41:42]
	v_div_fmas_f64 v[18:19], v[18:19], v[26:27], v[53:54]
	s_mov_b64 vcc, s[0:1]
	v_fma_f64 v[26:27], -v[24:25], v[31:32], 1.0
	v_mul_f64 v[53:54], v[45:46], v[28:29]
	v_div_fmas_f64 v[20:21], v[20:21], v[33:34], v[37:38]
	v_rcp_f64_e32 v[33:34], v[57:58]
	v_div_scale_f64 v[37:38], s[0:1], 1.0, v[10:11], 1.0
	s_mov_b64 vcc, s[2:3]
	v_fma_f64 v[26:27], v[31:32], v[26:27], v[31:32]
	v_fma_f64 v[31:32], -v[43:44], v[35:36], 1.0
	v_fma_f64 v[22:23], -v[22:23], v[53:54], v[45:46]
	v_fma_f64 v[45:46], -v[49:50], v[55:56], 1.0
	v_div_fixup_f64 v[6:7], v[18:19], v[6:7], 1.0
	v_fma_f64 v[31:32], v[35:36], v[31:32], v[35:36]
	v_fma_f64 v[35:36], -v[41:42], v[39:40], 1.0
	v_fma_f64 v[45:46], v[55:56], v[45:46], v[55:56]
	v_fma_f64 v[55:56], -v[57:58], v[33:34], 1.0
	v_div_fmas_f64 v[22:23], v[22:23], v[28:29], v[53:54]
	v_mul_f64 v[28:29], v[37:38], v[26:27]
	s_mov_b64 vcc, s[0:1]
	v_add_f64 v[4:5], v[4:5], v[6:7]
	v_fma_f64 v[53:54], -v[43:44], v[31:32], 1.0
	v_fma_f64 v[35:36], v[39:40], v[35:36], v[39:40]
	v_fma_f64 v[39:40], -v[49:50], v[45:46], 1.0
	v_fma_f64 v[33:34], v[33:34], v[55:56], v[33:34]
	v_div_scale_f64 v[55:56], s[2:3], 1.0, v[12:13], 1.0
	v_fma_f64 v[24:25], -v[24:25], v[28:29], v[37:38]
	v_div_scale_f64 v[37:38], s[4:5], 1.0, v[16:17], 1.0
	v_fma_f64 v[31:32], v[31:32], v[53:54], v[31:32]
	v_fma_f64 v[39:40], v[45:46], v[39:40], v[45:46]
	v_fma_f64 v[45:46], -v[41:42], v[35:36], 1.0
	v_div_scale_f64 v[53:54], s[6:7], 1.0, v[47:48], 1.0
	v_div_fmas_f64 v[24:25], v[24:25], v[26:27], v[28:29]
	v_fma_f64 v[26:27], -v[57:58], v[33:34], 1.0
	v_div_scale_f64 v[28:29], s[0:1], 1.0, v[51:52], 1.0
	s_mov_b64 vcc, s[2:3]
	v_fma_f64 v[35:36], v[35:36], v[45:46], v[35:36]
	v_mul_f64 v[45:46], v[55:56], v[31:32]
	v_div_fixup_f64 v[0:1], v[20:21], v[0:1], 1.0
	v_fma_f64 v[26:27], v[33:34], v[26:27], v[33:34]
	v_mul_f64 v[33:34], v[37:38], v[39:40]
	v_fma_f64 v[43:44], -v[43:44], v[45:46], v[55:56]
	v_mul_f64 v[55:56], v[53:54], v[35:36]
	v_add_f64 v[0:1], v[4:5], v[0:1]
	v_div_fixup_f64 v[4:5], v[22:23], v[8:9], 1.0
	v_fma_f64 v[37:38], -v[49:50], v[33:34], v[37:38]
	v_mul_f64 v[49:50], v[28:29], v[26:27]
	v_div_fmas_f64 v[31:32], v[43:44], v[31:32], v[45:46]
	v_fma_f64 v[41:42], -v[41:42], v[55:56], v[53:54]
	s_mov_b64 vcc, s[4:5]
	v_add_f64 v[0:1], v[0:1], v[4:5]
	v_div_fmas_f64 v[33:34], v[37:38], v[39:40], v[33:34]
	s_mov_b64 vcc, s[6:7]
	v_fma_f64 v[28:29], -v[57:58], v[49:50], v[28:29]
	v_div_fixup_f64 v[4:5], v[24:25], v[10:11], 1.0
	v_div_fmas_f64 v[35:36], v[41:42], v[35:36], v[55:56]
	s_mov_b64 vcc, s[0:1]
	s_mov_b32 s0, 0x18618618
	s_mov_b32 s1, 0xbf986186
	v_div_fmas_f64 v[26:27], v[28:29], v[26:27], v[49:50]
	v_add_f64 v[0:1], v[0:1], v[4:5]
	v_div_fixup_f64 v[4:5], v[31:32], v[12:13], 1.0
	v_add_f64 v[0:1], v[0:1], v[4:5]
	v_div_fixup_f64 v[28:29], v[35:36], v[47:48], 1.0
	v_mov_b32_e32 v35, 0x11111111
	v_mov_b32_e32 v36, 0x3fa11111
	v_div_fixup_f64 v[4:5], v[33:34], v[16:17], 1.0
	v_div_fixup_f64 v[26:27], v[26:27], v[51:52], 1.0
	v_fma_f64 v[35:36], v[28:29], s[0:1], v[35:36]
	s_mov_b32 s0, 0x55555555
	s_mov_b32 s1, 0x3fc55555
	v_add_f64 v[0:1], v[0:1], v[4:5]
	v_add_f64 v[26:27], v[26:27], 1.0
	v_fma_f64 v[35:36], -v[28:29], v[35:36], s[0:1]
	v_fma_f64 v[26:27], v[28:29], v[35:36], v[26:27]
	v_div_scale_f64 v[28:29], s[0:1], v[14:15], v[14:15], v[26:27]
	v_div_scale_f64 v[18:19], vcc, v[26:27], v[14:15], v[26:27]
	v_rcp_f64_e32 v[35:36], v[28:29]
	v_fma_f64 v[37:38], -v[28:29], v[35:36], 1.0
	v_fma_f64 v[35:36], v[35:36], v[37:38], v[35:36]
	v_fma_f64 v[37:38], -v[28:29], v[35:36], 1.0
	v_fma_f64 v[6:7], v[35:36], v[37:38], v[35:36]
	v_mul_f64 v[8:9], v[18:19], v[6:7]
	v_fma_f64 v[10:11], -v[28:29], v[8:9], v[18:19]
	v_div_fmas_f64 v[6:7], v[10:11], v[6:7], v[8:9]
	v_div_fixup_f64 v[4:5], v[6:7], v[14:15], v[26:27]
	v_add_f64 v[0:1], v[0:1], v[4:5]
	v_mul_lo_u32 v4, v30, s12
	v_mul_f64 v[0:1], v[2:3], v[0:1]
	v_ashrrev_i32_e32 v2, 31, v4
	v_mov_b32_e32 v3, s9
	v_add_co_u32_e32 v4, vcc, s8, v4
	v_addc_co_u32_e32 v5, vcc, v3, v2, vcc
	s_cbranch_scc1 .LBB48_285
; %bb.278:
	s_and_b32 s27, 0xffff, s26
	s_cmp_gt_i32 s27, 25
	s_cbranch_scc0 .LBB48_287
; %bb.279:
	s_cmp_gt_i32 s27, 28
	s_cbranch_scc0 .LBB48_289
; %bb.280:
	;; [unrolled: 3-line block ×4, first 2 shown]
	s_mov_b64 s[4:5], 0
	s_mov_b64 s[0:1], -1
	s_cmp_eq_u32 s27, 46
	s_mov_b64 s[2:3], 0
	s_cbranch_scc0 .LBB48_301
; %bb.283:
	v_cvt_f32_f64_e32 v2, v[0:1]
	s_movk_i32 s0, 0x7fff
	v_mov_b32_e32 v3, 0x7fc0
	s_mov_b64 s[2:3], -1
	v_bfe_u32 v6, v2, 16, 1
	v_cmp_o_f32_e32 vcc, v2, v2
	v_add3_u32 v2, v2, v6, s0
	v_cndmask_b32_sdwa v2, v3, v2, vcc dst_sel:DWORD dst_unused:UNUSED_PAD src0_sel:DWORD src1_sel:WORD_1
	global_store_dword v[4:5], v2, off
	s_mov_b64 s[0:1], 0
	s_branch .LBB48_301
.LBB48_284:
	s_mov_b64 s[2:3], -1
	s_mov_b64 s[0:1], 0
	s_mov_b64 s[24:25], s[18:19]
                                        ; implicit-def: $vgpr0_vgpr1
	s_branch .LBB48_440
.LBB48_285:
	s_mov_b64 s[4:5], -1
	s_mov_b64 s[2:3], 0
	s_mov_b64 s[0:1], s[14:15]
	s_branch .LBB48_370
.LBB48_286:
	s_mov_b64 s[2:3], -1
	s_mov_b64 s[0:1], 0
	s_mov_b64 s[24:25], s[18:19]
                                        ; implicit-def: $vgpr0_vgpr1
	s_branch .LBB48_419
.LBB48_287:
	s_mov_b64 s[4:5], -1
	s_mov_b64 s[2:3], 0
	s_mov_b64 s[0:1], s[14:15]
	s_branch .LBB48_328
.LBB48_288:
	s_mov_b64 s[2:3], -1
	s_mov_b64 s[0:1], 0
	s_mov_b64 s[24:25], s[18:19]
                                        ; implicit-def: $vgpr0_vgpr1
	s_branch .LBB48_414
.LBB48_289:
	s_mov_b64 s[4:5], -1
	s_mov_b64 s[2:3], 0
	s_mov_b64 s[0:1], s[14:15]
	s_branch .LBB48_311
.LBB48_290:
	s_andn2_saveexec_b64 s[6:7], s[6:7]
	s_cbranch_execz .LBB48_60
.LBB48_291:
	s_mov_b32 s24, 0x46000000
	v_add_f32_e64 v3, |v2|, s24
	v_and_b32_e32 v3, 0xff, v3
	v_cmp_ne_u32_e32 vcc, 0, v3
	s_andn2_b64 s[4:5], s[4:5], exec
	s_and_b64 s[24:25], vcc, exec
	s_or_b64 s[4:5], s[4:5], s[24:25]
	s_or_b64 exec, exec, s[6:7]
	v_mov_b32_e32 v6, 0
	s_and_saveexec_b64 s[6:7], s[4:5]
	s_cbranch_execnz .LBB48_61
	s_branch .LBB48_62
.LBB48_292:
	s_mov_b64 s[2:3], -1
	s_mov_b64 s[0:1], 0
	s_mov_b64 s[24:25], s[18:19]
                                        ; implicit-def: $vgpr0_vgpr1
	s_branch .LBB48_297
.LBB48_293:
	s_mov_b64 s[4:5], -1
	s_mov_b64 s[2:3], 0
	s_mov_b64 s[0:1], s[14:15]
	s_branch .LBB48_307
.LBB48_294:
	s_andn2_saveexec_b64 s[6:7], s[6:7]
	s_cbranch_execz .LBB48_73
.LBB48_295:
	s_mov_b32 s24, 0x42800000
	v_add_f32_e64 v3, |v2|, s24
	v_and_b32_e32 v3, 0xff, v3
	v_cmp_ne_u32_e32 vcc, 0, v3
	s_andn2_b64 s[4:5], s[4:5], exec
	s_and_b64 s[24:25], vcc, exec
	s_or_b64 s[4:5], s[4:5], s[24:25]
	s_or_b64 exec, exec, s[6:7]
	v_mov_b32_e32 v6, 0
	s_and_saveexec_b64 s[6:7], s[4:5]
	s_cbranch_execnz .LBB48_74
	s_branch .LBB48_75
.LBB48_296:
	s_mov_b64 s[24:25], -1
                                        ; implicit-def: $vgpr0_vgpr1
	s_mov_b64 s[0:1], 0
.LBB48_297:
	s_and_b64 vcc, exec, s[2:3]
	s_cbranch_vccz .LBB48_413
; %bb.298:
	s_cmp_eq_u32 s6, 44
	s_cbranch_scc0 .LBB48_412
; %bb.299:
	global_load_ubyte v4, v[2:3], off
	s_movk_i32 s2, 0xff
	v_bfrev_b32_e32 v5, 4
	v_mov_b32_e32 v6, 0x7ff80000
	v_bfrev_b32_e32 v7, 28
	s_mov_b64 s[0:1], -1
	s_mov_b64 s[24:25], 0
	s_waitcnt vmcnt(0)
	v_lshlrev_b32_e32 v0, 23, v4
	v_cvt_f64_f32_e32 v[0:1], v0
	v_cmp_ne_u32_e32 vcc, s2, v4
	v_cndmask_b32_e32 v0, v5, v0, vcc
	v_cndmask_b32_e32 v1, v6, v1, vcc
	v_cmp_ne_u32_e32 vcc, 0, v4
	v_cndmask_b32_e32 v1, v7, v1, vcc
	v_cndmask_b32_e32 v0, 0, v0, vcc
	s_branch .LBB48_413
.LBB48_300:
	s_mov_b64 s[4:5], -1
	s_mov_b64 s[2:3], 0
	s_mov_b64 s[0:1], s[14:15]
.LBB48_301:
	s_and_b64 vcc, exec, s[4:5]
	s_cbranch_vccz .LBB48_306
; %bb.302:
	s_cmp_eq_u32 s27, 44
	s_mov_b64 s[0:1], -1
	s_cbranch_scc0 .LBB48_306
; %bb.303:
	v_cvt_f32_f64_e32 v2, v[0:1]
	s_movk_i32 s0, 0xff
	v_mov_b32_e32 v6, 0xff
	v_bfe_u32 v3, v2, 23, 8
	v_cmp_ne_u32_e32 vcc, s0, v3
	s_and_saveexec_b64 s[2:3], vcc
; %bb.304:
	s_mov_b32 s0, 0x3fffff
	v_lshrrev_b32_e32 v6, 23, v2
	v_and_b32_e32 v7, 0x400000, v2
	v_and_or_b32 v2, v2, s0, v3
	v_cmp_ne_u32_e32 vcc, 0, v7
	v_cmp_ne_u32_e64 s[0:1], 0, v2
	s_and_b64 s[0:1], vcc, s[0:1]
	v_cndmask_b32_e64 v2, 0, 1, s[0:1]
	v_add_u32_e32 v6, v6, v2
; %bb.305:
	s_or_b64 exec, exec, s[2:3]
	s_mov_b64 s[2:3], -1
	s_mov_b64 s[0:1], 0
	global_store_byte v[4:5], v6, off
.LBB48_306:
	s_mov_b64 s[4:5], 0
.LBB48_307:
	s_and_b64 vcc, exec, s[4:5]
	s_cbranch_vccz .LBB48_310
; %bb.308:
	s_cmp_eq_u32 s27, 29
	s_mov_b64 s[0:1], -1
	s_cbranch_scc0 .LBB48_310
; %bb.309:
	v_trunc_f64_e32 v[2:3], v[0:1]
	s_movk_i32 s0, 0xffe0
	s_mov_b64 s[2:3], -1
	s_mov_b64 s[4:5], 0
	v_ldexp_f64 v[6:7], v[2:3], s0
	s_mov_b32 s0, 0
	s_mov_b32 s1, 0xc1f00000
	v_floor_f64_e32 v[6:7], v[6:7]
	v_fma_f64 v[2:3], v[6:7], s[0:1], v[2:3]
	v_cvt_u32_f64_e32 v7, v[6:7]
	s_mov_b64 s[0:1], 0
	v_cvt_u32_f64_e32 v6, v[2:3]
	global_store_dwordx2 v[4:5], v[6:7], off
	s_branch .LBB48_311
.LBB48_310:
	s_mov_b64 s[4:5], 0
.LBB48_311:
	s_and_b64 vcc, exec, s[4:5]
	s_cbranch_vccz .LBB48_327
; %bb.312:
	s_cmp_lt_i32 s27, 27
	s_mov_b64 s[2:3], -1
	s_cbranch_scc1 .LBB48_318
; %bb.313:
	v_cvt_u32_f64_e32 v2, v[0:1]
	s_cmp_gt_i32 s27, 27
	s_cbranch_scc0 .LBB48_315
; %bb.314:
	s_mov_b64 s[2:3], 0
	global_store_dword v[4:5], v2, off
.LBB48_315:
	s_andn2_b64 vcc, exec, s[2:3]
	s_cbranch_vccnz .LBB48_317
; %bb.316:
	global_store_short v[4:5], v2, off
.LBB48_317:
	s_mov_b64 s[2:3], 0
.LBB48_318:
	s_andn2_b64 vcc, exec, s[2:3]
	s_cbranch_vccnz .LBB48_326
; %bb.319:
	v_cvt_f32_f64_e32 v2, v[0:1]
	s_mov_b32 s2, 0x43800000
	v_mov_b32_e32 v6, 0x80
	v_and_b32_e32 v3, 0x7fffffff, v2
	v_cmp_gt_u32_e32 vcc, s2, v3
	s_and_saveexec_b64 s[2:3], vcc
	s_cbranch_execz .LBB48_325
; %bb.320:
	s_mov_b32 s4, 0x3bffffff
	v_cmp_lt_u32_e32 vcc, s4, v3
	s_mov_b64 s[4:5], 0
                                        ; implicit-def: $vgpr3
	s_and_saveexec_b64 s[6:7], vcc
	s_xor_b64 s[6:7], exec, s[6:7]
	s_cbranch_execz .LBB48_537
; %bb.321:
	v_bfe_u32 v3, v2, 20, 1
	s_mov_b32 s30, 0x487ffff
	v_add3_u32 v3, v2, v3, s30
	s_mov_b64 s[4:5], exec
	v_lshrrev_b32_e32 v3, 20, v3
	s_andn2_saveexec_b64 s[6:7], s[6:7]
	s_cbranch_execnz .LBB48_538
.LBB48_322:
	s_or_b64 exec, exec, s[6:7]
	v_mov_b32_e32 v6, 0
	s_and_saveexec_b64 s[6:7], s[4:5]
.LBB48_323:
	v_lshrrev_b32_e32 v2, 24, v2
	s_movk_i32 s4, 0x80
	v_and_or_b32 v6, v2, s4, v3
.LBB48_324:
	s_or_b64 exec, exec, s[6:7]
.LBB48_325:
	s_or_b64 exec, exec, s[2:3]
	global_store_byte v[4:5], v6, off
.LBB48_326:
	s_mov_b64 s[2:3], -1
.LBB48_327:
	s_mov_b64 s[4:5], 0
.LBB48_328:
	s_and_b64 vcc, exec, s[4:5]
	s_cbranch_vccz .LBB48_369
; %bb.329:
	s_cmp_gt_i32 s27, 22
	s_mov_b64 s[4:5], -1
	s_cbranch_scc0 .LBB48_361
; %bb.330:
	s_cmp_lt_i32 s27, 24
	s_mov_b64 s[2:3], -1
	s_cbranch_scc1 .LBB48_350
; %bb.331:
	s_cmp_gt_i32 s27, 24
	s_cbranch_scc0 .LBB48_339
; %bb.332:
	v_cvt_f32_f64_e32 v2, v[0:1]
	s_mov_b32 s2, 0x47800000
	v_mov_b32_e32 v6, 0x80
	v_and_b32_e32 v3, 0x7fffffff, v2
	v_cmp_gt_u32_e32 vcc, s2, v3
	s_and_saveexec_b64 s[2:3], vcc
	s_cbranch_execz .LBB48_338
; %bb.333:
	s_mov_b32 s4, 0x37ffffff
	v_cmp_lt_u32_e32 vcc, s4, v3
	s_mov_b64 s[4:5], 0
                                        ; implicit-def: $vgpr3
	s_and_saveexec_b64 s[6:7], vcc
	s_xor_b64 s[6:7], exec, s[6:7]
	s_cbranch_execz .LBB48_540
; %bb.334:
	v_bfe_u32 v3, v2, 21, 1
	s_mov_b32 s30, 0x88fffff
	v_add3_u32 v3, v2, v3, s30
	s_mov_b64 s[4:5], exec
	v_lshrrev_b32_e32 v3, 21, v3
	s_andn2_saveexec_b64 s[6:7], s[6:7]
	s_cbranch_execnz .LBB48_541
.LBB48_335:
	s_or_b64 exec, exec, s[6:7]
	v_mov_b32_e32 v6, 0
	s_and_saveexec_b64 s[6:7], s[4:5]
.LBB48_336:
	v_lshrrev_b32_e32 v2, 24, v2
	s_movk_i32 s4, 0x80
	v_and_or_b32 v6, v2, s4, v3
.LBB48_337:
	s_or_b64 exec, exec, s[6:7]
.LBB48_338:
	s_or_b64 exec, exec, s[2:3]
	s_mov_b64 s[2:3], 0
	global_store_byte v[4:5], v6, off
.LBB48_339:
	s_and_b64 vcc, exec, s[2:3]
	s_cbranch_vccz .LBB48_349
; %bb.340:
	v_cvt_f32_f64_e32 v2, v[0:1]
	s_mov_b32 s2, 0x43f00000
                                        ; implicit-def: $vgpr3
	v_and_b32_e32 v6, 0x7fffffff, v2
	v_cmp_gt_u32_e32 vcc, s2, v6
	s_and_saveexec_b64 s[2:3], vcc
	s_xor_b64 s[2:3], exec, s[2:3]
	s_cbranch_execz .LBB48_346
; %bb.341:
	s_mov_b32 s4, 0x3c7fffff
	v_cmp_lt_u32_e32 vcc, s4, v6
                                        ; implicit-def: $vgpr3
	s_and_saveexec_b64 s[4:5], vcc
	s_xor_b64 s[4:5], exec, s[4:5]
; %bb.342:
	v_bfe_u32 v3, v2, 20, 1
	s_mov_b32 s6, 0x407ffff
	v_add3_u32 v3, v2, v3, s6
	v_lshrrev_b32_e32 v6, 20, v3
	v_and_b32_e32 v3, 0xff00000, v3
	s_mov_b32 s6, 0x7f00000
	v_mov_b32_e32 v7, 0x7e
	v_cmp_ne_u32_e32 vcc, s6, v3
	v_cndmask_b32_e32 v3, v7, v6, vcc
; %bb.343:
	s_andn2_saveexec_b64 s[4:5], s[4:5]
; %bb.344:
	s_mov_b32 s6, 0x46800000
	v_add_f32_e64 v3, |v2|, s6
; %bb.345:
	s_or_b64 exec, exec, s[4:5]
                                        ; implicit-def: $vgpr6
.LBB48_346:
	s_andn2_saveexec_b64 s[2:3], s[2:3]
; %bb.347:
	s_mov_b32 s4, 0x7f800000
	v_mov_b32_e32 v3, 0x7e
	v_mov_b32_e32 v7, 0x7f
	v_cmp_lt_u32_e32 vcc, s4, v6
	v_cndmask_b32_e32 v3, v3, v7, vcc
; %bb.348:
	s_or_b64 exec, exec, s[2:3]
	v_lshrrev_b32_e32 v2, 24, v2
	s_movk_i32 s2, 0x80
	v_and_or_b32 v2, v2, s2, v3
	global_store_byte v[4:5], v2, off
.LBB48_349:
	s_mov_b64 s[2:3], 0
.LBB48_350:
	s_andn2_b64 vcc, exec, s[2:3]
	s_cbranch_vccnz .LBB48_360
; %bb.351:
	v_cvt_f32_f64_e32 v2, v[0:1]
	s_mov_b32 s2, 0x47800000
                                        ; implicit-def: $vgpr3
	v_and_b32_e32 v6, 0x7fffffff, v2
	v_cmp_gt_u32_e32 vcc, s2, v6
	s_and_saveexec_b64 s[2:3], vcc
	s_xor_b64 s[2:3], exec, s[2:3]
	s_cbranch_execz .LBB48_357
; %bb.352:
	s_mov_b32 s4, 0x387fffff
	v_cmp_lt_u32_e32 vcc, s4, v6
                                        ; implicit-def: $vgpr3
	s_and_saveexec_b64 s[4:5], vcc
	s_xor_b64 s[4:5], exec, s[4:5]
; %bb.353:
	v_bfe_u32 v3, v2, 21, 1
	s_mov_b32 s6, 0x80fffff
	v_add3_u32 v3, v2, v3, s6
	v_lshrrev_b32_e32 v3, 21, v3
; %bb.354:
	s_andn2_saveexec_b64 s[4:5], s[4:5]
; %bb.355:
	s_mov_b32 s6, 0x43000000
	v_add_f32_e64 v3, |v2|, s6
; %bb.356:
	s_or_b64 exec, exec, s[4:5]
                                        ; implicit-def: $vgpr6
.LBB48_357:
	s_andn2_saveexec_b64 s[2:3], s[2:3]
; %bb.358:
	s_mov_b32 s4, 0x7f800000
	v_mov_b32_e32 v3, 0x7c
	v_mov_b32_e32 v7, 0x7f
	v_cmp_lt_u32_e32 vcc, s4, v6
	v_cndmask_b32_e32 v3, v3, v7, vcc
; %bb.359:
	s_or_b64 exec, exec, s[2:3]
	v_lshrrev_b32_e32 v2, 24, v2
	s_movk_i32 s2, 0x80
	v_and_or_b32 v2, v2, s2, v3
	global_store_byte v[4:5], v2, off
.LBB48_360:
	s_mov_b64 s[4:5], 0
	s_mov_b64 s[2:3], -1
.LBB48_361:
	s_andn2_b64 vcc, exec, s[4:5]
	s_cbranch_vccnz .LBB48_369
; %bb.362:
	s_cmp_gt_i32 s27, 14
	s_mov_b64 s[4:5], -1
	s_cbranch_scc0 .LBB48_366
; %bb.363:
	s_cmp_eq_u32 s27, 15
	s_mov_b64 s[0:1], -1
	s_cbranch_scc0 .LBB48_365
; %bb.364:
	v_cvt_f32_f64_e32 v2, v[0:1]
	s_movk_i32 s0, 0x7fff
	v_mov_b32_e32 v3, 0x7fc0
	s_mov_b64 s[2:3], -1
	v_bfe_u32 v6, v2, 16, 1
	v_cmp_o_f32_e32 vcc, v2, v2
	v_add3_u32 v2, v2, v6, s0
	v_cndmask_b32_sdwa v2, v3, v2, vcc dst_sel:DWORD dst_unused:UNUSED_PAD src0_sel:DWORD src1_sel:WORD_1
	global_store_short v[4:5], v2, off
	s_mov_b64 s[0:1], 0
.LBB48_365:
	s_mov_b64 s[4:5], 0
.LBB48_366:
	s_and_b64 vcc, exec, s[4:5]
	s_cbranch_vccz .LBB48_369
; %bb.367:
	s_cmp_eq_u32 s27, 11
	s_mov_b64 s[0:1], -1
	s_cbranch_scc0 .LBB48_369
; %bb.368:
	v_cmp_neq_f64_e32 vcc, 0, v[0:1]
	s_mov_b64 s[0:1], 0
	s_mov_b64 s[2:3], -1
	v_cndmask_b32_e64 v2, 0, 1, vcc
	global_store_byte v[4:5], v2, off
.LBB48_369:
	s_mov_b64 s[4:5], 0
.LBB48_370:
	s_and_b64 vcc, exec, s[4:5]
	s_cbranch_vccz .LBB48_409
; %bb.371:
	s_and_b32 s4, 0xffff, s26
	s_cmp_lt_i32 s4, 5
	s_mov_b64 s[2:3], -1
	s_cbranch_scc1 .LBB48_392
; %bb.372:
	s_cmp_lt_i32 s4, 8
	s_cbranch_scc1 .LBB48_382
; %bb.373:
	s_cmp_lt_i32 s4, 9
	s_cbranch_scc1 .LBB48_379
; %bb.374:
	s_cmp_gt_i32 s4, 9
	s_cbranch_scc0 .LBB48_376
; %bb.375:
	v_mov_b32_e32 v2, 0
	v_mov_b32_e32 v3, v2
	s_mov_b64 s[2:3], 0
	global_store_dwordx4 v[4:5], v[0:3], off
.LBB48_376:
	s_andn2_b64 vcc, exec, s[2:3]
	s_cbranch_vccnz .LBB48_378
; %bb.377:
	v_cvt_f32_f64_e32 v2, v[0:1]
	v_mov_b32_e32 v3, 0
	global_store_dwordx2 v[4:5], v[2:3], off
.LBB48_378:
	s_mov_b64 s[2:3], 0
.LBB48_379:
	s_andn2_b64 vcc, exec, s[2:3]
	s_cbranch_vccnz .LBB48_381
; %bb.380:
	s_movk_i32 s2, 0x1ff
	v_and_or_b32 v2, v1, s2, v0
	v_cmp_ne_u32_e32 vcc, 0, v2
	v_cndmask_b32_e64 v2, 0, 1, vcc
	v_lshrrev_b32_e32 v3, 8, v1
	s_movk_i32 s2, 0xffe
	v_bfe_u32 v6, v1, 20, 11
	v_and_or_b32 v2, v3, s2, v2
	v_sub_u32_e32 v7, 0x3f1, v6
	v_or_b32_e32 v3, 0x1000, v2
	v_med3_i32 v7, v7, 0, 13
	v_lshrrev_b32_e32 v8, v7, v3
	v_lshlrev_b32_e32 v7, v7, v8
	v_cmp_ne_u32_e32 vcc, v7, v3
	v_cndmask_b32_e64 v3, 0, 1, vcc
	v_add_u32_e32 v6, 0xfffffc10, v6
	v_or_b32_e32 v3, v8, v3
	v_lshl_or_b32 v7, v6, 12, v2
	v_cmp_gt_i32_e32 vcc, 1, v6
	v_cndmask_b32_e32 v3, v7, v3, vcc
	v_and_b32_e32 v7, 7, v3
	v_cmp_lt_i32_e32 vcc, 5, v7
	v_cndmask_b32_e64 v8, 0, 1, vcc
	v_cmp_eq_u32_e32 vcc, 3, v7
	v_cndmask_b32_e64 v7, 0, 1, vcc
	v_or_b32_e32 v7, v7, v8
	v_lshrrev_b32_e32 v3, 2, v3
	v_add_u32_e32 v3, v3, v7
	v_mov_b32_e32 v7, 0x7c00
	v_cmp_gt_i32_e32 vcc, 31, v6
	v_cndmask_b32_e32 v3, v7, v3, vcc
	v_mov_b32_e32 v8, 0x7e00
	v_cmp_ne_u32_e32 vcc, 0, v2
	s_movk_i32 s2, 0x40f
	v_cndmask_b32_e32 v2, v7, v8, vcc
	v_cmp_eq_u32_e32 vcc, s2, v6
	v_cndmask_b32_e32 v2, v3, v2, vcc
	v_lshrrev_b32_e32 v3, 16, v1
	s_mov_b32 s2, 0x8000
	v_and_or_b32 v2, v3, s2, v2
	v_and_b32_e32 v2, 0xffff, v2
	global_store_dword v[4:5], v2, off
.LBB48_381:
	s_mov_b64 s[2:3], 0
.LBB48_382:
	s_andn2_b64 vcc, exec, s[2:3]
	s_cbranch_vccnz .LBB48_391
; %bb.383:
	s_cmp_lt_i32 s4, 6
	s_mov_b64 s[2:3], -1
	s_cbranch_scc1 .LBB48_389
; %bb.384:
	s_cmp_gt_i32 s4, 6
	s_cbranch_scc0 .LBB48_386
; %bb.385:
	s_mov_b64 s[2:3], 0
	global_store_dwordx2 v[4:5], v[0:1], off
.LBB48_386:
	s_andn2_b64 vcc, exec, s[2:3]
	s_cbranch_vccnz .LBB48_388
; %bb.387:
	v_cvt_f32_f64_e32 v2, v[0:1]
	global_store_dword v[4:5], v2, off
.LBB48_388:
	s_mov_b64 s[2:3], 0
.LBB48_389:
	s_andn2_b64 vcc, exec, s[2:3]
	s_cbranch_vccnz .LBB48_391
; %bb.390:
	s_movk_i32 s2, 0x1ff
	v_and_or_b32 v2, v1, s2, v0
	v_cmp_ne_u32_e32 vcc, 0, v2
	v_cndmask_b32_e64 v2, 0, 1, vcc
	v_lshrrev_b32_e32 v3, 8, v1
	s_movk_i32 s2, 0xffe
	v_bfe_u32 v6, v1, 20, 11
	v_and_or_b32 v2, v3, s2, v2
	v_sub_u32_e32 v7, 0x3f1, v6
	v_or_b32_e32 v3, 0x1000, v2
	v_med3_i32 v7, v7, 0, 13
	v_lshrrev_b32_e32 v8, v7, v3
	v_lshlrev_b32_e32 v7, v7, v8
	v_cmp_ne_u32_e32 vcc, v7, v3
	v_cndmask_b32_e64 v3, 0, 1, vcc
	v_add_u32_e32 v6, 0xfffffc10, v6
	v_or_b32_e32 v3, v8, v3
	v_lshl_or_b32 v7, v6, 12, v2
	v_cmp_gt_i32_e32 vcc, 1, v6
	v_cndmask_b32_e32 v3, v7, v3, vcc
	v_and_b32_e32 v7, 7, v3
	v_cmp_lt_i32_e32 vcc, 5, v7
	v_cndmask_b32_e64 v8, 0, 1, vcc
	v_cmp_eq_u32_e32 vcc, 3, v7
	v_cndmask_b32_e64 v7, 0, 1, vcc
	v_or_b32_e32 v7, v7, v8
	v_lshrrev_b32_e32 v3, 2, v3
	v_add_u32_e32 v3, v3, v7
	v_mov_b32_e32 v7, 0x7c00
	v_cmp_gt_i32_e32 vcc, 31, v6
	v_cndmask_b32_e32 v3, v7, v3, vcc
	v_mov_b32_e32 v8, 0x7e00
	v_cmp_ne_u32_e32 vcc, 0, v2
	s_movk_i32 s2, 0x40f
	v_cndmask_b32_e32 v2, v7, v8, vcc
	v_cmp_eq_u32_e32 vcc, s2, v6
	v_cndmask_b32_e32 v2, v3, v2, vcc
	v_lshrrev_b32_e32 v3, 16, v1
	s_mov_b32 s2, 0x8000
	v_and_or_b32 v2, v3, s2, v2
	global_store_short v[4:5], v2, off
.LBB48_391:
	s_mov_b64 s[2:3], 0
.LBB48_392:
	s_andn2_b64 vcc, exec, s[2:3]
	s_cbranch_vccnz .LBB48_408
; %bb.393:
	s_cmp_lt_i32 s4, 2
	s_mov_b64 s[2:3], -1
	s_cbranch_scc1 .LBB48_403
; %bb.394:
	s_cmp_lt_i32 s4, 3
	s_cbranch_scc1 .LBB48_400
; %bb.395:
	s_cmp_gt_i32 s4, 3
	s_cbranch_scc0 .LBB48_397
; %bb.396:
	v_trunc_f64_e32 v[2:3], v[0:1]
	s_movk_i32 s2, 0xffe0
	v_ldexp_f64 v[6:7], v[2:3], s2
	s_mov_b32 s2, 0
	s_mov_b32 s3, 0xc1f00000
	v_floor_f64_e32 v[6:7], v[6:7]
	v_fma_f64 v[2:3], v[6:7], s[2:3], v[2:3]
	v_cvt_i32_f64_e32 v7, v[6:7]
	s_mov_b64 s[2:3], 0
	v_cvt_u32_f64_e32 v6, v[2:3]
	global_store_dwordx2 v[4:5], v[6:7], off
.LBB48_397:
	s_andn2_b64 vcc, exec, s[2:3]
	s_cbranch_vccnz .LBB48_399
; %bb.398:
	v_cvt_i32_f64_e32 v2, v[0:1]
	global_store_dword v[4:5], v2, off
.LBB48_399:
	s_mov_b64 s[2:3], 0
.LBB48_400:
	s_andn2_b64 vcc, exec, s[2:3]
	s_cbranch_vccnz .LBB48_402
; %bb.401:
	v_cvt_i32_f64_e32 v2, v[0:1]
	global_store_short v[4:5], v2, off
.LBB48_402:
	s_mov_b64 s[2:3], 0
.LBB48_403:
	s_andn2_b64 vcc, exec, s[2:3]
	s_cbranch_vccnz .LBB48_408
; %bb.404:
	s_cmp_gt_i32 s4, 0
	s_mov_b64 s[2:3], -1
	s_cbranch_scc0 .LBB48_406
; %bb.405:
	v_cvt_i32_f64_e32 v2, v[0:1]
	s_mov_b64 s[2:3], 0
	global_store_byte v[4:5], v2, off
.LBB48_406:
	s_andn2_b64 vcc, exec, s[2:3]
	s_cbranch_vccnz .LBB48_408
; %bb.407:
	v_trunc_f64_e32 v[0:1], v[0:1]
	s_movk_i32 s2, 0xffe0
	v_ldexp_f64 v[2:3], v[0:1], s2
	s_mov_b32 s2, 0
	s_mov_b32 s3, 0xc1f00000
	v_floor_f64_e32 v[2:3], v[2:3]
	v_fma_f64 v[0:1], v[2:3], s[2:3], v[0:1]
	v_cvt_u32_f64_e32 v0, v[0:1]
	global_store_byte v[4:5], v0, off
.LBB48_408:
	s_mov_b64 s[2:3], -1
.LBB48_409:
	s_andn2_b64 vcc, exec, s[2:3]
	s_cbranch_vccnz .LBB48_411
; %bb.410:
	v_add_u32_e32 v30, 0x80, v30
	s_mov_b64 s[2:3], -1
	s_branch .LBB48_523
.LBB48_411:
	s_mov_b64 s[2:3], 0
                                        ; implicit-def: $vgpr30
	s_branch .LBB48_523
.LBB48_412:
	s_mov_b64 s[24:25], -1
                                        ; implicit-def: $vgpr0_vgpr1
.LBB48_413:
	s_mov_b64 s[2:3], 0
.LBB48_414:
	s_and_b64 vcc, exec, s[2:3]
	s_cbranch_vccz .LBB48_418
; %bb.415:
	s_cmp_eq_u32 s6, 29
	s_cbranch_scc0 .LBB48_417
; %bb.416:
	global_load_dwordx2 v[0:1], v[2:3], off
	s_mov_b64 s[0:1], -1
	s_mov_b64 s[24:25], 0
	s_mov_b64 s[2:3], 0
	s_waitcnt vmcnt(0)
	v_cvt_f64_u32_e32 v[4:5], v1
	v_cvt_f64_u32_e32 v[0:1], v0
	v_ldexp_f64 v[4:5], v[4:5], 32
	v_add_f64 v[0:1], v[4:5], v[0:1]
	s_branch .LBB48_419
.LBB48_417:
	s_mov_b64 s[24:25], -1
                                        ; implicit-def: $vgpr0_vgpr1
.LBB48_418:
	s_mov_b64 s[2:3], 0
.LBB48_419:
	s_and_b64 vcc, exec, s[2:3]
	s_cbranch_vccz .LBB48_439
; %bb.420:
	s_cmp_lt_i32 s6, 27
	s_cbranch_scc1 .LBB48_423
; %bb.421:
	s_cmp_gt_i32 s6, 27
	s_cbranch_scc0 .LBB48_424
; %bb.422:
	global_load_dword v0, v[2:3], off
	s_mov_b64 s[0:1], 0
	s_waitcnt vmcnt(0)
	v_cvt_f64_u32_e32 v[0:1], v0
	s_branch .LBB48_425
.LBB48_423:
	s_mov_b64 s[0:1], -1
                                        ; implicit-def: $vgpr0_vgpr1
	s_branch .LBB48_428
.LBB48_424:
	s_mov_b64 s[0:1], -1
                                        ; implicit-def: $vgpr0_vgpr1
.LBB48_425:
	s_andn2_b64 vcc, exec, s[0:1]
	s_cbranch_vccnz .LBB48_427
; %bb.426:
	global_load_ushort v0, v[2:3], off
	s_waitcnt vmcnt(0)
	v_cvt_f64_u32_e32 v[0:1], v0
.LBB48_427:
	s_mov_b64 s[0:1], 0
.LBB48_428:
	s_andn2_b64 vcc, exec, s[0:1]
	s_cbranch_vccnz .LBB48_438
; %bb.429:
	global_load_ubyte v4, v[2:3], off
	s_movk_i32 s0, 0x7f
	s_waitcnt vmcnt(0)
	v_cmp_lt_i16_e32 vcc, s0, v4
	s_mov_b64 s[0:1], 0
	s_and_saveexec_b64 s[2:3], vcc
	s_xor_b64 s[2:3], exec, s[2:3]
	s_cbranch_execz .LBB48_433
; %bb.430:
	s_movk_i32 s0, 0x80
	v_cmp_eq_u16_e32 vcc, s0, v4
	s_mov_b64 s[0:1], -1
	s_and_saveexec_b64 s[4:5], vcc
; %bb.431:
	s_xor_b64 s[0:1], exec, -1
; %bb.432:
	s_or_b64 exec, exec, s[4:5]
	s_and_b64 s[0:1], s[0:1], exec
.LBB48_433:
	s_or_saveexec_b64 s[2:3], s[2:3]
	v_bfrev_b32_e32 v0, 4
	v_mov_b32_e32 v1, 0x7ff80000
	s_xor_b64 exec, exec, s[2:3]
; %bb.434:
	v_cmp_ne_u16_e32 vcc, 0, v4
	v_mov_b32_e32 v0, 0
	s_andn2_b64 s[0:1], s[0:1], exec
	s_and_b64 s[4:5], vcc, exec
	v_mov_b32_e32 v1, 0
	s_or_b64 s[0:1], s[0:1], s[4:5]
; %bb.435:
	s_or_b64 exec, exec, s[2:3]
	s_and_saveexec_b64 s[2:3], s[0:1]
	s_cbranch_execz .LBB48_437
; %bb.436:
	v_and_b32_e32 v1, 0xffff, v4
	v_lshlrev_b32_e32 v0, 24, v4
	v_and_b32_e32 v4, 7, v1
	v_ffbh_u32_e32 v6, v4
	v_min_u32_e32 v6, 32, v6
	v_subrev_u32_e32 v7, 28, v6
	v_bfe_u32 v5, v1, 3, 4
	v_lshlrev_b32_e32 v1, v7, v1
	v_sub_u32_e32 v6, 29, v6
	v_and_b32_e32 v1, 7, v1
	v_cmp_eq_u32_e32 vcc, 0, v5
	v_cndmask_b32_e32 v5, v5, v6, vcc
	v_cndmask_b32_e32 v1, v4, v1, vcc
	v_mov_b32_e32 v4, 0x3b800000
	v_lshlrev_b32_e32 v1, 20, v1
	v_and_b32_e32 v0, 0x80000000, v0
	v_lshl_add_u32 v4, v5, 23, v4
	v_or3_b32 v0, v0, v4, v1
	v_cvt_f64_f32_e32 v[0:1], v0
.LBB48_437:
	s_or_b64 exec, exec, s[2:3]
.LBB48_438:
	s_mov_b64 s[0:1], -1
.LBB48_439:
	s_mov_b64 s[2:3], 0
.LBB48_440:
	s_and_b64 vcc, exec, s[2:3]
	s_cbranch_vccz .LBB48_473
; %bb.441:
	s_cmp_gt_i32 s6, 22
	s_cbranch_scc0 .LBB48_453
; %bb.442:
	s_cmp_lt_i32 s6, 24
	s_cbranch_scc1 .LBB48_454
; %bb.443:
	s_cmp_gt_i32 s6, 24
	s_cbranch_scc0 .LBB48_455
; %bb.444:
	global_load_ubyte v4, v[2:3], off
	s_movk_i32 s0, 0x7f
	s_waitcnt vmcnt(0)
	v_cmp_lt_i16_e32 vcc, s0, v4
	s_mov_b64 s[0:1], 0
	s_and_saveexec_b64 s[2:3], vcc
	s_xor_b64 s[2:3], exec, s[2:3]
	s_cbranch_execz .LBB48_448
; %bb.445:
	s_movk_i32 s0, 0x80
	v_cmp_eq_u16_e32 vcc, s0, v4
	s_mov_b64 s[0:1], -1
	s_and_saveexec_b64 s[4:5], vcc
; %bb.446:
	s_xor_b64 s[0:1], exec, -1
; %bb.447:
	s_or_b64 exec, exec, s[4:5]
	s_and_b64 s[0:1], s[0:1], exec
.LBB48_448:
	s_or_saveexec_b64 s[2:3], s[2:3]
	v_bfrev_b32_e32 v0, 4
	v_mov_b32_e32 v1, 0x7ff80000
	s_xor_b64 exec, exec, s[2:3]
; %bb.449:
	v_cmp_ne_u16_e32 vcc, 0, v4
	v_mov_b32_e32 v0, 0
	s_andn2_b64 s[0:1], s[0:1], exec
	s_and_b64 s[4:5], vcc, exec
	v_mov_b32_e32 v1, 0
	s_or_b64 s[0:1], s[0:1], s[4:5]
; %bb.450:
	s_or_b64 exec, exec, s[2:3]
	s_and_saveexec_b64 s[2:3], s[0:1]
	s_cbranch_execz .LBB48_452
; %bb.451:
	v_and_b32_e32 v1, 0xffff, v4
	v_lshlrev_b32_e32 v0, 24, v4
	v_and_b32_e32 v4, 3, v1
	v_ffbh_u32_e32 v6, v4
	v_min_u32_e32 v6, 32, v6
	v_subrev_u32_e32 v7, 29, v6
	v_bfe_u32 v5, v1, 2, 5
	v_lshlrev_b32_e32 v1, v7, v1
	v_sub_u32_e32 v6, 30, v6
	v_and_b32_e32 v1, 3, v1
	v_cmp_eq_u32_e32 vcc, 0, v5
	v_cndmask_b32_e32 v5, v5, v6, vcc
	v_cndmask_b32_e32 v1, v4, v1, vcc
	v_mov_b32_e32 v4, 0x37800000
	v_lshlrev_b32_e32 v1, 21, v1
	v_and_b32_e32 v0, 0x80000000, v0
	v_lshl_add_u32 v4, v5, 23, v4
	v_or3_b32 v0, v0, v4, v1
	v_cvt_f64_f32_e32 v[0:1], v0
.LBB48_452:
	s_or_b64 exec, exec, s[2:3]
	s_mov_b64 s[0:1], 0
	s_branch .LBB48_456
.LBB48_453:
	s_mov_b64 s[2:3], -1
                                        ; implicit-def: $vgpr0_vgpr1
	s_branch .LBB48_462
.LBB48_454:
	s_mov_b64 s[0:1], -1
                                        ; implicit-def: $vgpr0_vgpr1
	s_branch .LBB48_459
.LBB48_455:
	s_mov_b64 s[0:1], -1
                                        ; implicit-def: $vgpr0_vgpr1
.LBB48_456:
	s_and_b64 vcc, exec, s[0:1]
	s_cbranch_vccz .LBB48_458
; %bb.457:
	global_load_ubyte v0, v[2:3], off
	s_mov_b32 s0, 0x7f800000
	s_waitcnt vmcnt(0)
	v_lshlrev_b32_e32 v0, 24, v0
	v_and_b32_e32 v1, 0x7f000000, v0
	v_ffbh_u32_e32 v4, v1
	v_min_u32_e32 v4, 32, v4
	v_sub_u32_e64 v4, v4, 4 clamp
	v_lshlrev_b32_e32 v6, v4, v1
	v_lshlrev_b32_e32 v4, 23, v4
	v_lshrrev_b32_e32 v6, 4, v6
	v_add_u32_e32 v5, 0x1000000, v1
	v_sub_u32_e32 v4, v6, v4
	v_ashrrev_i32_e32 v5, 8, v5
	v_add_u32_e32 v4, 0x3c000000, v4
	v_and_or_b32 v4, v5, s0, v4
	v_cmp_ne_u32_e32 vcc, 0, v1
	v_cndmask_b32_e32 v1, 0, v4, vcc
	s_brev_b32 s0, 1
	v_and_or_b32 v0, v0, s0, v1
	v_cvt_f64_f32_e32 v[0:1], v0
.LBB48_458:
	s_mov_b64 s[0:1], 0
.LBB48_459:
	s_andn2_b64 vcc, exec, s[0:1]
	s_cbranch_vccnz .LBB48_461
; %bb.460:
	global_load_ubyte v0, v[2:3], off
	s_movk_i32 s0, 0x7f00
	s_brev_b32 s1, 16
	s_waitcnt vmcnt(0)
	v_lshlrev_b16_e32 v1, 8, v0
	v_lshlrev_b32_e32 v0, 25, v0
	v_lshrrev_b32_e32 v4, 4, v0
	v_and_or_b32 v5, v1, s0, 0.5
	v_or_b32_e32 v4, 0x70000000, v4
	v_add_f32_e32 v5, -0.5, v5
	v_mul_f32_e32 v4, 0x7800000, v4
	v_cmp_gt_u32_e32 vcc, s1, v0
	v_bfe_i32 v1, v1, 0, 16
	v_cndmask_b32_e32 v0, v4, v5, vcc
	s_brev_b32 s0, 1
	v_and_or_b32 v0, v1, s0, v0
	v_cvt_f64_f32_e32 v[0:1], v0
.LBB48_461:
	s_mov_b64 s[2:3], 0
	s_mov_b64 s[0:1], -1
.LBB48_462:
	s_andn2_b64 vcc, exec, s[2:3]
	s_cbranch_vccnz .LBB48_473
; %bb.463:
	s_cmp_gt_i32 s6, 14
	s_cbranch_scc0 .LBB48_466
; %bb.464:
	s_cmp_eq_u32 s6, 15
	s_cbranch_scc0 .LBB48_467
; %bb.465:
	global_load_ushort v0, v[2:3], off
	s_mov_b64 s[0:1], -1
	s_mov_b64 s[24:25], 0
	s_waitcnt vmcnt(0)
	v_lshlrev_b32_e32 v0, 16, v0
	v_cvt_f64_f32_e32 v[0:1], v0
	s_branch .LBB48_468
.LBB48_466:
	s_mov_b64 s[2:3], -1
                                        ; implicit-def: $vgpr0_vgpr1
	s_branch .LBB48_469
.LBB48_467:
	s_mov_b64 s[24:25], -1
                                        ; implicit-def: $vgpr0_vgpr1
.LBB48_468:
	s_mov_b64 s[2:3], 0
.LBB48_469:
	s_and_b64 vcc, exec, s[2:3]
	s_cbranch_vccz .LBB48_473
; %bb.470:
	s_cmp_eq_u32 s6, 11
	s_cbranch_scc0 .LBB48_472
; %bb.471:
	global_load_ubyte v1, v[2:3], off
	v_mov_b32_e32 v4, 0x3ff00000
	v_mov_b32_e32 v0, 0
	s_mov_b64 s[0:1], -1
	s_mov_b64 s[24:25], 0
	s_waitcnt vmcnt(0)
	v_cmp_ne_u16_e32 vcc, 0, v1
	v_cndmask_b32_e32 v1, 0, v4, vcc
	s_branch .LBB48_473
.LBB48_472:
	s_mov_b64 s[24:25], -1
                                        ; implicit-def: $vgpr0_vgpr1
.LBB48_473:
	s_branch .LBB48_270
.LBB48_474:
	s_cmp_lt_i32 s6, 5
	s_cbranch_scc1 .LBB48_479
; %bb.475:
	s_cmp_lt_i32 s6, 8
	s_cbranch_scc1 .LBB48_480
; %bb.476:
	;; [unrolled: 3-line block ×3, first 2 shown]
	s_cmp_gt_i32 s6, 9
	s_cbranch_scc0 .LBB48_482
; %bb.478:
	global_load_dwordx2 v[0:1], v[2:3], off
	s_mov_b64 s[0:1], 0
	s_branch .LBB48_483
.LBB48_479:
	s_mov_b64 s[0:1], -1
                                        ; implicit-def: $vgpr0_vgpr1
	s_branch .LBB48_501
.LBB48_480:
	s_mov_b64 s[0:1], -1
                                        ; implicit-def: $vgpr0_vgpr1
	s_branch .LBB48_489
.LBB48_481:
	s_mov_b64 s[0:1], -1
                                        ; implicit-def: $vgpr0_vgpr1
	s_branch .LBB48_486
.LBB48_482:
	s_mov_b64 s[0:1], -1
                                        ; implicit-def: $vgpr0_vgpr1
.LBB48_483:
	s_andn2_b64 vcc, exec, s[0:1]
	s_cbranch_vccnz .LBB48_485
; %bb.484:
	global_load_dword v0, v[2:3], off
	s_waitcnt vmcnt(0)
	v_cvt_f64_f32_e32 v[0:1], v0
.LBB48_485:
	s_mov_b64 s[0:1], 0
.LBB48_486:
	s_andn2_b64 vcc, exec, s[0:1]
	s_cbranch_vccnz .LBB48_488
; %bb.487:
	global_load_dword v0, v[2:3], off
	s_waitcnt vmcnt(0)
	v_cvt_f32_f16_e32 v0, v0
	v_cvt_f64_f32_e32 v[0:1], v0
.LBB48_488:
	s_mov_b64 s[0:1], 0
.LBB48_489:
	s_andn2_b64 vcc, exec, s[0:1]
	s_cbranch_vccnz .LBB48_500
; %bb.490:
	s_cmp_lt_i32 s6, 6
	s_cbranch_scc1 .LBB48_493
; %bb.491:
	s_cmp_gt_i32 s6, 6
	s_cbranch_scc0 .LBB48_494
; %bb.492:
	global_load_dwordx2 v[0:1], v[2:3], off
	s_mov_b64 s[0:1], 0
	s_branch .LBB48_495
.LBB48_493:
	s_mov_b64 s[0:1], -1
                                        ; implicit-def: $vgpr0_vgpr1
	s_branch .LBB48_498
.LBB48_494:
	s_mov_b64 s[0:1], -1
                                        ; implicit-def: $vgpr0_vgpr1
.LBB48_495:
	s_andn2_b64 vcc, exec, s[0:1]
	s_cbranch_vccnz .LBB48_497
; %bb.496:
	global_load_dword v0, v[2:3], off
	s_waitcnt vmcnt(0)
	v_cvt_f64_f32_e32 v[0:1], v0
.LBB48_497:
	s_mov_b64 s[0:1], 0
.LBB48_498:
	s_andn2_b64 vcc, exec, s[0:1]
	s_cbranch_vccnz .LBB48_500
; %bb.499:
	global_load_ushort v0, v[2:3], off
	s_waitcnt vmcnt(0)
	v_cvt_f32_f16_e32 v0, v0
	v_cvt_f64_f32_e32 v[0:1], v0
.LBB48_500:
	s_mov_b64 s[0:1], 0
.LBB48_501:
	s_andn2_b64 vcc, exec, s[0:1]
	s_cbranch_vccnz .LBB48_521
; %bb.502:
	s_cmp_lt_i32 s6, 2
	s_cbranch_scc1 .LBB48_506
; %bb.503:
	s_cmp_lt_i32 s6, 3
	s_cbranch_scc1 .LBB48_507
; %bb.504:
	s_cmp_gt_i32 s6, 3
	s_cbranch_scc0 .LBB48_508
; %bb.505:
	global_load_dwordx2 v[0:1], v[2:3], off
	s_mov_b64 s[0:1], 0
	s_waitcnt vmcnt(0)
	v_cvt_f64_i32_e32 v[4:5], v1
	v_cvt_f64_u32_e32 v[0:1], v0
	v_ldexp_f64 v[4:5], v[4:5], 32
	v_add_f64 v[0:1], v[4:5], v[0:1]
	s_branch .LBB48_509
.LBB48_506:
	s_mov_b64 s[0:1], -1
                                        ; implicit-def: $vgpr0_vgpr1
	s_branch .LBB48_515
.LBB48_507:
	s_mov_b64 s[0:1], -1
                                        ; implicit-def: $vgpr0_vgpr1
	s_branch .LBB48_512
.LBB48_508:
	s_mov_b64 s[0:1], -1
                                        ; implicit-def: $vgpr0_vgpr1
.LBB48_509:
	s_andn2_b64 vcc, exec, s[0:1]
	s_cbranch_vccnz .LBB48_511
; %bb.510:
	global_load_dword v0, v[2:3], off
	s_waitcnt vmcnt(0)
	v_cvt_f64_i32_e32 v[0:1], v0
.LBB48_511:
	s_mov_b64 s[0:1], 0
.LBB48_512:
	s_andn2_b64 vcc, exec, s[0:1]
	s_cbranch_vccnz .LBB48_514
; %bb.513:
	global_load_sshort v0, v[2:3], off
	s_waitcnt vmcnt(0)
	v_cvt_f64_i32_e32 v[0:1], v0
.LBB48_514:
	s_mov_b64 s[0:1], 0
.LBB48_515:
	s_andn2_b64 vcc, exec, s[0:1]
	s_cbranch_vccnz .LBB48_521
; %bb.516:
	s_cmp_gt_i32 s6, 0
	s_cbranch_scc0 .LBB48_518
; %bb.517:
	global_load_sbyte v0, v[2:3], off
	s_mov_b64 s[0:1], 0
	s_waitcnt vmcnt(0)
	v_cvt_f64_i32_e32 v[0:1], v0
	s_branch .LBB48_519
.LBB48_518:
	s_mov_b64 s[0:1], -1
                                        ; implicit-def: $vgpr0_vgpr1
.LBB48_519:
	s_andn2_b64 vcc, exec, s[0:1]
	s_cbranch_vccnz .LBB48_521
; %bb.520:
	global_load_ubyte v0, v[2:3], off
	s_waitcnt vmcnt(0)
	v_cvt_f64_u32_e32 v[0:1], v0
.LBB48_521:
	s_branch .LBB48_271
.LBB48_522:
	s_mov_b64 s[2:3], 0
                                        ; implicit-def: $vgpr30
	s_mov_b64 s[0:1], s[14:15]
.LBB48_523:
	s_andn2_b64 s[4:5], s[14:15], exec
	s_and_b64 s[0:1], s[0:1], exec
	s_or_b64 s[26:27], s[4:5], s[0:1]
	s_andn2_b64 s[0:1], s[18:19], exec
	s_and_b64 s[4:5], s[24:25], exec
	s_or_b64 s[24:25], s[0:1], s[4:5]
	s_orn2_b64 s[0:1], s[2:3], exec
.LBB48_524:
	s_or_b64 exec, exec, s[28:29]
	s_mov_b64 s[2:3], 0
	s_mov_b64 s[4:5], 0
	;; [unrolled: 1-line block ×3, first 2 shown]
                                        ; implicit-def: $vgpr0_vgpr1
                                        ; implicit-def: $vgpr2_vgpr3
	s_and_saveexec_b64 s[28:29], s[0:1]
	s_cbranch_execz .LBB48_875
; %bb.525:
	v_cmp_gt_i32_e32 vcc, s38, v30
	s_mov_b64 s[34:35], -1
	s_mov_b64 s[0:1], s[24:25]
	s_mov_b64 s[2:3], s[26:27]
	s_and_saveexec_b64 s[30:31], vcc
	s_cbranch_execz .LBB48_789
; %bb.526:
	s_waitcnt vmcnt(0)
	v_mul_lo_u32 v0, v30, s13
	v_mov_b32_e32 v1, s11
	s_and_b32 s6, 0xffff, s42
	s_cmp_lt_i32 s6, 11
	v_ashrrev_i32_e32 v3, 31, v0
	v_add_co_u32_e32 v2, vcc, s10, v0
	v_addc_co_u32_e32 v3, vcc, v1, v3, vcc
	s_cbranch_scc1 .LBB48_533
; %bb.527:
	s_cmp_gt_i32 s6, 25
	s_cbranch_scc0 .LBB48_534
; %bb.528:
	s_cmp_gt_i32 s6, 28
	s_cbranch_scc0 .LBB48_535
	;; [unrolled: 3-line block ×4, first 2 shown]
; %bb.531:
	s_cmp_eq_u32 s6, 46
	s_mov_b64 s[2:3], 0
	s_cbranch_scc0 .LBB48_542
; %bb.532:
	global_load_dword v0, v[2:3], off
	s_mov_b64 s[0:1], -1
	s_mov_b64 s[34:35], 0
	s_waitcnt vmcnt(0)
	v_lshlrev_b32_e32 v0, 16, v0
	v_cvt_f64_f32_e32 v[0:1], v0
	s_branch .LBB48_543
.LBB48_533:
	s_mov_b64 s[2:3], -1
	s_mov_b64 s[0:1], 0
                                        ; implicit-def: $vgpr0_vgpr1
	s_mov_b64 s[34:35], s[24:25]
	s_branch .LBB48_608
.LBB48_534:
	s_mov_b64 s[2:3], -1
	s_mov_b64 s[0:1], 0
	s_mov_b64 s[34:35], s[24:25]
                                        ; implicit-def: $vgpr0_vgpr1
	s_branch .LBB48_574
.LBB48_535:
	s_mov_b64 s[2:3], -1
	s_mov_b64 s[0:1], 0
	s_mov_b64 s[34:35], s[24:25]
                                        ; implicit-def: $vgpr0_vgpr1
	s_branch .LBB48_553
.LBB48_536:
	s_mov_b64 s[2:3], -1
	s_mov_b64 s[0:1], 0
	s_mov_b64 s[34:35], s[24:25]
                                        ; implicit-def: $vgpr0_vgpr1
	s_branch .LBB48_548
.LBB48_537:
	s_andn2_saveexec_b64 s[6:7], s[6:7]
	s_cbranch_execz .LBB48_322
.LBB48_538:
	s_mov_b32 s30, 0x46000000
	v_add_f32_e64 v3, |v2|, s30
	v_and_b32_e32 v3, 0xff, v3
	v_cmp_ne_u32_e32 vcc, 0, v3
	s_andn2_b64 s[4:5], s[4:5], exec
	s_and_b64 s[30:31], vcc, exec
	s_or_b64 s[4:5], s[4:5], s[30:31]
	s_or_b64 exec, exec, s[6:7]
	v_mov_b32_e32 v6, 0
	s_and_saveexec_b64 s[6:7], s[4:5]
	s_cbranch_execnz .LBB48_323
	s_branch .LBB48_324
.LBB48_539:
	s_mov_b64 s[2:3], -1
	s_mov_b64 s[0:1], 0
	s_mov_b64 s[34:35], s[24:25]
                                        ; implicit-def: $vgpr0_vgpr1
	s_branch .LBB48_543
.LBB48_540:
	s_andn2_saveexec_b64 s[6:7], s[6:7]
	s_cbranch_execz .LBB48_335
.LBB48_541:
	s_mov_b32 s30, 0x42800000
	v_add_f32_e64 v3, |v2|, s30
	v_and_b32_e32 v3, 0xff, v3
	v_cmp_ne_u32_e32 vcc, 0, v3
	s_andn2_b64 s[4:5], s[4:5], exec
	s_and_b64 s[30:31], vcc, exec
	s_or_b64 s[4:5], s[4:5], s[30:31]
	s_or_b64 exec, exec, s[6:7]
	v_mov_b32_e32 v6, 0
	s_and_saveexec_b64 s[6:7], s[4:5]
	s_cbranch_execnz .LBB48_336
	s_branch .LBB48_337
.LBB48_542:
                                        ; implicit-def: $vgpr0_vgpr1
	s_mov_b64 s[0:1], 0
.LBB48_543:
	s_and_b64 vcc, exec, s[2:3]
	s_cbranch_vccz .LBB48_547
; %bb.544:
	s_cmp_eq_u32 s6, 44
	s_cbranch_scc0 .LBB48_546
; %bb.545:
	global_load_ubyte v4, v[2:3], off
	s_movk_i32 s2, 0xff
	v_bfrev_b32_e32 v5, 4
	v_mov_b32_e32 v6, 0x7ff80000
	v_bfrev_b32_e32 v7, 28
	s_mov_b64 s[0:1], -1
	s_mov_b64 s[34:35], 0
	s_waitcnt vmcnt(0)
	v_lshlrev_b32_e32 v0, 23, v4
	v_cvt_f64_f32_e32 v[0:1], v0
	v_cmp_ne_u32_e32 vcc, s2, v4
	v_cndmask_b32_e32 v0, v5, v0, vcc
	v_cndmask_b32_e32 v1, v6, v1, vcc
	v_cmp_ne_u32_e32 vcc, 0, v4
	v_cndmask_b32_e32 v1, v7, v1, vcc
	v_cndmask_b32_e32 v0, 0, v0, vcc
	s_branch .LBB48_547
.LBB48_546:
	s_mov_b64 s[34:35], -1
                                        ; implicit-def: $vgpr0_vgpr1
.LBB48_547:
	s_mov_b64 s[2:3], 0
.LBB48_548:
	s_and_b64 vcc, exec, s[2:3]
	s_cbranch_vccz .LBB48_552
; %bb.549:
	s_cmp_eq_u32 s6, 29
	s_cbranch_scc0 .LBB48_551
; %bb.550:
	global_load_dwordx2 v[0:1], v[2:3], off
	s_mov_b64 s[0:1], -1
	s_mov_b64 s[34:35], 0
	s_mov_b64 s[2:3], 0
	s_waitcnt vmcnt(0)
	v_cvt_f64_u32_e32 v[4:5], v1
	v_cvt_f64_u32_e32 v[0:1], v0
	v_ldexp_f64 v[4:5], v[4:5], 32
	v_add_f64 v[0:1], v[4:5], v[0:1]
	s_branch .LBB48_553
.LBB48_551:
	s_mov_b64 s[34:35], -1
                                        ; implicit-def: $vgpr0_vgpr1
.LBB48_552:
	s_mov_b64 s[2:3], 0
.LBB48_553:
	s_and_b64 vcc, exec, s[2:3]
	s_cbranch_vccz .LBB48_573
; %bb.554:
	s_cmp_lt_i32 s6, 27
	s_cbranch_scc1 .LBB48_557
; %bb.555:
	s_cmp_gt_i32 s6, 27
	s_cbranch_scc0 .LBB48_558
; %bb.556:
	global_load_dword v0, v[2:3], off
	s_mov_b64 s[0:1], 0
	s_waitcnt vmcnt(0)
	v_cvt_f64_u32_e32 v[0:1], v0
	s_branch .LBB48_559
.LBB48_557:
	s_mov_b64 s[0:1], -1
                                        ; implicit-def: $vgpr0_vgpr1
	s_branch .LBB48_562
.LBB48_558:
	s_mov_b64 s[0:1], -1
                                        ; implicit-def: $vgpr0_vgpr1
.LBB48_559:
	s_andn2_b64 vcc, exec, s[0:1]
	s_cbranch_vccnz .LBB48_561
; %bb.560:
	global_load_ushort v0, v[2:3], off
	s_waitcnt vmcnt(0)
	v_cvt_f64_u32_e32 v[0:1], v0
.LBB48_561:
	s_mov_b64 s[0:1], 0
.LBB48_562:
	s_andn2_b64 vcc, exec, s[0:1]
	s_cbranch_vccnz .LBB48_572
; %bb.563:
	global_load_ubyte v4, v[2:3], off
	s_movk_i32 s0, 0x7f
	s_waitcnt vmcnt(0)
	v_cmp_lt_i16_e32 vcc, s0, v4
	s_mov_b64 s[0:1], 0
	s_and_saveexec_b64 s[2:3], vcc
	s_xor_b64 s[2:3], exec, s[2:3]
	s_cbranch_execz .LBB48_567
; %bb.564:
	s_movk_i32 s0, 0x80
	v_cmp_eq_u16_e32 vcc, s0, v4
	s_mov_b64 s[0:1], -1
	s_and_saveexec_b64 s[4:5], vcc
; %bb.565:
	s_xor_b64 s[0:1], exec, -1
; %bb.566:
	s_or_b64 exec, exec, s[4:5]
	s_and_b64 s[0:1], s[0:1], exec
.LBB48_567:
	s_or_saveexec_b64 s[2:3], s[2:3]
	v_bfrev_b32_e32 v0, 4
	v_mov_b32_e32 v1, 0x7ff80000
	s_xor_b64 exec, exec, s[2:3]
; %bb.568:
	v_cmp_ne_u16_e32 vcc, 0, v4
	v_mov_b32_e32 v0, 0
	s_andn2_b64 s[0:1], s[0:1], exec
	s_and_b64 s[4:5], vcc, exec
	v_mov_b32_e32 v1, 0
	s_or_b64 s[0:1], s[0:1], s[4:5]
; %bb.569:
	s_or_b64 exec, exec, s[2:3]
	s_and_saveexec_b64 s[2:3], s[0:1]
	s_cbranch_execz .LBB48_571
; %bb.570:
	v_and_b32_e32 v1, 0xffff, v4
	v_lshlrev_b32_e32 v0, 24, v4
	v_and_b32_e32 v4, 7, v1
	v_ffbh_u32_e32 v6, v4
	v_min_u32_e32 v6, 32, v6
	v_subrev_u32_e32 v7, 28, v6
	v_bfe_u32 v5, v1, 3, 4
	v_lshlrev_b32_e32 v1, v7, v1
	v_sub_u32_e32 v6, 29, v6
	v_and_b32_e32 v1, 7, v1
	v_cmp_eq_u32_e32 vcc, 0, v5
	v_cndmask_b32_e32 v5, v5, v6, vcc
	v_cndmask_b32_e32 v1, v4, v1, vcc
	v_mov_b32_e32 v4, 0x3b800000
	v_lshlrev_b32_e32 v1, 20, v1
	v_and_b32_e32 v0, 0x80000000, v0
	v_lshl_add_u32 v4, v5, 23, v4
	v_or3_b32 v0, v0, v4, v1
	v_cvt_f64_f32_e32 v[0:1], v0
.LBB48_571:
	s_or_b64 exec, exec, s[2:3]
.LBB48_572:
	s_mov_b64 s[0:1], -1
.LBB48_573:
	s_mov_b64 s[2:3], 0
.LBB48_574:
	s_and_b64 vcc, exec, s[2:3]
	s_cbranch_vccz .LBB48_607
; %bb.575:
	s_cmp_gt_i32 s6, 22
	s_cbranch_scc0 .LBB48_587
; %bb.576:
	s_cmp_lt_i32 s6, 24
	s_cbranch_scc1 .LBB48_588
; %bb.577:
	s_cmp_gt_i32 s6, 24
	s_cbranch_scc0 .LBB48_589
; %bb.578:
	global_load_ubyte v4, v[2:3], off
	s_movk_i32 s0, 0x7f
	s_waitcnt vmcnt(0)
	v_cmp_lt_i16_e32 vcc, s0, v4
	s_mov_b64 s[0:1], 0
	s_and_saveexec_b64 s[2:3], vcc
	s_xor_b64 s[2:3], exec, s[2:3]
	s_cbranch_execz .LBB48_582
; %bb.579:
	s_movk_i32 s0, 0x80
	v_cmp_eq_u16_e32 vcc, s0, v4
	s_mov_b64 s[0:1], -1
	s_and_saveexec_b64 s[4:5], vcc
; %bb.580:
	s_xor_b64 s[0:1], exec, -1
; %bb.581:
	s_or_b64 exec, exec, s[4:5]
	s_and_b64 s[0:1], s[0:1], exec
.LBB48_582:
	s_or_saveexec_b64 s[2:3], s[2:3]
	v_bfrev_b32_e32 v0, 4
	v_mov_b32_e32 v1, 0x7ff80000
	s_xor_b64 exec, exec, s[2:3]
; %bb.583:
	v_cmp_ne_u16_e32 vcc, 0, v4
	v_mov_b32_e32 v0, 0
	s_andn2_b64 s[0:1], s[0:1], exec
	s_and_b64 s[4:5], vcc, exec
	v_mov_b32_e32 v1, 0
	s_or_b64 s[0:1], s[0:1], s[4:5]
; %bb.584:
	s_or_b64 exec, exec, s[2:3]
	s_and_saveexec_b64 s[2:3], s[0:1]
	s_cbranch_execz .LBB48_586
; %bb.585:
	v_and_b32_e32 v1, 0xffff, v4
	v_lshlrev_b32_e32 v0, 24, v4
	v_and_b32_e32 v4, 3, v1
	v_ffbh_u32_e32 v6, v4
	v_min_u32_e32 v6, 32, v6
	v_subrev_u32_e32 v7, 29, v6
	v_bfe_u32 v5, v1, 2, 5
	v_lshlrev_b32_e32 v1, v7, v1
	v_sub_u32_e32 v6, 30, v6
	v_and_b32_e32 v1, 3, v1
	v_cmp_eq_u32_e32 vcc, 0, v5
	v_cndmask_b32_e32 v5, v5, v6, vcc
	v_cndmask_b32_e32 v1, v4, v1, vcc
	v_mov_b32_e32 v4, 0x37800000
	v_lshlrev_b32_e32 v1, 21, v1
	v_and_b32_e32 v0, 0x80000000, v0
	v_lshl_add_u32 v4, v5, 23, v4
	v_or3_b32 v0, v0, v4, v1
	v_cvt_f64_f32_e32 v[0:1], v0
.LBB48_586:
	s_or_b64 exec, exec, s[2:3]
	s_mov_b64 s[0:1], 0
	s_branch .LBB48_590
.LBB48_587:
	s_mov_b64 s[2:3], -1
                                        ; implicit-def: $vgpr0_vgpr1
	s_branch .LBB48_596
.LBB48_588:
	s_mov_b64 s[0:1], -1
                                        ; implicit-def: $vgpr0_vgpr1
	s_branch .LBB48_593
.LBB48_589:
	s_mov_b64 s[0:1], -1
                                        ; implicit-def: $vgpr0_vgpr1
.LBB48_590:
	s_and_b64 vcc, exec, s[0:1]
	s_cbranch_vccz .LBB48_592
; %bb.591:
	global_load_ubyte v0, v[2:3], off
	s_mov_b32 s0, 0x7f800000
	s_waitcnt vmcnt(0)
	v_lshlrev_b32_e32 v0, 24, v0
	v_and_b32_e32 v1, 0x7f000000, v0
	v_ffbh_u32_e32 v4, v1
	v_min_u32_e32 v4, 32, v4
	v_sub_u32_e64 v4, v4, 4 clamp
	v_lshlrev_b32_e32 v6, v4, v1
	v_lshlrev_b32_e32 v4, 23, v4
	v_lshrrev_b32_e32 v6, 4, v6
	v_add_u32_e32 v5, 0x1000000, v1
	v_sub_u32_e32 v4, v6, v4
	v_ashrrev_i32_e32 v5, 8, v5
	v_add_u32_e32 v4, 0x3c000000, v4
	v_and_or_b32 v4, v5, s0, v4
	v_cmp_ne_u32_e32 vcc, 0, v1
	v_cndmask_b32_e32 v1, 0, v4, vcc
	s_brev_b32 s0, 1
	v_and_or_b32 v0, v0, s0, v1
	v_cvt_f64_f32_e32 v[0:1], v0
.LBB48_592:
	s_mov_b64 s[0:1], 0
.LBB48_593:
	s_andn2_b64 vcc, exec, s[0:1]
	s_cbranch_vccnz .LBB48_595
; %bb.594:
	global_load_ubyte v0, v[2:3], off
	s_movk_i32 s0, 0x7f00
	s_brev_b32 s1, 16
	s_waitcnt vmcnt(0)
	v_lshlrev_b16_e32 v1, 8, v0
	v_lshlrev_b32_e32 v0, 25, v0
	v_lshrrev_b32_e32 v4, 4, v0
	v_and_or_b32 v5, v1, s0, 0.5
	v_or_b32_e32 v4, 0x70000000, v4
	v_add_f32_e32 v5, -0.5, v5
	v_mul_f32_e32 v4, 0x7800000, v4
	v_cmp_gt_u32_e32 vcc, s1, v0
	v_bfe_i32 v1, v1, 0, 16
	v_cndmask_b32_e32 v0, v4, v5, vcc
	s_brev_b32 s0, 1
	v_and_or_b32 v0, v1, s0, v0
	v_cvt_f64_f32_e32 v[0:1], v0
.LBB48_595:
	s_mov_b64 s[2:3], 0
	s_mov_b64 s[0:1], -1
.LBB48_596:
	s_andn2_b64 vcc, exec, s[2:3]
	s_cbranch_vccnz .LBB48_607
; %bb.597:
	s_cmp_gt_i32 s6, 14
	s_cbranch_scc0 .LBB48_600
; %bb.598:
	s_cmp_eq_u32 s6, 15
	s_cbranch_scc0 .LBB48_601
; %bb.599:
	global_load_ushort v0, v[2:3], off
	s_mov_b64 s[0:1], -1
	s_mov_b64 s[34:35], 0
	s_waitcnt vmcnt(0)
	v_lshlrev_b32_e32 v0, 16, v0
	v_cvt_f64_f32_e32 v[0:1], v0
	s_branch .LBB48_602
.LBB48_600:
	s_mov_b64 s[2:3], -1
                                        ; implicit-def: $vgpr0_vgpr1
	s_branch .LBB48_603
.LBB48_601:
	s_mov_b64 s[34:35], -1
                                        ; implicit-def: $vgpr0_vgpr1
.LBB48_602:
	s_mov_b64 s[2:3], 0
.LBB48_603:
	s_and_b64 vcc, exec, s[2:3]
	s_cbranch_vccz .LBB48_607
; %bb.604:
	s_cmp_eq_u32 s6, 11
	s_cbranch_scc0 .LBB48_606
; %bb.605:
	global_load_ubyte v1, v[2:3], off
	v_mov_b32_e32 v4, 0x3ff00000
	v_mov_b32_e32 v0, 0
	s_mov_b64 s[0:1], -1
	s_mov_b64 s[34:35], 0
	s_waitcnt vmcnt(0)
	v_cmp_ne_u16_e32 vcc, 0, v1
	v_cndmask_b32_e32 v1, 0, v4, vcc
	s_branch .LBB48_607
.LBB48_606:
	s_mov_b64 s[34:35], -1
                                        ; implicit-def: $vgpr0_vgpr1
.LBB48_607:
	s_mov_b64 s[2:3], 0
.LBB48_608:
	s_and_b64 vcc, exec, s[2:3]
	s_cbranch_vccz .LBB48_657
; %bb.609:
	s_cmp_lt_i32 s6, 5
	s_cbranch_scc1 .LBB48_614
; %bb.610:
	s_cmp_lt_i32 s6, 8
	s_cbranch_scc1 .LBB48_615
	;; [unrolled: 3-line block ×3, first 2 shown]
; %bb.612:
	s_cmp_gt_i32 s6, 9
	s_cbranch_scc0 .LBB48_617
; %bb.613:
	global_load_dwordx2 v[0:1], v[2:3], off
	s_mov_b64 s[0:1], 0
	s_branch .LBB48_618
.LBB48_614:
	s_mov_b64 s[0:1], -1
                                        ; implicit-def: $vgpr0_vgpr1
	s_branch .LBB48_636
.LBB48_615:
	s_mov_b64 s[0:1], -1
                                        ; implicit-def: $vgpr0_vgpr1
	s_branch .LBB48_624
.LBB48_616:
	s_mov_b64 s[0:1], -1
                                        ; implicit-def: $vgpr0_vgpr1
	s_branch .LBB48_621
.LBB48_617:
	s_mov_b64 s[0:1], -1
                                        ; implicit-def: $vgpr0_vgpr1
.LBB48_618:
	s_andn2_b64 vcc, exec, s[0:1]
	s_cbranch_vccnz .LBB48_620
; %bb.619:
	global_load_dword v0, v[2:3], off
	s_waitcnt vmcnt(0)
	v_cvt_f64_f32_e32 v[0:1], v0
.LBB48_620:
	s_mov_b64 s[0:1], 0
.LBB48_621:
	s_andn2_b64 vcc, exec, s[0:1]
	s_cbranch_vccnz .LBB48_623
; %bb.622:
	global_load_dword v0, v[2:3], off
	s_waitcnt vmcnt(0)
	v_cvt_f32_f16_e32 v0, v0
	v_cvt_f64_f32_e32 v[0:1], v0
.LBB48_623:
	s_mov_b64 s[0:1], 0
.LBB48_624:
	s_andn2_b64 vcc, exec, s[0:1]
	s_cbranch_vccnz .LBB48_635
; %bb.625:
	s_cmp_lt_i32 s6, 6
	s_cbranch_scc1 .LBB48_628
; %bb.626:
	s_cmp_gt_i32 s6, 6
	s_cbranch_scc0 .LBB48_629
; %bb.627:
	global_load_dwordx2 v[0:1], v[2:3], off
	s_mov_b64 s[0:1], 0
	s_branch .LBB48_630
.LBB48_628:
	s_mov_b64 s[0:1], -1
                                        ; implicit-def: $vgpr0_vgpr1
	s_branch .LBB48_633
.LBB48_629:
	s_mov_b64 s[0:1], -1
                                        ; implicit-def: $vgpr0_vgpr1
.LBB48_630:
	s_andn2_b64 vcc, exec, s[0:1]
	s_cbranch_vccnz .LBB48_632
; %bb.631:
	global_load_dword v0, v[2:3], off
	s_waitcnt vmcnt(0)
	v_cvt_f64_f32_e32 v[0:1], v0
.LBB48_632:
	s_mov_b64 s[0:1], 0
.LBB48_633:
	s_andn2_b64 vcc, exec, s[0:1]
	s_cbranch_vccnz .LBB48_635
; %bb.634:
	global_load_ushort v0, v[2:3], off
	s_waitcnt vmcnt(0)
	v_cvt_f32_f16_e32 v0, v0
	v_cvt_f64_f32_e32 v[0:1], v0
.LBB48_635:
	s_mov_b64 s[0:1], 0
.LBB48_636:
	s_andn2_b64 vcc, exec, s[0:1]
	s_cbranch_vccnz .LBB48_656
; %bb.637:
	s_cmp_lt_i32 s6, 2
	s_cbranch_scc1 .LBB48_641
; %bb.638:
	s_cmp_lt_i32 s6, 3
	s_cbranch_scc1 .LBB48_642
; %bb.639:
	s_cmp_gt_i32 s6, 3
	s_cbranch_scc0 .LBB48_643
; %bb.640:
	global_load_dwordx2 v[0:1], v[2:3], off
	s_mov_b64 s[0:1], 0
	s_waitcnt vmcnt(0)
	v_cvt_f64_i32_e32 v[4:5], v1
	v_cvt_f64_u32_e32 v[0:1], v0
	v_ldexp_f64 v[4:5], v[4:5], 32
	v_add_f64 v[0:1], v[4:5], v[0:1]
	s_branch .LBB48_644
.LBB48_641:
	s_mov_b64 s[0:1], -1
                                        ; implicit-def: $vgpr0_vgpr1
	s_branch .LBB48_650
.LBB48_642:
	s_mov_b64 s[0:1], -1
                                        ; implicit-def: $vgpr0_vgpr1
	s_branch .LBB48_647
.LBB48_643:
	s_mov_b64 s[0:1], -1
                                        ; implicit-def: $vgpr0_vgpr1
.LBB48_644:
	s_andn2_b64 vcc, exec, s[0:1]
	s_cbranch_vccnz .LBB48_646
; %bb.645:
	global_load_dword v0, v[2:3], off
	s_waitcnt vmcnt(0)
	v_cvt_f64_i32_e32 v[0:1], v0
.LBB48_646:
	s_mov_b64 s[0:1], 0
.LBB48_647:
	s_andn2_b64 vcc, exec, s[0:1]
	s_cbranch_vccnz .LBB48_649
; %bb.648:
	global_load_sshort v0, v[2:3], off
	s_waitcnt vmcnt(0)
	v_cvt_f64_i32_e32 v[0:1], v0
.LBB48_649:
	s_mov_b64 s[0:1], 0
.LBB48_650:
	s_andn2_b64 vcc, exec, s[0:1]
	s_cbranch_vccnz .LBB48_656
; %bb.651:
	s_cmp_gt_i32 s6, 0
	s_cbranch_scc0 .LBB48_653
; %bb.652:
	global_load_sbyte v0, v[2:3], off
	s_mov_b64 s[0:1], 0
	s_waitcnt vmcnt(0)
	v_cvt_f64_i32_e32 v[0:1], v0
	s_branch .LBB48_654
.LBB48_653:
	s_mov_b64 s[0:1], -1
                                        ; implicit-def: $vgpr0_vgpr1
.LBB48_654:
	s_andn2_b64 vcc, exec, s[0:1]
	s_cbranch_vccnz .LBB48_656
; %bb.655:
	global_load_ubyte v0, v[2:3], off
	s_waitcnt vmcnt(0)
	v_cvt_f64_u32_e32 v[0:1], v0
.LBB48_656:
	s_mov_b64 s[0:1], -1
.LBB48_657:
	s_andn2_b64 vcc, exec, s[0:1]
	s_cbranch_vccnz .LBB48_671
; %bb.658:
	s_waitcnt vmcnt(0)
	v_cmp_gt_f64_e32 vcc, 0.5, v[0:1]
	v_mov_b32_e32 v4, 0
	v_mov_b32_e32 v2, 0
	;; [unrolled: 1-line block ×4, first 2 shown]
	s_and_saveexec_b64 s[2:3], vcc
	s_cbranch_execz .LBB48_664
; %bb.659:
	s_mov_b32 s5, 0x400921fb
	s_mov_b32 s4, 0x54442d18
	v_mul_f64 v[2:3], v[0:1], s[4:5]
	s_mov_b32 s0, 0
	s_mov_b32 s1, 0x41d00000
                                        ; implicit-def: $vgpr8
                                        ; implicit-def: $vgpr4_vgpr5
                                        ; implicit-def: $vgpr6_vgpr7
	v_cmp_nlt_f64_e64 s[0:1], |v[2:3]|, s[0:1]
	s_and_saveexec_b64 s[6:7], s[0:1]
	s_xor_b64 s[6:7], exec, s[6:7]
	s_cbranch_execz .LBB48_661
; %bb.660:
	v_trig_preop_f64 v[4:5], |v[2:3]|, 0
	s_mov_b32 s0, 0
	s_mov_b32 s1, 0x7b000000
	s_movk_i32 s5, 0xff80
	v_ldexp_f64 v[8:9], |v[2:3]|, s5
	v_cmp_ge_f64_e64 vcc, |v[2:3]|, s[0:1]
	v_trig_preop_f64 v[6:7], |v[2:3]|, 1
	v_and_b32_e32 v10, 0x7fffffff, v3
	v_trig_preop_f64 v[16:17], |v[2:3]|, 2
	s_mov_b32 s0, 0
	s_mov_b32 s1, 0x7ff00000
	v_mov_b32_e32 v27, 0x40100000
	v_mov_b32_e32 v26, 0
	v_cndmask_b32_e32 v9, v10, v9, vcc
	v_cndmask_b32_e32 v8, v2, v8, vcc
	s_mov_b32 s5, 0x3ff921fb
	v_mul_f64 v[10:11], v[4:5], v[8:9]
	v_mul_f64 v[12:13], v[6:7], v[8:9]
	;; [unrolled: 1-line block ×3, first 2 shown]
	v_fma_f64 v[4:5], v[4:5], v[8:9], -v[10:11]
	v_fma_f64 v[6:7], v[6:7], v[8:9], -v[12:13]
	;; [unrolled: 1-line block ×3, first 2 shown]
	v_add_f64 v[14:15], v[12:13], v[4:5]
	v_add_f64 v[18:19], v[14:15], -v[12:13]
	v_add_f64 v[24:25], v[10:11], v[14:15]
	v_add_f64 v[20:21], v[14:15], -v[18:19]
	v_add_f64 v[4:5], v[4:5], -v[18:19]
	v_add_f64 v[18:19], v[22:23], v[6:7]
	v_add_f64 v[10:11], v[24:25], -v[10:11]
	v_add_f64 v[12:13], v[12:13], -v[20:21]
	v_ldexp_f64 v[20:21], v[24:25], -2
	v_add_f64 v[28:29], v[18:19], -v[22:23]
	v_add_f64 v[10:11], v[14:15], -v[10:11]
	v_add_f64 v[4:5], v[4:5], v[12:13]
	v_fract_f64_e32 v[12:13], v[20:21]
	v_cmp_neq_f64_e64 vcc, |v[20:21]|, s[0:1]
	v_add_f64 v[6:7], v[6:7], -v[28:29]
	v_add_f64 v[14:15], v[18:19], v[4:5]
	v_ldexp_f64 v[12:13], v[12:13], 2
	v_add_f64 v[20:21], v[10:11], v[14:15]
	v_cndmask_b32_e32 v13, 0, v13, vcc
	v_cndmask_b32_e32 v12, 0, v12, vcc
	v_add_f64 v[31:32], v[14:15], -v[18:19]
	v_add_f64 v[24:25], v[20:21], v[12:13]
	v_add_f64 v[10:11], v[20:21], -v[10:11]
	v_add_f64 v[33:34], v[14:15], -v[31:32]
	v_add_f64 v[4:5], v[4:5], -v[31:32]
	v_cmp_gt_f64_e32 vcc, 0, v[24:25]
	v_add_f64 v[24:25], v[18:19], -v[28:29]
	v_add_f64 v[10:11], v[14:15], -v[10:11]
	;; [unrolled: 1-line block ×3, first 2 shown]
	v_cndmask_b32_e32 v27, 0, v27, vcc
	v_add_f64 v[12:13], v[12:13], v[26:27]
	v_add_f64 v[24:25], v[22:23], -v[24:25]
	v_add_f64 v[4:5], v[4:5], v[18:19]
	v_add_f64 v[35:36], v[20:21], v[12:13]
	;; [unrolled: 1-line block ×3, first 2 shown]
	v_cvt_i32_f64_e32 v29, v[35:36]
	v_add_f64 v[4:5], v[6:7], v[4:5]
	v_cvt_f64_i32_e32 v[27:28], v29
	v_add_f64 v[12:13], v[12:13], -v[27:28]
	v_add_f64 v[4:5], v[8:9], v[4:5]
	v_add_f64 v[6:7], v[20:21], v[12:13]
	;; [unrolled: 1-line block ×3, first 2 shown]
	v_mov_b32_e32 v11, 0x3ff00000
	v_add_f64 v[8:9], v[6:7], -v[12:13]
	v_cmp_le_f64_e32 vcc, 0.5, v[6:7]
	v_add_f64 v[9:10], v[20:21], -v[8:9]
	v_cndmask_b32_e32 v27, 0, v11, vcc
	v_add_f64 v[6:7], v[6:7], -v[26:27]
	v_addc_co_u32_e64 v8, s[0:1], 0, v29, vcc
	s_mov_b32 s0, 0x33145c07
	s_mov_b32 s1, 0x3c91a626
	v_add_f64 v[4:5], v[4:5], v[9:10]
	v_add_f64 v[9:10], v[6:7], v[4:5]
	v_mul_f64 v[11:12], v[9:10], s[4:5]
	v_add_f64 v[6:7], v[9:10], -v[6:7]
	v_fma_f64 v[13:14], v[9:10], s[4:5], -v[11:12]
	v_add_f64 v[4:5], v[4:5], -v[6:7]
	v_fma_f64 v[6:7], v[9:10], s[0:1], v[13:14]
	v_fma_f64 v[6:7], v[4:5], s[4:5], v[6:7]
	v_add_f64 v[4:5], v[11:12], v[6:7]
	v_add_f64 v[9:10], v[4:5], -v[11:12]
	v_add_f64 v[6:7], v[6:7], -v[9:10]
.LBB48_661:
	s_andn2_saveexec_b64 s[0:1], s[6:7]
	s_cbranch_execz .LBB48_663
; %bb.662:
	s_mov_b32 s4, 0x6dc9c883
	s_mov_b32 s5, 0x3fe45f30
	v_mul_f64 v[4:5], |v[2:3]|, s[4:5]
	s_mov_b32 s4, 0x54442d18
	s_mov_b32 s5, 0xbff921fb
	s_mov_b32 s7, 0xbc91a626
	s_mov_b32 s6, 0x33145c00
	v_rndne_f64_e32 v[8:9], v[4:5]
	v_fma_f64 v[4:5], v[8:9], s[4:5], |v[2:3]|
	v_mul_f64 v[6:7], v[8:9], s[6:7]
	s_mov_b32 s4, 0x252049c0
	s_mov_b32 s5, 0xb97b839a
	v_fma_f64 v[14:15], v[8:9], s[6:7], v[4:5]
	v_add_f64 v[10:11], v[4:5], v[6:7]
	s_mov_b32 s7, 0x3c91a626
	v_add_f64 v[12:13], v[4:5], -v[10:11]
	v_add_f64 v[10:11], v[10:11], -v[14:15]
	v_add_f64 v[4:5], v[12:13], v[6:7]
	v_fma_f64 v[6:7], v[8:9], s[6:7], v[6:7]
	v_add_f64 v[4:5], v[10:11], v[4:5]
	v_add_f64 v[4:5], v[4:5], -v[6:7]
	v_fma_f64 v[6:7], v[8:9], s[4:5], v[4:5]
	v_cvt_i32_f64_e32 v8, v[8:9]
	v_add_f64 v[4:5], v[14:15], v[6:7]
	v_add_f64 v[10:11], v[4:5], -v[14:15]
	v_add_f64 v[6:7], v[6:7], -v[10:11]
.LBB48_663:
	s_or_b64 exec, exec, s[0:1]
	v_mul_f64 v[9:10], v[4:5], v[4:5]
	s_mov_b32 s0, 0xf9a43bb8
	v_mov_b32_e32 v12, 0xb42fdfa7
	v_mov_b32_e32 v13, 0xbe5ae600
	s_mov_b32 s1, 0x3de5e0b2
	s_mov_b32 s4, 0x796cde01
	v_mov_b32_e32 v11, 0x9037ab78
	s_mov_b32 s5, 0x3ec71de3
	v_fma_f64 v[13:14], v[9:10], s[0:1], v[12:13]
	s_mov_b32 s0, 0x46cc5e42
	v_mov_b32_e32 v12, 0x3e21eeb6
	s_mov_b32 s1, 0xbda907db
	v_fma_f64 v[11:12], v[9:10], s[0:1], v[11:12]
	v_mul_f64 v[15:16], v[9:10], 0.5
	s_mov_b32 s0, 0xa17f65f6
	s_mov_b32 s6, 0x19e83e5c
	v_fma_f64 v[13:14], v[9:10], v[13:14], s[4:5]
	s_mov_b32 s1, 0xbe927e4f
	s_mov_b32 s7, 0xbf2a01a0
	;; [unrolled: 1-line block ×3, first 2 shown]
	v_fma_f64 v[11:12], v[9:10], v[11:12], s[0:1]
	v_add_f64 v[17:18], -v[15:16], 1.0
	s_mov_b32 s0, 0x11110bb3
	s_mov_b32 s5, 0x3efa01a0
	v_fma_f64 v[13:14], v[9:10], v[13:14], s[6:7]
	s_mov_b32 s1, 0x3f811111
	v_mul_f64 v[19:20], v[6:7], 0.5
	v_mul_f64 v[21:22], v[4:5], -v[9:10]
	v_fma_f64 v[11:12], v[9:10], v[11:12], s[4:5]
	v_add_f64 v[23:24], -v[17:18], 1.0
	v_add_f64 v[0:1], -v[0:1], 1.0
	v_fma_f64 v[13:14], v[9:10], v[13:14], s[0:1]
	s_mov_b32 s0, 0x16c16967
	s_mov_b32 s1, 0xbf56c16c
	v_fma_f64 v[11:12], v[9:10], v[11:12], s[0:1]
	v_add_f64 v[15:16], v[23:24], -v[15:16]
	s_mov_b32 s1, 0x3fa55555
	s_mov_b32 s0, 0x55555555
	v_fma_f64 v[13:14], v[21:22], v[13:14], v[19:20]
	v_mul_f64 v[19:20], v[9:10], v[9:10]
	v_fma_f64 v[11:12], v[9:10], v[11:12], s[0:1]
	v_fma_f64 v[15:16], v[4:5], -v[6:7], v[15:16]
	s_mov_b32 s1, 0xbfc55555
	v_fma_f64 v[6:7], v[9:10], v[13:14], -v[6:7]
	v_fma_f64 v[9:10], v[19:20], v[11:12], v[15:16]
	v_fma_f64 v[6:7], v[21:22], s[0:1], v[6:7]
	s_movk_i32 s0, 0x1f8
	v_cmp_class_f64_e64 s[0:1], v[2:3], s0
	v_lshlrev_b32_e32 v2, 30, v8
	v_xor_b32_e32 v2, v2, v3
	v_add_f64 v[9:10], v[17:18], v[9:10]
	v_and_b32_e32 v2, 0x80000000, v2
	v_add_f64 v[4:5], v[4:5], -v[6:7]
	v_and_b32_e32 v6, 1, v8
	v_cmp_eq_u32_e32 vcc, 0, v6
	v_mov_b32_e32 v6, 0x7ff80000
	v_cndmask_b32_e32 v3, v10, v5, vcc
	v_cndmask_b32_e32 v4, v9, v4, vcc
	v_xor_b32_e32 v3, v3, v2
	v_cndmask_b32_e64 v2, 0, v4, s[0:1]
	v_cndmask_b32_e64 v3, v6, v3, s[0:1]
	v_mul_f64 v[2:3], v[2:3], v[2:3]
	s_mov_b32 s0, 0xc9be45de
	s_mov_b32 s1, 0xc023bd3c
	v_div_scale_f64 v[4:5], s[4:5], v[2:3], v[2:3], s[0:1]
	v_rcp_f64_e32 v[6:7], v[4:5]
	v_fma_f64 v[8:9], -v[4:5], v[6:7], 1.0
	v_fma_f64 v[6:7], v[6:7], v[8:9], v[6:7]
	v_div_scale_f64 v[8:9], vcc, s[0:1], v[2:3], s[0:1]
	v_fma_f64 v[10:11], -v[4:5], v[6:7], 1.0
	v_fma_f64 v[6:7], v[6:7], v[10:11], v[6:7]
	v_mul_f64 v[10:11], v[8:9], v[6:7]
	v_fma_f64 v[4:5], -v[4:5], v[10:11], v[8:9]
	v_div_fmas_f64 v[4:5], v[4:5], v[6:7], v[10:11]
	v_div_fixup_f64 v[2:3], v[4:5], v[2:3], s[0:1]
	v_add_f64 v[4:5], v[2:3], 0
	v_mov_b32_e32 v2, 0
	v_mov_b32_e32 v3, 0xbff00000
.LBB48_664:
	s_or_b64 exec, exec, s[2:3]
	v_add_f64 v[8:9], v[0:1], 1.0
	v_mul_f64 v[6:7], v[0:1], v[0:1]
	s_and_b32 s36, s33, 0xff
	s_cmp_lt_i32 s36, 11
	v_mul_f64 v[0:1], v[8:9], v[8:9]
	v_div_scale_f64 v[18:19], s[0:1], v[6:7], v[6:7], 1.0
	v_add_f64 v[10:11], v[8:9], 1.0
	v_div_scale_f64 v[35:36], vcc, 1.0, v[6:7], 1.0
	v_div_scale_f64 v[20:21], s[0:1], v[0:1], v[0:1], 1.0
	v_mul_f64 v[8:9], v[10:11], v[10:11]
	v_add_f64 v[12:13], v[10:11], 1.0
	v_rcp_f64_e32 v[14:15], v[18:19]
	v_div_scale_f64 v[22:23], s[0:1], v[8:9], v[8:9], 1.0
	v_mul_f64 v[10:11], v[12:13], v[12:13]
	v_add_f64 v[12:13], v[12:13], 1.0
	v_rcp_f64_e32 v[16:17], v[20:21]
	v_div_scale_f64 v[24:25], s[0:1], v[10:11], v[10:11], 1.0
	v_add_f64 v[31:32], v[12:13], 1.0
	v_mul_f64 v[12:13], v[12:13], v[12:13]
	v_fma_f64 v[26:27], -v[18:19], v[14:15], 1.0
	v_div_scale_f64 v[39:40], s[0:1], 1.0, v[0:1], 1.0
	v_rcp_f64_e32 v[28:29], v[22:23]
	v_div_scale_f64 v[43:44], s[2:3], v[12:13], v[12:13], 1.0
	v_fma_f64 v[33:34], -v[20:21], v[16:17], 1.0
	v_fma_f64 v[26:27], v[14:15], v[26:27], v[14:15]
	v_add_f64 v[14:15], v[31:32], 1.0
	v_rcp_f64_e32 v[37:38], v[24:25]
	v_fma_f64 v[33:34], v[16:17], v[33:34], v[16:17]
	v_mul_f64 v[16:17], v[31:32], v[31:32]
	v_fma_f64 v[31:32], -v[18:19], v[26:27], 1.0
	v_fma_f64 v[41:42], -v[22:23], v[28:29], 1.0
	v_mul_f64 v[47:48], v[14:15], v[14:15]
	v_add_f64 v[51:52], v[14:15], v[14:15]
	v_fma_f64 v[45:46], -v[20:21], v[33:34], 1.0
	v_div_scale_f64 v[49:50], s[2:3], v[16:17], v[16:17], 1.0
	v_fma_f64 v[26:27], v[26:27], v[31:32], v[26:27]
	v_fma_f64 v[28:29], v[28:29], v[41:42], v[28:29]
	v_fma_f64 v[31:32], -v[24:25], v[37:38], 1.0
	v_div_scale_f64 v[41:42], s[2:3], v[47:48], v[47:48], 1.0
	v_fma_f64 v[33:34], v[33:34], v[45:46], v[33:34]
	v_div_scale_f64 v[45:46], s[2:3], 1.0, v[8:9], 1.0
	v_mul_f64 v[53:54], v[35:36], v[26:27]
	v_fma_f64 v[55:56], -v[22:23], v[28:29], 1.0
	v_fma_f64 v[31:32], v[37:38], v[31:32], v[37:38]
	v_div_scale_f64 v[57:58], s[4:5], v[51:52], v[51:52], 1.0
	v_mul_f64 v[37:38], v[39:40], v[33:34]
	v_fma_f64 v[18:19], -v[18:19], v[53:54], v[35:36]
	v_rcp_f64_e32 v[35:36], v[43:44]
	v_fma_f64 v[28:29], v[28:29], v[55:56], v[28:29]
	v_rcp_f64_e32 v[55:56], v[49:50]
	v_fma_f64 v[20:21], -v[20:21], v[37:38], v[39:40]
	v_rcp_f64_e32 v[39:40], v[41:42]
	v_div_fmas_f64 v[18:19], v[18:19], v[26:27], v[53:54]
	s_mov_b64 vcc, s[0:1]
	v_fma_f64 v[26:27], -v[24:25], v[31:32], 1.0
	v_mul_f64 v[53:54], v[45:46], v[28:29]
	v_div_fmas_f64 v[20:21], v[20:21], v[33:34], v[37:38]
	v_rcp_f64_e32 v[33:34], v[57:58]
	v_div_scale_f64 v[37:38], s[0:1], 1.0, v[10:11], 1.0
	s_mov_b64 vcc, s[2:3]
	v_fma_f64 v[26:27], v[31:32], v[26:27], v[31:32]
	v_fma_f64 v[31:32], -v[43:44], v[35:36], 1.0
	v_fma_f64 v[22:23], -v[22:23], v[53:54], v[45:46]
	v_fma_f64 v[45:46], -v[49:50], v[55:56], 1.0
	v_div_fixup_f64 v[6:7], v[18:19], v[6:7], 1.0
	v_fma_f64 v[31:32], v[35:36], v[31:32], v[35:36]
	v_fma_f64 v[35:36], -v[41:42], v[39:40], 1.0
	v_fma_f64 v[45:46], v[55:56], v[45:46], v[55:56]
	v_fma_f64 v[55:56], -v[57:58], v[33:34], 1.0
	v_div_fmas_f64 v[22:23], v[22:23], v[28:29], v[53:54]
	v_mul_f64 v[28:29], v[37:38], v[26:27]
	s_mov_b64 vcc, s[0:1]
	v_add_f64 v[4:5], v[4:5], v[6:7]
	v_fma_f64 v[53:54], -v[43:44], v[31:32], 1.0
	v_fma_f64 v[35:36], v[39:40], v[35:36], v[39:40]
	v_fma_f64 v[39:40], -v[49:50], v[45:46], 1.0
	v_fma_f64 v[33:34], v[33:34], v[55:56], v[33:34]
	v_div_scale_f64 v[55:56], s[2:3], 1.0, v[12:13], 1.0
	v_fma_f64 v[24:25], -v[24:25], v[28:29], v[37:38]
	v_div_scale_f64 v[37:38], s[4:5], 1.0, v[16:17], 1.0
	v_fma_f64 v[31:32], v[31:32], v[53:54], v[31:32]
	v_fma_f64 v[39:40], v[45:46], v[39:40], v[45:46]
	v_fma_f64 v[45:46], -v[41:42], v[35:36], 1.0
	v_div_scale_f64 v[53:54], s[6:7], 1.0, v[47:48], 1.0
	v_div_fmas_f64 v[24:25], v[24:25], v[26:27], v[28:29]
	v_fma_f64 v[26:27], -v[57:58], v[33:34], 1.0
	v_div_scale_f64 v[28:29], s[0:1], 1.0, v[51:52], 1.0
	s_mov_b64 vcc, s[2:3]
	v_fma_f64 v[35:36], v[35:36], v[45:46], v[35:36]
	v_mul_f64 v[45:46], v[55:56], v[31:32]
	v_div_fixup_f64 v[0:1], v[20:21], v[0:1], 1.0
	v_fma_f64 v[26:27], v[33:34], v[26:27], v[33:34]
	v_mul_f64 v[33:34], v[37:38], v[39:40]
	v_fma_f64 v[43:44], -v[43:44], v[45:46], v[55:56]
	v_mul_f64 v[55:56], v[53:54], v[35:36]
	v_add_f64 v[0:1], v[4:5], v[0:1]
	v_div_fixup_f64 v[4:5], v[22:23], v[8:9], 1.0
	v_fma_f64 v[37:38], -v[49:50], v[33:34], v[37:38]
	v_mul_f64 v[49:50], v[28:29], v[26:27]
	v_div_fmas_f64 v[31:32], v[43:44], v[31:32], v[45:46]
	v_fma_f64 v[41:42], -v[41:42], v[55:56], v[53:54]
	s_mov_b64 vcc, s[4:5]
	v_add_f64 v[0:1], v[0:1], v[4:5]
	v_div_fmas_f64 v[33:34], v[37:38], v[39:40], v[33:34]
	s_mov_b64 vcc, s[6:7]
	v_fma_f64 v[28:29], -v[57:58], v[49:50], v[28:29]
	v_div_fixup_f64 v[4:5], v[24:25], v[10:11], 1.0
	v_div_fmas_f64 v[35:36], v[41:42], v[35:36], v[55:56]
	s_mov_b64 vcc, s[0:1]
	s_mov_b32 s0, 0x18618618
	s_mov_b32 s1, 0xbf986186
	v_div_fmas_f64 v[26:27], v[28:29], v[26:27], v[49:50]
	v_add_f64 v[0:1], v[0:1], v[4:5]
	v_div_fixup_f64 v[4:5], v[31:32], v[12:13], 1.0
	v_add_f64 v[0:1], v[0:1], v[4:5]
	v_div_fixup_f64 v[28:29], v[35:36], v[47:48], 1.0
	v_mov_b32_e32 v35, 0x11111111
	v_mov_b32_e32 v36, 0x3fa11111
	v_div_fixup_f64 v[4:5], v[33:34], v[16:17], 1.0
	v_div_fixup_f64 v[26:27], v[26:27], v[51:52], 1.0
	v_fma_f64 v[35:36], v[28:29], s[0:1], v[35:36]
	s_mov_b32 s0, 0x55555555
	s_mov_b32 s1, 0x3fc55555
	v_add_f64 v[0:1], v[0:1], v[4:5]
	v_add_f64 v[26:27], v[26:27], 1.0
	v_fma_f64 v[35:36], -v[28:29], v[35:36], s[0:1]
	v_fma_f64 v[26:27], v[28:29], v[35:36], v[26:27]
	v_div_scale_f64 v[28:29], s[0:1], v[14:15], v[14:15], v[26:27]
	v_div_scale_f64 v[18:19], vcc, v[26:27], v[14:15], v[26:27]
	v_rcp_f64_e32 v[35:36], v[28:29]
	v_fma_f64 v[37:38], -v[28:29], v[35:36], 1.0
	v_fma_f64 v[35:36], v[35:36], v[37:38], v[35:36]
	v_fma_f64 v[37:38], -v[28:29], v[35:36], 1.0
	v_fma_f64 v[6:7], v[35:36], v[37:38], v[35:36]
	v_mul_f64 v[8:9], v[18:19], v[6:7]
	v_fma_f64 v[10:11], -v[28:29], v[8:9], v[18:19]
	v_div_fmas_f64 v[6:7], v[10:11], v[6:7], v[8:9]
	v_div_fixup_f64 v[4:5], v[6:7], v[14:15], v[26:27]
	v_add_f64 v[0:1], v[0:1], v[4:5]
	v_mul_lo_u32 v4, v30, s12
	v_mul_f64 v[0:1], v[2:3], v[0:1]
	v_ashrrev_i32_e32 v2, 31, v4
	v_mov_b32_e32 v3, s9
	v_add_co_u32_e32 v4, vcc, s8, v4
	v_addc_co_u32_e32 v5, vcc, v3, v2, vcc
	s_cbranch_scc1 .LBB48_672
; %bb.665:
	s_and_b32 s37, 0xffff, s36
	s_cmp_gt_i32 s37, 25
	s_cbranch_scc0 .LBB48_673
; %bb.666:
	s_cmp_gt_i32 s37, 28
	s_cbranch_scc0 .LBB48_674
; %bb.667:
	;; [unrolled: 3-line block ×4, first 2 shown]
	s_mov_b64 s[4:5], 0
	s_mov_b64 s[0:1], -1
	s_cmp_eq_u32 s37, 46
	s_mov_b64 s[2:3], 0
	s_cbranch_scc0 .LBB48_677
; %bb.670:
	v_cvt_f32_f64_e32 v2, v[0:1]
	s_movk_i32 s0, 0x7fff
	v_mov_b32_e32 v3, 0x7fc0
	s_mov_b64 s[2:3], -1
	v_bfe_u32 v6, v2, 16, 1
	v_cmp_o_f32_e32 vcc, v2, v2
	v_add3_u32 v2, v2, v6, s0
	v_cndmask_b32_sdwa v2, v3, v2, vcc dst_sel:DWORD dst_unused:UNUSED_PAD src0_sel:DWORD src1_sel:WORD_1
	global_store_dword v[4:5], v2, off
	s_mov_b64 s[0:1], 0
	s_branch .LBB48_677
.LBB48_671:
	s_mov_b64 s[4:5], 0
                                        ; implicit-def: $vgpr30
	s_mov_b64 s[0:1], s[26:27]
	s_branch .LBB48_788
.LBB48_672:
	s_mov_b64 s[4:5], -1
	s_mov_b64 s[2:3], 0
	s_mov_b64 s[0:1], s[26:27]
	s_branch .LBB48_746
.LBB48_673:
	s_mov_b64 s[4:5], -1
	s_mov_b64 s[2:3], 0
	s_mov_b64 s[0:1], s[26:27]
	s_branch .LBB48_704
.LBB48_674:
	s_mov_b64 s[4:5], -1
	s_mov_b64 s[2:3], 0
	s_mov_b64 s[0:1], s[26:27]
	s_branch .LBB48_687
.LBB48_675:
	s_mov_b64 s[4:5], -1
	s_mov_b64 s[2:3], 0
	s_mov_b64 s[0:1], s[26:27]
	s_branch .LBB48_683
.LBB48_676:
	s_mov_b64 s[4:5], -1
	s_mov_b64 s[2:3], 0
	s_mov_b64 s[0:1], s[26:27]
.LBB48_677:
	s_and_b64 vcc, exec, s[4:5]
	s_cbranch_vccz .LBB48_682
; %bb.678:
	s_cmp_eq_u32 s37, 44
	s_mov_b64 s[0:1], -1
	s_cbranch_scc0 .LBB48_682
; %bb.679:
	v_cvt_f32_f64_e32 v2, v[0:1]
	s_movk_i32 s0, 0xff
	v_mov_b32_e32 v6, 0xff
	v_bfe_u32 v3, v2, 23, 8
	v_cmp_ne_u32_e32 vcc, s0, v3
	s_and_saveexec_b64 s[2:3], vcc
; %bb.680:
	s_mov_b32 s0, 0x3fffff
	v_lshrrev_b32_e32 v6, 23, v2
	v_and_b32_e32 v7, 0x400000, v2
	v_and_or_b32 v2, v2, s0, v3
	v_cmp_ne_u32_e32 vcc, 0, v7
	v_cmp_ne_u32_e64 s[0:1], 0, v2
	s_and_b64 s[0:1], vcc, s[0:1]
	v_cndmask_b32_e64 v2, 0, 1, s[0:1]
	v_add_u32_e32 v6, v6, v2
; %bb.681:
	s_or_b64 exec, exec, s[2:3]
	s_mov_b64 s[2:3], -1
	s_mov_b64 s[0:1], 0
	global_store_byte v[4:5], v6, off
.LBB48_682:
	s_mov_b64 s[4:5], 0
.LBB48_683:
	s_and_b64 vcc, exec, s[4:5]
	s_cbranch_vccz .LBB48_686
; %bb.684:
	s_cmp_eq_u32 s37, 29
	s_mov_b64 s[0:1], -1
	s_cbranch_scc0 .LBB48_686
; %bb.685:
	v_trunc_f64_e32 v[2:3], v[0:1]
	s_movk_i32 s0, 0xffe0
	s_mov_b64 s[2:3], -1
	s_mov_b64 s[4:5], 0
	v_ldexp_f64 v[6:7], v[2:3], s0
	s_mov_b32 s0, 0
	s_mov_b32 s1, 0xc1f00000
	v_floor_f64_e32 v[6:7], v[6:7]
	v_fma_f64 v[2:3], v[6:7], s[0:1], v[2:3]
	v_cvt_u32_f64_e32 v7, v[6:7]
	s_mov_b64 s[0:1], 0
	v_cvt_u32_f64_e32 v6, v[2:3]
	global_store_dwordx2 v[4:5], v[6:7], off
	s_branch .LBB48_687
.LBB48_686:
	s_mov_b64 s[4:5], 0
.LBB48_687:
	s_and_b64 vcc, exec, s[4:5]
	s_cbranch_vccz .LBB48_703
; %bb.688:
	s_cmp_lt_i32 s37, 27
	s_mov_b64 s[2:3], -1
	s_cbranch_scc1 .LBB48_694
; %bb.689:
	v_cvt_u32_f64_e32 v2, v[0:1]
	s_cmp_gt_i32 s37, 27
	s_cbranch_scc0 .LBB48_691
; %bb.690:
	s_mov_b64 s[2:3], 0
	global_store_dword v[4:5], v2, off
.LBB48_691:
	s_andn2_b64 vcc, exec, s[2:3]
	s_cbranch_vccnz .LBB48_693
; %bb.692:
	global_store_short v[4:5], v2, off
.LBB48_693:
	s_mov_b64 s[2:3], 0
.LBB48_694:
	s_andn2_b64 vcc, exec, s[2:3]
	s_cbranch_vccnz .LBB48_702
; %bb.695:
	v_cvt_f32_f64_e32 v2, v[0:1]
	s_mov_b32 s2, 0x43800000
	v_mov_b32_e32 v6, 0x80
	v_and_b32_e32 v3, 0x7fffffff, v2
	v_cmp_gt_u32_e32 vcc, s2, v3
	s_and_saveexec_b64 s[2:3], vcc
	s_cbranch_execz .LBB48_701
; %bb.696:
	s_mov_b32 s4, 0x3bffffff
	v_cmp_lt_u32_e32 vcc, s4, v3
	s_mov_b64 s[4:5], 0
                                        ; implicit-def: $vgpr3
	s_and_saveexec_b64 s[6:7], vcc
	s_xor_b64 s[6:7], exec, s[6:7]
	s_cbranch_execz .LBB48_802
; %bb.697:
	v_bfe_u32 v3, v2, 20, 1
	s_mov_b32 s39, 0x487ffff
	v_add3_u32 v3, v2, v3, s39
	s_mov_b64 s[4:5], exec
	v_lshrrev_b32_e32 v3, 20, v3
	s_andn2_saveexec_b64 s[6:7], s[6:7]
	s_cbranch_execnz .LBB48_803
.LBB48_698:
	s_or_b64 exec, exec, s[6:7]
	v_mov_b32_e32 v6, 0
	s_and_saveexec_b64 s[6:7], s[4:5]
.LBB48_699:
	v_lshrrev_b32_e32 v2, 24, v2
	s_movk_i32 s4, 0x80
	v_and_or_b32 v6, v2, s4, v3
.LBB48_700:
	s_or_b64 exec, exec, s[6:7]
.LBB48_701:
	s_or_b64 exec, exec, s[2:3]
	global_store_byte v[4:5], v6, off
.LBB48_702:
	s_mov_b64 s[2:3], -1
.LBB48_703:
	s_mov_b64 s[4:5], 0
.LBB48_704:
	s_and_b64 vcc, exec, s[4:5]
	s_cbranch_vccz .LBB48_745
; %bb.705:
	s_cmp_gt_i32 s37, 22
	s_mov_b64 s[4:5], -1
	s_cbranch_scc0 .LBB48_737
; %bb.706:
	s_cmp_lt_i32 s37, 24
	s_mov_b64 s[2:3], -1
	s_cbranch_scc1 .LBB48_726
; %bb.707:
	s_cmp_gt_i32 s37, 24
	s_cbranch_scc0 .LBB48_715
; %bb.708:
	v_cvt_f32_f64_e32 v2, v[0:1]
	s_mov_b32 s2, 0x47800000
	v_mov_b32_e32 v6, 0x80
	v_and_b32_e32 v3, 0x7fffffff, v2
	v_cmp_gt_u32_e32 vcc, s2, v3
	s_and_saveexec_b64 s[2:3], vcc
	s_cbranch_execz .LBB48_714
; %bb.709:
	s_mov_b32 s4, 0x37ffffff
	v_cmp_lt_u32_e32 vcc, s4, v3
	s_mov_b64 s[4:5], 0
                                        ; implicit-def: $vgpr3
	s_and_saveexec_b64 s[6:7], vcc
	s_xor_b64 s[6:7], exec, s[6:7]
	s_cbranch_execz .LBB48_805
; %bb.710:
	v_bfe_u32 v3, v2, 21, 1
	s_mov_b32 s39, 0x88fffff
	v_add3_u32 v3, v2, v3, s39
	s_mov_b64 s[4:5], exec
	v_lshrrev_b32_e32 v3, 21, v3
	s_andn2_saveexec_b64 s[6:7], s[6:7]
	s_cbranch_execnz .LBB48_806
.LBB48_711:
	s_or_b64 exec, exec, s[6:7]
	v_mov_b32_e32 v6, 0
	s_and_saveexec_b64 s[6:7], s[4:5]
.LBB48_712:
	v_lshrrev_b32_e32 v2, 24, v2
	s_movk_i32 s4, 0x80
	v_and_or_b32 v6, v2, s4, v3
.LBB48_713:
	s_or_b64 exec, exec, s[6:7]
.LBB48_714:
	s_or_b64 exec, exec, s[2:3]
	s_mov_b64 s[2:3], 0
	global_store_byte v[4:5], v6, off
.LBB48_715:
	s_and_b64 vcc, exec, s[2:3]
	s_cbranch_vccz .LBB48_725
; %bb.716:
	v_cvt_f32_f64_e32 v2, v[0:1]
	s_mov_b32 s2, 0x43f00000
                                        ; implicit-def: $vgpr3
	v_and_b32_e32 v6, 0x7fffffff, v2
	v_cmp_gt_u32_e32 vcc, s2, v6
	s_and_saveexec_b64 s[2:3], vcc
	s_xor_b64 s[2:3], exec, s[2:3]
	s_cbranch_execz .LBB48_722
; %bb.717:
	s_mov_b32 s4, 0x3c7fffff
	v_cmp_lt_u32_e32 vcc, s4, v6
                                        ; implicit-def: $vgpr3
	s_and_saveexec_b64 s[4:5], vcc
	s_xor_b64 s[4:5], exec, s[4:5]
; %bb.718:
	v_bfe_u32 v3, v2, 20, 1
	s_mov_b32 s6, 0x407ffff
	v_add3_u32 v3, v2, v3, s6
	v_lshrrev_b32_e32 v6, 20, v3
	v_and_b32_e32 v3, 0xff00000, v3
	s_mov_b32 s6, 0x7f00000
	v_mov_b32_e32 v7, 0x7e
	v_cmp_ne_u32_e32 vcc, s6, v3
	v_cndmask_b32_e32 v3, v7, v6, vcc
; %bb.719:
	s_andn2_saveexec_b64 s[4:5], s[4:5]
; %bb.720:
	s_mov_b32 s6, 0x46800000
	v_add_f32_e64 v3, |v2|, s6
; %bb.721:
	s_or_b64 exec, exec, s[4:5]
                                        ; implicit-def: $vgpr6
.LBB48_722:
	s_andn2_saveexec_b64 s[2:3], s[2:3]
; %bb.723:
	s_mov_b32 s4, 0x7f800000
	v_mov_b32_e32 v3, 0x7e
	v_mov_b32_e32 v7, 0x7f
	v_cmp_lt_u32_e32 vcc, s4, v6
	v_cndmask_b32_e32 v3, v3, v7, vcc
; %bb.724:
	s_or_b64 exec, exec, s[2:3]
	v_lshrrev_b32_e32 v2, 24, v2
	s_movk_i32 s2, 0x80
	v_and_or_b32 v2, v2, s2, v3
	global_store_byte v[4:5], v2, off
.LBB48_725:
	s_mov_b64 s[2:3], 0
.LBB48_726:
	s_andn2_b64 vcc, exec, s[2:3]
	s_cbranch_vccnz .LBB48_736
; %bb.727:
	v_cvt_f32_f64_e32 v2, v[0:1]
	s_mov_b32 s2, 0x47800000
                                        ; implicit-def: $vgpr3
	v_and_b32_e32 v6, 0x7fffffff, v2
	v_cmp_gt_u32_e32 vcc, s2, v6
	s_and_saveexec_b64 s[2:3], vcc
	s_xor_b64 s[2:3], exec, s[2:3]
	s_cbranch_execz .LBB48_733
; %bb.728:
	s_mov_b32 s4, 0x387fffff
	v_cmp_lt_u32_e32 vcc, s4, v6
                                        ; implicit-def: $vgpr3
	s_and_saveexec_b64 s[4:5], vcc
	s_xor_b64 s[4:5], exec, s[4:5]
; %bb.729:
	v_bfe_u32 v3, v2, 21, 1
	s_mov_b32 s6, 0x80fffff
	v_add3_u32 v3, v2, v3, s6
	v_lshrrev_b32_e32 v3, 21, v3
; %bb.730:
	s_andn2_saveexec_b64 s[4:5], s[4:5]
; %bb.731:
	s_mov_b32 s6, 0x43000000
	v_add_f32_e64 v3, |v2|, s6
; %bb.732:
	s_or_b64 exec, exec, s[4:5]
                                        ; implicit-def: $vgpr6
.LBB48_733:
	s_andn2_saveexec_b64 s[2:3], s[2:3]
; %bb.734:
	s_mov_b32 s4, 0x7f800000
	v_mov_b32_e32 v3, 0x7c
	v_mov_b32_e32 v7, 0x7f
	v_cmp_lt_u32_e32 vcc, s4, v6
	v_cndmask_b32_e32 v3, v3, v7, vcc
; %bb.735:
	s_or_b64 exec, exec, s[2:3]
	v_lshrrev_b32_e32 v2, 24, v2
	s_movk_i32 s2, 0x80
	v_and_or_b32 v2, v2, s2, v3
	global_store_byte v[4:5], v2, off
.LBB48_736:
	s_mov_b64 s[4:5], 0
	s_mov_b64 s[2:3], -1
.LBB48_737:
	s_andn2_b64 vcc, exec, s[4:5]
	s_cbranch_vccnz .LBB48_745
; %bb.738:
	s_cmp_gt_i32 s37, 14
	s_mov_b64 s[4:5], -1
	s_cbranch_scc0 .LBB48_742
; %bb.739:
	s_cmp_eq_u32 s37, 15
	s_mov_b64 s[0:1], -1
	s_cbranch_scc0 .LBB48_741
; %bb.740:
	v_cvt_f32_f64_e32 v2, v[0:1]
	s_movk_i32 s0, 0x7fff
	v_mov_b32_e32 v3, 0x7fc0
	s_mov_b64 s[2:3], -1
	v_bfe_u32 v6, v2, 16, 1
	v_cmp_o_f32_e32 vcc, v2, v2
	v_add3_u32 v2, v2, v6, s0
	v_cndmask_b32_sdwa v2, v3, v2, vcc dst_sel:DWORD dst_unused:UNUSED_PAD src0_sel:DWORD src1_sel:WORD_1
	global_store_short v[4:5], v2, off
	s_mov_b64 s[0:1], 0
.LBB48_741:
	s_mov_b64 s[4:5], 0
.LBB48_742:
	s_and_b64 vcc, exec, s[4:5]
	s_cbranch_vccz .LBB48_745
; %bb.743:
	s_cmp_eq_u32 s37, 11
	s_mov_b64 s[0:1], -1
	s_cbranch_scc0 .LBB48_745
; %bb.744:
	v_cmp_neq_f64_e32 vcc, 0, v[0:1]
	s_mov_b64 s[0:1], 0
	s_mov_b64 s[2:3], -1
	v_cndmask_b32_e64 v2, 0, 1, vcc
	global_store_byte v[4:5], v2, off
.LBB48_745:
	s_mov_b64 s[4:5], 0
.LBB48_746:
	s_and_b64 vcc, exec, s[4:5]
	s_cbranch_vccz .LBB48_785
; %bb.747:
	s_and_b32 s4, 0xffff, s36
	s_cmp_lt_i32 s4, 5
	s_mov_b64 s[2:3], -1
	s_cbranch_scc1 .LBB48_768
; %bb.748:
	s_cmp_lt_i32 s4, 8
	s_cbranch_scc1 .LBB48_758
; %bb.749:
	s_cmp_lt_i32 s4, 9
	s_cbranch_scc1 .LBB48_755
; %bb.750:
	s_cmp_gt_i32 s4, 9
	s_cbranch_scc0 .LBB48_752
; %bb.751:
	v_mov_b32_e32 v2, 0
	v_mov_b32_e32 v3, v2
	s_mov_b64 s[2:3], 0
	global_store_dwordx4 v[4:5], v[0:3], off
.LBB48_752:
	s_andn2_b64 vcc, exec, s[2:3]
	s_cbranch_vccnz .LBB48_754
; %bb.753:
	v_cvt_f32_f64_e32 v2, v[0:1]
	v_mov_b32_e32 v3, 0
	global_store_dwordx2 v[4:5], v[2:3], off
.LBB48_754:
	s_mov_b64 s[2:3], 0
.LBB48_755:
	s_andn2_b64 vcc, exec, s[2:3]
	s_cbranch_vccnz .LBB48_757
; %bb.756:
	s_movk_i32 s2, 0x1ff
	v_and_or_b32 v2, v1, s2, v0
	v_cmp_ne_u32_e32 vcc, 0, v2
	v_cndmask_b32_e64 v2, 0, 1, vcc
	v_lshrrev_b32_e32 v3, 8, v1
	s_movk_i32 s2, 0xffe
	v_bfe_u32 v6, v1, 20, 11
	v_and_or_b32 v2, v3, s2, v2
	v_sub_u32_e32 v7, 0x3f1, v6
	v_or_b32_e32 v3, 0x1000, v2
	v_med3_i32 v7, v7, 0, 13
	v_lshrrev_b32_e32 v8, v7, v3
	v_lshlrev_b32_e32 v7, v7, v8
	v_cmp_ne_u32_e32 vcc, v7, v3
	v_cndmask_b32_e64 v3, 0, 1, vcc
	v_add_u32_e32 v6, 0xfffffc10, v6
	v_or_b32_e32 v3, v8, v3
	v_lshl_or_b32 v7, v6, 12, v2
	v_cmp_gt_i32_e32 vcc, 1, v6
	v_cndmask_b32_e32 v3, v7, v3, vcc
	v_and_b32_e32 v7, 7, v3
	v_cmp_lt_i32_e32 vcc, 5, v7
	v_cndmask_b32_e64 v8, 0, 1, vcc
	v_cmp_eq_u32_e32 vcc, 3, v7
	v_cndmask_b32_e64 v7, 0, 1, vcc
	v_or_b32_e32 v7, v7, v8
	v_lshrrev_b32_e32 v3, 2, v3
	v_add_u32_e32 v3, v3, v7
	v_mov_b32_e32 v7, 0x7c00
	v_cmp_gt_i32_e32 vcc, 31, v6
	v_cndmask_b32_e32 v3, v7, v3, vcc
	v_mov_b32_e32 v8, 0x7e00
	v_cmp_ne_u32_e32 vcc, 0, v2
	s_movk_i32 s2, 0x40f
	v_cndmask_b32_e32 v2, v7, v8, vcc
	v_cmp_eq_u32_e32 vcc, s2, v6
	v_cndmask_b32_e32 v2, v3, v2, vcc
	v_lshrrev_b32_e32 v3, 16, v1
	s_mov_b32 s2, 0x8000
	v_and_or_b32 v2, v3, s2, v2
	v_and_b32_e32 v2, 0xffff, v2
	global_store_dword v[4:5], v2, off
.LBB48_757:
	s_mov_b64 s[2:3], 0
.LBB48_758:
	s_andn2_b64 vcc, exec, s[2:3]
	s_cbranch_vccnz .LBB48_767
; %bb.759:
	s_cmp_lt_i32 s4, 6
	s_mov_b64 s[2:3], -1
	s_cbranch_scc1 .LBB48_765
; %bb.760:
	s_cmp_gt_i32 s4, 6
	s_cbranch_scc0 .LBB48_762
; %bb.761:
	s_mov_b64 s[2:3], 0
	global_store_dwordx2 v[4:5], v[0:1], off
.LBB48_762:
	s_andn2_b64 vcc, exec, s[2:3]
	s_cbranch_vccnz .LBB48_764
; %bb.763:
	v_cvt_f32_f64_e32 v2, v[0:1]
	global_store_dword v[4:5], v2, off
.LBB48_764:
	s_mov_b64 s[2:3], 0
.LBB48_765:
	s_andn2_b64 vcc, exec, s[2:3]
	s_cbranch_vccnz .LBB48_767
; %bb.766:
	s_movk_i32 s2, 0x1ff
	v_and_or_b32 v2, v1, s2, v0
	v_cmp_ne_u32_e32 vcc, 0, v2
	v_cndmask_b32_e64 v2, 0, 1, vcc
	v_lshrrev_b32_e32 v3, 8, v1
	s_movk_i32 s2, 0xffe
	v_bfe_u32 v6, v1, 20, 11
	v_and_or_b32 v2, v3, s2, v2
	v_sub_u32_e32 v7, 0x3f1, v6
	v_or_b32_e32 v3, 0x1000, v2
	v_med3_i32 v7, v7, 0, 13
	v_lshrrev_b32_e32 v8, v7, v3
	v_lshlrev_b32_e32 v7, v7, v8
	v_cmp_ne_u32_e32 vcc, v7, v3
	v_cndmask_b32_e64 v3, 0, 1, vcc
	v_add_u32_e32 v6, 0xfffffc10, v6
	v_or_b32_e32 v3, v8, v3
	v_lshl_or_b32 v7, v6, 12, v2
	v_cmp_gt_i32_e32 vcc, 1, v6
	v_cndmask_b32_e32 v3, v7, v3, vcc
	v_and_b32_e32 v7, 7, v3
	v_cmp_lt_i32_e32 vcc, 5, v7
	v_cndmask_b32_e64 v8, 0, 1, vcc
	v_cmp_eq_u32_e32 vcc, 3, v7
	v_cndmask_b32_e64 v7, 0, 1, vcc
	v_or_b32_e32 v7, v7, v8
	v_lshrrev_b32_e32 v3, 2, v3
	v_add_u32_e32 v3, v3, v7
	v_mov_b32_e32 v7, 0x7c00
	v_cmp_gt_i32_e32 vcc, 31, v6
	v_cndmask_b32_e32 v3, v7, v3, vcc
	v_mov_b32_e32 v8, 0x7e00
	v_cmp_ne_u32_e32 vcc, 0, v2
	s_movk_i32 s2, 0x40f
	v_cndmask_b32_e32 v2, v7, v8, vcc
	v_cmp_eq_u32_e32 vcc, s2, v6
	v_cndmask_b32_e32 v2, v3, v2, vcc
	v_lshrrev_b32_e32 v3, 16, v1
	s_mov_b32 s2, 0x8000
	v_and_or_b32 v2, v3, s2, v2
	global_store_short v[4:5], v2, off
.LBB48_767:
	s_mov_b64 s[2:3], 0
.LBB48_768:
	s_andn2_b64 vcc, exec, s[2:3]
	s_cbranch_vccnz .LBB48_784
; %bb.769:
	s_cmp_lt_i32 s4, 2
	s_mov_b64 s[2:3], -1
	s_cbranch_scc1 .LBB48_779
; %bb.770:
	s_cmp_lt_i32 s4, 3
	s_cbranch_scc1 .LBB48_776
; %bb.771:
	s_cmp_gt_i32 s4, 3
	s_cbranch_scc0 .LBB48_773
; %bb.772:
	v_trunc_f64_e32 v[2:3], v[0:1]
	s_movk_i32 s2, 0xffe0
	v_ldexp_f64 v[6:7], v[2:3], s2
	s_mov_b32 s2, 0
	s_mov_b32 s3, 0xc1f00000
	v_floor_f64_e32 v[6:7], v[6:7]
	v_fma_f64 v[2:3], v[6:7], s[2:3], v[2:3]
	v_cvt_i32_f64_e32 v7, v[6:7]
	s_mov_b64 s[2:3], 0
	v_cvt_u32_f64_e32 v6, v[2:3]
	global_store_dwordx2 v[4:5], v[6:7], off
.LBB48_773:
	s_andn2_b64 vcc, exec, s[2:3]
	s_cbranch_vccnz .LBB48_775
; %bb.774:
	v_cvt_i32_f64_e32 v2, v[0:1]
	global_store_dword v[4:5], v2, off
.LBB48_775:
	s_mov_b64 s[2:3], 0
.LBB48_776:
	s_andn2_b64 vcc, exec, s[2:3]
	s_cbranch_vccnz .LBB48_778
; %bb.777:
	v_cvt_i32_f64_e32 v2, v[0:1]
	global_store_short v[4:5], v2, off
.LBB48_778:
	s_mov_b64 s[2:3], 0
.LBB48_779:
	s_andn2_b64 vcc, exec, s[2:3]
	s_cbranch_vccnz .LBB48_784
; %bb.780:
	s_cmp_gt_i32 s4, 0
	s_mov_b64 s[2:3], -1
	s_cbranch_scc0 .LBB48_782
; %bb.781:
	v_cvt_i32_f64_e32 v2, v[0:1]
	s_mov_b64 s[2:3], 0
	global_store_byte v[4:5], v2, off
.LBB48_782:
	s_andn2_b64 vcc, exec, s[2:3]
	s_cbranch_vccnz .LBB48_784
; %bb.783:
	v_trunc_f64_e32 v[0:1], v[0:1]
	s_movk_i32 s2, 0xffe0
	v_ldexp_f64 v[2:3], v[0:1], s2
	s_mov_b32 s2, 0
	s_mov_b32 s3, 0xc1f00000
	v_floor_f64_e32 v[2:3], v[2:3]
	v_fma_f64 v[0:1], v[2:3], s[2:3], v[0:1]
	v_cvt_u32_f64_e32 v0, v[0:1]
	global_store_byte v[4:5], v0, off
.LBB48_784:
	s_mov_b64 s[2:3], -1
.LBB48_785:
	s_andn2_b64 vcc, exec, s[2:3]
	s_cbranch_vccnz .LBB48_787
; %bb.786:
	v_add_u32_e32 v30, 0x80, v30
	s_mov_b64 s[4:5], -1
	s_branch .LBB48_788
.LBB48_787:
	s_mov_b64 s[4:5], 0
                                        ; implicit-def: $vgpr30
.LBB48_788:
	s_andn2_b64 s[2:3], s[26:27], exec
	s_and_b64 s[0:1], s[0:1], exec
	s_or_b64 s[2:3], s[2:3], s[0:1]
	s_andn2_b64 s[0:1], s[24:25], exec
	s_and_b64 s[6:7], s[34:35], exec
	s_or_b64 s[0:1], s[0:1], s[6:7]
	s_orn2_b64 s[34:35], s[4:5], exec
.LBB48_789:
	s_or_b64 exec, exec, s[30:31]
	s_mov_b64 s[30:31], 0
	s_mov_b64 s[36:37], 0
	;; [unrolled: 1-line block ×3, first 2 shown]
                                        ; implicit-def: $vgpr0_vgpr1
                                        ; implicit-def: $vgpr2_vgpr3
	s_and_saveexec_b64 s[4:5], s[34:35]
	s_cbranch_execz .LBB48_874
; %bb.790:
	v_cmp_gt_i32_e32 vcc, s38, v30
	s_mov_b64 s[34:35], 0
	s_mov_b64 s[38:39], s[0:1]
	s_mov_b64 s[40:41], 0
                                        ; implicit-def: $vgpr0_vgpr1
                                        ; implicit-def: $vgpr2_vgpr3
	s_and_saveexec_b64 s[6:7], vcc
	s_cbranch_execz .LBB48_873
; %bb.791:
	s_waitcnt vmcnt(0)
	v_mul_lo_u32 v0, v30, s13
	v_mov_b32_e32 v1, s11
	s_and_b32 s43, 0xffff, s42
	s_cmp_lt_i32 s43, 11
	v_ashrrev_i32_e32 v2, 31, v0
	v_add_co_u32_e32 v0, vcc, s10, v0
	v_addc_co_u32_e32 v1, vcc, v1, v2, vcc
	s_cbranch_scc1 .LBB48_798
; %bb.792:
	s_cmp_gt_i32 s43, 25
	s_cbranch_scc0 .LBB48_799
; %bb.793:
	s_cmp_gt_i32 s43, 28
	s_cbranch_scc0 .LBB48_800
	;; [unrolled: 3-line block ×4, first 2 shown]
; %bb.796:
	s_cmp_eq_u32 s43, 46
	s_mov_b64 s[38:39], 0
	s_cbranch_scc0 .LBB48_807
; %bb.797:
	global_load_dword v2, v[0:1], off
	s_mov_b64 s[36:37], -1
	s_waitcnt vmcnt(0)
	v_lshlrev_b32_e32 v2, 16, v2
	v_cvt_f64_f32_e32 v[2:3], v2
	s_branch .LBB48_809
.LBB48_798:
	s_mov_b64 s[38:39], -1
                                        ; implicit-def: $vgpr2_vgpr3
	s_mov_b64 s[30:31], s[0:1]
	s_branch .LBB48_872
.LBB48_799:
	s_mov_b64 s[38:39], -1
	s_mov_b64 s[30:31], s[0:1]
                                        ; implicit-def: $vgpr2_vgpr3
	s_branch .LBB48_840
.LBB48_800:
	s_mov_b64 s[38:39], -1
	s_mov_b64 s[30:31], s[0:1]
                                        ; implicit-def: $vgpr2_vgpr3
	s_branch .LBB48_819
.LBB48_801:
	s_mov_b64 s[38:39], -1
	s_mov_b64 s[30:31], s[0:1]
                                        ; implicit-def: $vgpr2_vgpr3
	s_branch .LBB48_814
.LBB48_802:
	s_andn2_saveexec_b64 s[6:7], s[6:7]
	s_cbranch_execz .LBB48_698
.LBB48_803:
	s_mov_b32 s39, 0x46000000
	v_add_f32_e64 v3, |v2|, s39
	v_and_b32_e32 v3, 0xff, v3
	v_cmp_ne_u32_e32 vcc, 0, v3
	s_andn2_b64 s[4:5], s[4:5], exec
	s_and_b64 s[40:41], vcc, exec
	s_or_b64 s[4:5], s[4:5], s[40:41]
	s_or_b64 exec, exec, s[6:7]
	v_mov_b32_e32 v6, 0
	s_and_saveexec_b64 s[6:7], s[4:5]
	s_cbranch_execnz .LBB48_699
	s_branch .LBB48_700
.LBB48_804:
	s_mov_b64 s[38:39], -1
	s_mov_b64 s[30:31], s[0:1]
	s_branch .LBB48_808
.LBB48_805:
	s_andn2_saveexec_b64 s[6:7], s[6:7]
	s_cbranch_execz .LBB48_711
.LBB48_806:
	s_mov_b32 s39, 0x42800000
	v_add_f32_e64 v3, |v2|, s39
	v_and_b32_e32 v3, 0xff, v3
	v_cmp_ne_u32_e32 vcc, 0, v3
	s_andn2_b64 s[4:5], s[4:5], exec
	s_and_b64 s[40:41], vcc, exec
	s_or_b64 s[4:5], s[4:5], s[40:41]
	s_or_b64 exec, exec, s[6:7]
	v_mov_b32_e32 v6, 0
	s_and_saveexec_b64 s[6:7], s[4:5]
	s_cbranch_execnz .LBB48_712
	s_branch .LBB48_713
.LBB48_807:
	s_mov_b64 s[30:31], -1
.LBB48_808:
                                        ; implicit-def: $vgpr2_vgpr3
.LBB48_809:
	s_and_b64 vcc, exec, s[38:39]
	s_cbranch_vccz .LBB48_813
; %bb.810:
	s_cmp_eq_u32 s43, 44
	s_cbranch_scc0 .LBB48_812
; %bb.811:
	global_load_ubyte v4, v[0:1], off
	s_movk_i32 s36, 0xff
	v_bfrev_b32_e32 v5, 4
	v_mov_b32_e32 v6, 0x7ff80000
	v_bfrev_b32_e32 v7, 28
	s_mov_b64 s[30:31], 0
	s_waitcnt vmcnt(0)
	v_lshlrev_b32_e32 v2, 23, v4
	v_cvt_f64_f32_e32 v[2:3], v2
	v_cmp_ne_u32_e32 vcc, s36, v4
	s_mov_b64 s[36:37], -1
	v_cndmask_b32_e32 v2, v5, v2, vcc
	v_cndmask_b32_e32 v3, v6, v3, vcc
	v_cmp_ne_u32_e32 vcc, 0, v4
	v_cndmask_b32_e32 v3, v7, v3, vcc
	v_cndmask_b32_e32 v2, 0, v2, vcc
	s_branch .LBB48_813
.LBB48_812:
	s_mov_b64 s[30:31], -1
                                        ; implicit-def: $vgpr2_vgpr3
.LBB48_813:
	s_mov_b64 s[38:39], 0
.LBB48_814:
	s_and_b64 vcc, exec, s[38:39]
	s_cbranch_vccz .LBB48_818
; %bb.815:
	s_cmp_eq_u32 s43, 29
	s_cbranch_scc0 .LBB48_817
; %bb.816:
	global_load_dwordx2 v[2:3], v[0:1], off
	s_mov_b64 s[30:31], 0
	s_mov_b64 s[36:37], -1
	s_mov_b64 s[38:39], 0
	s_waitcnt vmcnt(0)
	v_cvt_f64_u32_e32 v[3:4], v3
	v_cvt_f64_u32_e32 v[5:6], v2
	v_ldexp_f64 v[3:4], v[3:4], 32
	v_add_f64 v[2:3], v[3:4], v[5:6]
	s_branch .LBB48_819
.LBB48_817:
	s_mov_b64 s[30:31], -1
                                        ; implicit-def: $vgpr2_vgpr3
.LBB48_818:
	s_mov_b64 s[38:39], 0
.LBB48_819:
	s_and_b64 vcc, exec, s[38:39]
	s_cbranch_vccz .LBB48_839
; %bb.820:
	s_cmp_lt_i32 s43, 27
	s_cbranch_scc1 .LBB48_823
; %bb.821:
	s_cmp_gt_i32 s43, 27
	s_cbranch_scc0 .LBB48_824
; %bb.822:
	global_load_dword v2, v[0:1], off
	s_mov_b64 s[36:37], 0
	s_waitcnt vmcnt(0)
	v_cvt_f64_u32_e32 v[2:3], v2
	s_branch .LBB48_825
.LBB48_823:
	s_mov_b64 s[36:37], -1
                                        ; implicit-def: $vgpr2_vgpr3
	s_branch .LBB48_828
.LBB48_824:
	s_mov_b64 s[36:37], -1
                                        ; implicit-def: $vgpr2_vgpr3
.LBB48_825:
	s_andn2_b64 vcc, exec, s[36:37]
	s_cbranch_vccnz .LBB48_827
; %bb.826:
	global_load_ushort v2, v[0:1], off
	s_waitcnt vmcnt(0)
	v_cvt_f64_u32_e32 v[2:3], v2
.LBB48_827:
	s_mov_b64 s[36:37], 0
.LBB48_828:
	s_andn2_b64 vcc, exec, s[36:37]
	s_cbranch_vccnz .LBB48_838
; %bb.829:
	global_load_ubyte v4, v[0:1], off
	s_movk_i32 s36, 0x7f
	s_waitcnt vmcnt(0)
	v_cmp_lt_i16_e32 vcc, s36, v4
	s_mov_b64 s[36:37], 0
	s_and_saveexec_b64 s[38:39], vcc
	s_xor_b64 s[38:39], exec, s[38:39]
	s_cbranch_execz .LBB48_833
; %bb.830:
	s_movk_i32 s36, 0x80
	v_cmp_eq_u16_e32 vcc, s36, v4
	s_mov_b64 s[36:37], -1
	s_and_saveexec_b64 s[40:41], vcc
; %bb.831:
	s_xor_b64 s[36:37], exec, -1
; %bb.832:
	s_or_b64 exec, exec, s[40:41]
	s_and_b64 s[36:37], s[36:37], exec
.LBB48_833:
	s_or_saveexec_b64 s[38:39], s[38:39]
	v_bfrev_b32_e32 v2, 4
	v_mov_b32_e32 v3, 0x7ff80000
	s_xor_b64 exec, exec, s[38:39]
; %bb.834:
	v_cmp_ne_u16_e32 vcc, 0, v4
	v_mov_b32_e32 v2, 0
	s_andn2_b64 s[36:37], s[36:37], exec
	s_and_b64 s[40:41], vcc, exec
	v_mov_b32_e32 v3, 0
	s_or_b64 s[36:37], s[36:37], s[40:41]
; %bb.835:
	s_or_b64 exec, exec, s[38:39]
	s_and_saveexec_b64 s[38:39], s[36:37]
	s_cbranch_execz .LBB48_837
; %bb.836:
	v_and_b32_e32 v3, 0xffff, v4
	v_lshlrev_b32_e32 v2, 24, v4
	v_and_b32_e32 v4, 7, v3
	v_ffbh_u32_e32 v6, v4
	v_min_u32_e32 v6, 32, v6
	v_subrev_u32_e32 v7, 28, v6
	v_bfe_u32 v5, v3, 3, 4
	v_lshlrev_b32_e32 v3, v7, v3
	v_sub_u32_e32 v6, 29, v6
	v_and_b32_e32 v3, 7, v3
	v_cmp_eq_u32_e32 vcc, 0, v5
	v_cndmask_b32_e32 v5, v5, v6, vcc
	v_cndmask_b32_e32 v3, v4, v3, vcc
	v_mov_b32_e32 v4, 0x3b800000
	v_lshlrev_b32_e32 v3, 20, v3
	v_and_b32_e32 v2, 0x80000000, v2
	v_lshl_add_u32 v4, v5, 23, v4
	v_or3_b32 v2, v2, v4, v3
	v_cvt_f64_f32_e32 v[2:3], v2
.LBB48_837:
	s_or_b64 exec, exec, s[38:39]
.LBB48_838:
	s_mov_b64 s[36:37], -1
.LBB48_839:
	s_mov_b64 s[38:39], 0
.LBB48_840:
	s_and_b64 vcc, exec, s[38:39]
	s_cbranch_vccz .LBB48_871
; %bb.841:
	s_cmp_gt_i32 s43, 22
	s_cbranch_scc0 .LBB48_853
; %bb.842:
	s_cmp_lt_i32 s43, 24
	s_cbranch_scc1 .LBB48_854
; %bb.843:
	s_cmp_gt_i32 s43, 24
	s_cbranch_scc0 .LBB48_855
; %bb.844:
	global_load_ubyte v4, v[0:1], off
	s_movk_i32 s34, 0x7f
	s_waitcnt vmcnt(0)
	v_cmp_lt_i16_e32 vcc, s34, v4
	s_mov_b64 s[34:35], 0
	s_and_saveexec_b64 s[36:37], vcc
	s_xor_b64 s[36:37], exec, s[36:37]
	s_cbranch_execz .LBB48_848
; %bb.845:
	s_movk_i32 s34, 0x80
	v_cmp_eq_u16_e32 vcc, s34, v4
	s_mov_b64 s[34:35], -1
	s_and_saveexec_b64 s[38:39], vcc
; %bb.846:
	s_xor_b64 s[34:35], exec, -1
; %bb.847:
	s_or_b64 exec, exec, s[38:39]
	s_and_b64 s[34:35], s[34:35], exec
.LBB48_848:
	s_or_saveexec_b64 s[36:37], s[36:37]
	v_bfrev_b32_e32 v2, 4
	v_mov_b32_e32 v3, 0x7ff80000
	s_xor_b64 exec, exec, s[36:37]
; %bb.849:
	v_cmp_ne_u16_e32 vcc, 0, v4
	v_mov_b32_e32 v2, 0
	s_andn2_b64 s[34:35], s[34:35], exec
	s_and_b64 s[38:39], vcc, exec
	v_mov_b32_e32 v3, 0
	s_or_b64 s[34:35], s[34:35], s[38:39]
; %bb.850:
	s_or_b64 exec, exec, s[36:37]
	s_and_saveexec_b64 s[36:37], s[34:35]
	s_cbranch_execz .LBB48_852
; %bb.851:
	v_and_b32_e32 v3, 0xffff, v4
	v_lshlrev_b32_e32 v2, 24, v4
	v_and_b32_e32 v4, 3, v3
	v_ffbh_u32_e32 v6, v4
	v_min_u32_e32 v6, 32, v6
	v_subrev_u32_e32 v7, 29, v6
	v_bfe_u32 v5, v3, 2, 5
	v_lshlrev_b32_e32 v3, v7, v3
	v_sub_u32_e32 v6, 30, v6
	v_and_b32_e32 v3, 3, v3
	v_cmp_eq_u32_e32 vcc, 0, v5
	v_cndmask_b32_e32 v5, v5, v6, vcc
	v_cndmask_b32_e32 v3, v4, v3, vcc
	v_mov_b32_e32 v4, 0x37800000
	v_lshlrev_b32_e32 v3, 21, v3
	v_and_b32_e32 v2, 0x80000000, v2
	v_lshl_add_u32 v4, v5, 23, v4
	v_or3_b32 v2, v2, v4, v3
	v_cvt_f64_f32_e32 v[2:3], v2
.LBB48_852:
	s_or_b64 exec, exec, s[36:37]
	s_mov_b64 s[34:35], 0
	s_branch .LBB48_856
.LBB48_853:
	s_mov_b64 s[34:35], -1
                                        ; implicit-def: $vgpr2_vgpr3
	s_branch .LBB48_862
.LBB48_854:
	s_mov_b64 s[34:35], -1
                                        ; implicit-def: $vgpr2_vgpr3
	s_branch .LBB48_859
.LBB48_855:
	s_mov_b64 s[34:35], -1
                                        ; implicit-def: $vgpr2_vgpr3
.LBB48_856:
	s_and_b64 vcc, exec, s[34:35]
	s_cbranch_vccz .LBB48_858
; %bb.857:
	global_load_ubyte v2, v[0:1], off
	s_mov_b32 s34, 0x7f800000
	s_waitcnt vmcnt(0)
	v_lshlrev_b32_e32 v2, 24, v2
	v_and_b32_e32 v3, 0x7f000000, v2
	v_ffbh_u32_e32 v4, v3
	v_min_u32_e32 v4, 32, v4
	v_sub_u32_e64 v4, v4, 4 clamp
	v_lshlrev_b32_e32 v6, v4, v3
	v_lshlrev_b32_e32 v4, 23, v4
	v_lshrrev_b32_e32 v6, 4, v6
	v_add_u32_e32 v5, 0x1000000, v3
	v_sub_u32_e32 v4, v6, v4
	v_ashrrev_i32_e32 v5, 8, v5
	v_add_u32_e32 v4, 0x3c000000, v4
	v_and_or_b32 v4, v5, s34, v4
	v_cmp_ne_u32_e32 vcc, 0, v3
	v_cndmask_b32_e32 v3, 0, v4, vcc
	s_brev_b32 s34, 1
	v_and_or_b32 v2, v2, s34, v3
	v_cvt_f64_f32_e32 v[2:3], v2
.LBB48_858:
	s_mov_b64 s[34:35], 0
.LBB48_859:
	s_andn2_b64 vcc, exec, s[34:35]
	s_cbranch_vccnz .LBB48_861
; %bb.860:
	global_load_ubyte v2, v[0:1], off
	s_movk_i32 s34, 0x7f00
	s_brev_b32 s35, 16
	s_waitcnt vmcnt(0)
	v_lshlrev_b16_e32 v3, 8, v2
	v_lshlrev_b32_e32 v2, 25, v2
	v_lshrrev_b32_e32 v4, 4, v2
	v_and_or_b32 v5, v3, s34, 0.5
	v_or_b32_e32 v4, 0x70000000, v4
	v_add_f32_e32 v5, -0.5, v5
	v_mul_f32_e32 v4, 0x7800000, v4
	v_cmp_gt_u32_e32 vcc, s35, v2
	v_bfe_i32 v3, v3, 0, 16
	v_cndmask_b32_e32 v2, v4, v5, vcc
	s_brev_b32 s34, 1
	v_and_or_b32 v2, v3, s34, v2
	v_cvt_f64_f32_e32 v[2:3], v2
.LBB48_861:
	s_mov_b64 s[34:35], 0
	s_mov_b64 s[36:37], -1
.LBB48_862:
	s_andn2_b64 vcc, exec, s[34:35]
	s_mov_b64 s[34:35], 0
	s_cbranch_vccnz .LBB48_871
; %bb.863:
	s_cmp_gt_i32 s43, 14
	s_cbranch_scc0 .LBB48_866
; %bb.864:
	s_cmp_eq_u32 s43, 15
	s_cbranch_scc0 .LBB48_867
; %bb.865:
	global_load_ushort v2, v[0:1], off
	s_mov_b64 s[30:31], 0
	s_mov_b64 s[36:37], -1
	s_waitcnt vmcnt(0)
	v_lshlrev_b32_e32 v2, 16, v2
	v_cvt_f64_f32_e32 v[2:3], v2
	s_branch .LBB48_868
.LBB48_866:
	s_mov_b64 s[38:39], -1
                                        ; implicit-def: $vgpr2_vgpr3
	s_branch .LBB48_869
.LBB48_867:
	s_mov_b64 s[30:31], -1
                                        ; implicit-def: $vgpr2_vgpr3
.LBB48_868:
	s_mov_b64 s[38:39], 0
.LBB48_869:
	s_and_b64 vcc, exec, s[38:39]
	s_cbranch_vccz .LBB48_871
; %bb.870:
	s_cmp_lg_u32 s43, 11
	s_cselect_b64 s[38:39], -1, 0
	s_andn2_b64 s[30:31], s[30:31], exec
	s_and_b64 s[38:39], s[38:39], exec
	s_mov_b64 s[34:35], -1
	s_or_b64 s[30:31], s[30:31], s[38:39]
.LBB48_871:
	s_mov_b64 s[38:39], 0
.LBB48_872:
	s_and_b64 s[40:41], s[36:37], exec
	s_and_b64 s[36:37], s[38:39], exec
	s_andn2_b64 s[38:39], s[0:1], exec
	s_and_b64 s[30:31], s[30:31], exec
	s_and_b64 s[34:35], s[34:35], exec
	s_or_b64 s[38:39], s[38:39], s[30:31]
.LBB48_873:
	s_or_b64 exec, exec, s[6:7]
	s_and_b64 s[30:31], s[34:35], exec
	s_andn2_b64 s[0:1], s[0:1], exec
	s_and_b64 s[34:35], s[38:39], exec
	s_and_b64 s[6:7], s[40:41], exec
	s_and_b64 s[36:37], s[36:37], exec
	s_or_b64 s[0:1], s[0:1], s[34:35]
.LBB48_874:
	s_or_b64 exec, exec, s[4:5]
	s_andn2_b64 s[4:5], s[26:27], exec
	s_and_b64 s[2:3], s[2:3], exec
	s_andn2_b64 s[24:25], s[24:25], exec
	s_and_b64 s[0:1], s[0:1], exec
	s_or_b64 s[26:27], s[4:5], s[2:3]
	s_and_b64 s[6:7], s[6:7], exec
	s_and_b64 s[4:5], s[36:37], exec
	;; [unrolled: 1-line block ×3, first 2 shown]
	s_or_b64 s[24:25], s[24:25], s[0:1]
.LBB48_875:
	s_or_b64 exec, exec, s[28:29]
	s_andn2_b64 s[0:1], s[14:15], exec
	s_and_b64 s[14:15], s[26:27], exec
	s_or_b64 s[14:15], s[0:1], s[14:15]
	s_and_b64 s[0:1], s[6:7], exec
	s_and_b64 s[26:27], s[2:3], exec
	s_andn2_b64 s[2:3], s[18:19], exec
	s_and_b64 s[6:7], s[24:25], exec
	s_and_b64 s[4:5], s[4:5], exec
	s_or_b64 s[18:19], s[2:3], s[6:7]
	s_or_b64 exec, exec, s[22:23]
	s_mov_b64 s[22:23], 0
	s_and_saveexec_b64 s[2:3], s[18:19]
	s_cbranch_execz .LBB48_267
.LBB48_876:
	s_mov_b64 s[22:23], exec
	s_andn2_b64 s[26:27], s[26:27], exec
	s_trap 2
	s_or_b64 exec, exec, s[2:3]
	s_and_saveexec_b64 s[2:3], s[26:27]
	s_xor_b64 s[2:3], exec, s[2:3]
	s_cbranch_execnz .LBB48_268
.LBB48_877:
	s_or_b64 exec, exec, s[2:3]
	s_and_saveexec_b64 s[2:3], s[4:5]
	s_cbranch_execz .LBB48_923
.LBB48_878:
	s_sext_i32_i16 s4, s42
	s_cmp_lt_i32 s4, 5
	s_cbranch_scc1 .LBB48_883
; %bb.879:
	s_cmp_lt_i32 s4, 8
	s_cbranch_scc1 .LBB48_884
; %bb.880:
	;; [unrolled: 3-line block ×3, first 2 shown]
	s_cmp_gt_i32 s4, 9
	s_cbranch_scc0 .LBB48_886
; %bb.882:
	s_waitcnt vmcnt(0)
	global_load_dwordx2 v[2:3], v[0:1], off
	s_mov_b64 s[4:5], 0
	s_branch .LBB48_887
.LBB48_883:
                                        ; implicit-def: $vgpr2_vgpr3
	s_branch .LBB48_904
.LBB48_884:
                                        ; implicit-def: $vgpr2_vgpr3
	s_branch .LBB48_893
.LBB48_885:
	s_mov_b64 s[4:5], -1
                                        ; implicit-def: $vgpr2_vgpr3
	s_branch .LBB48_890
.LBB48_886:
	s_mov_b64 s[4:5], -1
                                        ; implicit-def: $vgpr2_vgpr3
.LBB48_887:
	s_andn2_b64 vcc, exec, s[4:5]
	s_cbranch_vccnz .LBB48_889
; %bb.888:
	s_waitcnt vmcnt(0)
	global_load_dword v2, v[0:1], off
	s_waitcnt vmcnt(0)
	v_cvt_f64_f32_e32 v[2:3], v2
.LBB48_889:
	s_mov_b64 s[4:5], 0
.LBB48_890:
	s_andn2_b64 vcc, exec, s[4:5]
	s_cbranch_vccnz .LBB48_892
; %bb.891:
	s_waitcnt vmcnt(0)
	global_load_dword v2, v[0:1], off
	s_waitcnt vmcnt(0)
	v_cvt_f32_f16_e32 v2, v2
	v_cvt_f64_f32_e32 v[2:3], v2
.LBB48_892:
	s_cbranch_execnz .LBB48_903
.LBB48_893:
	s_sext_i32_i16 s4, s42
	s_cmp_lt_i32 s4, 6
	s_cbranch_scc1 .LBB48_896
; %bb.894:
	s_cmp_gt_i32 s4, 6
	s_cbranch_scc0 .LBB48_897
; %bb.895:
	s_waitcnt vmcnt(0)
	global_load_dwordx2 v[2:3], v[0:1], off
	s_mov_b64 s[4:5], 0
	s_branch .LBB48_898
.LBB48_896:
	s_mov_b64 s[4:5], -1
                                        ; implicit-def: $vgpr2_vgpr3
	s_branch .LBB48_901
.LBB48_897:
	s_mov_b64 s[4:5], -1
                                        ; implicit-def: $vgpr2_vgpr3
.LBB48_898:
	s_andn2_b64 vcc, exec, s[4:5]
	s_cbranch_vccnz .LBB48_900
; %bb.899:
	s_waitcnt vmcnt(0)
	global_load_dword v2, v[0:1], off
	s_waitcnt vmcnt(0)
	v_cvt_f64_f32_e32 v[2:3], v2
.LBB48_900:
	s_mov_b64 s[4:5], 0
.LBB48_901:
	s_andn2_b64 vcc, exec, s[4:5]
	s_cbranch_vccnz .LBB48_903
; %bb.902:
	s_waitcnt vmcnt(0)
	global_load_ushort v2, v[0:1], off
	s_waitcnt vmcnt(0)
	v_cvt_f32_f16_e32 v2, v2
	v_cvt_f64_f32_e32 v[2:3], v2
.LBB48_903:
	s_cbranch_execnz .LBB48_922
.LBB48_904:
	s_sext_i32_i16 s4, s42
	s_cmp_lt_i32 s4, 2
	s_cbranch_scc1 .LBB48_908
; %bb.905:
	s_cmp_lt_i32 s4, 3
	s_cbranch_scc1 .LBB48_909
; %bb.906:
	s_cmp_gt_i32 s4, 3
	s_cbranch_scc0 .LBB48_910
; %bb.907:
	s_waitcnt vmcnt(0)
	global_load_dwordx2 v[2:3], v[0:1], off
	s_mov_b64 s[4:5], 0
	s_waitcnt vmcnt(0)
	v_cvt_f64_i32_e32 v[3:4], v3
	v_cvt_f64_u32_e32 v[5:6], v2
	v_ldexp_f64 v[3:4], v[3:4], 32
	v_add_f64 v[2:3], v[3:4], v[5:6]
	s_branch .LBB48_911
.LBB48_908:
                                        ; implicit-def: $vgpr2_vgpr3
	s_branch .LBB48_917
.LBB48_909:
	s_mov_b64 s[4:5], -1
                                        ; implicit-def: $vgpr2_vgpr3
	s_branch .LBB48_914
.LBB48_910:
	s_mov_b64 s[4:5], -1
                                        ; implicit-def: $vgpr2_vgpr3
.LBB48_911:
	s_andn2_b64 vcc, exec, s[4:5]
	s_cbranch_vccnz .LBB48_913
; %bb.912:
	s_waitcnt vmcnt(0)
	global_load_dword v2, v[0:1], off
	s_waitcnt vmcnt(0)
	v_cvt_f64_i32_e32 v[2:3], v2
.LBB48_913:
	s_mov_b64 s[4:5], 0
.LBB48_914:
	s_andn2_b64 vcc, exec, s[4:5]
	s_cbranch_vccnz .LBB48_916
; %bb.915:
	s_waitcnt vmcnt(0)
	global_load_sshort v2, v[0:1], off
	s_waitcnt vmcnt(0)
	v_cvt_f64_i32_e32 v[2:3], v2
.LBB48_916:
	s_cbranch_execnz .LBB48_922
.LBB48_917:
	s_sext_i32_i16 s4, s42
	s_cmp_gt_i32 s4, 0
	s_cbranch_scc0 .LBB48_919
; %bb.918:
	s_waitcnt vmcnt(0)
	global_load_sbyte v2, v[0:1], off
	s_mov_b64 s[4:5], 0
	s_waitcnt vmcnt(0)
	v_cvt_f64_i32_e32 v[2:3], v2
	s_branch .LBB48_920
.LBB48_919:
	s_mov_b64 s[4:5], -1
                                        ; implicit-def: $vgpr2_vgpr3
.LBB48_920:
	s_andn2_b64 vcc, exec, s[4:5]
	s_cbranch_vccnz .LBB48_922
; %bb.921:
	s_waitcnt vmcnt(0)
	global_load_ubyte v0, v[0:1], off
	s_waitcnt vmcnt(0)
	v_cvt_f64_u32_e32 v[2:3], v0
.LBB48_922:
	s_or_b64 s[0:1], s[0:1], exec
.LBB48_923:
	s_or_b64 exec, exec, s[2:3]
	s_mov_b64 s[4:5], 0
	s_mov_b64 s[2:3], 0
                                        ; implicit-def: $sgpr26
                                        ; implicit-def: $vgpr4_vgpr5
                                        ; implicit-def: $vgpr0_vgpr1
	s_and_saveexec_b64 s[18:19], s[0:1]
	s_cbranch_execz .LBB48_937
; %bb.924:
	s_waitcnt vmcnt(0)
	v_cmp_gt_f64_e32 vcc, 0.5, v[2:3]
	v_mov_b32_e32 v4, 0
	v_mov_b32_e32 v0, 0
	v_mov_b32_e32 v5, 0
	v_mov_b32_e32 v1, 0x3ff00000
	s_and_saveexec_b64 s[2:3], vcc
	s_cbranch_execz .LBB48_930
; %bb.925:
	s_mov_b32 s5, 0x400921fb
	s_mov_b32 s4, 0x54442d18
	v_mul_f64 v[0:1], v[2:3], s[4:5]
	s_mov_b32 s0, 0
	s_mov_b32 s1, 0x41d00000
                                        ; implicit-def: $vgpr8
                                        ; implicit-def: $vgpr4_vgpr5
                                        ; implicit-def: $vgpr6_vgpr7
	v_cmp_nlt_f64_e64 s[0:1], |v[0:1]|, s[0:1]
	s_and_saveexec_b64 s[6:7], s[0:1]
	s_xor_b64 s[6:7], exec, s[6:7]
	s_cbranch_execz .LBB48_927
; %bb.926:
	v_trig_preop_f64 v[4:5], |v[0:1]|, 0
	s_mov_b32 s0, 0
	s_mov_b32 s1, 0x7b000000
	s_movk_i32 s5, 0xff80
	v_ldexp_f64 v[8:9], |v[0:1]|, s5
	v_cmp_ge_f64_e64 vcc, |v[0:1]|, s[0:1]
	v_trig_preop_f64 v[6:7], |v[0:1]|, 1
	v_and_b32_e32 v10, 0x7fffffff, v1
	v_trig_preop_f64 v[16:17], |v[0:1]|, 2
	s_mov_b32 s0, 0
	s_mov_b32 s1, 0x7ff00000
	v_mov_b32_e32 v27, 0x40100000
	v_mov_b32_e32 v26, 0
	v_cndmask_b32_e32 v9, v10, v9, vcc
	v_cndmask_b32_e32 v8, v0, v8, vcc
	s_mov_b32 s5, 0x3ff921fb
	v_mul_f64 v[10:11], v[4:5], v[8:9]
	v_mul_f64 v[12:13], v[6:7], v[8:9]
	;; [unrolled: 1-line block ×3, first 2 shown]
	v_fma_f64 v[4:5], v[4:5], v[8:9], -v[10:11]
	v_fma_f64 v[6:7], v[6:7], v[8:9], -v[12:13]
	v_fma_f64 v[8:9], v[16:17], v[8:9], -v[22:23]
	v_add_f64 v[14:15], v[12:13], v[4:5]
	v_add_f64 v[18:19], v[14:15], -v[12:13]
	v_add_f64 v[24:25], v[10:11], v[14:15]
	v_add_f64 v[20:21], v[14:15], -v[18:19]
	v_add_f64 v[4:5], v[4:5], -v[18:19]
	v_add_f64 v[18:19], v[22:23], v[6:7]
	v_add_f64 v[10:11], v[24:25], -v[10:11]
	v_add_f64 v[12:13], v[12:13], -v[20:21]
	v_ldexp_f64 v[20:21], v[24:25], -2
	v_add_f64 v[28:29], v[18:19], -v[22:23]
	v_add_f64 v[10:11], v[14:15], -v[10:11]
	v_add_f64 v[4:5], v[4:5], v[12:13]
	v_fract_f64_e32 v[12:13], v[20:21]
	v_cmp_neq_f64_e64 vcc, |v[20:21]|, s[0:1]
	v_add_f64 v[6:7], v[6:7], -v[28:29]
	v_add_f64 v[14:15], v[18:19], v[4:5]
	v_ldexp_f64 v[12:13], v[12:13], 2
	v_add_f64 v[20:21], v[10:11], v[14:15]
	v_cndmask_b32_e32 v13, 0, v13, vcc
	v_cndmask_b32_e32 v12, 0, v12, vcc
	v_add_f64 v[31:32], v[14:15], -v[18:19]
	v_add_f64 v[24:25], v[20:21], v[12:13]
	v_add_f64 v[10:11], v[20:21], -v[10:11]
	v_add_f64 v[33:34], v[14:15], -v[31:32]
	;; [unrolled: 1-line block ×3, first 2 shown]
	v_cmp_gt_f64_e32 vcc, 0, v[24:25]
	v_add_f64 v[24:25], v[18:19], -v[28:29]
	v_add_f64 v[10:11], v[14:15], -v[10:11]
	;; [unrolled: 1-line block ×3, first 2 shown]
	v_cndmask_b32_e32 v27, 0, v27, vcc
	v_add_f64 v[12:13], v[12:13], v[26:27]
	v_add_f64 v[24:25], v[22:23], -v[24:25]
	v_add_f64 v[4:5], v[4:5], v[18:19]
	v_add_f64 v[35:36], v[20:21], v[12:13]
	;; [unrolled: 1-line block ×3, first 2 shown]
	v_cvt_i32_f64_e32 v29, v[35:36]
	v_add_f64 v[4:5], v[6:7], v[4:5]
	v_cvt_f64_i32_e32 v[27:28], v29
	v_add_f64 v[12:13], v[12:13], -v[27:28]
	v_add_f64 v[4:5], v[8:9], v[4:5]
	v_add_f64 v[6:7], v[20:21], v[12:13]
	;; [unrolled: 1-line block ×3, first 2 shown]
	v_mov_b32_e32 v11, 0x3ff00000
	v_add_f64 v[8:9], v[6:7], -v[12:13]
	v_cmp_le_f64_e32 vcc, 0.5, v[6:7]
	v_add_f64 v[9:10], v[20:21], -v[8:9]
	v_cndmask_b32_e32 v27, 0, v11, vcc
	v_add_f64 v[6:7], v[6:7], -v[26:27]
	v_addc_co_u32_e64 v8, s[0:1], 0, v29, vcc
	s_mov_b32 s0, 0x33145c07
	s_mov_b32 s1, 0x3c91a626
	v_add_f64 v[4:5], v[4:5], v[9:10]
	v_add_f64 v[9:10], v[6:7], v[4:5]
	v_mul_f64 v[11:12], v[9:10], s[4:5]
	v_add_f64 v[6:7], v[9:10], -v[6:7]
	v_fma_f64 v[13:14], v[9:10], s[4:5], -v[11:12]
	v_add_f64 v[4:5], v[4:5], -v[6:7]
	v_fma_f64 v[6:7], v[9:10], s[0:1], v[13:14]
	v_fma_f64 v[6:7], v[4:5], s[4:5], v[6:7]
	v_add_f64 v[4:5], v[11:12], v[6:7]
	v_add_f64 v[9:10], v[4:5], -v[11:12]
	v_add_f64 v[6:7], v[6:7], -v[9:10]
.LBB48_927:
	s_andn2_saveexec_b64 s[0:1], s[6:7]
	s_cbranch_execz .LBB48_929
; %bb.928:
	s_mov_b32 s4, 0x6dc9c883
	s_mov_b32 s5, 0x3fe45f30
	v_mul_f64 v[4:5], |v[0:1]|, s[4:5]
	s_mov_b32 s4, 0x54442d18
	s_mov_b32 s5, 0xbff921fb
	;; [unrolled: 1-line block ×4, first 2 shown]
	v_rndne_f64_e32 v[8:9], v[4:5]
	v_fma_f64 v[4:5], v[8:9], s[4:5], |v[0:1]|
	v_mul_f64 v[6:7], v[8:9], s[6:7]
	s_mov_b32 s4, 0x252049c0
	s_mov_b32 s5, 0xb97b839a
	v_fma_f64 v[14:15], v[8:9], s[6:7], v[4:5]
	v_add_f64 v[10:11], v[4:5], v[6:7]
	s_mov_b32 s7, 0x3c91a626
	v_add_f64 v[12:13], v[4:5], -v[10:11]
	v_add_f64 v[10:11], v[10:11], -v[14:15]
	v_add_f64 v[4:5], v[12:13], v[6:7]
	v_fma_f64 v[6:7], v[8:9], s[6:7], v[6:7]
	v_add_f64 v[4:5], v[10:11], v[4:5]
	v_add_f64 v[4:5], v[4:5], -v[6:7]
	v_fma_f64 v[6:7], v[8:9], s[4:5], v[4:5]
	v_cvt_i32_f64_e32 v8, v[8:9]
	v_add_f64 v[4:5], v[14:15], v[6:7]
	v_add_f64 v[10:11], v[4:5], -v[14:15]
	v_add_f64 v[6:7], v[6:7], -v[10:11]
.LBB48_929:
	s_or_b64 exec, exec, s[0:1]
	v_mul_f64 v[9:10], v[4:5], v[4:5]
	s_mov_b32 s0, 0xf9a43bb8
	v_mov_b32_e32 v12, 0xb42fdfa7
	v_mov_b32_e32 v13, 0xbe5ae600
	s_mov_b32 s1, 0x3de5e0b2
	s_mov_b32 s4, 0x796cde01
	v_mov_b32_e32 v11, 0x9037ab78
	s_mov_b32 s5, 0x3ec71de3
	v_fma_f64 v[13:14], v[9:10], s[0:1], v[12:13]
	s_mov_b32 s0, 0x46cc5e42
	v_mov_b32_e32 v12, 0x3e21eeb6
	s_mov_b32 s1, 0xbda907db
	v_fma_f64 v[11:12], v[9:10], s[0:1], v[11:12]
	v_mul_f64 v[15:16], v[9:10], 0.5
	s_mov_b32 s0, 0xa17f65f6
	s_mov_b32 s6, 0x19e83e5c
	v_fma_f64 v[13:14], v[9:10], v[13:14], s[4:5]
	s_mov_b32 s1, 0xbe927e4f
	s_mov_b32 s7, 0xbf2a01a0
	;; [unrolled: 1-line block ×3, first 2 shown]
	v_fma_f64 v[11:12], v[9:10], v[11:12], s[0:1]
	v_add_f64 v[17:18], -v[15:16], 1.0
	s_mov_b32 s0, 0x11110bb3
	s_mov_b32 s5, 0x3efa01a0
	v_fma_f64 v[13:14], v[9:10], v[13:14], s[6:7]
	s_mov_b32 s1, 0x3f811111
	v_mul_f64 v[19:20], v[6:7], 0.5
	v_mul_f64 v[21:22], v[4:5], -v[9:10]
	v_fma_f64 v[11:12], v[9:10], v[11:12], s[4:5]
	v_add_f64 v[23:24], -v[17:18], 1.0
	v_add_f64 v[2:3], -v[2:3], 1.0
	v_fma_f64 v[13:14], v[9:10], v[13:14], s[0:1]
	s_mov_b32 s0, 0x16c16967
	s_mov_b32 s1, 0xbf56c16c
	v_fma_f64 v[11:12], v[9:10], v[11:12], s[0:1]
	v_add_f64 v[15:16], v[23:24], -v[15:16]
	s_mov_b32 s1, 0x3fa55555
	s_mov_b32 s0, 0x55555555
	v_fma_f64 v[13:14], v[21:22], v[13:14], v[19:20]
	v_mul_f64 v[19:20], v[9:10], v[9:10]
	v_fma_f64 v[11:12], v[9:10], v[11:12], s[0:1]
	v_fma_f64 v[15:16], v[4:5], -v[6:7], v[15:16]
	s_mov_b32 s1, 0xbfc55555
	v_fma_f64 v[6:7], v[9:10], v[13:14], -v[6:7]
	v_fma_f64 v[9:10], v[19:20], v[11:12], v[15:16]
	v_fma_f64 v[6:7], v[21:22], s[0:1], v[6:7]
	s_movk_i32 s0, 0x1f8
	v_cmp_class_f64_e64 s[0:1], v[0:1], s0
	v_lshlrev_b32_e32 v0, 30, v8
	v_xor_b32_e32 v0, v0, v1
	v_add_f64 v[9:10], v[17:18], v[9:10]
	v_and_b32_e32 v0, 0x80000000, v0
	v_add_f64 v[4:5], v[4:5], -v[6:7]
	v_and_b32_e32 v6, 1, v8
	v_cmp_eq_u32_e32 vcc, 0, v6
	v_mov_b32_e32 v6, 0x7ff80000
	v_cndmask_b32_e32 v1, v10, v5, vcc
	v_cndmask_b32_e32 v4, v9, v4, vcc
	v_xor_b32_e32 v1, v1, v0
	v_cndmask_b32_e64 v0, 0, v4, s[0:1]
	v_cndmask_b32_e64 v1, v6, v1, s[0:1]
	v_mul_f64 v[0:1], v[0:1], v[0:1]
	s_mov_b32 s0, 0xc9be45de
	s_mov_b32 s1, 0xc023bd3c
	v_div_scale_f64 v[4:5], s[4:5], v[0:1], v[0:1], s[0:1]
	v_rcp_f64_e32 v[6:7], v[4:5]
	v_fma_f64 v[8:9], -v[4:5], v[6:7], 1.0
	v_fma_f64 v[6:7], v[6:7], v[8:9], v[6:7]
	v_div_scale_f64 v[8:9], vcc, s[0:1], v[0:1], s[0:1]
	v_fma_f64 v[10:11], -v[4:5], v[6:7], 1.0
	v_fma_f64 v[6:7], v[6:7], v[10:11], v[6:7]
	v_mul_f64 v[10:11], v[8:9], v[6:7]
	v_fma_f64 v[4:5], -v[4:5], v[10:11], v[8:9]
	v_div_fmas_f64 v[4:5], v[4:5], v[6:7], v[10:11]
	v_div_fixup_f64 v[0:1], v[4:5], v[0:1], s[0:1]
	v_add_f64 v[4:5], v[0:1], 0
	v_mov_b32_e32 v0, 0
	v_mov_b32_e32 v1, 0xbff00000
.LBB48_930:
	s_or_b64 exec, exec, s[2:3]
	v_add_f64 v[8:9], v[2:3], 1.0
	v_mul_f64 v[6:7], v[2:3], v[2:3]
	s_and_b32 s26, s33, 0xff
	s_cmp_lt_i32 s26, 11
	v_mul_f64 v[2:3], v[8:9], v[8:9]
	v_div_scale_f64 v[18:19], s[0:1], v[6:7], v[6:7], 1.0
	v_add_f64 v[10:11], v[8:9], 1.0
	v_div_scale_f64 v[35:36], vcc, 1.0, v[6:7], 1.0
	v_div_scale_f64 v[20:21], s[0:1], v[2:3], v[2:3], 1.0
	v_mul_f64 v[8:9], v[10:11], v[10:11]
	v_add_f64 v[12:13], v[10:11], 1.0
	v_rcp_f64_e32 v[14:15], v[18:19]
	v_div_scale_f64 v[22:23], s[0:1], v[8:9], v[8:9], 1.0
	v_mul_f64 v[10:11], v[12:13], v[12:13]
	v_add_f64 v[12:13], v[12:13], 1.0
	v_rcp_f64_e32 v[16:17], v[20:21]
	v_div_scale_f64 v[24:25], s[0:1], v[10:11], v[10:11], 1.0
	v_add_f64 v[31:32], v[12:13], 1.0
	v_mul_f64 v[12:13], v[12:13], v[12:13]
	v_fma_f64 v[26:27], -v[18:19], v[14:15], 1.0
	v_div_scale_f64 v[39:40], s[0:1], 1.0, v[2:3], 1.0
	v_rcp_f64_e32 v[28:29], v[22:23]
	v_div_scale_f64 v[43:44], s[2:3], v[12:13], v[12:13], 1.0
	v_fma_f64 v[33:34], -v[20:21], v[16:17], 1.0
	v_fma_f64 v[26:27], v[14:15], v[26:27], v[14:15]
	v_add_f64 v[14:15], v[31:32], 1.0
	v_rcp_f64_e32 v[37:38], v[24:25]
	v_fma_f64 v[33:34], v[16:17], v[33:34], v[16:17]
	v_mul_f64 v[16:17], v[31:32], v[31:32]
	v_fma_f64 v[31:32], -v[18:19], v[26:27], 1.0
	v_fma_f64 v[41:42], -v[22:23], v[28:29], 1.0
	v_mul_f64 v[47:48], v[14:15], v[14:15]
	v_add_f64 v[51:52], v[14:15], v[14:15]
	v_fma_f64 v[45:46], -v[20:21], v[33:34], 1.0
	v_div_scale_f64 v[49:50], s[2:3], v[16:17], v[16:17], 1.0
	v_fma_f64 v[26:27], v[26:27], v[31:32], v[26:27]
	v_fma_f64 v[28:29], v[28:29], v[41:42], v[28:29]
	v_fma_f64 v[31:32], -v[24:25], v[37:38], 1.0
	v_div_scale_f64 v[41:42], s[2:3], v[47:48], v[47:48], 1.0
	v_fma_f64 v[33:34], v[33:34], v[45:46], v[33:34]
	v_div_scale_f64 v[45:46], s[2:3], 1.0, v[8:9], 1.0
	v_mul_f64 v[53:54], v[35:36], v[26:27]
	v_fma_f64 v[55:56], -v[22:23], v[28:29], 1.0
	v_fma_f64 v[31:32], v[37:38], v[31:32], v[37:38]
	v_div_scale_f64 v[57:58], s[4:5], v[51:52], v[51:52], 1.0
	v_mul_f64 v[37:38], v[39:40], v[33:34]
	v_fma_f64 v[18:19], -v[18:19], v[53:54], v[35:36]
	v_rcp_f64_e32 v[35:36], v[43:44]
	v_fma_f64 v[28:29], v[28:29], v[55:56], v[28:29]
	v_rcp_f64_e32 v[55:56], v[49:50]
	v_fma_f64 v[20:21], -v[20:21], v[37:38], v[39:40]
	v_rcp_f64_e32 v[39:40], v[41:42]
	v_div_fmas_f64 v[18:19], v[18:19], v[26:27], v[53:54]
	s_mov_b64 vcc, s[0:1]
	v_fma_f64 v[26:27], -v[24:25], v[31:32], 1.0
	v_mul_f64 v[53:54], v[45:46], v[28:29]
	v_div_fmas_f64 v[20:21], v[20:21], v[33:34], v[37:38]
	v_rcp_f64_e32 v[33:34], v[57:58]
	v_div_scale_f64 v[37:38], s[0:1], 1.0, v[10:11], 1.0
	s_mov_b64 vcc, s[2:3]
	v_fma_f64 v[26:27], v[31:32], v[26:27], v[31:32]
	v_fma_f64 v[31:32], -v[43:44], v[35:36], 1.0
	v_fma_f64 v[22:23], -v[22:23], v[53:54], v[45:46]
	v_fma_f64 v[45:46], -v[49:50], v[55:56], 1.0
	v_div_fixup_f64 v[6:7], v[18:19], v[6:7], 1.0
	v_fma_f64 v[31:32], v[35:36], v[31:32], v[35:36]
	v_fma_f64 v[35:36], -v[41:42], v[39:40], 1.0
	v_fma_f64 v[45:46], v[55:56], v[45:46], v[55:56]
	v_fma_f64 v[55:56], -v[57:58], v[33:34], 1.0
	v_div_fmas_f64 v[22:23], v[22:23], v[28:29], v[53:54]
	v_mul_f64 v[28:29], v[37:38], v[26:27]
	s_mov_b64 vcc, s[0:1]
	v_add_f64 v[4:5], v[4:5], v[6:7]
	v_fma_f64 v[53:54], -v[43:44], v[31:32], 1.0
	v_fma_f64 v[35:36], v[39:40], v[35:36], v[39:40]
	v_fma_f64 v[39:40], -v[49:50], v[45:46], 1.0
	v_fma_f64 v[33:34], v[33:34], v[55:56], v[33:34]
	v_div_scale_f64 v[55:56], s[2:3], 1.0, v[12:13], 1.0
	v_fma_f64 v[24:25], -v[24:25], v[28:29], v[37:38]
	v_div_scale_f64 v[37:38], s[4:5], 1.0, v[16:17], 1.0
	v_fma_f64 v[31:32], v[31:32], v[53:54], v[31:32]
	v_fma_f64 v[39:40], v[45:46], v[39:40], v[45:46]
	v_fma_f64 v[45:46], -v[41:42], v[35:36], 1.0
	v_div_scale_f64 v[53:54], s[6:7], 1.0, v[47:48], 1.0
	v_div_fmas_f64 v[24:25], v[24:25], v[26:27], v[28:29]
	v_fma_f64 v[26:27], -v[57:58], v[33:34], 1.0
	v_div_scale_f64 v[28:29], s[0:1], 1.0, v[51:52], 1.0
	s_mov_b64 vcc, s[2:3]
	v_fma_f64 v[35:36], v[35:36], v[45:46], v[35:36]
	v_mul_f64 v[45:46], v[55:56], v[31:32]
	v_div_fixup_f64 v[2:3], v[20:21], v[2:3], 1.0
	v_fma_f64 v[26:27], v[33:34], v[26:27], v[33:34]
	v_mul_f64 v[33:34], v[37:38], v[39:40]
	v_fma_f64 v[43:44], -v[43:44], v[45:46], v[55:56]
	v_mul_f64 v[55:56], v[53:54], v[35:36]
	v_add_f64 v[2:3], v[4:5], v[2:3]
	v_div_fixup_f64 v[4:5], v[22:23], v[8:9], 1.0
	v_fma_f64 v[37:38], -v[49:50], v[33:34], v[37:38]
	v_mul_f64 v[49:50], v[28:29], v[26:27]
	v_div_fmas_f64 v[31:32], v[43:44], v[31:32], v[45:46]
	v_fma_f64 v[41:42], -v[41:42], v[55:56], v[53:54]
	s_mov_b64 vcc, s[4:5]
	v_add_f64 v[2:3], v[2:3], v[4:5]
	v_div_fmas_f64 v[33:34], v[37:38], v[39:40], v[33:34]
	s_mov_b64 vcc, s[6:7]
	v_fma_f64 v[28:29], -v[57:58], v[49:50], v[28:29]
	v_div_fixup_f64 v[4:5], v[24:25], v[10:11], 1.0
	v_div_fmas_f64 v[35:36], v[41:42], v[35:36], v[55:56]
	s_mov_b64 vcc, s[0:1]
	s_mov_b32 s0, 0x18618618
	s_mov_b32 s1, 0xbf986186
	v_div_fmas_f64 v[26:27], v[28:29], v[26:27], v[49:50]
	v_add_f64 v[2:3], v[2:3], v[4:5]
	v_div_fixup_f64 v[4:5], v[31:32], v[12:13], 1.0
	v_add_f64 v[2:3], v[2:3], v[4:5]
	v_div_fixup_f64 v[28:29], v[35:36], v[47:48], 1.0
	v_mov_b32_e32 v35, 0x11111111
	v_mov_b32_e32 v36, 0x3fa11111
	v_div_fixup_f64 v[4:5], v[33:34], v[16:17], 1.0
	v_div_fixup_f64 v[26:27], v[26:27], v[51:52], 1.0
	v_fma_f64 v[35:36], v[28:29], s[0:1], v[35:36]
	s_mov_b32 s0, 0x55555555
	s_mov_b32 s1, 0x3fc55555
	v_add_f64 v[2:3], v[2:3], v[4:5]
	v_add_f64 v[26:27], v[26:27], 1.0
	v_fma_f64 v[35:36], -v[28:29], v[35:36], s[0:1]
	v_fma_f64 v[26:27], v[28:29], v[35:36], v[26:27]
	v_div_scale_f64 v[28:29], s[0:1], v[14:15], v[14:15], v[26:27]
	v_div_scale_f64 v[18:19], vcc, v[26:27], v[14:15], v[26:27]
	v_rcp_f64_e32 v[35:36], v[28:29]
	v_fma_f64 v[37:38], -v[28:29], v[35:36], 1.0
	v_fma_f64 v[35:36], v[35:36], v[37:38], v[35:36]
	v_fma_f64 v[37:38], -v[28:29], v[35:36], 1.0
	v_fma_f64 v[6:7], v[35:36], v[37:38], v[35:36]
	v_mul_f64 v[8:9], v[18:19], v[6:7]
	v_fma_f64 v[10:11], -v[28:29], v[8:9], v[18:19]
	v_div_fmas_f64 v[6:7], v[10:11], v[6:7], v[8:9]
	v_div_fixup_f64 v[4:5], v[6:7], v[14:15], v[26:27]
	v_add_f64 v[2:3], v[2:3], v[4:5]
	v_mul_lo_u32 v4, v30, s12
	v_mul_f64 v[0:1], v[0:1], v[2:3]
	v_ashrrev_i32_e32 v2, 31, v4
	v_mov_b32_e32 v3, s9
	v_add_co_u32_e32 v4, vcc, s8, v4
	v_addc_co_u32_e32 v5, vcc, v3, v2, vcc
	s_cbranch_scc1 .LBB48_940
; %bb.931:
	s_and_b32 s27, 0xffff, s26
	s_mov_b64 s[4:5], -1
	s_cmp_gt_i32 s27, 25
	s_mov_b64 s[0:1], s[14:15]
	s_cbranch_scc0 .LBB48_968
; %bb.932:
	s_mov_b64 s[2:3], -1
	s_cmp_gt_i32 s27, 28
	s_mov_b64 s[0:1], s[14:15]
	s_cbranch_scc0 .LBB48_952
; %bb.933:
	s_cmp_gt_i32 s27, 43
	s_mov_b64 s[0:1], s[14:15]
	s_cbranch_scc0 .LBB48_948
; %bb.934:
	s_cmp_gt_i32 s27, 45
	s_mov_b64 s[0:1], s[14:15]
	s_cbranch_scc0 .LBB48_942
; %bb.935:
	s_cmp_eq_u32 s27, 46
	s_mov_b64 s[0:1], -1
	s_cbranch_scc0 .LBB48_941
; %bb.936:
	v_cvt_f32_f64_e32 v2, v[0:1]
	s_movk_i32 s0, 0x7fff
	v_mov_b32_e32 v3, 0x7fc0
	s_mov_b64 s[2:3], 0
	v_bfe_u32 v6, v2, 16, 1
	v_cmp_o_f32_e32 vcc, v2, v2
	v_add3_u32 v2, v2, v6, s0
	v_cndmask_b32_sdwa v2, v3, v2, vcc dst_sel:DWORD dst_unused:UNUSED_PAD src0_sel:DWORD src1_sel:WORD_1
	global_store_dword v[4:5], v2, off
	s_mov_b64 s[0:1], 0
	s_branch .LBB48_942
.LBB48_937:
	s_or_b64 exec, exec, s[18:19]
	s_and_saveexec_b64 s[0:1], s[14:15]
	s_cbranch_execnz .LBB48_1010
.LBB48_938:
	s_or_b64 exec, exec, s[0:1]
	s_and_saveexec_b64 s[0:1], s[4:5]
	s_xor_b64 s[0:1], exec, s[0:1]
	s_cbranch_execz .LBB48_1011
.LBB48_939:
	s_waitcnt vmcnt(0)
	v_cmp_neq_f64_e32 vcc, 0, v[0:1]
	v_cndmask_b32_e64 v2, 0, 1, vcc
	global_store_byte v[4:5], v2, off
	s_or_b64 exec, exec, s[0:1]
	s_and_saveexec_b64 s[0:1], s[2:3]
	s_xor_b64 s[0:1], exec, s[0:1]
	s_cbranch_execz .LBB48_1049
	s_branch .LBB48_1012
.LBB48_940:
	s_mov_b64 s[4:5], 0
	s_mov_b64 s[2:3], -1
	s_mov_b64 s[0:1], s[14:15]
	s_branch .LBB48_1009
.LBB48_941:
	s_mov_b64 s[2:3], 0
.LBB48_942:
	s_and_b64 vcc, exec, s[2:3]
	s_cbranch_vccz .LBB48_947
; %bb.943:
	s_cmp_eq_u32 s27, 44
	s_mov_b64 s[0:1], -1
	s_cbranch_scc0 .LBB48_947
; %bb.944:
	v_cvt_f32_f64_e32 v2, v[0:1]
	s_movk_i32 s0, 0xff
	v_mov_b32_e32 v6, 0xff
	v_bfe_u32 v3, v2, 23, 8
	v_cmp_ne_u32_e32 vcc, s0, v3
	s_and_saveexec_b64 s[2:3], vcc
; %bb.945:
	s_mov_b32 s0, 0x3fffff
	v_lshrrev_b32_e32 v6, 23, v2
	v_and_b32_e32 v7, 0x400000, v2
	v_and_or_b32 v2, v2, s0, v3
	v_cmp_ne_u32_e32 vcc, 0, v7
	v_cmp_ne_u32_e64 s[0:1], 0, v2
	s_and_b64 s[0:1], vcc, s[0:1]
	v_cndmask_b32_e64 v2, 0, 1, s[0:1]
	v_add_u32_e32 v6, v6, v2
; %bb.946:
	s_or_b64 exec, exec, s[2:3]
	s_mov_b64 s[0:1], 0
	global_store_byte v[4:5], v6, off
.LBB48_947:
	s_mov_b64 s[2:3], 0
.LBB48_948:
	s_and_b64 vcc, exec, s[2:3]
	s_cbranch_vccz .LBB48_951
; %bb.949:
	s_cmp_eq_u32 s27, 29
	s_mov_b64 s[0:1], -1
	s_cbranch_scc0 .LBB48_951
; %bb.950:
	v_trunc_f64_e32 v[2:3], v[0:1]
	s_movk_i32 s0, 0xffe0
	s_mov_b64 s[2:3], 0
	v_ldexp_f64 v[6:7], v[2:3], s0
	s_mov_b32 s0, 0
	s_mov_b32 s1, 0xc1f00000
	v_floor_f64_e32 v[6:7], v[6:7]
	v_fma_f64 v[2:3], v[6:7], s[0:1], v[2:3]
	v_cvt_u32_f64_e32 v7, v[6:7]
	s_mov_b64 s[0:1], 0
	v_cvt_u32_f64_e32 v6, v[2:3]
	global_store_dwordx2 v[4:5], v[6:7], off
	s_branch .LBB48_952
.LBB48_951:
	s_mov_b64 s[2:3], 0
.LBB48_952:
	s_and_b64 vcc, exec, s[2:3]
	s_cbranch_vccz .LBB48_967
; %bb.953:
	s_cmp_lt_i32 s27, 27
	s_mov_b64 s[2:3], -1
	s_cbranch_scc1 .LBB48_959
; %bb.954:
	v_cvt_u32_f64_e32 v2, v[0:1]
	s_cmp_gt_i32 s27, 27
	s_cbranch_scc0 .LBB48_956
; %bb.955:
	s_mov_b64 s[2:3], 0
	global_store_dword v[4:5], v2, off
.LBB48_956:
	s_andn2_b64 vcc, exec, s[2:3]
	s_cbranch_vccnz .LBB48_958
; %bb.957:
	global_store_short v[4:5], v2, off
.LBB48_958:
	s_mov_b64 s[2:3], 0
.LBB48_959:
	s_andn2_b64 vcc, exec, s[2:3]
	s_cbranch_vccnz .LBB48_967
; %bb.960:
	v_cvt_f32_f64_e32 v2, v[0:1]
	s_mov_b32 s2, 0x43800000
	v_mov_b32_e32 v6, 0x80
	v_and_b32_e32 v3, 0x7fffffff, v2
	v_cmp_gt_u32_e32 vcc, s2, v3
	s_and_saveexec_b64 s[2:3], vcc
	s_cbranch_execz .LBB48_966
; %bb.961:
	s_mov_b32 s4, 0x3bffffff
	v_cmp_lt_u32_e32 vcc, s4, v3
	s_mov_b64 s[4:5], 0
                                        ; implicit-def: $vgpr3
	s_and_saveexec_b64 s[6:7], vcc
	s_xor_b64 s[6:7], exec, s[6:7]
	s_cbranch_execz .LBB48_1064
; %bb.962:
	v_bfe_u32 v3, v2, 20, 1
	s_mov_b32 s24, 0x487ffff
	v_add3_u32 v3, v2, v3, s24
	s_mov_b64 s[4:5], exec
	v_lshrrev_b32_e32 v3, 20, v3
	s_andn2_saveexec_b64 s[6:7], s[6:7]
	s_cbranch_execnz .LBB48_1065
.LBB48_963:
	s_or_b64 exec, exec, s[6:7]
	v_mov_b32_e32 v6, 0
	s_and_saveexec_b64 s[6:7], s[4:5]
.LBB48_964:
	v_lshrrev_b32_e32 v2, 24, v2
	s_movk_i32 s4, 0x80
	v_and_or_b32 v6, v2, s4, v3
.LBB48_965:
	s_or_b64 exec, exec, s[6:7]
.LBB48_966:
	s_or_b64 exec, exec, s[2:3]
	global_store_byte v[4:5], v6, off
.LBB48_967:
	s_mov_b64 s[4:5], 0
.LBB48_968:
	s_mov_b64 s[2:3], 0
	s_and_b64 vcc, exec, s[4:5]
	s_cbranch_vccz .LBB48_1008
; %bb.969:
	s_cmp_gt_i32 s27, 22
	s_mov_b64 s[4:5], -1
	s_cbranch_scc0 .LBB48_1001
; %bb.970:
	s_cmp_lt_i32 s27, 24
	s_cbranch_scc1 .LBB48_990
; %bb.971:
	s_cmp_gt_i32 s27, 24
	s_cbranch_scc0 .LBB48_979
; %bb.972:
	v_cvt_f32_f64_e32 v2, v[0:1]
	s_mov_b32 s4, 0x47800000
	v_mov_b32_e32 v6, 0x80
	v_and_b32_e32 v3, 0x7fffffff, v2
	v_cmp_gt_u32_e32 vcc, s4, v3
	s_and_saveexec_b64 s[4:5], vcc
	s_cbranch_execz .LBB48_978
; %bb.973:
	s_mov_b32 s6, 0x37ffffff
	v_cmp_lt_u32_e32 vcc, s6, v3
	s_mov_b64 s[6:7], 0
                                        ; implicit-def: $vgpr3
	s_and_saveexec_b64 s[24:25], vcc
	s_xor_b64 s[24:25], exec, s[24:25]
	s_cbranch_execz .LBB48_1195
; %bb.974:
	v_bfe_u32 v3, v2, 21, 1
	s_mov_b32 s28, 0x88fffff
	v_add3_u32 v3, v2, v3, s28
	s_mov_b64 s[6:7], exec
	v_lshrrev_b32_e32 v3, 21, v3
	s_andn2_saveexec_b64 s[24:25], s[24:25]
	s_cbranch_execnz .LBB48_1196
.LBB48_975:
	s_or_b64 exec, exec, s[24:25]
	v_mov_b32_e32 v6, 0
	s_and_saveexec_b64 s[24:25], s[6:7]
.LBB48_976:
	v_lshrrev_b32_e32 v2, 24, v2
	s_movk_i32 s6, 0x80
	v_and_or_b32 v6, v2, s6, v3
.LBB48_977:
	s_or_b64 exec, exec, s[24:25]
.LBB48_978:
	s_or_b64 exec, exec, s[4:5]
	s_mov_b64 s[4:5], 0
	global_store_byte v[4:5], v6, off
.LBB48_979:
	s_and_b64 vcc, exec, s[4:5]
	s_cbranch_vccz .LBB48_989
; %bb.980:
	v_cvt_f32_f64_e32 v2, v[0:1]
	s_mov_b32 s4, 0x43f00000
                                        ; implicit-def: $vgpr3
	v_and_b32_e32 v6, 0x7fffffff, v2
	v_cmp_gt_u32_e32 vcc, s4, v6
	s_and_saveexec_b64 s[4:5], vcc
	s_xor_b64 s[4:5], exec, s[4:5]
	s_cbranch_execz .LBB48_986
; %bb.981:
	s_mov_b32 s6, 0x3c7fffff
	v_cmp_lt_u32_e32 vcc, s6, v6
                                        ; implicit-def: $vgpr3
	s_and_saveexec_b64 s[6:7], vcc
	s_xor_b64 s[6:7], exec, s[6:7]
; %bb.982:
	v_bfe_u32 v3, v2, 20, 1
	s_mov_b32 s24, 0x407ffff
	v_add3_u32 v3, v2, v3, s24
	v_lshrrev_b32_e32 v6, 20, v3
	v_and_b32_e32 v3, 0xff00000, v3
	s_mov_b32 s24, 0x7f00000
	v_mov_b32_e32 v7, 0x7e
	v_cmp_ne_u32_e32 vcc, s24, v3
	v_cndmask_b32_e32 v3, v7, v6, vcc
; %bb.983:
	s_andn2_saveexec_b64 s[6:7], s[6:7]
; %bb.984:
	s_mov_b32 s24, 0x46800000
	v_add_f32_e64 v3, |v2|, s24
; %bb.985:
	s_or_b64 exec, exec, s[6:7]
                                        ; implicit-def: $vgpr6
.LBB48_986:
	s_andn2_saveexec_b64 s[4:5], s[4:5]
; %bb.987:
	s_mov_b32 s6, 0x7f800000
	v_mov_b32_e32 v3, 0x7e
	v_mov_b32_e32 v7, 0x7f
	v_cmp_lt_u32_e32 vcc, s6, v6
	v_cndmask_b32_e32 v3, v3, v7, vcc
; %bb.988:
	s_or_b64 exec, exec, s[4:5]
	v_lshrrev_b32_e32 v2, 24, v2
	s_movk_i32 s4, 0x80
	v_and_or_b32 v2, v2, s4, v3
	global_store_byte v[4:5], v2, off
.LBB48_989:
	s_mov_b64 s[4:5], 0
.LBB48_990:
	s_andn2_b64 vcc, exec, s[4:5]
	s_cbranch_vccnz .LBB48_1000
; %bb.991:
	v_cvt_f32_f64_e32 v2, v[0:1]
	s_mov_b32 s4, 0x47800000
                                        ; implicit-def: $vgpr3
	v_and_b32_e32 v6, 0x7fffffff, v2
	v_cmp_gt_u32_e32 vcc, s4, v6
	s_and_saveexec_b64 s[4:5], vcc
	s_xor_b64 s[4:5], exec, s[4:5]
	s_cbranch_execz .LBB48_997
; %bb.992:
	s_mov_b32 s6, 0x387fffff
	v_cmp_lt_u32_e32 vcc, s6, v6
                                        ; implicit-def: $vgpr3
	s_and_saveexec_b64 s[6:7], vcc
	s_xor_b64 s[6:7], exec, s[6:7]
; %bb.993:
	v_bfe_u32 v3, v2, 21, 1
	s_mov_b32 s24, 0x80fffff
	v_add3_u32 v3, v2, v3, s24
	v_lshrrev_b32_e32 v3, 21, v3
; %bb.994:
	s_andn2_saveexec_b64 s[6:7], s[6:7]
; %bb.995:
	s_mov_b32 s24, 0x43000000
	v_add_f32_e64 v3, |v2|, s24
; %bb.996:
	s_or_b64 exec, exec, s[6:7]
                                        ; implicit-def: $vgpr6
.LBB48_997:
	s_andn2_saveexec_b64 s[4:5], s[4:5]
; %bb.998:
	s_mov_b32 s6, 0x7f800000
	v_mov_b32_e32 v3, 0x7c
	v_mov_b32_e32 v7, 0x7f
	v_cmp_lt_u32_e32 vcc, s6, v6
	v_cndmask_b32_e32 v3, v3, v7, vcc
; %bb.999:
	s_or_b64 exec, exec, s[4:5]
	v_lshrrev_b32_e32 v2, 24, v2
	s_movk_i32 s4, 0x80
	v_and_or_b32 v2, v2, s4, v3
	global_store_byte v[4:5], v2, off
.LBB48_1000:
	s_mov_b64 s[4:5], 0
.LBB48_1001:
	s_andn2_b64 vcc, exec, s[4:5]
	s_mov_b64 s[4:5], 0
	s_cbranch_vccnz .LBB48_1009
; %bb.1002:
	s_cmp_gt_i32 s27, 14
	s_mov_b64 s[6:7], -1
	s_cbranch_scc0 .LBB48_1006
; %bb.1003:
	s_cmp_eq_u32 s27, 15
	s_mov_b64 s[0:1], -1
	s_cbranch_scc0 .LBB48_1005
; %bb.1004:
	v_cvt_f32_f64_e32 v2, v[0:1]
	s_movk_i32 s0, 0x7fff
	v_mov_b32_e32 v3, 0x7fc0
	v_bfe_u32 v6, v2, 16, 1
	v_cmp_o_f32_e32 vcc, v2, v2
	v_add3_u32 v2, v2, v6, s0
	v_cndmask_b32_sdwa v2, v3, v2, vcc dst_sel:DWORD dst_unused:UNUSED_PAD src0_sel:DWORD src1_sel:WORD_1
	global_store_short v[4:5], v2, off
	s_mov_b64 s[0:1], 0
.LBB48_1005:
	s_mov_b64 s[6:7], 0
.LBB48_1006:
	s_and_b64 vcc, exec, s[6:7]
	s_cbranch_vccz .LBB48_1009
; %bb.1007:
	s_cmp_lg_u32 s27, 11
	s_cselect_b64 s[6:7], -1, 0
	s_andn2_b64 s[0:1], s[0:1], exec
	s_and_b64 s[6:7], s[6:7], exec
	s_mov_b64 s[4:5], -1
	s_or_b64 s[0:1], s[0:1], s[6:7]
	s_branch .LBB48_1009
.LBB48_1008:
	s_mov_b64 s[4:5], 0
.LBB48_1009:
	s_andn2_b64 s[6:7], s[14:15], exec
	s_and_b64 s[0:1], s[0:1], exec
	s_and_b64 s[2:3], s[2:3], exec
	;; [unrolled: 1-line block ×3, first 2 shown]
	s_or_b64 s[14:15], s[6:7], s[0:1]
	s_or_b64 exec, exec, s[18:19]
	s_and_saveexec_b64 s[0:1], s[14:15]
	s_cbranch_execz .LBB48_938
.LBB48_1010:
	s_or_b64 s[22:23], s[22:23], exec
	s_andn2_b64 s[4:5], s[4:5], exec
	s_trap 2
	s_or_b64 exec, exec, s[0:1]
	s_and_saveexec_b64 s[0:1], s[4:5]
	s_xor_b64 s[0:1], exec, s[0:1]
	s_cbranch_execnz .LBB48_939
.LBB48_1011:
	s_or_b64 exec, exec, s[0:1]
	s_and_saveexec_b64 s[0:1], s[2:3]
	s_xor_b64 s[0:1], exec, s[0:1]
	s_cbranch_execz .LBB48_1049
.LBB48_1012:
	s_sext_i32_i16 s4, s26
	s_cmp_lt_i32 s4, 5
	s_mov_b64 s[2:3], -1
	s_cbranch_scc1 .LBB48_1033
; %bb.1013:
	s_cmp_lt_i32 s4, 8
	s_cbranch_scc1 .LBB48_1023
; %bb.1014:
	s_cmp_lt_i32 s4, 9
	s_cbranch_scc1 .LBB48_1020
; %bb.1015:
	s_cmp_gt_i32 s4, 9
	s_cbranch_scc0 .LBB48_1017
; %bb.1016:
	s_waitcnt vmcnt(0)
	v_mov_b32_e32 v2, 0
	v_mov_b32_e32 v3, v2
	s_mov_b64 s[2:3], 0
	global_store_dwordx4 v[4:5], v[0:3], off
.LBB48_1017:
	s_andn2_b64 vcc, exec, s[2:3]
	s_cbranch_vccnz .LBB48_1019
; %bb.1018:
	s_waitcnt vmcnt(0)
	v_cvt_f32_f64_e32 v2, v[0:1]
	v_mov_b32_e32 v3, 0
	global_store_dwordx2 v[4:5], v[2:3], off
.LBB48_1019:
	s_mov_b64 s[2:3], 0
.LBB48_1020:
	s_andn2_b64 vcc, exec, s[2:3]
	s_cbranch_vccnz .LBB48_1022
; %bb.1021:
	s_movk_i32 s2, 0x1ff
	s_waitcnt vmcnt(0)
	v_and_or_b32 v2, v1, s2, v0
	v_cmp_ne_u32_e32 vcc, 0, v2
	v_cndmask_b32_e64 v2, 0, 1, vcc
	v_lshrrev_b32_e32 v3, 8, v1
	s_movk_i32 s2, 0xffe
	v_bfe_u32 v6, v1, 20, 11
	v_and_or_b32 v2, v3, s2, v2
	v_sub_u32_e32 v7, 0x3f1, v6
	v_or_b32_e32 v3, 0x1000, v2
	v_med3_i32 v7, v7, 0, 13
	v_lshrrev_b32_e32 v8, v7, v3
	v_lshlrev_b32_e32 v7, v7, v8
	v_cmp_ne_u32_e32 vcc, v7, v3
	v_cndmask_b32_e64 v3, 0, 1, vcc
	v_add_u32_e32 v6, 0xfffffc10, v6
	v_or_b32_e32 v3, v8, v3
	v_lshl_or_b32 v7, v6, 12, v2
	v_cmp_gt_i32_e32 vcc, 1, v6
	v_cndmask_b32_e32 v3, v7, v3, vcc
	v_and_b32_e32 v7, 7, v3
	v_cmp_lt_i32_e32 vcc, 5, v7
	v_cndmask_b32_e64 v8, 0, 1, vcc
	v_cmp_eq_u32_e32 vcc, 3, v7
	v_cndmask_b32_e64 v7, 0, 1, vcc
	v_or_b32_e32 v7, v7, v8
	v_lshrrev_b32_e32 v3, 2, v3
	v_add_u32_e32 v3, v3, v7
	v_mov_b32_e32 v7, 0x7c00
	v_cmp_gt_i32_e32 vcc, 31, v6
	v_cndmask_b32_e32 v3, v7, v3, vcc
	v_mov_b32_e32 v8, 0x7e00
	v_cmp_ne_u32_e32 vcc, 0, v2
	s_movk_i32 s2, 0x40f
	v_cndmask_b32_e32 v2, v7, v8, vcc
	v_cmp_eq_u32_e32 vcc, s2, v6
	v_cndmask_b32_e32 v2, v3, v2, vcc
	v_lshrrev_b32_e32 v3, 16, v1
	s_mov_b32 s2, 0x8000
	v_and_or_b32 v2, v3, s2, v2
	v_and_b32_e32 v2, 0xffff, v2
	global_store_dword v[4:5], v2, off
.LBB48_1022:
	s_mov_b64 s[2:3], 0
.LBB48_1023:
	s_andn2_b64 vcc, exec, s[2:3]
	s_cbranch_vccnz .LBB48_1032
; %bb.1024:
	s_sext_i32_i16 s4, s26
	s_cmp_lt_i32 s4, 6
	s_mov_b64 s[2:3], -1
	s_cbranch_scc1 .LBB48_1030
; %bb.1025:
	s_cmp_gt_i32 s4, 6
	s_cbranch_scc0 .LBB48_1027
; %bb.1026:
	s_mov_b64 s[2:3], 0
	s_waitcnt vmcnt(0)
	global_store_dwordx2 v[4:5], v[0:1], off
.LBB48_1027:
	s_andn2_b64 vcc, exec, s[2:3]
	s_cbranch_vccnz .LBB48_1029
; %bb.1028:
	s_waitcnt vmcnt(0)
	v_cvt_f32_f64_e32 v2, v[0:1]
	global_store_dword v[4:5], v2, off
.LBB48_1029:
	s_mov_b64 s[2:3], 0
.LBB48_1030:
	s_andn2_b64 vcc, exec, s[2:3]
	s_cbranch_vccnz .LBB48_1032
; %bb.1031:
	s_movk_i32 s2, 0x1ff
	s_waitcnt vmcnt(0)
	v_and_or_b32 v2, v1, s2, v0
	v_cmp_ne_u32_e32 vcc, 0, v2
	v_cndmask_b32_e64 v2, 0, 1, vcc
	v_lshrrev_b32_e32 v3, 8, v1
	s_movk_i32 s2, 0xffe
	v_bfe_u32 v6, v1, 20, 11
	v_and_or_b32 v2, v3, s2, v2
	v_sub_u32_e32 v7, 0x3f1, v6
	v_or_b32_e32 v3, 0x1000, v2
	v_med3_i32 v7, v7, 0, 13
	v_lshrrev_b32_e32 v8, v7, v3
	v_lshlrev_b32_e32 v7, v7, v8
	v_cmp_ne_u32_e32 vcc, v7, v3
	v_cndmask_b32_e64 v3, 0, 1, vcc
	v_add_u32_e32 v6, 0xfffffc10, v6
	v_or_b32_e32 v3, v8, v3
	v_lshl_or_b32 v7, v6, 12, v2
	v_cmp_gt_i32_e32 vcc, 1, v6
	v_cndmask_b32_e32 v3, v7, v3, vcc
	v_and_b32_e32 v7, 7, v3
	v_cmp_lt_i32_e32 vcc, 5, v7
	v_cndmask_b32_e64 v8, 0, 1, vcc
	v_cmp_eq_u32_e32 vcc, 3, v7
	v_cndmask_b32_e64 v7, 0, 1, vcc
	v_or_b32_e32 v7, v7, v8
	v_lshrrev_b32_e32 v3, 2, v3
	v_add_u32_e32 v3, v3, v7
	v_mov_b32_e32 v7, 0x7c00
	v_cmp_gt_i32_e32 vcc, 31, v6
	v_cndmask_b32_e32 v3, v7, v3, vcc
	v_mov_b32_e32 v8, 0x7e00
	v_cmp_ne_u32_e32 vcc, 0, v2
	s_movk_i32 s2, 0x40f
	v_cndmask_b32_e32 v2, v7, v8, vcc
	v_cmp_eq_u32_e32 vcc, s2, v6
	v_cndmask_b32_e32 v2, v3, v2, vcc
	v_lshrrev_b32_e32 v3, 16, v1
	s_mov_b32 s2, 0x8000
	v_and_or_b32 v2, v3, s2, v2
	global_store_short v[4:5], v2, off
.LBB48_1032:
	s_mov_b64 s[2:3], 0
.LBB48_1033:
	s_andn2_b64 vcc, exec, s[2:3]
	s_cbranch_vccnz .LBB48_1049
; %bb.1034:
	s_sext_i32_i16 s4, s26
	s_cmp_lt_i32 s4, 2
	s_mov_b64 s[2:3], -1
	s_cbranch_scc1 .LBB48_1044
; %bb.1035:
	s_cmp_lt_i32 s4, 3
	s_cbranch_scc1 .LBB48_1041
; %bb.1036:
	s_cmp_gt_i32 s4, 3
	s_cbranch_scc0 .LBB48_1038
; %bb.1037:
	s_waitcnt vmcnt(0)
	v_trunc_f64_e32 v[2:3], v[0:1]
	s_movk_i32 s2, 0xffe0
	v_ldexp_f64 v[6:7], v[2:3], s2
	s_mov_b32 s2, 0
	s_mov_b32 s3, 0xc1f00000
	v_floor_f64_e32 v[6:7], v[6:7]
	v_fma_f64 v[2:3], v[6:7], s[2:3], v[2:3]
	v_cvt_i32_f64_e32 v7, v[6:7]
	s_mov_b64 s[2:3], 0
	v_cvt_u32_f64_e32 v6, v[2:3]
	global_store_dwordx2 v[4:5], v[6:7], off
.LBB48_1038:
	s_andn2_b64 vcc, exec, s[2:3]
	s_cbranch_vccnz .LBB48_1040
; %bb.1039:
	s_waitcnt vmcnt(0)
	v_cvt_i32_f64_e32 v2, v[0:1]
	global_store_dword v[4:5], v2, off
.LBB48_1040:
	s_mov_b64 s[2:3], 0
.LBB48_1041:
	s_andn2_b64 vcc, exec, s[2:3]
	s_cbranch_vccnz .LBB48_1043
; %bb.1042:
	s_waitcnt vmcnt(0)
	v_cvt_i32_f64_e32 v2, v[0:1]
	global_store_short v[4:5], v2, off
.LBB48_1043:
	s_mov_b64 s[2:3], 0
.LBB48_1044:
	s_andn2_b64 vcc, exec, s[2:3]
	s_cbranch_vccnz .LBB48_1049
; %bb.1045:
	s_sext_i32_i16 s2, s26
	s_cmp_gt_i32 s2, 0
	s_mov_b64 s[2:3], -1
	s_cbranch_scc0 .LBB48_1047
; %bb.1046:
	s_waitcnt vmcnt(0)
	v_cvt_i32_f64_e32 v2, v[0:1]
	s_mov_b64 s[2:3], 0
	global_store_byte v[4:5], v2, off
.LBB48_1047:
	s_andn2_b64 vcc, exec, s[2:3]
	s_cbranch_vccnz .LBB48_1049
; %bb.1048:
	s_waitcnt vmcnt(0)
	v_trunc_f64_e32 v[0:1], v[0:1]
	s_movk_i32 s2, 0xffe0
	v_ldexp_f64 v[2:3], v[0:1], s2
	s_mov_b32 s2, 0
	s_mov_b32 s3, 0xc1f00000
	v_floor_f64_e32 v[2:3], v[2:3]
	v_fma_f64 v[0:1], v[2:3], s[2:3], v[0:1]
	v_cvt_u32_f64_e32 v0, v[0:1]
	global_store_byte v[4:5], v0, off
.LBB48_1049:
	s_or_b64 exec, exec, s[0:1]
	s_and_b64 s[14:15], s[22:23], exec
                                        ; implicit-def: $vgpr30
.LBB48_1050:
	s_or_saveexec_b64 s[16:17], s[16:17]
	s_mov_b64 s[0:1], 0
                                        ; implicit-def: $sgpr22
                                        ; implicit-def: $vgpr4_vgpr5
                                        ; implicit-def: $vgpr0_vgpr1
	s_xor_b64 exec, exec, s[16:17]
	s_cbranch_execz .LBB48_2022
; %bb.1051:
	v_mul_lo_u32 v8, s13, v30
	s_waitcnt vmcnt(0)
	v_mov_b32_e32 v0, s11
	s_and_b32 s22, 0xffff, s42
	s_cmp_lt_i32 s22, 11
	v_ashrrev_i32_e32 v1, 31, v8
	v_add_co_u32_e32 v2, vcc, s10, v8
	v_addc_co_u32_e32 v3, vcc, v0, v1, vcc
	s_cbranch_scc1 .LBB48_1058
; %bb.1052:
	s_cmp_gt_i32 s22, 25
	s_mov_b64 s[2:3], 0
	s_cbranch_scc0 .LBB48_1060
; %bb.1053:
	s_cmp_gt_i32 s22, 28
	s_cbranch_scc0 .LBB48_1061
; %bb.1054:
	s_cmp_gt_i32 s22, 43
	;; [unrolled: 3-line block ×3, first 2 shown]
	s_cbranch_scc0 .LBB48_1063
; %bb.1056:
	s_cmp_eq_u32 s22, 46
	s_mov_b64 s[6:7], 0
	s_cbranch_scc0 .LBB48_1066
; %bb.1057:
	global_load_dword v0, v[2:3], off
	s_mov_b64 s[4:5], -1
	s_waitcnt vmcnt(0)
	v_lshlrev_b32_e32 v0, 16, v0
	v_cvt_f64_f32_e32 v[0:1], v0
	s_branch .LBB48_1067
.LBB48_1058:
	s_mov_b64 s[4:5], 0
                                        ; implicit-def: $vgpr0_vgpr1
	s_mov_b64 s[18:19], s[14:15]
	s_cbranch_execnz .LBB48_1130
.LBB48_1059:
	s_andn2_b64 vcc, exec, s[4:5]
                                        ; implicit-def: $vgpr2_vgpr3
	s_cbranch_vccz .LBB48_1175
	s_branch .LBB48_2020
.LBB48_1060:
	s_mov_b64 s[4:5], 0
                                        ; implicit-def: $vgpr0_vgpr1
	s_cbranch_execnz .LBB48_1097
	s_branch .LBB48_1126
.LBB48_1061:
	s_mov_b64 s[6:7], -1
	s_mov_b64 s[4:5], 0
                                        ; implicit-def: $vgpr0_vgpr1
	s_branch .LBB48_1076
.LBB48_1062:
	s_mov_b64 s[4:5], 0
                                        ; implicit-def: $vgpr0_vgpr1
	s_cbranch_execnz .LBB48_1072
	s_branch .LBB48_1075
.LBB48_1063:
	s_mov_b64 s[6:7], -1
	s_mov_b64 s[4:5], 0
                                        ; implicit-def: $vgpr0_vgpr1
	s_branch .LBB48_1067
.LBB48_1064:
	s_andn2_saveexec_b64 s[6:7], s[6:7]
	s_cbranch_execz .LBB48_963
.LBB48_1065:
	s_mov_b32 s24, 0x46000000
	v_add_f32_e64 v3, |v2|, s24
	v_and_b32_e32 v3, 0xff, v3
	v_cmp_ne_u32_e32 vcc, 0, v3
	s_andn2_b64 s[4:5], s[4:5], exec
	s_and_b64 s[24:25], vcc, exec
	s_or_b64 s[4:5], s[4:5], s[24:25]
	s_or_b64 exec, exec, s[6:7]
	v_mov_b32_e32 v6, 0
	s_and_saveexec_b64 s[6:7], s[4:5]
	s_cbranch_execnz .LBB48_964
	s_branch .LBB48_965
.LBB48_1066:
	s_mov_b64 s[0:1], -1
                                        ; implicit-def: $vgpr0_vgpr1
	s_mov_b64 s[4:5], 0
.LBB48_1067:
	s_and_b64 vcc, exec, s[6:7]
	s_cbranch_vccz .LBB48_1070
; %bb.1068:
	s_cmp_eq_u32 s22, 44
	s_cbranch_scc0 .LBB48_1071
; %bb.1069:
	global_load_ubyte v4, v[2:3], off
	s_movk_i32 s4, 0xff
	v_bfrev_b32_e32 v5, 4
	v_mov_b32_e32 v6, 0x7ff80000
	v_bfrev_b32_e32 v7, 28
	s_mov_b64 s[0:1], 0
	s_waitcnt vmcnt(0)
	v_lshlrev_b32_e32 v0, 23, v4
	v_cvt_f64_f32_e32 v[0:1], v0
	v_cmp_ne_u32_e32 vcc, s4, v4
	s_mov_b64 s[4:5], -1
	v_cndmask_b32_e32 v0, v5, v0, vcc
	v_cndmask_b32_e32 v1, v6, v1, vcc
	v_cmp_ne_u32_e32 vcc, 0, v4
	v_cndmask_b32_e32 v1, v7, v1, vcc
	v_cndmask_b32_e32 v0, 0, v0, vcc
.LBB48_1070:
	s_branch .LBB48_1075
.LBB48_1071:
	s_mov_b64 s[0:1], -1
                                        ; implicit-def: $vgpr0_vgpr1
	s_branch .LBB48_1075
.LBB48_1072:
	s_cmp_eq_u32 s22, 29
	s_cbranch_scc0 .LBB48_1074
; %bb.1073:
	global_load_dwordx2 v[0:1], v[2:3], off
	s_mov_b64 s[0:1], 0
	s_mov_b64 s[4:5], -1
	s_mov_b64 s[6:7], 0
	s_waitcnt vmcnt(0)
	v_cvt_f64_u32_e32 v[4:5], v1
	v_cvt_f64_u32_e32 v[0:1], v0
	v_ldexp_f64 v[4:5], v[4:5], 32
	v_add_f64 v[0:1], v[4:5], v[0:1]
	s_branch .LBB48_1076
.LBB48_1074:
	s_mov_b64 s[0:1], -1
                                        ; implicit-def: $vgpr0_vgpr1
.LBB48_1075:
	s_mov_b64 s[6:7], 0
.LBB48_1076:
	s_and_b64 vcc, exec, s[6:7]
	s_cbranch_vccz .LBB48_1096
; %bb.1077:
	s_cmp_lt_i32 s22, 27
	s_cbranch_scc1 .LBB48_1080
; %bb.1078:
	s_cmp_gt_i32 s22, 27
	s_cbranch_scc0 .LBB48_1081
; %bb.1079:
	global_load_dword v0, v[2:3], off
	s_mov_b64 s[4:5], 0
	s_waitcnt vmcnt(0)
	v_cvt_f64_u32_e32 v[0:1], v0
	s_branch .LBB48_1082
.LBB48_1080:
	s_mov_b64 s[4:5], -1
                                        ; implicit-def: $vgpr0_vgpr1
	s_branch .LBB48_1085
.LBB48_1081:
	s_mov_b64 s[4:5], -1
                                        ; implicit-def: $vgpr0_vgpr1
.LBB48_1082:
	s_andn2_b64 vcc, exec, s[4:5]
	s_cbranch_vccnz .LBB48_1084
; %bb.1083:
	global_load_ushort v0, v[2:3], off
	s_waitcnt vmcnt(0)
	v_cvt_f64_u32_e32 v[0:1], v0
.LBB48_1084:
	s_mov_b64 s[4:5], 0
.LBB48_1085:
	s_andn2_b64 vcc, exec, s[4:5]
	s_cbranch_vccnz .LBB48_1095
; %bb.1086:
	global_load_ubyte v4, v[2:3], off
	s_movk_i32 s4, 0x7f
	s_waitcnt vmcnt(0)
	v_cmp_lt_i16_e32 vcc, s4, v4
	s_mov_b64 s[4:5], 0
	s_and_saveexec_b64 s[6:7], vcc
	s_xor_b64 s[6:7], exec, s[6:7]
	s_cbranch_execz .LBB48_1090
; %bb.1087:
	s_movk_i32 s4, 0x80
	v_cmp_eq_u16_e32 vcc, s4, v4
	s_mov_b64 s[4:5], -1
	s_and_saveexec_b64 s[18:19], vcc
; %bb.1088:
	s_xor_b64 s[4:5], exec, -1
; %bb.1089:
	s_or_b64 exec, exec, s[18:19]
	s_and_b64 s[4:5], s[4:5], exec
.LBB48_1090:
	s_or_saveexec_b64 s[6:7], s[6:7]
	v_bfrev_b32_e32 v0, 4
	v_mov_b32_e32 v1, 0x7ff80000
	s_xor_b64 exec, exec, s[6:7]
; %bb.1091:
	v_cmp_ne_u16_e32 vcc, 0, v4
	v_mov_b32_e32 v0, 0
	s_andn2_b64 s[4:5], s[4:5], exec
	s_and_b64 s[18:19], vcc, exec
	v_mov_b32_e32 v1, 0
	s_or_b64 s[4:5], s[4:5], s[18:19]
; %bb.1092:
	s_or_b64 exec, exec, s[6:7]
	s_and_saveexec_b64 s[6:7], s[4:5]
	s_cbranch_execz .LBB48_1094
; %bb.1093:
	v_and_b32_e32 v1, 0xffff, v4
	v_lshlrev_b32_e32 v0, 24, v4
	v_and_b32_e32 v4, 7, v1
	v_ffbh_u32_e32 v6, v4
	v_min_u32_e32 v6, 32, v6
	v_subrev_u32_e32 v7, 28, v6
	v_bfe_u32 v5, v1, 3, 4
	v_lshlrev_b32_e32 v1, v7, v1
	v_sub_u32_e32 v6, 29, v6
	v_and_b32_e32 v1, 7, v1
	v_cmp_eq_u32_e32 vcc, 0, v5
	v_cndmask_b32_e32 v5, v5, v6, vcc
	v_cndmask_b32_e32 v1, v4, v1, vcc
	v_mov_b32_e32 v4, 0x3b800000
	v_lshlrev_b32_e32 v1, 20, v1
	v_and_b32_e32 v0, 0x80000000, v0
	v_lshl_add_u32 v4, v5, 23, v4
	v_or3_b32 v0, v0, v4, v1
	v_cvt_f64_f32_e32 v[0:1], v0
.LBB48_1094:
	s_or_b64 exec, exec, s[6:7]
.LBB48_1095:
	s_mov_b64 s[4:5], -1
.LBB48_1096:
	s_branch .LBB48_1126
.LBB48_1097:
	s_cmp_gt_i32 s22, 22
	s_cbranch_scc0 .LBB48_1109
; %bb.1098:
	s_cmp_lt_i32 s22, 24
	s_cbranch_scc1 .LBB48_1110
; %bb.1099:
	s_cmp_gt_i32 s22, 24
	s_cbranch_scc0 .LBB48_1111
; %bb.1100:
	global_load_ubyte v4, v[2:3], off
	s_movk_i32 s2, 0x7f
	s_waitcnt vmcnt(0)
	v_cmp_lt_i16_e32 vcc, s2, v4
	s_mov_b64 s[2:3], 0
	s_and_saveexec_b64 s[4:5], vcc
	s_xor_b64 s[4:5], exec, s[4:5]
	s_cbranch_execz .LBB48_1104
; %bb.1101:
	s_movk_i32 s2, 0x80
	v_cmp_eq_u16_e32 vcc, s2, v4
	s_mov_b64 s[2:3], -1
	s_and_saveexec_b64 s[6:7], vcc
; %bb.1102:
	s_xor_b64 s[2:3], exec, -1
; %bb.1103:
	s_or_b64 exec, exec, s[6:7]
	s_and_b64 s[2:3], s[2:3], exec
.LBB48_1104:
	s_or_saveexec_b64 s[4:5], s[4:5]
	v_bfrev_b32_e32 v0, 4
	v_mov_b32_e32 v1, 0x7ff80000
	s_xor_b64 exec, exec, s[4:5]
; %bb.1105:
	v_cmp_ne_u16_e32 vcc, 0, v4
	v_mov_b32_e32 v0, 0
	s_andn2_b64 s[2:3], s[2:3], exec
	s_and_b64 s[6:7], vcc, exec
	v_mov_b32_e32 v1, 0
	s_or_b64 s[2:3], s[2:3], s[6:7]
; %bb.1106:
	s_or_b64 exec, exec, s[4:5]
	s_and_saveexec_b64 s[4:5], s[2:3]
	s_cbranch_execz .LBB48_1108
; %bb.1107:
	v_and_b32_e32 v1, 0xffff, v4
	v_lshlrev_b32_e32 v0, 24, v4
	v_and_b32_e32 v4, 3, v1
	v_ffbh_u32_e32 v6, v4
	v_min_u32_e32 v6, 32, v6
	v_subrev_u32_e32 v7, 29, v6
	v_bfe_u32 v5, v1, 2, 5
	v_lshlrev_b32_e32 v1, v7, v1
	v_sub_u32_e32 v6, 30, v6
	v_and_b32_e32 v1, 3, v1
	v_cmp_eq_u32_e32 vcc, 0, v5
	v_cndmask_b32_e32 v5, v5, v6, vcc
	v_cndmask_b32_e32 v1, v4, v1, vcc
	v_mov_b32_e32 v4, 0x37800000
	v_lshlrev_b32_e32 v1, 21, v1
	v_and_b32_e32 v0, 0x80000000, v0
	v_lshl_add_u32 v4, v5, 23, v4
	v_or3_b32 v0, v0, v4, v1
	v_cvt_f64_f32_e32 v[0:1], v0
.LBB48_1108:
	s_or_b64 exec, exec, s[4:5]
	s_mov_b64 s[2:3], 0
	s_branch .LBB48_1112
.LBB48_1109:
                                        ; implicit-def: $vgpr0_vgpr1
	s_mov_b64 s[2:3], 0
	s_branch .LBB48_1118
.LBB48_1110:
	s_mov_b64 s[2:3], -1
                                        ; implicit-def: $vgpr0_vgpr1
	s_branch .LBB48_1115
.LBB48_1111:
	s_mov_b64 s[2:3], -1
                                        ; implicit-def: $vgpr0_vgpr1
.LBB48_1112:
	s_and_b64 vcc, exec, s[2:3]
	s_cbranch_vccz .LBB48_1114
; %bb.1113:
	global_load_ubyte v0, v[2:3], off
	s_mov_b32 s2, 0x7f800000
	s_waitcnt vmcnt(0)
	v_lshlrev_b32_e32 v0, 24, v0
	v_and_b32_e32 v1, 0x7f000000, v0
	v_ffbh_u32_e32 v4, v1
	v_min_u32_e32 v4, 32, v4
	v_sub_u32_e64 v4, v4, 4 clamp
	v_lshlrev_b32_e32 v6, v4, v1
	v_lshlrev_b32_e32 v4, 23, v4
	v_lshrrev_b32_e32 v6, 4, v6
	v_add_u32_e32 v5, 0x1000000, v1
	v_sub_u32_e32 v4, v6, v4
	v_ashrrev_i32_e32 v5, 8, v5
	v_add_u32_e32 v4, 0x3c000000, v4
	v_and_or_b32 v4, v5, s2, v4
	v_cmp_ne_u32_e32 vcc, 0, v1
	v_cndmask_b32_e32 v1, 0, v4, vcc
	s_brev_b32 s2, 1
	v_and_or_b32 v0, v0, s2, v1
	v_cvt_f64_f32_e32 v[0:1], v0
.LBB48_1114:
	s_mov_b64 s[2:3], 0
.LBB48_1115:
	s_andn2_b64 vcc, exec, s[2:3]
	s_cbranch_vccnz .LBB48_1117
; %bb.1116:
	global_load_ubyte v0, v[2:3], off
	s_movk_i32 s2, 0x7f00
	s_brev_b32 s3, 16
	s_waitcnt vmcnt(0)
	v_lshlrev_b16_e32 v1, 8, v0
	v_lshlrev_b32_e32 v0, 25, v0
	v_lshrrev_b32_e32 v4, 4, v0
	v_and_or_b32 v5, v1, s2, 0.5
	v_or_b32_e32 v4, 0x70000000, v4
	v_add_f32_e32 v5, -0.5, v5
	v_mul_f32_e32 v4, 0x7800000, v4
	v_cmp_gt_u32_e32 vcc, s3, v0
	v_bfe_i32 v1, v1, 0, 16
	v_cndmask_b32_e32 v0, v4, v5, vcc
	s_brev_b32 s2, 1
	v_and_or_b32 v0, v1, s2, v0
	v_cvt_f64_f32_e32 v[0:1], v0
.LBB48_1117:
	s_mov_b64 s[4:5], -1
	s_mov_b64 s[2:3], 0
	s_cbranch_execnz .LBB48_1126
.LBB48_1118:
	s_cmp_gt_i32 s22, 14
	s_cbranch_scc0 .LBB48_1121
; %bb.1119:
	s_cmp_eq_u32 s22, 15
	s_cbranch_scc0 .LBB48_1122
; %bb.1120:
	global_load_ushort v0, v[2:3], off
	s_mov_b64 s[0:1], 0
	s_mov_b64 s[4:5], -1
	s_waitcnt vmcnt(0)
	v_lshlrev_b32_e32 v0, 16, v0
	v_cvt_f64_f32_e32 v[0:1], v0
	s_branch .LBB48_1123
.LBB48_1121:
	s_mov_b64 s[6:7], -1
                                        ; implicit-def: $vgpr0_vgpr1
	s_branch .LBB48_1124
.LBB48_1122:
	s_mov_b64 s[0:1], -1
                                        ; implicit-def: $vgpr0_vgpr1
.LBB48_1123:
	s_mov_b64 s[6:7], 0
.LBB48_1124:
	s_and_b64 vcc, exec, s[6:7]
	s_cbranch_vccz .LBB48_1126
; %bb.1125:
	s_cmp_lg_u32 s22, 11
	s_mov_b64 s[2:3], -1
	s_cselect_b64 s[0:1], -1, 0
.LBB48_1126:
	s_and_b64 vcc, exec, s[0:1]
	s_mov_b64 s[18:19], s[14:15]
	s_cbranch_vccnz .LBB48_1193
; %bb.1127:
	s_andn2_b64 vcc, exec, s[2:3]
	s_cbranch_vccnz .LBB48_1129
.LBB48_1128:
	global_load_ubyte v1, v[2:3], off
	v_mov_b32_e32 v4, 0x3ff00000
	v_mov_b32_e32 v0, 0
	s_mov_b64 s[4:5], -1
	s_waitcnt vmcnt(0)
	v_cmp_ne_u16_e32 vcc, 0, v1
	v_cndmask_b32_e32 v1, 0, v4, vcc
.LBB48_1129:
	s_branch .LBB48_1059
.LBB48_1130:
	s_cmp_lt_i32 s22, 5
	s_cbranch_scc1 .LBB48_1135
; %bb.1131:
	s_cmp_lt_i32 s22, 8
	s_cbranch_scc1 .LBB48_1136
; %bb.1132:
	;; [unrolled: 3-line block ×3, first 2 shown]
	s_cmp_gt_i32 s22, 9
	s_cbranch_scc0 .LBB48_1138
; %bb.1134:
	global_load_dwordx2 v[0:1], v[2:3], off
	s_mov_b64 s[0:1], 0
	s_branch .LBB48_1139
.LBB48_1135:
                                        ; implicit-def: $vgpr0_vgpr1
	s_branch .LBB48_1156
.LBB48_1136:
                                        ; implicit-def: $vgpr0_vgpr1
	s_branch .LBB48_1145
.LBB48_1137:
	s_mov_b64 s[0:1], -1
                                        ; implicit-def: $vgpr0_vgpr1
	s_branch .LBB48_1142
.LBB48_1138:
	s_mov_b64 s[0:1], -1
                                        ; implicit-def: $vgpr0_vgpr1
.LBB48_1139:
	s_andn2_b64 vcc, exec, s[0:1]
	s_cbranch_vccnz .LBB48_1141
; %bb.1140:
	global_load_dword v0, v[2:3], off
	s_waitcnt vmcnt(0)
	v_cvt_f64_f32_e32 v[0:1], v0
.LBB48_1141:
	s_mov_b64 s[0:1], 0
.LBB48_1142:
	s_andn2_b64 vcc, exec, s[0:1]
	s_cbranch_vccnz .LBB48_1144
; %bb.1143:
	global_load_dword v0, v[2:3], off
	s_waitcnt vmcnt(0)
	v_cvt_f32_f16_e32 v0, v0
	v_cvt_f64_f32_e32 v[0:1], v0
.LBB48_1144:
	s_cbranch_execnz .LBB48_1155
.LBB48_1145:
	s_cmp_lt_i32 s22, 6
	s_cbranch_scc1 .LBB48_1148
; %bb.1146:
	s_cmp_gt_i32 s22, 6
	s_cbranch_scc0 .LBB48_1149
; %bb.1147:
	global_load_dwordx2 v[0:1], v[2:3], off
	s_mov_b64 s[0:1], 0
	s_branch .LBB48_1150
.LBB48_1148:
	s_mov_b64 s[0:1], -1
                                        ; implicit-def: $vgpr0_vgpr1
	s_branch .LBB48_1153
.LBB48_1149:
	s_mov_b64 s[0:1], -1
                                        ; implicit-def: $vgpr0_vgpr1
.LBB48_1150:
	s_andn2_b64 vcc, exec, s[0:1]
	s_cbranch_vccnz .LBB48_1152
; %bb.1151:
	global_load_dword v0, v[2:3], off
	s_waitcnt vmcnt(0)
	v_cvt_f64_f32_e32 v[0:1], v0
.LBB48_1152:
	s_mov_b64 s[0:1], 0
.LBB48_1153:
	s_andn2_b64 vcc, exec, s[0:1]
	s_cbranch_vccnz .LBB48_1155
; %bb.1154:
	global_load_ushort v0, v[2:3], off
	s_waitcnt vmcnt(0)
	v_cvt_f32_f16_e32 v0, v0
	v_cvt_f64_f32_e32 v[0:1], v0
.LBB48_1155:
	s_cbranch_execnz .LBB48_1174
.LBB48_1156:
	s_cmp_lt_i32 s22, 2
	s_cbranch_scc1 .LBB48_1160
; %bb.1157:
	s_cmp_lt_i32 s22, 3
	s_cbranch_scc1 .LBB48_1161
; %bb.1158:
	s_cmp_gt_i32 s22, 3
	s_cbranch_scc0 .LBB48_1162
; %bb.1159:
	global_load_dwordx2 v[0:1], v[2:3], off
	s_mov_b64 s[0:1], 0
	s_waitcnt vmcnt(0)
	v_cvt_f64_i32_e32 v[4:5], v1
	v_cvt_f64_u32_e32 v[0:1], v0
	v_ldexp_f64 v[4:5], v[4:5], 32
	v_add_f64 v[0:1], v[4:5], v[0:1]
	s_branch .LBB48_1163
.LBB48_1160:
                                        ; implicit-def: $vgpr0_vgpr1
	s_branch .LBB48_1169
.LBB48_1161:
	s_mov_b64 s[0:1], -1
                                        ; implicit-def: $vgpr0_vgpr1
	s_branch .LBB48_1166
.LBB48_1162:
	s_mov_b64 s[0:1], -1
                                        ; implicit-def: $vgpr0_vgpr1
.LBB48_1163:
	s_andn2_b64 vcc, exec, s[0:1]
	s_cbranch_vccnz .LBB48_1165
; %bb.1164:
	global_load_dword v0, v[2:3], off
	s_waitcnt vmcnt(0)
	v_cvt_f64_i32_e32 v[0:1], v0
.LBB48_1165:
	s_mov_b64 s[0:1], 0
.LBB48_1166:
	s_andn2_b64 vcc, exec, s[0:1]
	s_cbranch_vccnz .LBB48_1168
; %bb.1167:
	global_load_sshort v0, v[2:3], off
	s_waitcnt vmcnt(0)
	v_cvt_f64_i32_e32 v[0:1], v0
.LBB48_1168:
	s_cbranch_execnz .LBB48_1174
.LBB48_1169:
	s_cmp_gt_i32 s22, 0
	s_cbranch_scc0 .LBB48_1171
; %bb.1170:
	global_load_sbyte v0, v[2:3], off
	s_mov_b64 s[0:1], 0
	s_waitcnt vmcnt(0)
	v_cvt_f64_i32_e32 v[0:1], v0
	s_branch .LBB48_1172
.LBB48_1171:
	s_mov_b64 s[0:1], -1
                                        ; implicit-def: $vgpr0_vgpr1
.LBB48_1172:
	s_andn2_b64 vcc, exec, s[0:1]
	s_cbranch_vccnz .LBB48_1174
; %bb.1173:
	global_load_ubyte v0, v[2:3], off
	s_waitcnt vmcnt(0)
	v_cvt_f64_u32_e32 v[0:1], v0
.LBB48_1174:
                                        ; implicit-def: $vgpr2_vgpr3
.LBB48_1175:
	s_waitcnt vmcnt(0)
	v_cmp_gt_f64_e32 vcc, 0.5, v[0:1]
	v_mov_b32_e32 v22, 0
	v_mov_b32_e32 v2, 0
	;; [unrolled: 1-line block ×4, first 2 shown]
	s_and_saveexec_b64 s[2:3], vcc
	s_cbranch_execz .LBB48_1181
; %bb.1176:
	s_mov_b32 s5, 0x400921fb
	s_mov_b32 s4, 0x54442d18
	v_mul_f64 v[2:3], v[0:1], s[4:5]
	s_mov_b32 s0, 0
	s_mov_b32 s1, 0x41d00000
                                        ; implicit-def: $vgpr9
                                        ; implicit-def: $vgpr4_vgpr5
                                        ; implicit-def: $vgpr6_vgpr7
	v_cmp_nlt_f64_e64 s[0:1], |v[2:3]|, s[0:1]
	s_and_saveexec_b64 s[6:7], s[0:1]
	s_xor_b64 s[6:7], exec, s[6:7]
	s_cbranch_execz .LBB48_1178
; %bb.1177:
	v_trig_preop_f64 v[4:5], |v[2:3]|, 0
	s_mov_b32 s0, 0
	s_mov_b32 s1, 0x7b000000
	s_movk_i32 s5, 0xff80
	v_ldexp_f64 v[9:10], |v[2:3]|, s5
	v_cmp_ge_f64_e64 vcc, |v[2:3]|, s[0:1]
	v_trig_preop_f64 v[6:7], |v[2:3]|, 1
	v_and_b32_e32 v11, 0x7fffffff, v3
	v_trig_preop_f64 v[17:18], |v[2:3]|, 2
	s_mov_b32 s0, 0
	s_mov_b32 s1, 0x7ff00000
	v_mov_b32_e32 v28, 0x40100000
	v_mov_b32_e32 v27, 0
	v_cndmask_b32_e32 v10, v11, v10, vcc
	v_cndmask_b32_e32 v9, v2, v9, vcc
	s_mov_b32 s5, 0x3ff921fb
	v_mul_f64 v[11:12], v[4:5], v[9:10]
	v_mul_f64 v[13:14], v[6:7], v[9:10]
	;; [unrolled: 1-line block ×3, first 2 shown]
	v_fma_f64 v[4:5], v[4:5], v[9:10], -v[11:12]
	v_fma_f64 v[6:7], v[6:7], v[9:10], -v[13:14]
	;; [unrolled: 1-line block ×3, first 2 shown]
	v_add_f64 v[15:16], v[13:14], v[4:5]
	v_add_f64 v[19:20], v[15:16], -v[13:14]
	v_add_f64 v[25:26], v[11:12], v[15:16]
	v_add_f64 v[21:22], v[15:16], -v[19:20]
	v_add_f64 v[4:5], v[4:5], -v[19:20]
	v_add_f64 v[19:20], v[23:24], v[6:7]
	v_add_f64 v[11:12], v[25:26], -v[11:12]
	v_add_f64 v[13:14], v[13:14], -v[21:22]
	v_ldexp_f64 v[21:22], v[25:26], -2
	v_add_f64 v[31:32], v[19:20], -v[23:24]
	v_add_f64 v[11:12], v[15:16], -v[11:12]
	v_add_f64 v[4:5], v[4:5], v[13:14]
	v_fract_f64_e32 v[13:14], v[21:22]
	v_cmp_neq_f64_e64 vcc, |v[21:22]|, s[0:1]
	v_add_f64 v[6:7], v[6:7], -v[31:32]
	v_add_f64 v[15:16], v[19:20], v[4:5]
	v_ldexp_f64 v[13:14], v[13:14], 2
	v_add_f64 v[21:22], v[11:12], v[15:16]
	v_cndmask_b32_e32 v14, 0, v14, vcc
	v_cndmask_b32_e32 v13, 0, v13, vcc
	v_add_f64 v[33:34], v[15:16], -v[19:20]
	v_add_f64 v[25:26], v[21:22], v[13:14]
	v_add_f64 v[11:12], v[21:22], -v[11:12]
	v_add_f64 v[4:5], v[4:5], -v[33:34]
	v_cmp_gt_f64_e32 vcc, 0, v[25:26]
	v_add_f64 v[25:26], v[19:20], -v[31:32]
	v_add_f64 v[11:12], v[15:16], -v[11:12]
	v_cndmask_b32_e32 v28, 0, v28, vcc
	v_add_f64 v[13:14], v[13:14], v[27:28]
	v_add_f64 v[28:29], v[15:16], -v[33:34]
	v_add_f64 v[25:26], v[23:24], -v[25:26]
	v_add_f64 v[35:36], v[21:22], v[13:14]
	v_add_f64 v[19:20], v[19:20], -v[28:29]
	v_add_f64 v[6:7], v[6:7], v[25:26]
	v_cvt_i32_f64_e32 v31, v[35:36]
	v_add_f64 v[4:5], v[4:5], v[19:20]
	v_cvt_f64_i32_e32 v[28:29], v31
	v_add_f64 v[13:14], v[13:14], -v[28:29]
	v_add_f64 v[4:5], v[6:7], v[4:5]
	v_add_f64 v[6:7], v[21:22], v[13:14]
	;; [unrolled: 1-line block ×3, first 2 shown]
	v_add_f64 v[9:10], v[6:7], -v[13:14]
	v_cmp_le_f64_e32 vcc, 0.5, v[6:7]
	v_add_f64 v[4:5], v[11:12], v[4:5]
	v_mov_b32_e32 v12, 0x3ff00000
	v_add_f64 v[10:11], v[21:22], -v[9:10]
	v_cndmask_b32_e32 v28, 0, v12, vcc
	v_add_f64 v[6:7], v[6:7], -v[27:28]
	v_addc_co_u32_e64 v9, s[0:1], 0, v31, vcc
	s_mov_b32 s0, 0x33145c07
	s_mov_b32 s1, 0x3c91a626
	v_add_f64 v[4:5], v[4:5], v[10:11]
	v_add_f64 v[10:11], v[6:7], v[4:5]
	v_mul_f64 v[12:13], v[10:11], s[4:5]
	v_add_f64 v[6:7], v[10:11], -v[6:7]
	v_fma_f64 v[14:15], v[10:11], s[4:5], -v[12:13]
	v_add_f64 v[4:5], v[4:5], -v[6:7]
	v_fma_f64 v[6:7], v[10:11], s[0:1], v[14:15]
	v_fma_f64 v[6:7], v[4:5], s[4:5], v[6:7]
	v_add_f64 v[4:5], v[12:13], v[6:7]
	v_add_f64 v[10:11], v[4:5], -v[12:13]
	v_add_f64 v[6:7], v[6:7], -v[10:11]
.LBB48_1178:
	s_andn2_saveexec_b64 s[0:1], s[6:7]
	s_cbranch_execz .LBB48_1180
; %bb.1179:
	s_mov_b32 s4, 0x6dc9c883
	s_mov_b32 s5, 0x3fe45f30
	v_mul_f64 v[4:5], |v[2:3]|, s[4:5]
	s_mov_b32 s4, 0x54442d18
	s_mov_b32 s5, 0xbff921fb
	;; [unrolled: 1-line block ×4, first 2 shown]
	v_rndne_f64_e32 v[9:10], v[4:5]
	v_fma_f64 v[4:5], v[9:10], s[4:5], |v[2:3]|
	v_mul_f64 v[6:7], v[9:10], s[6:7]
	s_mov_b32 s4, 0x252049c0
	s_mov_b32 s5, 0xb97b839a
	v_fma_f64 v[15:16], v[9:10], s[6:7], v[4:5]
	v_add_f64 v[11:12], v[4:5], v[6:7]
	s_mov_b32 s7, 0x3c91a626
	v_add_f64 v[13:14], v[4:5], -v[11:12]
	v_add_f64 v[11:12], v[11:12], -v[15:16]
	v_add_f64 v[4:5], v[13:14], v[6:7]
	v_fma_f64 v[6:7], v[9:10], s[6:7], v[6:7]
	v_add_f64 v[4:5], v[11:12], v[4:5]
	v_add_f64 v[4:5], v[4:5], -v[6:7]
	v_fma_f64 v[6:7], v[9:10], s[4:5], v[4:5]
	v_cvt_i32_f64_e32 v9, v[9:10]
	v_add_f64 v[4:5], v[15:16], v[6:7]
	v_add_f64 v[11:12], v[4:5], -v[15:16]
	v_add_f64 v[6:7], v[6:7], -v[11:12]
.LBB48_1180:
	s_or_b64 exec, exec, s[0:1]
	v_mul_f64 v[10:11], v[4:5], v[4:5]
	s_mov_b32 s0, 0xf9a43bb8
	v_mov_b32_e32 v13, 0xb42fdfa7
	v_mov_b32_e32 v14, 0xbe5ae600
	s_mov_b32 s1, 0x3de5e0b2
	s_mov_b32 s4, 0x796cde01
	v_mov_b32_e32 v12, 0x9037ab78
	s_mov_b32 s5, 0x3ec71de3
	v_fma_f64 v[14:15], v[10:11], s[0:1], v[13:14]
	s_mov_b32 s0, 0x46cc5e42
	v_mov_b32_e32 v13, 0x3e21eeb6
	s_mov_b32 s1, 0xbda907db
	v_fma_f64 v[12:13], v[10:11], s[0:1], v[12:13]
	v_mul_f64 v[16:17], v[10:11], 0.5
	s_mov_b32 s0, 0xa17f65f6
	s_mov_b32 s6, 0x19e83e5c
	v_fma_f64 v[14:15], v[10:11], v[14:15], s[4:5]
	s_mov_b32 s1, 0xbe927e4f
	s_mov_b32 s7, 0xbf2a01a0
	;; [unrolled: 1-line block ×3, first 2 shown]
	v_fma_f64 v[12:13], v[10:11], v[12:13], s[0:1]
	v_add_f64 v[18:19], -v[16:17], 1.0
	s_mov_b32 s0, 0x11110bb3
	s_mov_b32 s5, 0x3efa01a0
	v_fma_f64 v[14:15], v[10:11], v[14:15], s[6:7]
	s_mov_b32 s1, 0x3f811111
	v_mul_f64 v[20:21], v[6:7], 0.5
	v_mul_f64 v[22:23], v[4:5], -v[10:11]
	v_fma_f64 v[12:13], v[10:11], v[12:13], s[4:5]
	v_add_f64 v[24:25], -v[18:19], 1.0
	v_add_f64 v[0:1], -v[0:1], 1.0
	v_fma_f64 v[14:15], v[10:11], v[14:15], s[0:1]
	s_mov_b32 s0, 0x16c16967
	s_mov_b32 s1, 0xbf56c16c
	v_fma_f64 v[12:13], v[10:11], v[12:13], s[0:1]
	v_add_f64 v[16:17], v[24:25], -v[16:17]
	s_mov_b32 s1, 0x3fa55555
	s_mov_b32 s0, 0x55555555
	v_fma_f64 v[14:15], v[22:23], v[14:15], v[20:21]
	v_mul_f64 v[20:21], v[10:11], v[10:11]
	v_fma_f64 v[12:13], v[10:11], v[12:13], s[0:1]
	v_fma_f64 v[16:17], v[4:5], -v[6:7], v[16:17]
	s_mov_b32 s1, 0xbfc55555
	v_fma_f64 v[6:7], v[10:11], v[14:15], -v[6:7]
	v_fma_f64 v[10:11], v[20:21], v[12:13], v[16:17]
	v_fma_f64 v[6:7], v[22:23], s[0:1], v[6:7]
	s_movk_i32 s0, 0x1f8
	v_cmp_class_f64_e64 s[0:1], v[2:3], s0
	v_lshlrev_b32_e32 v2, 30, v9
	v_xor_b32_e32 v2, v2, v3
	v_add_f64 v[10:11], v[18:19], v[10:11]
	v_and_b32_e32 v2, 0x80000000, v2
	v_add_f64 v[4:5], v[4:5], -v[6:7]
	v_and_b32_e32 v6, 1, v9
	v_cmp_eq_u32_e32 vcc, 0, v6
	v_mov_b32_e32 v6, 0x7ff80000
	v_cndmask_b32_e32 v3, v11, v5, vcc
	v_cndmask_b32_e32 v4, v10, v4, vcc
	v_xor_b32_e32 v3, v3, v2
	v_cndmask_b32_e64 v2, 0, v4, s[0:1]
	v_cndmask_b32_e64 v3, v6, v3, s[0:1]
	v_mul_f64 v[2:3], v[2:3], v[2:3]
	s_mov_b32 s0, 0xc9be45de
	s_mov_b32 s1, 0xc023bd3c
	v_div_scale_f64 v[4:5], s[4:5], v[2:3], v[2:3], s[0:1]
	v_rcp_f64_e32 v[6:7], v[4:5]
	v_fma_f64 v[9:10], -v[4:5], v[6:7], 1.0
	v_fma_f64 v[6:7], v[6:7], v[9:10], v[6:7]
	v_div_scale_f64 v[9:10], vcc, s[0:1], v[2:3], s[0:1]
	v_fma_f64 v[11:12], -v[4:5], v[6:7], 1.0
	v_fma_f64 v[6:7], v[6:7], v[11:12], v[6:7]
	v_mul_f64 v[11:12], v[9:10], v[6:7]
	v_fma_f64 v[4:5], -v[4:5], v[11:12], v[9:10]
	v_div_fmas_f64 v[4:5], v[4:5], v[6:7], v[11:12]
	v_div_fixup_f64 v[2:3], v[4:5], v[2:3], s[0:1]
	v_add_f64 v[22:23], v[2:3], 0
	v_mov_b32_e32 v2, 0
	v_mov_b32_e32 v3, 0xbff00000
.LBB48_1181:
	s_or_b64 exec, exec, s[2:3]
	s_lshl_b32 s13, s13, 7
	v_add_u32_e32 v12, s13, v8
	v_ashrrev_i32_e32 v5, 31, v12
	v_mov_b32_e32 v6, s11
	v_add_co_u32_e32 v4, vcc, s10, v12
	s_cmp_lt_i32 s22, 11
	v_addc_co_u32_e32 v5, vcc, v6, v5, vcc
	s_cbranch_scc1 .LBB48_1188
; %bb.1182:
	s_cmp_gt_i32 s22, 25
	s_mov_b64 s[2:3], 0
	s_cbranch_scc0 .LBB48_1190
; %bb.1183:
	s_cmp_gt_i32 s22, 28
	s_cbranch_scc0 .LBB48_1191
; %bb.1184:
	s_cmp_gt_i32 s22, 43
	;; [unrolled: 3-line block ×3, first 2 shown]
	s_cbranch_scc0 .LBB48_1194
; %bb.1186:
	s_cmp_eq_u32 s22, 46
	s_mov_b64 s[6:7], 0
	s_cbranch_scc0 .LBB48_1197
; %bb.1187:
	global_load_dword v6, v[4:5], off
	s_mov_b64 s[0:1], 0
	s_mov_b64 s[4:5], -1
	s_waitcnt vmcnt(0)
	v_lshlrev_b32_e32 v6, 16, v6
	v_cvt_f64_f32_e32 v[10:11], v6
	s_branch .LBB48_1198
.LBB48_1188:
	s_mov_b64 s[4:5], 0
                                        ; implicit-def: $vgpr10_vgpr11
	s_cbranch_execnz .LBB48_1263
.LBB48_1189:
	s_andn2_b64 vcc, exec, s[4:5]
	s_cbranch_vccnz .LBB48_2020
	s_branch .LBB48_1310
.LBB48_1190:
	s_mov_b64 s[4:5], 0
	s_mov_b64 s[0:1], 0
                                        ; implicit-def: $vgpr10_vgpr11
	s_cbranch_execnz .LBB48_1229
	s_branch .LBB48_1259
.LBB48_1191:
	s_mov_b64 s[6:7], -1
	s_mov_b64 s[4:5], 0
	s_mov_b64 s[0:1], 0
                                        ; implicit-def: $vgpr10_vgpr11
	s_branch .LBB48_1208
.LBB48_1192:
	s_mov_b64 s[6:7], -1
	s_mov_b64 s[4:5], 0
	s_mov_b64 s[0:1], 0
                                        ; implicit-def: $vgpr10_vgpr11
	s_branch .LBB48_1203
.LBB48_1193:
	s_or_b64 s[18:19], s[14:15], exec
	s_trap 2
	s_cbranch_execz .LBB48_1128
	s_branch .LBB48_1129
.LBB48_1194:
	s_mov_b64 s[6:7], -1
	s_mov_b64 s[4:5], 0
	s_mov_b64 s[0:1], 0
                                        ; implicit-def: $vgpr10_vgpr11
	s_branch .LBB48_1198
.LBB48_1195:
	s_andn2_saveexec_b64 s[24:25], s[24:25]
	s_cbranch_execz .LBB48_975
.LBB48_1196:
	s_mov_b32 s28, 0x42800000
	v_add_f32_e64 v3, |v2|, s28
	v_and_b32_e32 v3, 0xff, v3
	v_cmp_ne_u32_e32 vcc, 0, v3
	s_andn2_b64 s[6:7], s[6:7], exec
	s_and_b64 s[28:29], vcc, exec
	s_or_b64 s[6:7], s[6:7], s[28:29]
	s_or_b64 exec, exec, s[24:25]
	v_mov_b32_e32 v6, 0
	s_and_saveexec_b64 s[24:25], s[6:7]
	s_cbranch_execnz .LBB48_976
	s_branch .LBB48_977
.LBB48_1197:
	s_mov_b64 s[0:1], -1
                                        ; implicit-def: $vgpr10_vgpr11
	s_mov_b64 s[4:5], 0
.LBB48_1198:
	s_and_b64 vcc, exec, s[6:7]
	s_cbranch_vccz .LBB48_1202
; %bb.1199:
	s_cmp_eq_u32 s22, 44
	s_cbranch_scc0 .LBB48_1201
; %bb.1200:
	global_load_ubyte v8, v[4:5], off
	s_movk_i32 s4, 0xff
	v_bfrev_b32_e32 v9, 4
	v_mov_b32_e32 v10, 0x7ff80000
	v_bfrev_b32_e32 v11, 28
	s_mov_b64 s[0:1], 0
	s_waitcnt vmcnt(0)
	v_lshlrev_b32_e32 v6, 23, v8
	v_cvt_f64_f32_e32 v[6:7], v6
	v_cmp_ne_u32_e32 vcc, s4, v8
	s_mov_b64 s[4:5], -1
	v_cndmask_b32_e32 v6, v9, v6, vcc
	v_cndmask_b32_e32 v7, v10, v7, vcc
	v_cmp_ne_u32_e32 vcc, 0, v8
	v_cndmask_b32_e32 v11, v11, v7, vcc
	v_cndmask_b32_e32 v10, 0, v6, vcc
	s_branch .LBB48_1202
.LBB48_1201:
	s_mov_b64 s[0:1], -1
                                        ; implicit-def: $vgpr10_vgpr11
.LBB48_1202:
	s_mov_b64 s[6:7], 0
.LBB48_1203:
	s_and_b64 vcc, exec, s[6:7]
	s_cbranch_vccz .LBB48_1207
; %bb.1204:
	s_cmp_eq_u32 s22, 29
	s_cbranch_scc0 .LBB48_1206
; %bb.1205:
	global_load_dwordx2 v[6:7], v[4:5], off
	s_mov_b64 s[0:1], 0
	s_mov_b64 s[4:5], -1
	s_mov_b64 s[6:7], 0
	s_waitcnt vmcnt(0)
	v_cvt_f64_u32_e32 v[7:8], v7
	v_cvt_f64_u32_e32 v[9:10], v6
	v_ldexp_f64 v[7:8], v[7:8], 32
	v_add_f64 v[10:11], v[7:8], v[9:10]
	s_branch .LBB48_1208
.LBB48_1206:
	s_mov_b64 s[0:1], -1
                                        ; implicit-def: $vgpr10_vgpr11
.LBB48_1207:
	s_mov_b64 s[6:7], 0
.LBB48_1208:
	s_and_b64 vcc, exec, s[6:7]
	s_cbranch_vccz .LBB48_1228
; %bb.1209:
	s_cmp_lt_i32 s22, 27
	s_cbranch_scc1 .LBB48_1212
; %bb.1210:
	s_cmp_gt_i32 s22, 27
	s_cbranch_scc0 .LBB48_1213
; %bb.1211:
	global_load_dword v6, v[4:5], off
	s_mov_b64 s[4:5], 0
	s_waitcnt vmcnt(0)
	v_cvt_f64_u32_e32 v[10:11], v6
	s_branch .LBB48_1214
.LBB48_1212:
	s_mov_b64 s[4:5], -1
                                        ; implicit-def: $vgpr10_vgpr11
	s_branch .LBB48_1217
.LBB48_1213:
	s_mov_b64 s[4:5], -1
                                        ; implicit-def: $vgpr10_vgpr11
.LBB48_1214:
	s_andn2_b64 vcc, exec, s[4:5]
	s_cbranch_vccnz .LBB48_1216
; %bb.1215:
	global_load_ushort v6, v[4:5], off
	s_waitcnt vmcnt(0)
	v_cvt_f64_u32_e32 v[10:11], v6
.LBB48_1216:
	s_mov_b64 s[4:5], 0
.LBB48_1217:
	s_andn2_b64 vcc, exec, s[4:5]
	s_cbranch_vccnz .LBB48_1227
; %bb.1218:
	global_load_ubyte v6, v[4:5], off
	s_movk_i32 s4, 0x7f
	s_waitcnt vmcnt(0)
	v_cmp_lt_i16_e32 vcc, s4, v6
	s_mov_b64 s[4:5], 0
	s_and_saveexec_b64 s[6:7], vcc
	s_xor_b64 s[6:7], exec, s[6:7]
	s_cbranch_execz .LBB48_1222
; %bb.1219:
	s_movk_i32 s4, 0x80
	v_cmp_eq_u16_e32 vcc, s4, v6
	s_mov_b64 s[4:5], -1
	s_and_saveexec_b64 s[20:21], vcc
; %bb.1220:
	s_xor_b64 s[4:5], exec, -1
; %bb.1221:
	s_or_b64 exec, exec, s[20:21]
	s_and_b64 s[4:5], s[4:5], exec
.LBB48_1222:
	s_or_saveexec_b64 s[6:7], s[6:7]
	v_bfrev_b32_e32 v10, 4
	v_mov_b32_e32 v11, 0x7ff80000
	s_xor_b64 exec, exec, s[6:7]
; %bb.1223:
	v_cmp_ne_u16_e32 vcc, 0, v6
	v_mov_b32_e32 v10, 0
	s_andn2_b64 s[4:5], s[4:5], exec
	s_and_b64 s[20:21], vcc, exec
	v_mov_b32_e32 v11, 0
	s_or_b64 s[4:5], s[4:5], s[20:21]
; %bb.1224:
	s_or_b64 exec, exec, s[6:7]
	s_and_saveexec_b64 s[6:7], s[4:5]
	s_cbranch_execz .LBB48_1226
; %bb.1225:
	v_lshlrev_b32_e32 v7, 24, v6
	v_and_b32_e32 v6, 0xffff, v6
	v_and_b32_e32 v8, 7, v6
	v_ffbh_u32_e32 v10, v8
	v_min_u32_e32 v10, 32, v10
	v_subrev_u32_e32 v11, 28, v10
	v_bfe_u32 v9, v6, 3, 4
	v_lshlrev_b32_e32 v6, v11, v6
	v_sub_u32_e32 v10, 29, v10
	v_and_b32_e32 v6, 7, v6
	v_cmp_eq_u32_e32 vcc, 0, v9
	v_cndmask_b32_e32 v9, v9, v10, vcc
	v_cndmask_b32_e32 v6, v8, v6, vcc
	v_mov_b32_e32 v8, 0x3b800000
	v_lshlrev_b32_e32 v6, 20, v6
	v_and_b32_e32 v7, 0x80000000, v7
	v_lshl_add_u32 v8, v9, 23, v8
	v_or3_b32 v6, v7, v8, v6
	v_cvt_f64_f32_e32 v[10:11], v6
.LBB48_1226:
	s_or_b64 exec, exec, s[6:7]
.LBB48_1227:
	s_mov_b64 s[4:5], -1
.LBB48_1228:
	s_branch .LBB48_1259
.LBB48_1229:
	s_cmp_gt_i32 s22, 22
	s_cbranch_scc0 .LBB48_1241
; %bb.1230:
	s_cmp_lt_i32 s22, 24
	s_cbranch_scc1 .LBB48_1242
; %bb.1231:
	s_cmp_gt_i32 s22, 24
	s_cbranch_scc0 .LBB48_1243
; %bb.1232:
	global_load_ubyte v6, v[4:5], off
	s_movk_i32 s2, 0x7f
	s_waitcnt vmcnt(0)
	v_cmp_lt_i16_e32 vcc, s2, v6
	s_mov_b64 s[2:3], 0
	s_and_saveexec_b64 s[4:5], vcc
	s_xor_b64 s[4:5], exec, s[4:5]
	s_cbranch_execz .LBB48_1236
; %bb.1233:
	s_movk_i32 s2, 0x80
	v_cmp_eq_u16_e32 vcc, s2, v6
	s_mov_b64 s[2:3], -1
	s_and_saveexec_b64 s[6:7], vcc
; %bb.1234:
	s_xor_b64 s[2:3], exec, -1
; %bb.1235:
	s_or_b64 exec, exec, s[6:7]
	s_and_b64 s[2:3], s[2:3], exec
.LBB48_1236:
	s_or_saveexec_b64 s[4:5], s[4:5]
	v_bfrev_b32_e32 v10, 4
	v_mov_b32_e32 v11, 0x7ff80000
	s_xor_b64 exec, exec, s[4:5]
; %bb.1237:
	v_cmp_ne_u16_e32 vcc, 0, v6
	v_mov_b32_e32 v10, 0
	s_andn2_b64 s[2:3], s[2:3], exec
	s_and_b64 s[6:7], vcc, exec
	v_mov_b32_e32 v11, 0
	s_or_b64 s[2:3], s[2:3], s[6:7]
; %bb.1238:
	s_or_b64 exec, exec, s[4:5]
	s_and_saveexec_b64 s[4:5], s[2:3]
	s_cbranch_execz .LBB48_1240
; %bb.1239:
	v_lshlrev_b32_e32 v7, 24, v6
	v_and_b32_e32 v6, 0xffff, v6
	v_and_b32_e32 v8, 3, v6
	v_ffbh_u32_e32 v10, v8
	v_min_u32_e32 v10, 32, v10
	v_subrev_u32_e32 v11, 29, v10
	v_bfe_u32 v9, v6, 2, 5
	v_lshlrev_b32_e32 v6, v11, v6
	v_sub_u32_e32 v10, 30, v10
	v_and_b32_e32 v6, 3, v6
	v_cmp_eq_u32_e32 vcc, 0, v9
	v_cndmask_b32_e32 v9, v9, v10, vcc
	v_cndmask_b32_e32 v6, v8, v6, vcc
	v_mov_b32_e32 v8, 0x37800000
	v_lshlrev_b32_e32 v6, 21, v6
	v_and_b32_e32 v7, 0x80000000, v7
	v_lshl_add_u32 v8, v9, 23, v8
	v_or3_b32 v6, v7, v8, v6
	v_cvt_f64_f32_e32 v[10:11], v6
.LBB48_1240:
	s_or_b64 exec, exec, s[4:5]
	s_mov_b64 s[2:3], 0
	s_branch .LBB48_1244
.LBB48_1241:
	s_mov_b64 s[2:3], -1
                                        ; implicit-def: $vgpr10_vgpr11
	s_branch .LBB48_1250
.LBB48_1242:
	s_mov_b64 s[2:3], -1
                                        ; implicit-def: $vgpr10_vgpr11
	s_branch .LBB48_1247
.LBB48_1243:
	s_mov_b64 s[2:3], -1
                                        ; implicit-def: $vgpr10_vgpr11
.LBB48_1244:
	s_and_b64 vcc, exec, s[2:3]
	s_cbranch_vccz .LBB48_1246
; %bb.1245:
	global_load_ubyte v6, v[4:5], off
	s_mov_b32 s2, 0x7f800000
	s_waitcnt vmcnt(0)
	v_lshlrev_b32_e32 v6, 24, v6
	v_and_b32_e32 v7, 0x7f000000, v6
	v_ffbh_u32_e32 v8, v7
	v_min_u32_e32 v8, 32, v8
	v_sub_u32_e64 v8, v8, 4 clamp
	v_lshlrev_b32_e32 v10, v8, v7
	v_lshlrev_b32_e32 v8, 23, v8
	v_lshrrev_b32_e32 v10, 4, v10
	v_add_u32_e32 v9, 0x1000000, v7
	v_sub_u32_e32 v8, v10, v8
	v_ashrrev_i32_e32 v9, 8, v9
	v_add_u32_e32 v8, 0x3c000000, v8
	v_and_or_b32 v8, v9, s2, v8
	v_cmp_ne_u32_e32 vcc, 0, v7
	v_cndmask_b32_e32 v7, 0, v8, vcc
	s_brev_b32 s2, 1
	v_and_or_b32 v6, v6, s2, v7
	v_cvt_f64_f32_e32 v[10:11], v6
.LBB48_1246:
	s_mov_b64 s[2:3], 0
.LBB48_1247:
	s_andn2_b64 vcc, exec, s[2:3]
	s_cbranch_vccnz .LBB48_1249
; %bb.1248:
	global_load_ubyte v6, v[4:5], off
	s_movk_i32 s2, 0x7f00
	s_brev_b32 s3, 16
	s_waitcnt vmcnt(0)
	v_lshlrev_b16_e32 v7, 8, v6
	v_lshlrev_b32_e32 v6, 25, v6
	v_lshrrev_b32_e32 v8, 4, v6
	v_and_or_b32 v9, v7, s2, 0.5
	v_or_b32_e32 v8, 0x70000000, v8
	v_add_f32_e32 v9, -0.5, v9
	v_mul_f32_e32 v8, 0x7800000, v8
	v_cmp_gt_u32_e32 vcc, s3, v6
	v_bfe_i32 v7, v7, 0, 16
	v_cndmask_b32_e32 v6, v8, v9, vcc
	s_brev_b32 s2, 1
	v_and_or_b32 v6, v7, s2, v6
	v_cvt_f64_f32_e32 v[10:11], v6
.LBB48_1249:
	s_mov_b64 s[2:3], 0
	s_mov_b64 s[4:5], -1
.LBB48_1250:
	s_andn2_b64 vcc, exec, s[2:3]
	s_mov_b64 s[2:3], 0
	s_cbranch_vccnz .LBB48_1259
; %bb.1251:
	s_cmp_gt_i32 s22, 14
	s_cbranch_scc0 .LBB48_1254
; %bb.1252:
	s_cmp_eq_u32 s22, 15
	s_cbranch_scc0 .LBB48_1255
; %bb.1253:
	global_load_ushort v6, v[4:5], off
	s_mov_b64 s[0:1], 0
	s_mov_b64 s[4:5], -1
	s_waitcnt vmcnt(0)
	v_lshlrev_b32_e32 v6, 16, v6
	v_cvt_f64_f32_e32 v[10:11], v6
	s_branch .LBB48_1256
.LBB48_1254:
	s_mov_b64 s[6:7], -1
                                        ; implicit-def: $vgpr10_vgpr11
	s_branch .LBB48_1257
.LBB48_1255:
	s_mov_b64 s[0:1], -1
                                        ; implicit-def: $vgpr10_vgpr11
.LBB48_1256:
	s_mov_b64 s[6:7], 0
.LBB48_1257:
	s_and_b64 vcc, exec, s[6:7]
	s_cbranch_vccz .LBB48_1259
; %bb.1258:
	s_cmp_lg_u32 s22, 11
	s_mov_b64 s[2:3], -1
	s_cselect_b64 s[0:1], -1, 0
.LBB48_1259:
	s_and_b64 vcc, exec, s[0:1]
	s_cbranch_vccnz .LBB48_1328
; %bb.1260:
	s_andn2_b64 vcc, exec, s[2:3]
	s_cbranch_vccnz .LBB48_1262
.LBB48_1261:
	global_load_ubyte v6, v[4:5], off
	v_mov_b32_e32 v7, 0x3ff00000
	v_mov_b32_e32 v10, 0
	s_mov_b64 s[4:5], -1
	s_waitcnt vmcnt(0)
	v_cmp_ne_u16_e32 vcc, 0, v6
	v_cndmask_b32_e32 v11, 0, v7, vcc
.LBB48_1262:
	s_branch .LBB48_1189
.LBB48_1263:
	s_cmp_lt_i32 s22, 5
	s_cbranch_scc1 .LBB48_1268
; %bb.1264:
	s_cmp_lt_i32 s22, 8
	s_cbranch_scc1 .LBB48_1269
; %bb.1265:
	;; [unrolled: 3-line block ×3, first 2 shown]
	s_cmp_gt_i32 s22, 9
	s_cbranch_scc0 .LBB48_1271
; %bb.1267:
	global_load_dwordx2 v[10:11], v[4:5], off
	s_mov_b64 s[0:1], 0
	s_branch .LBB48_1272
.LBB48_1268:
                                        ; implicit-def: $vgpr10_vgpr11
	s_branch .LBB48_1290
.LBB48_1269:
	s_mov_b64 s[0:1], -1
                                        ; implicit-def: $vgpr10_vgpr11
	s_branch .LBB48_1278
.LBB48_1270:
	s_mov_b64 s[0:1], -1
                                        ; implicit-def: $vgpr10_vgpr11
	s_branch .LBB48_1275
.LBB48_1271:
	s_mov_b64 s[0:1], -1
                                        ; implicit-def: $vgpr10_vgpr11
.LBB48_1272:
	s_andn2_b64 vcc, exec, s[0:1]
	s_cbranch_vccnz .LBB48_1274
; %bb.1273:
	global_load_dword v6, v[4:5], off
	s_waitcnt vmcnt(0)
	v_cvt_f64_f32_e32 v[10:11], v6
.LBB48_1274:
	s_mov_b64 s[0:1], 0
.LBB48_1275:
	s_andn2_b64 vcc, exec, s[0:1]
	s_cbranch_vccnz .LBB48_1277
; %bb.1276:
	global_load_dword v6, v[4:5], off
	s_waitcnt vmcnt(0)
	v_cvt_f32_f16_e32 v6, v6
	v_cvt_f64_f32_e32 v[10:11], v6
.LBB48_1277:
	s_mov_b64 s[0:1], 0
.LBB48_1278:
	s_andn2_b64 vcc, exec, s[0:1]
	s_cbranch_vccnz .LBB48_1289
; %bb.1279:
	s_cmp_lt_i32 s22, 6
	s_cbranch_scc1 .LBB48_1282
; %bb.1280:
	s_cmp_gt_i32 s22, 6
	s_cbranch_scc0 .LBB48_1283
; %bb.1281:
	global_load_dwordx2 v[10:11], v[4:5], off
	s_mov_b64 s[0:1], 0
	s_branch .LBB48_1284
.LBB48_1282:
	s_mov_b64 s[0:1], -1
                                        ; implicit-def: $vgpr10_vgpr11
	s_branch .LBB48_1287
.LBB48_1283:
	s_mov_b64 s[0:1], -1
                                        ; implicit-def: $vgpr10_vgpr11
.LBB48_1284:
	s_andn2_b64 vcc, exec, s[0:1]
	s_cbranch_vccnz .LBB48_1286
; %bb.1285:
	global_load_dword v6, v[4:5], off
	s_waitcnt vmcnt(0)
	v_cvt_f64_f32_e32 v[10:11], v6
.LBB48_1286:
	s_mov_b64 s[0:1], 0
.LBB48_1287:
	s_andn2_b64 vcc, exec, s[0:1]
	s_cbranch_vccnz .LBB48_1289
; %bb.1288:
	global_load_ushort v6, v[4:5], off
	s_waitcnt vmcnt(0)
	v_cvt_f32_f16_e32 v6, v6
	v_cvt_f64_f32_e32 v[10:11], v6
.LBB48_1289:
	s_cbranch_execnz .LBB48_1309
.LBB48_1290:
	s_cmp_lt_i32 s22, 2
	s_cbranch_scc1 .LBB48_1294
; %bb.1291:
	s_cmp_lt_i32 s22, 3
	s_cbranch_scc1 .LBB48_1295
; %bb.1292:
	s_cmp_gt_i32 s22, 3
	s_cbranch_scc0 .LBB48_1296
; %bb.1293:
	global_load_dwordx2 v[6:7], v[4:5], off
	s_mov_b64 s[0:1], 0
	s_waitcnt vmcnt(0)
	v_cvt_f64_i32_e32 v[7:8], v7
	v_cvt_f64_u32_e32 v[9:10], v6
	v_ldexp_f64 v[7:8], v[7:8], 32
	v_add_f64 v[10:11], v[7:8], v[9:10]
	s_branch .LBB48_1297
.LBB48_1294:
	s_mov_b64 s[0:1], -1
                                        ; implicit-def: $vgpr10_vgpr11
	s_branch .LBB48_1303
.LBB48_1295:
	s_mov_b64 s[0:1], -1
                                        ; implicit-def: $vgpr10_vgpr11
	s_branch .LBB48_1300
.LBB48_1296:
	s_mov_b64 s[0:1], -1
                                        ; implicit-def: $vgpr10_vgpr11
.LBB48_1297:
	s_andn2_b64 vcc, exec, s[0:1]
	s_cbranch_vccnz .LBB48_1299
; %bb.1298:
	global_load_dword v6, v[4:5], off
	s_waitcnt vmcnt(0)
	v_cvt_f64_i32_e32 v[10:11], v6
.LBB48_1299:
	s_mov_b64 s[0:1], 0
.LBB48_1300:
	s_andn2_b64 vcc, exec, s[0:1]
	s_cbranch_vccnz .LBB48_1302
; %bb.1301:
	global_load_sshort v6, v[4:5], off
	s_waitcnt vmcnt(0)
	v_cvt_f64_i32_e32 v[10:11], v6
.LBB48_1302:
	s_mov_b64 s[0:1], 0
.LBB48_1303:
	s_andn2_b64 vcc, exec, s[0:1]
	s_cbranch_vccnz .LBB48_1309
; %bb.1304:
	s_cmp_gt_i32 s22, 0
	s_cbranch_scc0 .LBB48_1306
; %bb.1305:
	global_load_sbyte v6, v[4:5], off
	s_mov_b64 s[0:1], 0
	s_waitcnt vmcnt(0)
	v_cvt_f64_i32_e32 v[10:11], v6
	s_branch .LBB48_1307
.LBB48_1306:
	s_mov_b64 s[0:1], -1
                                        ; implicit-def: $vgpr10_vgpr11
.LBB48_1307:
	s_andn2_b64 vcc, exec, s[0:1]
	s_cbranch_vccnz .LBB48_1309
; %bb.1308:
	global_load_ubyte v4, v[4:5], off
	s_waitcnt vmcnt(0)
	v_cvt_f64_u32_e32 v[10:11], v4
.LBB48_1309:
.LBB48_1310:
	s_waitcnt vmcnt(0)
	v_cmp_gt_f64_e32 vcc, 0.5, v[10:11]
	v_mov_b32_e32 v20, 0
	v_mov_b32_e32 v16, 0
	;; [unrolled: 1-line block ×4, first 2 shown]
	s_and_saveexec_b64 s[2:3], vcc
	s_cbranch_execz .LBB48_1316
; %bb.1311:
	s_mov_b32 s5, 0x400921fb
	s_mov_b32 s4, 0x54442d18
	v_mul_f64 v[4:5], v[10:11], s[4:5]
	s_mov_b32 s0, 0
	s_mov_b32 s1, 0x41d00000
                                        ; implicit-def: $vgpr13
                                        ; implicit-def: $vgpr6_vgpr7
                                        ; implicit-def: $vgpr8_vgpr9
	v_cmp_nlt_f64_e64 s[0:1], |v[4:5]|, s[0:1]
	s_and_saveexec_b64 s[6:7], s[0:1]
	s_xor_b64 s[6:7], exec, s[6:7]
	s_cbranch_execz .LBB48_1313
; %bb.1312:
	v_trig_preop_f64 v[6:7], |v[4:5]|, 0
	s_mov_b32 s0, 0
	s_mov_b32 s1, 0x7b000000
	s_movk_i32 s5, 0xff80
	v_ldexp_f64 v[13:14], |v[4:5]|, s5
	v_cmp_ge_f64_e64 vcc, |v[4:5]|, s[0:1]
	v_trig_preop_f64 v[8:9], |v[4:5]|, 1
	v_and_b32_e32 v15, 0x7fffffff, v5
	v_trig_preop_f64 v[24:25], |v[4:5]|, 2
	s_mov_b32 s0, 0
	s_mov_b32 s1, 0x7ff00000
	v_mov_b32_e32 v21, 0x40100000
	v_mov_b32_e32 v35, 0
	v_cndmask_b32_e32 v14, v15, v14, vcc
	v_cndmask_b32_e32 v13, v4, v13, vcc
	s_mov_b32 s5, 0x3ff921fb
	v_mul_f64 v[15:16], v[6:7], v[13:14]
	v_mul_f64 v[17:18], v[8:9], v[13:14]
	;; [unrolled: 1-line block ×3, first 2 shown]
	v_fma_f64 v[6:7], v[6:7], v[13:14], -v[15:16]
	v_fma_f64 v[8:9], v[8:9], v[13:14], -v[17:18]
	;; [unrolled: 1-line block ×3, first 2 shown]
	v_add_f64 v[19:20], v[17:18], v[6:7]
	v_add_f64 v[26:27], v[19:20], -v[17:18]
	v_add_f64 v[33:34], v[15:16], v[19:20]
	v_add_f64 v[28:29], v[19:20], -v[26:27]
	v_add_f64 v[6:7], v[6:7], -v[26:27]
	v_add_f64 v[26:27], v[31:32], v[8:9]
	v_add_f64 v[15:16], v[33:34], -v[15:16]
	v_add_f64 v[17:18], v[17:18], -v[28:29]
	v_ldexp_f64 v[28:29], v[33:34], -2
	v_add_f64 v[37:38], v[26:27], -v[31:32]
	v_add_f64 v[15:16], v[19:20], -v[15:16]
	v_add_f64 v[6:7], v[6:7], v[17:18]
	v_fract_f64_e32 v[17:18], v[28:29]
	v_cmp_neq_f64_e64 vcc, |v[28:29]|, s[0:1]
	v_add_f64 v[8:9], v[8:9], -v[37:38]
	v_add_f64 v[19:20], v[26:27], v[6:7]
	v_ldexp_f64 v[17:18], v[17:18], 2
	v_add_f64 v[28:29], v[15:16], v[19:20]
	v_cndmask_b32_e32 v18, 0, v18, vcc
	v_cndmask_b32_e32 v17, 0, v17, vcc
	v_add_f64 v[39:40], v[19:20], -v[26:27]
	v_add_f64 v[33:34], v[28:29], v[17:18]
	v_add_f64 v[15:16], v[28:29], -v[15:16]
	v_add_f64 v[41:42], v[19:20], -v[39:40]
	;; [unrolled: 1-line block ×3, first 2 shown]
	v_cmp_gt_f64_e32 vcc, 0, v[33:34]
	v_add_f64 v[33:34], v[26:27], -v[37:38]
	v_add_f64 v[15:16], v[19:20], -v[15:16]
	;; [unrolled: 1-line block ×3, first 2 shown]
	v_cndmask_b32_e32 v36, 0, v21, vcc
	v_add_f64 v[17:18], v[17:18], v[35:36]
	v_add_f64 v[33:34], v[31:32], -v[33:34]
	v_add_f64 v[6:7], v[6:7], v[26:27]
	v_add_f64 v[43:44], v[28:29], v[17:18]
	;; [unrolled: 1-line block ×3, first 2 shown]
	v_cvt_i32_f64_e32 v21, v[43:44]
	v_add_f64 v[6:7], v[8:9], v[6:7]
	v_cvt_f64_i32_e32 v[36:37], v21
	v_add_f64 v[17:18], v[17:18], -v[36:37]
	v_add_f64 v[6:7], v[13:14], v[6:7]
	v_add_f64 v[8:9], v[28:29], v[17:18]
	;; [unrolled: 1-line block ×3, first 2 shown]
	v_mov_b32_e32 v16, 0x3ff00000
	v_add_f64 v[13:14], v[8:9], -v[17:18]
	v_cmp_le_f64_e32 vcc, 0.5, v[8:9]
	v_add_f64 v[14:15], v[28:29], -v[13:14]
	v_cndmask_b32_e32 v36, 0, v16, vcc
	v_add_f64 v[8:9], v[8:9], -v[35:36]
	v_addc_co_u32_e64 v13, s[0:1], 0, v21, vcc
	s_mov_b32 s0, 0x33145c07
	s_mov_b32 s1, 0x3c91a626
	v_add_f64 v[6:7], v[6:7], v[14:15]
	v_add_f64 v[14:15], v[8:9], v[6:7]
	v_mul_f64 v[16:17], v[14:15], s[4:5]
	v_add_f64 v[8:9], v[14:15], -v[8:9]
	v_fma_f64 v[18:19], v[14:15], s[4:5], -v[16:17]
	v_add_f64 v[6:7], v[6:7], -v[8:9]
	v_fma_f64 v[8:9], v[14:15], s[0:1], v[18:19]
	v_fma_f64 v[8:9], v[6:7], s[4:5], v[8:9]
	v_add_f64 v[6:7], v[16:17], v[8:9]
	v_add_f64 v[14:15], v[6:7], -v[16:17]
	v_add_f64 v[8:9], v[8:9], -v[14:15]
.LBB48_1313:
	s_andn2_saveexec_b64 s[0:1], s[6:7]
	s_cbranch_execz .LBB48_1315
; %bb.1314:
	s_mov_b32 s4, 0x6dc9c883
	s_mov_b32 s5, 0x3fe45f30
	v_mul_f64 v[6:7], |v[4:5]|, s[4:5]
	s_mov_b32 s4, 0x54442d18
	s_mov_b32 s5, 0xbff921fb
	;; [unrolled: 1-line block ×4, first 2 shown]
	v_rndne_f64_e32 v[13:14], v[6:7]
	v_fma_f64 v[6:7], v[13:14], s[4:5], |v[4:5]|
	v_mul_f64 v[8:9], v[13:14], s[6:7]
	s_mov_b32 s4, 0x252049c0
	s_mov_b32 s5, 0xb97b839a
	v_fma_f64 v[19:20], v[13:14], s[6:7], v[6:7]
	v_add_f64 v[15:16], v[6:7], v[8:9]
	s_mov_b32 s7, 0x3c91a626
	v_add_f64 v[17:18], v[6:7], -v[15:16]
	v_add_f64 v[15:16], v[15:16], -v[19:20]
	v_add_f64 v[6:7], v[17:18], v[8:9]
	v_fma_f64 v[8:9], v[13:14], s[6:7], v[8:9]
	v_add_f64 v[6:7], v[15:16], v[6:7]
	v_add_f64 v[6:7], v[6:7], -v[8:9]
	v_fma_f64 v[8:9], v[13:14], s[4:5], v[6:7]
	v_cvt_i32_f64_e32 v13, v[13:14]
	v_add_f64 v[6:7], v[19:20], v[8:9]
	v_add_f64 v[15:16], v[6:7], -v[19:20]
	v_add_f64 v[8:9], v[8:9], -v[15:16]
.LBB48_1315:
	s_or_b64 exec, exec, s[0:1]
	v_mul_f64 v[14:15], v[6:7], v[6:7]
	s_mov_b32 s0, 0xf9a43bb8
	v_mov_b32_e32 v17, 0xb42fdfa7
	v_mov_b32_e32 v18, 0xbe5ae600
	s_mov_b32 s1, 0x3de5e0b2
	s_mov_b32 s4, 0x796cde01
	v_mov_b32_e32 v16, 0x9037ab78
	s_mov_b32 s5, 0x3ec71de3
	v_fma_f64 v[18:19], v[14:15], s[0:1], v[17:18]
	s_mov_b32 s0, 0x46cc5e42
	v_mov_b32_e32 v17, 0x3e21eeb6
	s_mov_b32 s1, 0xbda907db
	v_fma_f64 v[16:17], v[14:15], s[0:1], v[16:17]
	v_mul_f64 v[20:21], v[14:15], 0.5
	s_mov_b32 s0, 0xa17f65f6
	s_mov_b32 s6, 0x19e83e5c
	v_fma_f64 v[18:19], v[14:15], v[18:19], s[4:5]
	s_mov_b32 s1, 0xbe927e4f
	s_mov_b32 s7, 0xbf2a01a0
	;; [unrolled: 1-line block ×3, first 2 shown]
	v_fma_f64 v[16:17], v[14:15], v[16:17], s[0:1]
	v_add_f64 v[24:25], -v[20:21], 1.0
	s_mov_b32 s0, 0x11110bb3
	s_mov_b32 s5, 0x3efa01a0
	v_fma_f64 v[18:19], v[14:15], v[18:19], s[6:7]
	s_mov_b32 s1, 0x3f811111
	v_mul_f64 v[26:27], v[8:9], 0.5
	v_mul_f64 v[28:29], v[6:7], -v[14:15]
	v_fma_f64 v[16:17], v[14:15], v[16:17], s[4:5]
	v_add_f64 v[31:32], -v[24:25], 1.0
	v_add_f64 v[10:11], -v[10:11], 1.0
	v_fma_f64 v[18:19], v[14:15], v[18:19], s[0:1]
	s_mov_b32 s0, 0x16c16967
	s_mov_b32 s1, 0xbf56c16c
	v_fma_f64 v[16:17], v[14:15], v[16:17], s[0:1]
	v_add_f64 v[20:21], v[31:32], -v[20:21]
	s_mov_b32 s1, 0x3fa55555
	s_mov_b32 s0, 0x55555555
	v_fma_f64 v[18:19], v[28:29], v[18:19], v[26:27]
	v_mul_f64 v[26:27], v[14:15], v[14:15]
	v_fma_f64 v[16:17], v[14:15], v[16:17], s[0:1]
	v_fma_f64 v[20:21], v[6:7], -v[8:9], v[20:21]
	s_mov_b32 s1, 0xbfc55555
	v_fma_f64 v[8:9], v[14:15], v[18:19], -v[8:9]
	v_fma_f64 v[14:15], v[26:27], v[16:17], v[20:21]
	v_fma_f64 v[8:9], v[28:29], s[0:1], v[8:9]
	s_movk_i32 s0, 0x1f8
	v_cmp_class_f64_e64 s[0:1], v[4:5], s0
	v_lshlrev_b32_e32 v4, 30, v13
	v_xor_b32_e32 v4, v4, v5
	v_add_f64 v[14:15], v[24:25], v[14:15]
	v_and_b32_e32 v4, 0x80000000, v4
	v_add_f64 v[6:7], v[6:7], -v[8:9]
	v_and_b32_e32 v8, 1, v13
	v_cmp_eq_u32_e32 vcc, 0, v8
	v_mov_b32_e32 v8, 0x7ff80000
	v_cndmask_b32_e32 v5, v15, v7, vcc
	v_cndmask_b32_e32 v6, v14, v6, vcc
	v_xor_b32_e32 v5, v5, v4
	v_cndmask_b32_e64 v4, 0, v6, s[0:1]
	v_cndmask_b32_e64 v5, v8, v5, s[0:1]
	v_mul_f64 v[4:5], v[4:5], v[4:5]
	s_mov_b32 s0, 0xc9be45de
	s_mov_b32 s1, 0xc023bd3c
	v_div_scale_f64 v[6:7], s[4:5], v[4:5], v[4:5], s[0:1]
	v_rcp_f64_e32 v[8:9], v[6:7]
	v_fma_f64 v[13:14], -v[6:7], v[8:9], 1.0
	v_fma_f64 v[8:9], v[8:9], v[13:14], v[8:9]
	v_div_scale_f64 v[13:14], vcc, s[0:1], v[4:5], s[0:1]
	v_fma_f64 v[15:16], -v[6:7], v[8:9], 1.0
	v_fma_f64 v[8:9], v[8:9], v[15:16], v[8:9]
	v_mul_f64 v[15:16], v[13:14], v[8:9]
	v_fma_f64 v[6:7], -v[6:7], v[15:16], v[13:14]
	v_div_fmas_f64 v[6:7], v[6:7], v[8:9], v[15:16]
	v_mov_b32_e32 v16, 0
	v_mov_b32_e32 v17, 0xbff00000
	v_div_fixup_f64 v[4:5], v[6:7], v[4:5], s[0:1]
	v_add_f64 v[20:21], v[4:5], 0
.LBB48_1316:
	s_or_b64 exec, exec, s[2:3]
	v_add_u32_e32 v14, s13, v12
	v_ashrrev_i32_e32 v5, 31, v14
	v_mov_b32_e32 v6, s11
	v_add_co_u32_e32 v4, vcc, s10, v14
	s_cmp_lt_i32 s22, 11
	v_addc_co_u32_e32 v5, vcc, v6, v5, vcc
	s_cbranch_scc1 .LBB48_1323
; %bb.1317:
	s_cmp_gt_i32 s22, 25
	s_mov_b64 s[2:3], 0
	s_cbranch_scc0 .LBB48_1325
; %bb.1318:
	s_cmp_gt_i32 s22, 28
	s_cbranch_scc0 .LBB48_1326
; %bb.1319:
	s_cmp_gt_i32 s22, 43
	;; [unrolled: 3-line block ×3, first 2 shown]
	s_cbranch_scc0 .LBB48_1329
; %bb.1321:
	s_cmp_eq_u32 s22, 46
	s_mov_b64 s[6:7], 0
	s_cbranch_scc0 .LBB48_1330
; %bb.1322:
	global_load_dword v6, v[4:5], off
	s_mov_b64 s[0:1], 0
	s_mov_b64 s[4:5], -1
	s_waitcnt vmcnt(0)
	v_lshlrev_b32_e32 v6, 16, v6
	v_cvt_f64_f32_e32 v[6:7], v6
	s_branch .LBB48_1331
.LBB48_1323:
	s_mov_b64 s[4:5], 0
                                        ; implicit-def: $vgpr6_vgpr7
	s_cbranch_execnz .LBB48_1397
.LBB48_1324:
	s_andn2_b64 vcc, exec, s[4:5]
	s_cbranch_vccnz .LBB48_2020
	s_branch .LBB48_1445
.LBB48_1325:
	s_mov_b64 s[6:7], -1
	s_mov_b64 s[4:5], 0
	s_mov_b64 s[0:1], 0
                                        ; implicit-def: $vgpr6_vgpr7
	s_branch .LBB48_1362
.LBB48_1326:
	s_mov_b64 s[6:7], -1
	s_mov_b64 s[4:5], 0
	s_mov_b64 s[0:1], 0
                                        ; implicit-def: $vgpr6_vgpr7
	s_branch .LBB48_1341
.LBB48_1327:
	s_mov_b64 s[6:7], -1
	s_mov_b64 s[4:5], 0
	s_mov_b64 s[0:1], 0
                                        ; implicit-def: $vgpr6_vgpr7
	s_branch .LBB48_1336
.LBB48_1328:
	s_trap 2
	s_or_b64 s[18:19], s[18:19], exec
	s_cbranch_execz .LBB48_1261
	s_branch .LBB48_1262
.LBB48_1329:
	s_mov_b64 s[6:7], -1
	s_mov_b64 s[4:5], 0
	s_mov_b64 s[0:1], 0
                                        ; implicit-def: $vgpr6_vgpr7
	s_branch .LBB48_1331
.LBB48_1330:
	s_mov_b64 s[0:1], -1
                                        ; implicit-def: $vgpr6_vgpr7
	s_mov_b64 s[4:5], 0
.LBB48_1331:
	s_and_b64 vcc, exec, s[6:7]
	s_cbranch_vccz .LBB48_1335
; %bb.1332:
	s_cmp_eq_u32 s22, 44
	s_cbranch_scc0 .LBB48_1334
; %bb.1333:
	global_load_ubyte v8, v[4:5], off
	s_movk_i32 s4, 0xff
	v_bfrev_b32_e32 v9, 4
	v_mov_b32_e32 v12, 0x7ff80000
	v_bfrev_b32_e32 v13, 28
	s_mov_b64 s[0:1], 0
	s_waitcnt vmcnt(0)
	v_lshlrev_b32_e32 v6, 23, v8
	v_cvt_f64_f32_e32 v[6:7], v6
	v_cmp_ne_u32_e32 vcc, s4, v8
	s_mov_b64 s[4:5], -1
	v_cndmask_b32_e32 v6, v9, v6, vcc
	v_cndmask_b32_e32 v7, v12, v7, vcc
	v_cmp_ne_u32_e32 vcc, 0, v8
	v_cndmask_b32_e32 v7, v13, v7, vcc
	v_cndmask_b32_e32 v6, 0, v6, vcc
	s_branch .LBB48_1335
.LBB48_1334:
	s_mov_b64 s[0:1], -1
                                        ; implicit-def: $vgpr6_vgpr7
.LBB48_1335:
	s_mov_b64 s[6:7], 0
.LBB48_1336:
	s_and_b64 vcc, exec, s[6:7]
	s_cbranch_vccz .LBB48_1340
; %bb.1337:
	s_cmp_eq_u32 s22, 29
	s_cbranch_scc0 .LBB48_1339
; %bb.1338:
	global_load_dwordx2 v[6:7], v[4:5], off
	s_mov_b64 s[0:1], 0
	s_mov_b64 s[4:5], -1
	s_mov_b64 s[6:7], 0
	s_waitcnt vmcnt(0)
	v_cvt_f64_u32_e32 v[7:8], v7
	v_cvt_f64_u32_e32 v[12:13], v6
	v_ldexp_f64 v[7:8], v[7:8], 32
	v_add_f64 v[6:7], v[7:8], v[12:13]
	s_branch .LBB48_1341
.LBB48_1339:
	s_mov_b64 s[0:1], -1
                                        ; implicit-def: $vgpr6_vgpr7
.LBB48_1340:
	s_mov_b64 s[6:7], 0
.LBB48_1341:
	s_and_b64 vcc, exec, s[6:7]
	s_cbranch_vccz .LBB48_1361
; %bb.1342:
	s_cmp_lt_i32 s22, 27
	s_cbranch_scc1 .LBB48_1345
; %bb.1343:
	s_cmp_gt_i32 s22, 27
	s_cbranch_scc0 .LBB48_1346
; %bb.1344:
	global_load_dword v6, v[4:5], off
	s_mov_b64 s[4:5], 0
	s_waitcnt vmcnt(0)
	v_cvt_f64_u32_e32 v[6:7], v6
	s_branch .LBB48_1347
.LBB48_1345:
	s_mov_b64 s[4:5], -1
                                        ; implicit-def: $vgpr6_vgpr7
	s_branch .LBB48_1350
.LBB48_1346:
	s_mov_b64 s[4:5], -1
                                        ; implicit-def: $vgpr6_vgpr7
.LBB48_1347:
	s_andn2_b64 vcc, exec, s[4:5]
	s_cbranch_vccnz .LBB48_1349
; %bb.1348:
	global_load_ushort v6, v[4:5], off
	s_waitcnt vmcnt(0)
	v_cvt_f64_u32_e32 v[6:7], v6
.LBB48_1349:
	s_mov_b64 s[4:5], 0
.LBB48_1350:
	s_andn2_b64 vcc, exec, s[4:5]
	s_cbranch_vccnz .LBB48_1360
; %bb.1351:
	global_load_ubyte v8, v[4:5], off
	s_movk_i32 s4, 0x7f
	s_waitcnt vmcnt(0)
	v_cmp_lt_i16_e32 vcc, s4, v8
	s_mov_b64 s[4:5], 0
	s_and_saveexec_b64 s[6:7], vcc
	s_xor_b64 s[6:7], exec, s[6:7]
	s_cbranch_execz .LBB48_1355
; %bb.1352:
	s_movk_i32 s4, 0x80
	v_cmp_eq_u16_e32 vcc, s4, v8
	s_mov_b64 s[4:5], -1
	s_and_saveexec_b64 s[20:21], vcc
; %bb.1353:
	s_xor_b64 s[4:5], exec, -1
; %bb.1354:
	s_or_b64 exec, exec, s[20:21]
	s_and_b64 s[4:5], s[4:5], exec
.LBB48_1355:
	s_or_saveexec_b64 s[6:7], s[6:7]
	v_bfrev_b32_e32 v6, 4
	v_mov_b32_e32 v7, 0x7ff80000
	s_xor_b64 exec, exec, s[6:7]
; %bb.1356:
	v_cmp_ne_u16_e32 vcc, 0, v8
	v_mov_b32_e32 v6, 0
	s_andn2_b64 s[4:5], s[4:5], exec
	s_and_b64 s[20:21], vcc, exec
	v_mov_b32_e32 v7, 0
	s_or_b64 s[4:5], s[4:5], s[20:21]
; %bb.1357:
	s_or_b64 exec, exec, s[6:7]
	s_and_saveexec_b64 s[6:7], s[4:5]
	s_cbranch_execz .LBB48_1359
; %bb.1358:
	v_and_b32_e32 v7, 0xffff, v8
	v_lshlrev_b32_e32 v6, 24, v8
	v_and_b32_e32 v8, 7, v7
	v_ffbh_u32_e32 v12, v8
	v_min_u32_e32 v12, 32, v12
	v_subrev_u32_e32 v13, 28, v12
	v_bfe_u32 v9, v7, 3, 4
	v_lshlrev_b32_e32 v7, v13, v7
	v_sub_u32_e32 v12, 29, v12
	v_and_b32_e32 v7, 7, v7
	v_cmp_eq_u32_e32 vcc, 0, v9
	v_cndmask_b32_e32 v9, v9, v12, vcc
	v_cndmask_b32_e32 v7, v8, v7, vcc
	v_mov_b32_e32 v8, 0x3b800000
	v_lshlrev_b32_e32 v7, 20, v7
	v_and_b32_e32 v6, 0x80000000, v6
	v_lshl_add_u32 v8, v9, 23, v8
	v_or3_b32 v6, v6, v8, v7
	v_cvt_f64_f32_e32 v[6:7], v6
.LBB48_1359:
	s_or_b64 exec, exec, s[6:7]
.LBB48_1360:
	s_mov_b64 s[4:5], -1
.LBB48_1361:
	s_mov_b64 s[6:7], 0
.LBB48_1362:
	s_and_b64 vcc, exec, s[6:7]
	s_cbranch_vccz .LBB48_1393
; %bb.1363:
	s_cmp_gt_i32 s22, 22
	s_cbranch_scc0 .LBB48_1375
; %bb.1364:
	s_cmp_lt_i32 s22, 24
	s_cbranch_scc1 .LBB48_1376
; %bb.1365:
	s_cmp_gt_i32 s22, 24
	s_cbranch_scc0 .LBB48_1377
; %bb.1366:
	global_load_ubyte v8, v[4:5], off
	s_movk_i32 s2, 0x7f
	s_waitcnt vmcnt(0)
	v_cmp_lt_i16_e32 vcc, s2, v8
	s_mov_b64 s[2:3], 0
	s_and_saveexec_b64 s[4:5], vcc
	s_xor_b64 s[4:5], exec, s[4:5]
	s_cbranch_execz .LBB48_1370
; %bb.1367:
	s_movk_i32 s2, 0x80
	v_cmp_eq_u16_e32 vcc, s2, v8
	s_mov_b64 s[2:3], -1
	s_and_saveexec_b64 s[6:7], vcc
; %bb.1368:
	s_xor_b64 s[2:3], exec, -1
; %bb.1369:
	s_or_b64 exec, exec, s[6:7]
	s_and_b64 s[2:3], s[2:3], exec
.LBB48_1370:
	s_or_saveexec_b64 s[4:5], s[4:5]
	v_bfrev_b32_e32 v6, 4
	v_mov_b32_e32 v7, 0x7ff80000
	s_xor_b64 exec, exec, s[4:5]
; %bb.1371:
	v_cmp_ne_u16_e32 vcc, 0, v8
	v_mov_b32_e32 v6, 0
	s_andn2_b64 s[2:3], s[2:3], exec
	s_and_b64 s[6:7], vcc, exec
	v_mov_b32_e32 v7, 0
	s_or_b64 s[2:3], s[2:3], s[6:7]
; %bb.1372:
	s_or_b64 exec, exec, s[4:5]
	s_and_saveexec_b64 s[4:5], s[2:3]
	s_cbranch_execz .LBB48_1374
; %bb.1373:
	v_and_b32_e32 v7, 0xffff, v8
	v_lshlrev_b32_e32 v6, 24, v8
	v_and_b32_e32 v8, 3, v7
	v_ffbh_u32_e32 v12, v8
	v_min_u32_e32 v12, 32, v12
	v_subrev_u32_e32 v13, 29, v12
	v_bfe_u32 v9, v7, 2, 5
	v_lshlrev_b32_e32 v7, v13, v7
	v_sub_u32_e32 v12, 30, v12
	v_and_b32_e32 v7, 3, v7
	v_cmp_eq_u32_e32 vcc, 0, v9
	v_cndmask_b32_e32 v9, v9, v12, vcc
	v_cndmask_b32_e32 v7, v8, v7, vcc
	v_mov_b32_e32 v8, 0x37800000
	v_lshlrev_b32_e32 v7, 21, v7
	v_and_b32_e32 v6, 0x80000000, v6
	v_lshl_add_u32 v8, v9, 23, v8
	v_or3_b32 v6, v6, v8, v7
	v_cvt_f64_f32_e32 v[6:7], v6
.LBB48_1374:
	s_or_b64 exec, exec, s[4:5]
	s_mov_b64 s[2:3], 0
	s_branch .LBB48_1378
.LBB48_1375:
	s_mov_b64 s[2:3], -1
                                        ; implicit-def: $vgpr6_vgpr7
	s_branch .LBB48_1384
.LBB48_1376:
	s_mov_b64 s[2:3], -1
                                        ; implicit-def: $vgpr6_vgpr7
	s_branch .LBB48_1381
.LBB48_1377:
	s_mov_b64 s[2:3], -1
                                        ; implicit-def: $vgpr6_vgpr7
.LBB48_1378:
	s_and_b64 vcc, exec, s[2:3]
	s_cbranch_vccz .LBB48_1380
; %bb.1379:
	global_load_ubyte v6, v[4:5], off
	s_mov_b32 s2, 0x7f800000
	s_waitcnt vmcnt(0)
	v_lshlrev_b32_e32 v6, 24, v6
	v_and_b32_e32 v7, 0x7f000000, v6
	v_ffbh_u32_e32 v8, v7
	v_min_u32_e32 v8, 32, v8
	v_sub_u32_e64 v8, v8, 4 clamp
	v_lshlrev_b32_e32 v12, v8, v7
	v_lshlrev_b32_e32 v8, 23, v8
	v_lshrrev_b32_e32 v12, 4, v12
	v_add_u32_e32 v9, 0x1000000, v7
	v_sub_u32_e32 v8, v12, v8
	v_ashrrev_i32_e32 v9, 8, v9
	v_add_u32_e32 v8, 0x3c000000, v8
	v_and_or_b32 v8, v9, s2, v8
	v_cmp_ne_u32_e32 vcc, 0, v7
	v_cndmask_b32_e32 v7, 0, v8, vcc
	s_brev_b32 s2, 1
	v_and_or_b32 v6, v6, s2, v7
	v_cvt_f64_f32_e32 v[6:7], v6
.LBB48_1380:
	s_mov_b64 s[2:3], 0
.LBB48_1381:
	s_andn2_b64 vcc, exec, s[2:3]
	s_cbranch_vccnz .LBB48_1383
; %bb.1382:
	global_load_ubyte v6, v[4:5], off
	s_movk_i32 s2, 0x7f00
	s_brev_b32 s3, 16
	s_waitcnt vmcnt(0)
	v_lshlrev_b16_e32 v7, 8, v6
	v_lshlrev_b32_e32 v6, 25, v6
	v_lshrrev_b32_e32 v8, 4, v6
	v_and_or_b32 v9, v7, s2, 0.5
	v_or_b32_e32 v8, 0x70000000, v8
	v_add_f32_e32 v9, -0.5, v9
	v_mul_f32_e32 v8, 0x7800000, v8
	v_cmp_gt_u32_e32 vcc, s3, v6
	v_bfe_i32 v7, v7, 0, 16
	v_cndmask_b32_e32 v6, v8, v9, vcc
	s_brev_b32 s2, 1
	v_and_or_b32 v6, v7, s2, v6
	v_cvt_f64_f32_e32 v[6:7], v6
.LBB48_1383:
	s_mov_b64 s[2:3], 0
	s_mov_b64 s[4:5], -1
.LBB48_1384:
	s_andn2_b64 vcc, exec, s[2:3]
	s_mov_b64 s[2:3], 0
	s_cbranch_vccnz .LBB48_1393
; %bb.1385:
	s_cmp_gt_i32 s22, 14
	s_cbranch_scc0 .LBB48_1388
; %bb.1386:
	s_cmp_eq_u32 s22, 15
	s_cbranch_scc0 .LBB48_1389
; %bb.1387:
	global_load_ushort v6, v[4:5], off
	s_mov_b64 s[0:1], 0
	s_mov_b64 s[4:5], -1
	s_waitcnt vmcnt(0)
	v_lshlrev_b32_e32 v6, 16, v6
	v_cvt_f64_f32_e32 v[6:7], v6
	s_branch .LBB48_1390
.LBB48_1388:
	s_mov_b64 s[6:7], -1
                                        ; implicit-def: $vgpr6_vgpr7
	s_branch .LBB48_1391
.LBB48_1389:
	s_mov_b64 s[0:1], -1
                                        ; implicit-def: $vgpr6_vgpr7
.LBB48_1390:
	s_mov_b64 s[6:7], 0
.LBB48_1391:
	s_and_b64 vcc, exec, s[6:7]
	s_cbranch_vccz .LBB48_1393
; %bb.1392:
	s_cmp_lg_u32 s22, 11
	s_mov_b64 s[2:3], -1
	s_cselect_b64 s[0:1], -1, 0
.LBB48_1393:
	s_and_b64 vcc, exec, s[0:1]
	s_cbranch_vccnz .LBB48_1462
; %bb.1394:
	s_andn2_b64 vcc, exec, s[2:3]
	s_cbranch_vccnz .LBB48_1396
.LBB48_1395:
	global_load_ubyte v7, v[4:5], off
	v_mov_b32_e32 v8, 0x3ff00000
	v_mov_b32_e32 v6, 0
	s_mov_b64 s[4:5], -1
	s_waitcnt vmcnt(0)
	v_cmp_ne_u16_e32 vcc, 0, v7
	v_cndmask_b32_e32 v7, 0, v8, vcc
.LBB48_1396:
	s_branch .LBB48_1324
.LBB48_1397:
	s_cmp_lt_i32 s22, 5
	s_cbranch_scc1 .LBB48_1402
; %bb.1398:
	s_cmp_lt_i32 s22, 8
	s_cbranch_scc1 .LBB48_1403
; %bb.1399:
	;; [unrolled: 3-line block ×3, first 2 shown]
	s_cmp_gt_i32 s22, 9
	s_cbranch_scc0 .LBB48_1405
; %bb.1401:
	global_load_dwordx2 v[6:7], v[4:5], off
	s_mov_b64 s[0:1], 0
	s_branch .LBB48_1406
.LBB48_1402:
	s_mov_b64 s[0:1], -1
                                        ; implicit-def: $vgpr6_vgpr7
	s_branch .LBB48_1424
.LBB48_1403:
	s_mov_b64 s[0:1], -1
                                        ; implicit-def: $vgpr6_vgpr7
	s_branch .LBB48_1412
.LBB48_1404:
	s_mov_b64 s[0:1], -1
                                        ; implicit-def: $vgpr6_vgpr7
	s_branch .LBB48_1409
.LBB48_1405:
	s_mov_b64 s[0:1], -1
                                        ; implicit-def: $vgpr6_vgpr7
.LBB48_1406:
	s_andn2_b64 vcc, exec, s[0:1]
	s_cbranch_vccnz .LBB48_1408
; %bb.1407:
	global_load_dword v6, v[4:5], off
	s_waitcnt vmcnt(0)
	v_cvt_f64_f32_e32 v[6:7], v6
.LBB48_1408:
	s_mov_b64 s[0:1], 0
.LBB48_1409:
	s_andn2_b64 vcc, exec, s[0:1]
	s_cbranch_vccnz .LBB48_1411
; %bb.1410:
	global_load_dword v6, v[4:5], off
	s_waitcnt vmcnt(0)
	v_cvt_f32_f16_e32 v6, v6
	v_cvt_f64_f32_e32 v[6:7], v6
.LBB48_1411:
	s_mov_b64 s[0:1], 0
.LBB48_1412:
	s_andn2_b64 vcc, exec, s[0:1]
	s_cbranch_vccnz .LBB48_1423
; %bb.1413:
	s_cmp_lt_i32 s22, 6
	s_cbranch_scc1 .LBB48_1416
; %bb.1414:
	s_cmp_gt_i32 s22, 6
	s_cbranch_scc0 .LBB48_1417
; %bb.1415:
	global_load_dwordx2 v[6:7], v[4:5], off
	s_mov_b64 s[0:1], 0
	s_branch .LBB48_1418
.LBB48_1416:
	s_mov_b64 s[0:1], -1
                                        ; implicit-def: $vgpr6_vgpr7
	s_branch .LBB48_1421
.LBB48_1417:
	s_mov_b64 s[0:1], -1
                                        ; implicit-def: $vgpr6_vgpr7
.LBB48_1418:
	s_andn2_b64 vcc, exec, s[0:1]
	s_cbranch_vccnz .LBB48_1420
; %bb.1419:
	global_load_dword v6, v[4:5], off
	s_waitcnt vmcnt(0)
	v_cvt_f64_f32_e32 v[6:7], v6
.LBB48_1420:
	s_mov_b64 s[0:1], 0
.LBB48_1421:
	s_andn2_b64 vcc, exec, s[0:1]
	s_cbranch_vccnz .LBB48_1423
; %bb.1422:
	global_load_ushort v6, v[4:5], off
	s_waitcnt vmcnt(0)
	v_cvt_f32_f16_e32 v6, v6
	v_cvt_f64_f32_e32 v[6:7], v6
.LBB48_1423:
	s_mov_b64 s[0:1], 0
.LBB48_1424:
	s_andn2_b64 vcc, exec, s[0:1]
	s_cbranch_vccnz .LBB48_1444
; %bb.1425:
	s_cmp_lt_i32 s22, 2
	s_cbranch_scc1 .LBB48_1429
; %bb.1426:
	s_cmp_lt_i32 s22, 3
	s_cbranch_scc1 .LBB48_1430
; %bb.1427:
	s_cmp_gt_i32 s22, 3
	s_cbranch_scc0 .LBB48_1431
; %bb.1428:
	global_load_dwordx2 v[6:7], v[4:5], off
	s_mov_b64 s[0:1], 0
	s_waitcnt vmcnt(0)
	v_cvt_f64_i32_e32 v[7:8], v7
	v_cvt_f64_u32_e32 v[12:13], v6
	v_ldexp_f64 v[7:8], v[7:8], 32
	v_add_f64 v[6:7], v[7:8], v[12:13]
	s_branch .LBB48_1432
.LBB48_1429:
	s_mov_b64 s[0:1], -1
                                        ; implicit-def: $vgpr6_vgpr7
	s_branch .LBB48_1438
.LBB48_1430:
	s_mov_b64 s[0:1], -1
                                        ; implicit-def: $vgpr6_vgpr7
	s_branch .LBB48_1435
.LBB48_1431:
	s_mov_b64 s[0:1], -1
                                        ; implicit-def: $vgpr6_vgpr7
.LBB48_1432:
	s_andn2_b64 vcc, exec, s[0:1]
	s_cbranch_vccnz .LBB48_1434
; %bb.1433:
	global_load_dword v6, v[4:5], off
	s_waitcnt vmcnt(0)
	v_cvt_f64_i32_e32 v[6:7], v6
.LBB48_1434:
	s_mov_b64 s[0:1], 0
.LBB48_1435:
	s_andn2_b64 vcc, exec, s[0:1]
	s_cbranch_vccnz .LBB48_1437
; %bb.1436:
	global_load_sshort v6, v[4:5], off
	s_waitcnt vmcnt(0)
	v_cvt_f64_i32_e32 v[6:7], v6
.LBB48_1437:
	s_mov_b64 s[0:1], 0
.LBB48_1438:
	s_andn2_b64 vcc, exec, s[0:1]
	s_cbranch_vccnz .LBB48_1444
; %bb.1439:
	s_cmp_gt_i32 s22, 0
	s_cbranch_scc0 .LBB48_1441
; %bb.1440:
	global_load_sbyte v6, v[4:5], off
	s_mov_b64 s[0:1], 0
	s_waitcnt vmcnt(0)
	v_cvt_f64_i32_e32 v[6:7], v6
	s_branch .LBB48_1442
.LBB48_1441:
	s_mov_b64 s[0:1], -1
                                        ; implicit-def: $vgpr6_vgpr7
.LBB48_1442:
	s_andn2_b64 vcc, exec, s[0:1]
	s_cbranch_vccnz .LBB48_1444
; %bb.1443:
	global_load_ubyte v4, v[4:5], off
	s_waitcnt vmcnt(0)
	v_cvt_f64_u32_e32 v[6:7], v4
.LBB48_1444:
.LBB48_1445:
	s_waitcnt vmcnt(0)
	v_cmp_gt_f64_e32 vcc, 0.5, v[6:7]
	v_mov_b32_e32 v18, 0
	v_mov_b32_e32 v8, 0
	v_mov_b32_e32 v19, 0
	v_mov_b32_e32 v9, 0x3ff00000
	s_and_saveexec_b64 s[2:3], vcc
	s_cbranch_execz .LBB48_1451
; %bb.1446:
	s_mov_b32 s1, 0x400921fb
	s_mov_b32 s0, 0x54442d18
	v_mul_f64 v[4:5], v[6:7], s[0:1]
	s_mov_b32 s4, 0
	s_mov_b32 s5, 0x41d00000
                                        ; implicit-def: $vgpr15
                                        ; implicit-def: $vgpr8_vgpr9
                                        ; implicit-def: $vgpr12_vgpr13
	v_cmp_nlt_f64_e64 s[4:5], |v[4:5]|, s[4:5]
	s_and_saveexec_b64 s[6:7], s[4:5]
	s_xor_b64 s[4:5], exec, s[6:7]
	s_cbranch_execz .LBB48_1448
; %bb.1447:
	v_trig_preop_f64 v[8:9], |v[4:5]|, 0
	s_mov_b32 s6, 0
	s_mov_b32 s7, 0x7b000000
	s_movk_i32 s1, 0xff80
	v_ldexp_f64 v[18:19], |v[4:5]|, s1
	v_cmp_ge_f64_e64 vcc, |v[4:5]|, s[6:7]
	v_trig_preop_f64 v[12:13], |v[4:5]|, 1
	v_and_b32_e32 v15, 0x7fffffff, v5
	v_trig_preop_f64 v[31:32], |v[4:5]|, 2
	s_mov_b32 s6, 0
	s_mov_b32 s7, 0x7ff00000
	v_mov_b32_e32 v41, 0
	s_mov_b32 s1, 0x3ff921fb
	v_cndmask_b32_e32 v19, v15, v19, vcc
	v_cndmask_b32_e32 v18, v4, v18, vcc
	v_mov_b32_e32 v15, 0x40100000
	v_mul_f64 v[24:25], v[8:9], v[18:19]
	v_mul_f64 v[26:27], v[12:13], v[18:19]
	v_mul_f64 v[37:38], v[31:32], v[18:19]
	v_fma_f64 v[8:9], v[8:9], v[18:19], -v[24:25]
	v_fma_f64 v[12:13], v[12:13], v[18:19], -v[26:27]
	;; [unrolled: 1-line block ×3, first 2 shown]
	v_add_f64 v[28:29], v[26:27], v[8:9]
	v_add_f64 v[33:34], v[28:29], -v[26:27]
	v_add_f64 v[39:40], v[24:25], v[28:29]
	v_add_f64 v[35:36], v[28:29], -v[33:34]
	v_add_f64 v[8:9], v[8:9], -v[33:34]
	v_add_f64 v[33:34], v[37:38], v[12:13]
	v_add_f64 v[24:25], v[39:40], -v[24:25]
	v_add_f64 v[26:27], v[26:27], -v[35:36]
	v_ldexp_f64 v[35:36], v[39:40], -2
	v_add_f64 v[43:44], v[33:34], -v[37:38]
	v_add_f64 v[24:25], v[28:29], -v[24:25]
	v_add_f64 v[8:9], v[8:9], v[26:27]
	v_fract_f64_e32 v[26:27], v[35:36]
	v_cmp_neq_f64_e64 vcc, |v[35:36]|, s[6:7]
	v_add_f64 v[12:13], v[12:13], -v[43:44]
	s_mov_b32 s6, 0x33145c07
	s_mov_b32 s7, 0x3c91a626
	v_add_f64 v[28:29], v[33:34], v[8:9]
	v_ldexp_f64 v[26:27], v[26:27], 2
	v_add_f64 v[35:36], v[24:25], v[28:29]
	v_cndmask_b32_e32 v27, 0, v27, vcc
	v_cndmask_b32_e32 v26, 0, v26, vcc
	v_add_f64 v[45:46], v[28:29], -v[33:34]
	v_add_f64 v[39:40], v[35:36], v[26:27]
	v_add_f64 v[24:25], v[35:36], -v[24:25]
	v_add_f64 v[47:48], v[28:29], -v[45:46]
	;; [unrolled: 1-line block ×3, first 2 shown]
	v_cmp_gt_f64_e32 vcc, 0, v[39:40]
	v_add_f64 v[39:40], v[33:34], -v[43:44]
	v_add_f64 v[24:25], v[28:29], -v[24:25]
	;; [unrolled: 1-line block ×3, first 2 shown]
	v_cndmask_b32_e32 v42, 0, v15, vcc
	v_add_f64 v[26:27], v[26:27], v[41:42]
	v_add_f64 v[39:40], v[37:38], -v[39:40]
	v_add_f64 v[8:9], v[8:9], v[33:34]
	v_add_f64 v[49:50], v[35:36], v[26:27]
	v_add_f64 v[12:13], v[12:13], v[39:40]
	v_cvt_i32_f64_e32 v15, v[49:50]
	v_add_f64 v[8:9], v[12:13], v[8:9]
	v_cvt_f64_i32_e32 v[42:43], v15
	v_add_f64 v[26:27], v[26:27], -v[42:43]
	v_add_f64 v[8:9], v[18:19], v[8:9]
	v_add_f64 v[12:13], v[35:36], v[26:27]
	;; [unrolled: 1-line block ×3, first 2 shown]
	v_mov_b32_e32 v24, 0x3ff00000
	v_add_f64 v[18:19], v[12:13], -v[26:27]
	v_cmp_le_f64_e32 vcc, 0.5, v[12:13]
	v_add_f64 v[18:19], v[35:36], -v[18:19]
	v_cndmask_b32_e32 v42, 0, v24, vcc
	v_add_f64 v[12:13], v[12:13], -v[41:42]
	v_addc_co_u32_e32 v15, vcc, 0, v15, vcc
	v_add_f64 v[8:9], v[8:9], v[18:19]
	v_add_f64 v[18:19], v[12:13], v[8:9]
	v_mul_f64 v[24:25], v[18:19], s[0:1]
	v_add_f64 v[12:13], v[18:19], -v[12:13]
	v_fma_f64 v[26:27], v[18:19], s[0:1], -v[24:25]
	v_add_f64 v[8:9], v[8:9], -v[12:13]
	v_fma_f64 v[12:13], v[18:19], s[6:7], v[26:27]
	v_fma_f64 v[12:13], v[8:9], s[0:1], v[12:13]
	v_add_f64 v[8:9], v[24:25], v[12:13]
	v_add_f64 v[18:19], v[8:9], -v[24:25]
	v_add_f64 v[12:13], v[12:13], -v[18:19]
.LBB48_1448:
	s_andn2_saveexec_b64 s[0:1], s[4:5]
	s_cbranch_execz .LBB48_1450
; %bb.1449:
	s_mov_b32 s4, 0x6dc9c883
	s_mov_b32 s5, 0x3fe45f30
	v_mul_f64 v[8:9], |v[4:5]|, s[4:5]
	s_mov_b32 s4, 0x54442d18
	s_mov_b32 s5, 0xbff921fb
	;; [unrolled: 1-line block ×4, first 2 shown]
	v_rndne_f64_e32 v[18:19], v[8:9]
	v_fma_f64 v[8:9], v[18:19], s[4:5], |v[4:5]|
	v_mul_f64 v[12:13], v[18:19], s[6:7]
	s_mov_b32 s4, 0x252049c0
	s_mov_b32 s5, 0xb97b839a
	v_cvt_i32_f64_e32 v15, v[18:19]
	v_fma_f64 v[28:29], v[18:19], s[6:7], v[8:9]
	v_add_f64 v[24:25], v[8:9], v[12:13]
	s_mov_b32 s7, 0x3c91a626
	v_add_f64 v[26:27], v[8:9], -v[24:25]
	v_add_f64 v[24:25], v[24:25], -v[28:29]
	v_add_f64 v[8:9], v[26:27], v[12:13]
	v_fma_f64 v[12:13], v[18:19], s[6:7], v[12:13]
	v_add_f64 v[8:9], v[24:25], v[8:9]
	v_add_f64 v[8:9], v[8:9], -v[12:13]
	v_fma_f64 v[12:13], v[18:19], s[4:5], v[8:9]
	v_add_f64 v[8:9], v[28:29], v[12:13]
	v_add_f64 v[24:25], v[8:9], -v[28:29]
	v_add_f64 v[12:13], v[12:13], -v[24:25]
.LBB48_1450:
	s_or_b64 exec, exec, s[0:1]
	v_mul_f64 v[18:19], v[8:9], v[8:9]
	s_mov_b32 s0, 0xf9a43bb8
	v_mov_b32_e32 v25, 0xb42fdfa7
	v_mov_b32_e32 v26, 0xbe5ae600
	s_mov_b32 s1, 0x3de5e0b2
	s_mov_b32 s4, 0x796cde01
	v_mov_b32_e32 v24, 0x9037ab78
	s_mov_b32 s5, 0x3ec71de3
	v_fma_f64 v[26:27], v[18:19], s[0:1], v[25:26]
	s_mov_b32 s0, 0x46cc5e42
	v_mov_b32_e32 v25, 0x3e21eeb6
	s_mov_b32 s1, 0xbda907db
	v_fma_f64 v[24:25], v[18:19], s[0:1], v[24:25]
	v_mul_f64 v[28:29], v[18:19], 0.5
	s_mov_b32 s0, 0xa17f65f6
	s_mov_b32 s6, 0x19e83e5c
	v_fma_f64 v[26:27], v[18:19], v[26:27], s[4:5]
	s_mov_b32 s1, 0xbe927e4f
	s_mov_b32 s7, 0xbf2a01a0
	;; [unrolled: 1-line block ×3, first 2 shown]
	v_fma_f64 v[24:25], v[18:19], v[24:25], s[0:1]
	v_add_f64 v[31:32], -v[28:29], 1.0
	s_mov_b32 s0, 0x11110bb3
	s_mov_b32 s5, 0x3efa01a0
	v_fma_f64 v[26:27], v[18:19], v[26:27], s[6:7]
	s_mov_b32 s1, 0x3f811111
	v_mul_f64 v[33:34], v[12:13], 0.5
	v_mul_f64 v[35:36], v[8:9], -v[18:19]
	v_fma_f64 v[24:25], v[18:19], v[24:25], s[4:5]
	v_add_f64 v[37:38], -v[31:32], 1.0
	v_add_f64 v[6:7], -v[6:7], 1.0
	v_fma_f64 v[26:27], v[18:19], v[26:27], s[0:1]
	s_mov_b32 s0, 0x16c16967
	s_mov_b32 s1, 0xbf56c16c
	v_fma_f64 v[24:25], v[18:19], v[24:25], s[0:1]
	v_add_f64 v[28:29], v[37:38], -v[28:29]
	s_mov_b32 s1, 0x3fa55555
	s_mov_b32 s0, 0x55555555
	v_fma_f64 v[26:27], v[35:36], v[26:27], v[33:34]
	v_mul_f64 v[33:34], v[18:19], v[18:19]
	v_fma_f64 v[24:25], v[18:19], v[24:25], s[0:1]
	v_fma_f64 v[28:29], v[8:9], -v[12:13], v[28:29]
	s_mov_b32 s1, 0xbfc55555
	v_fma_f64 v[12:13], v[18:19], v[26:27], -v[12:13]
	v_fma_f64 v[18:19], v[33:34], v[24:25], v[28:29]
	v_fma_f64 v[12:13], v[35:36], s[0:1], v[12:13]
	s_movk_i32 s0, 0x1f8
	v_cmp_class_f64_e64 s[0:1], v[4:5], s0
	v_lshlrev_b32_e32 v4, 30, v15
	v_xor_b32_e32 v4, v4, v5
	v_add_f64 v[18:19], v[31:32], v[18:19]
	v_and_b32_e32 v4, 0x80000000, v4
	v_add_f64 v[8:9], v[8:9], -v[12:13]
	v_and_b32_e32 v12, 1, v15
	v_cmp_eq_u32_e32 vcc, 0, v12
	v_mov_b32_e32 v12, 0x7ff80000
	v_cndmask_b32_e32 v5, v19, v9, vcc
	v_cndmask_b32_e32 v8, v18, v8, vcc
	v_xor_b32_e32 v5, v5, v4
	v_cndmask_b32_e64 v4, 0, v8, s[0:1]
	v_cndmask_b32_e64 v5, v12, v5, s[0:1]
	v_mul_f64 v[4:5], v[4:5], v[4:5]
	s_mov_b32 s0, 0xc9be45de
	s_mov_b32 s1, 0xc023bd3c
	v_div_scale_f64 v[8:9], s[4:5], v[4:5], v[4:5], s[0:1]
	v_rcp_f64_e32 v[12:13], v[8:9]
	v_fma_f64 v[18:19], -v[8:9], v[12:13], 1.0
	v_fma_f64 v[12:13], v[12:13], v[18:19], v[12:13]
	v_div_scale_f64 v[18:19], vcc, s[0:1], v[4:5], s[0:1]
	v_fma_f64 v[24:25], -v[8:9], v[12:13], 1.0
	v_fma_f64 v[12:13], v[12:13], v[24:25], v[12:13]
	v_mul_f64 v[24:25], v[18:19], v[12:13]
	v_fma_f64 v[8:9], -v[8:9], v[24:25], v[18:19]
	v_div_fmas_f64 v[8:9], v[8:9], v[12:13], v[24:25]
	v_div_fixup_f64 v[4:5], v[8:9], v[4:5], s[0:1]
	v_mov_b32_e32 v8, 0
	v_mov_b32_e32 v9, 0xbff00000
	v_add_f64 v[18:19], v[4:5], 0
.LBB48_1451:
	s_or_b64 exec, exec, s[2:3]
	v_add_u32_e32 v4, s13, v14
	v_ashrrev_i32_e32 v5, 31, v4
	v_mov_b32_e32 v13, s11
	v_add_co_u32_e32 v12, vcc, s10, v4
	s_cmp_lt_i32 s22, 11
	v_addc_co_u32_e32 v13, vcc, v13, v5, vcc
	s_cbranch_scc1 .LBB48_1458
; %bb.1452:
	s_cmp_gt_i32 s22, 25
	s_mov_b64 s[2:3], 0
	s_cbranch_scc0 .LBB48_1459
; %bb.1453:
	s_cmp_gt_i32 s22, 28
	s_cbranch_scc0 .LBB48_1460
; %bb.1454:
	s_cmp_gt_i32 s22, 43
	;; [unrolled: 3-line block ×3, first 2 shown]
	s_cbranch_scc0 .LBB48_1463
; %bb.1456:
	s_cmp_eq_u32 s22, 46
	s_mov_b64 s[6:7], 0
	s_cbranch_scc0 .LBB48_1464
; %bb.1457:
	global_load_dword v4, v[12:13], off
	s_mov_b64 s[0:1], 0
	s_mov_b64 s[4:5], -1
	s_waitcnt vmcnt(0)
	v_lshlrev_b32_e32 v4, 16, v4
	v_cvt_f64_f32_e32 v[4:5], v4
	s_branch .LBB48_1465
.LBB48_1458:
	s_mov_b64 s[0:1], -1
	s_mov_b64 s[4:5], 0
                                        ; implicit-def: $vgpr4_vgpr5
	s_branch .LBB48_1531
.LBB48_1459:
	s_mov_b64 s[6:7], -1
	s_mov_b64 s[4:5], 0
	s_mov_b64 s[0:1], 0
                                        ; implicit-def: $vgpr4_vgpr5
	s_branch .LBB48_1496
.LBB48_1460:
	s_mov_b64 s[6:7], -1
	s_mov_b64 s[4:5], 0
	s_mov_b64 s[0:1], 0
                                        ; implicit-def: $vgpr4_vgpr5
	s_branch .LBB48_1475
.LBB48_1461:
	s_mov_b64 s[6:7], -1
	s_mov_b64 s[4:5], 0
	s_mov_b64 s[0:1], 0
                                        ; implicit-def: $vgpr4_vgpr5
	s_branch .LBB48_1470
.LBB48_1462:
	s_trap 2
	s_or_b64 s[18:19], s[18:19], exec
	s_cbranch_execz .LBB48_1395
	s_branch .LBB48_1396
.LBB48_1463:
	s_mov_b64 s[6:7], -1
	s_mov_b64 s[4:5], 0
	s_mov_b64 s[0:1], 0
                                        ; implicit-def: $vgpr4_vgpr5
	s_branch .LBB48_1465
.LBB48_1464:
	s_mov_b64 s[0:1], -1
                                        ; implicit-def: $vgpr4_vgpr5
	s_mov_b64 s[4:5], 0
.LBB48_1465:
	s_and_b64 vcc, exec, s[6:7]
	s_cbranch_vccz .LBB48_1469
; %bb.1466:
	s_cmp_eq_u32 s22, 44
	s_cbranch_scc0 .LBB48_1468
; %bb.1467:
	global_load_ubyte v14, v[12:13], off
	s_movk_i32 s4, 0xff
	v_bfrev_b32_e32 v15, 4
	v_mov_b32_e32 v24, 0x7ff80000
	v_bfrev_b32_e32 v25, 28
	s_mov_b64 s[0:1], 0
	s_waitcnt vmcnt(0)
	v_lshlrev_b32_e32 v4, 23, v14
	v_cvt_f64_f32_e32 v[4:5], v4
	v_cmp_ne_u32_e32 vcc, s4, v14
	s_mov_b64 s[4:5], -1
	v_cndmask_b32_e32 v4, v15, v4, vcc
	v_cndmask_b32_e32 v5, v24, v5, vcc
	v_cmp_ne_u32_e32 vcc, 0, v14
	v_cndmask_b32_e32 v5, v25, v5, vcc
	v_cndmask_b32_e32 v4, 0, v4, vcc
	s_branch .LBB48_1469
.LBB48_1468:
	s_mov_b64 s[0:1], -1
                                        ; implicit-def: $vgpr4_vgpr5
.LBB48_1469:
	s_mov_b64 s[6:7], 0
.LBB48_1470:
	s_and_b64 vcc, exec, s[6:7]
	s_cbranch_vccz .LBB48_1474
; %bb.1471:
	s_cmp_eq_u32 s22, 29
	s_cbranch_scc0 .LBB48_1473
; %bb.1472:
	global_load_dwordx2 v[4:5], v[12:13], off
	s_mov_b64 s[0:1], 0
	s_mov_b64 s[4:5], -1
	s_mov_b64 s[6:7], 0
	s_waitcnt vmcnt(0)
	v_cvt_f64_u32_e32 v[14:15], v5
	v_cvt_f64_u32_e32 v[4:5], v4
	v_ldexp_f64 v[14:15], v[14:15], 32
	v_add_f64 v[4:5], v[14:15], v[4:5]
	s_branch .LBB48_1475
.LBB48_1473:
	s_mov_b64 s[0:1], -1
                                        ; implicit-def: $vgpr4_vgpr5
.LBB48_1474:
	s_mov_b64 s[6:7], 0
.LBB48_1475:
	s_and_b64 vcc, exec, s[6:7]
	s_cbranch_vccz .LBB48_1495
; %bb.1476:
	s_cmp_lt_i32 s22, 27
	s_cbranch_scc1 .LBB48_1479
; %bb.1477:
	s_cmp_gt_i32 s22, 27
	s_cbranch_scc0 .LBB48_1480
; %bb.1478:
	global_load_dword v4, v[12:13], off
	s_mov_b64 s[4:5], 0
	s_waitcnt vmcnt(0)
	v_cvt_f64_u32_e32 v[4:5], v4
	s_branch .LBB48_1481
.LBB48_1479:
	s_mov_b64 s[4:5], -1
                                        ; implicit-def: $vgpr4_vgpr5
	s_branch .LBB48_1484
.LBB48_1480:
	s_mov_b64 s[4:5], -1
                                        ; implicit-def: $vgpr4_vgpr5
.LBB48_1481:
	s_andn2_b64 vcc, exec, s[4:5]
	s_cbranch_vccnz .LBB48_1483
; %bb.1482:
	global_load_ushort v4, v[12:13], off
	s_waitcnt vmcnt(0)
	v_cvt_f64_u32_e32 v[4:5], v4
.LBB48_1483:
	s_mov_b64 s[4:5], 0
.LBB48_1484:
	s_andn2_b64 vcc, exec, s[4:5]
	s_cbranch_vccnz .LBB48_1494
; %bb.1485:
	global_load_ubyte v14, v[12:13], off
	s_movk_i32 s4, 0x7f
	s_waitcnt vmcnt(0)
	v_cmp_lt_i16_e32 vcc, s4, v14
	s_mov_b64 s[4:5], 0
	s_and_saveexec_b64 s[6:7], vcc
	s_xor_b64 s[6:7], exec, s[6:7]
	s_cbranch_execz .LBB48_1489
; %bb.1486:
	s_movk_i32 s4, 0x80
	v_cmp_eq_u16_e32 vcc, s4, v14
	s_mov_b64 s[4:5], -1
	s_and_saveexec_b64 s[10:11], vcc
; %bb.1487:
	s_xor_b64 s[4:5], exec, -1
; %bb.1488:
	s_or_b64 exec, exec, s[10:11]
	s_and_b64 s[4:5], s[4:5], exec
.LBB48_1489:
	s_or_saveexec_b64 s[6:7], s[6:7]
	v_bfrev_b32_e32 v4, 4
	v_mov_b32_e32 v5, 0x7ff80000
	s_xor_b64 exec, exec, s[6:7]
; %bb.1490:
	v_cmp_ne_u16_e32 vcc, 0, v14
	v_mov_b32_e32 v4, 0
	s_andn2_b64 s[4:5], s[4:5], exec
	s_and_b64 s[10:11], vcc, exec
	v_mov_b32_e32 v5, 0
	s_or_b64 s[4:5], s[4:5], s[10:11]
; %bb.1491:
	s_or_b64 exec, exec, s[6:7]
	s_and_saveexec_b64 s[6:7], s[4:5]
	s_cbranch_execz .LBB48_1493
; %bb.1492:
	v_and_b32_e32 v5, 0xffff, v14
	v_lshlrev_b32_e32 v4, 24, v14
	v_and_b32_e32 v14, 7, v5
	v_ffbh_u32_e32 v24, v14
	v_min_u32_e32 v24, 32, v24
	v_subrev_u32_e32 v25, 28, v24
	v_bfe_u32 v15, v5, 3, 4
	v_lshlrev_b32_e32 v5, v25, v5
	v_sub_u32_e32 v24, 29, v24
	v_and_b32_e32 v5, 7, v5
	v_cmp_eq_u32_e32 vcc, 0, v15
	v_cndmask_b32_e32 v15, v15, v24, vcc
	v_cndmask_b32_e32 v5, v14, v5, vcc
	v_mov_b32_e32 v14, 0x3b800000
	v_lshlrev_b32_e32 v5, 20, v5
	v_and_b32_e32 v4, 0x80000000, v4
	v_lshl_add_u32 v14, v15, 23, v14
	v_or3_b32 v4, v4, v14, v5
	v_cvt_f64_f32_e32 v[4:5], v4
.LBB48_1493:
	s_or_b64 exec, exec, s[6:7]
.LBB48_1494:
	s_mov_b64 s[4:5], -1
.LBB48_1495:
	s_mov_b64 s[6:7], 0
.LBB48_1496:
	s_and_b64 vcc, exec, s[6:7]
	s_cbranch_vccz .LBB48_1527
; %bb.1497:
	s_cmp_gt_i32 s22, 22
	s_cbranch_scc0 .LBB48_1509
; %bb.1498:
	s_cmp_lt_i32 s22, 24
	s_cbranch_scc1 .LBB48_1510
; %bb.1499:
	s_cmp_gt_i32 s22, 24
	s_cbranch_scc0 .LBB48_1511
; %bb.1500:
	global_load_ubyte v14, v[12:13], off
	s_movk_i32 s2, 0x7f
	s_waitcnt vmcnt(0)
	v_cmp_lt_i16_e32 vcc, s2, v14
	s_mov_b64 s[2:3], 0
	s_and_saveexec_b64 s[4:5], vcc
	s_xor_b64 s[4:5], exec, s[4:5]
	s_cbranch_execz .LBB48_1504
; %bb.1501:
	s_movk_i32 s2, 0x80
	v_cmp_eq_u16_e32 vcc, s2, v14
	s_mov_b64 s[2:3], -1
	s_and_saveexec_b64 s[6:7], vcc
; %bb.1502:
	s_xor_b64 s[2:3], exec, -1
; %bb.1503:
	s_or_b64 exec, exec, s[6:7]
	s_and_b64 s[2:3], s[2:3], exec
.LBB48_1504:
	s_or_saveexec_b64 s[4:5], s[4:5]
	v_bfrev_b32_e32 v4, 4
	v_mov_b32_e32 v5, 0x7ff80000
	s_xor_b64 exec, exec, s[4:5]
; %bb.1505:
	v_cmp_ne_u16_e32 vcc, 0, v14
	v_mov_b32_e32 v4, 0
	s_andn2_b64 s[2:3], s[2:3], exec
	s_and_b64 s[6:7], vcc, exec
	v_mov_b32_e32 v5, 0
	s_or_b64 s[2:3], s[2:3], s[6:7]
; %bb.1506:
	s_or_b64 exec, exec, s[4:5]
	s_and_saveexec_b64 s[4:5], s[2:3]
	s_cbranch_execz .LBB48_1508
; %bb.1507:
	v_and_b32_e32 v5, 0xffff, v14
	v_lshlrev_b32_e32 v4, 24, v14
	v_and_b32_e32 v14, 3, v5
	v_ffbh_u32_e32 v24, v14
	v_min_u32_e32 v24, 32, v24
	v_subrev_u32_e32 v25, 29, v24
	v_bfe_u32 v15, v5, 2, 5
	v_lshlrev_b32_e32 v5, v25, v5
	v_sub_u32_e32 v24, 30, v24
	v_and_b32_e32 v5, 3, v5
	v_cmp_eq_u32_e32 vcc, 0, v15
	v_cndmask_b32_e32 v15, v15, v24, vcc
	v_cndmask_b32_e32 v5, v14, v5, vcc
	v_mov_b32_e32 v14, 0x37800000
	v_lshlrev_b32_e32 v5, 21, v5
	v_and_b32_e32 v4, 0x80000000, v4
	v_lshl_add_u32 v14, v15, 23, v14
	v_or3_b32 v4, v4, v14, v5
	v_cvt_f64_f32_e32 v[4:5], v4
.LBB48_1508:
	s_or_b64 exec, exec, s[4:5]
	s_mov_b64 s[2:3], 0
	s_branch .LBB48_1512
.LBB48_1509:
	s_mov_b64 s[2:3], -1
                                        ; implicit-def: $vgpr4_vgpr5
	s_branch .LBB48_1518
.LBB48_1510:
	s_mov_b64 s[2:3], -1
                                        ; implicit-def: $vgpr4_vgpr5
	s_branch .LBB48_1515
.LBB48_1511:
	s_mov_b64 s[2:3], -1
                                        ; implicit-def: $vgpr4_vgpr5
.LBB48_1512:
	s_and_b64 vcc, exec, s[2:3]
	s_cbranch_vccz .LBB48_1514
; %bb.1513:
	global_load_ubyte v4, v[12:13], off
	s_mov_b32 s2, 0x7f800000
	s_waitcnt vmcnt(0)
	v_lshlrev_b32_e32 v4, 24, v4
	v_and_b32_e32 v5, 0x7f000000, v4
	v_ffbh_u32_e32 v14, v5
	v_min_u32_e32 v14, 32, v14
	v_sub_u32_e64 v14, v14, 4 clamp
	v_lshlrev_b32_e32 v24, v14, v5
	v_lshlrev_b32_e32 v14, 23, v14
	v_lshrrev_b32_e32 v24, 4, v24
	v_add_u32_e32 v15, 0x1000000, v5
	v_sub_u32_e32 v14, v24, v14
	v_ashrrev_i32_e32 v15, 8, v15
	v_add_u32_e32 v14, 0x3c000000, v14
	v_and_or_b32 v14, v15, s2, v14
	v_cmp_ne_u32_e32 vcc, 0, v5
	v_cndmask_b32_e32 v5, 0, v14, vcc
	s_brev_b32 s2, 1
	v_and_or_b32 v4, v4, s2, v5
	v_cvt_f64_f32_e32 v[4:5], v4
.LBB48_1514:
	s_mov_b64 s[2:3], 0
.LBB48_1515:
	s_andn2_b64 vcc, exec, s[2:3]
	s_cbranch_vccnz .LBB48_1517
; %bb.1516:
	global_load_ubyte v4, v[12:13], off
	s_movk_i32 s2, 0x7f00
	s_brev_b32 s3, 16
	s_waitcnt vmcnt(0)
	v_lshlrev_b16_e32 v5, 8, v4
	v_lshlrev_b32_e32 v4, 25, v4
	v_lshrrev_b32_e32 v14, 4, v4
	v_and_or_b32 v15, v5, s2, 0.5
	v_or_b32_e32 v14, 0x70000000, v14
	v_add_f32_e32 v15, -0.5, v15
	v_mul_f32_e32 v14, 0x7800000, v14
	v_cmp_gt_u32_e32 vcc, s3, v4
	v_bfe_i32 v5, v5, 0, 16
	v_cndmask_b32_e32 v4, v14, v15, vcc
	s_brev_b32 s2, 1
	v_and_or_b32 v4, v5, s2, v4
	v_cvt_f64_f32_e32 v[4:5], v4
.LBB48_1517:
	s_mov_b64 s[2:3], 0
	s_mov_b64 s[4:5], -1
.LBB48_1518:
	s_andn2_b64 vcc, exec, s[2:3]
	s_mov_b64 s[2:3], 0
	s_cbranch_vccnz .LBB48_1527
; %bb.1519:
	s_cmp_gt_i32 s22, 14
	s_cbranch_scc0 .LBB48_1522
; %bb.1520:
	s_cmp_eq_u32 s22, 15
	s_cbranch_scc0 .LBB48_1523
; %bb.1521:
	global_load_ushort v4, v[12:13], off
	s_mov_b64 s[0:1], 0
	s_mov_b64 s[4:5], -1
	s_waitcnt vmcnt(0)
	v_lshlrev_b32_e32 v4, 16, v4
	v_cvt_f64_f32_e32 v[4:5], v4
	s_branch .LBB48_1524
.LBB48_1522:
	s_mov_b64 s[6:7], -1
                                        ; implicit-def: $vgpr4_vgpr5
	s_branch .LBB48_1525
.LBB48_1523:
	s_mov_b64 s[0:1], -1
                                        ; implicit-def: $vgpr4_vgpr5
.LBB48_1524:
	s_mov_b64 s[6:7], 0
.LBB48_1525:
	s_and_b64 vcc, exec, s[6:7]
	s_cbranch_vccz .LBB48_1527
; %bb.1526:
	s_cmp_lg_u32 s22, 11
	s_mov_b64 s[2:3], -1
	s_cselect_b64 s[0:1], -1, 0
.LBB48_1527:
	s_and_b64 vcc, exec, s[0:1]
	s_cbranch_vccnz .LBB48_2066
; %bb.1528:
	s_andn2_b64 vcc, exec, s[2:3]
	s_cbranch_vccnz .LBB48_1530
.LBB48_1529:
	global_load_ubyte v5, v[12:13], off
	v_mov_b32_e32 v14, 0x3ff00000
	v_mov_b32_e32 v4, 0
	s_mov_b64 s[4:5], -1
	s_waitcnt vmcnt(0)
	v_cmp_ne_u16_e32 vcc, 0, v5
	v_cndmask_b32_e32 v5, 0, v14, vcc
.LBB48_1530:
	s_mov_b64 s[0:1], 0
.LBB48_1531:
	s_and_b64 vcc, exec, s[0:1]
	s_cbranch_vccz .LBB48_1580
; %bb.1532:
	s_cmp_lt_i32 s22, 5
	s_cbranch_scc1 .LBB48_1537
; %bb.1533:
	s_cmp_lt_i32 s22, 8
	s_cbranch_scc1 .LBB48_1538
	;; [unrolled: 3-line block ×3, first 2 shown]
; %bb.1535:
	s_cmp_gt_i32 s22, 9
	s_cbranch_scc0 .LBB48_1540
; %bb.1536:
	global_load_dwordx2 v[4:5], v[12:13], off
	s_mov_b64 s[0:1], 0
	s_branch .LBB48_1541
.LBB48_1537:
	s_mov_b64 s[0:1], -1
                                        ; implicit-def: $vgpr4_vgpr5
	s_branch .LBB48_1559
.LBB48_1538:
	s_mov_b64 s[0:1], -1
                                        ; implicit-def: $vgpr4_vgpr5
	s_branch .LBB48_1547
.LBB48_1539:
	s_mov_b64 s[0:1], -1
                                        ; implicit-def: $vgpr4_vgpr5
	s_branch .LBB48_1544
.LBB48_1540:
	s_mov_b64 s[0:1], -1
                                        ; implicit-def: $vgpr4_vgpr5
.LBB48_1541:
	s_andn2_b64 vcc, exec, s[0:1]
	s_cbranch_vccnz .LBB48_1543
; %bb.1542:
	global_load_dword v4, v[12:13], off
	s_waitcnt vmcnt(0)
	v_cvt_f64_f32_e32 v[4:5], v4
.LBB48_1543:
	s_mov_b64 s[0:1], 0
.LBB48_1544:
	s_andn2_b64 vcc, exec, s[0:1]
	s_cbranch_vccnz .LBB48_1546
; %bb.1545:
	global_load_dword v4, v[12:13], off
	s_waitcnt vmcnt(0)
	v_cvt_f32_f16_e32 v4, v4
	v_cvt_f64_f32_e32 v[4:5], v4
.LBB48_1546:
	s_mov_b64 s[0:1], 0
.LBB48_1547:
	s_andn2_b64 vcc, exec, s[0:1]
	s_cbranch_vccnz .LBB48_1558
; %bb.1548:
	s_cmp_lt_i32 s22, 6
	s_cbranch_scc1 .LBB48_1551
; %bb.1549:
	s_cmp_gt_i32 s22, 6
	s_cbranch_scc0 .LBB48_1552
; %bb.1550:
	global_load_dwordx2 v[4:5], v[12:13], off
	s_mov_b64 s[0:1], 0
	s_branch .LBB48_1553
.LBB48_1551:
	s_mov_b64 s[0:1], -1
                                        ; implicit-def: $vgpr4_vgpr5
	s_branch .LBB48_1556
.LBB48_1552:
	s_mov_b64 s[0:1], -1
                                        ; implicit-def: $vgpr4_vgpr5
.LBB48_1553:
	s_andn2_b64 vcc, exec, s[0:1]
	s_cbranch_vccnz .LBB48_1555
; %bb.1554:
	global_load_dword v4, v[12:13], off
	s_waitcnt vmcnt(0)
	v_cvt_f64_f32_e32 v[4:5], v4
.LBB48_1555:
	s_mov_b64 s[0:1], 0
.LBB48_1556:
	s_andn2_b64 vcc, exec, s[0:1]
	s_cbranch_vccnz .LBB48_1558
; %bb.1557:
	global_load_ushort v4, v[12:13], off
	s_waitcnt vmcnt(0)
	v_cvt_f32_f16_e32 v4, v4
	v_cvt_f64_f32_e32 v[4:5], v4
.LBB48_1558:
	s_mov_b64 s[0:1], 0
.LBB48_1559:
	s_andn2_b64 vcc, exec, s[0:1]
	s_cbranch_vccnz .LBB48_1579
; %bb.1560:
	s_cmp_lt_i32 s22, 2
	s_cbranch_scc1 .LBB48_1564
; %bb.1561:
	s_cmp_lt_i32 s22, 3
	s_cbranch_scc1 .LBB48_1565
; %bb.1562:
	s_cmp_gt_i32 s22, 3
	s_cbranch_scc0 .LBB48_1566
; %bb.1563:
	global_load_dwordx2 v[4:5], v[12:13], off
	s_mov_b64 s[0:1], 0
	s_waitcnt vmcnt(0)
	v_cvt_f64_i32_e32 v[14:15], v5
	v_cvt_f64_u32_e32 v[4:5], v4
	v_ldexp_f64 v[14:15], v[14:15], 32
	v_add_f64 v[4:5], v[14:15], v[4:5]
	s_branch .LBB48_1567
.LBB48_1564:
	s_mov_b64 s[0:1], -1
                                        ; implicit-def: $vgpr4_vgpr5
	s_branch .LBB48_1573
.LBB48_1565:
	s_mov_b64 s[0:1], -1
                                        ; implicit-def: $vgpr4_vgpr5
	s_branch .LBB48_1570
.LBB48_1566:
	s_mov_b64 s[0:1], -1
                                        ; implicit-def: $vgpr4_vgpr5
.LBB48_1567:
	s_andn2_b64 vcc, exec, s[0:1]
	s_cbranch_vccnz .LBB48_1569
; %bb.1568:
	global_load_dword v4, v[12:13], off
	s_waitcnt vmcnt(0)
	v_cvt_f64_i32_e32 v[4:5], v4
.LBB48_1569:
	s_mov_b64 s[0:1], 0
.LBB48_1570:
	s_andn2_b64 vcc, exec, s[0:1]
	s_cbranch_vccnz .LBB48_1572
; %bb.1571:
	global_load_sshort v4, v[12:13], off
	s_waitcnt vmcnt(0)
	v_cvt_f64_i32_e32 v[4:5], v4
.LBB48_1572:
	s_mov_b64 s[0:1], 0
.LBB48_1573:
	s_andn2_b64 vcc, exec, s[0:1]
	s_cbranch_vccnz .LBB48_1579
; %bb.1574:
	s_cmp_gt_i32 s22, 0
	s_cbranch_scc0 .LBB48_1576
; %bb.1575:
	global_load_sbyte v4, v[12:13], off
	s_mov_b64 s[0:1], 0
	s_waitcnt vmcnt(0)
	v_cvt_f64_i32_e32 v[4:5], v4
	s_branch .LBB48_1577
.LBB48_1576:
	s_mov_b64 s[0:1], -1
                                        ; implicit-def: $vgpr4_vgpr5
.LBB48_1577:
	s_andn2_b64 vcc, exec, s[0:1]
	s_cbranch_vccnz .LBB48_1579
; %bb.1578:
	global_load_ubyte v4, v[12:13], off
	s_waitcnt vmcnt(0)
	v_cvt_f64_u32_e32 v[4:5], v4
.LBB48_1579:
	s_mov_b64 s[4:5], -1
.LBB48_1580:
	s_andn2_b64 vcc, exec, s[4:5]
	s_cbranch_vccnz .LBB48_2020
; %bb.1581:
	s_waitcnt vmcnt(0)
	v_cmp_gt_f64_e32 vcc, 0.5, v[4:5]
	v_mov_b32_e32 v14, 0
	v_mov_b32_e32 v12, 0
	;; [unrolled: 1-line block ×4, first 2 shown]
	s_and_saveexec_b64 s[2:3], vcc
	s_cbranch_execz .LBB48_1587
; %bb.1582:
	s_mov_b32 s5, 0x400921fb
	s_mov_b32 s4, 0x54442d18
	v_mul_f64 v[12:13], v[4:5], s[4:5]
	s_mov_b32 s0, 0
	s_mov_b32 s1, 0x41d00000
                                        ; implicit-def: $vgpr26
                                        ; implicit-def: $vgpr14_vgpr15
                                        ; implicit-def: $vgpr24_vgpr25
	v_cmp_nlt_f64_e64 s[0:1], |v[12:13]|, s[0:1]
	s_and_saveexec_b64 s[6:7], s[0:1]
	s_xor_b64 s[6:7], exec, s[6:7]
	s_cbranch_execz .LBB48_1584
; %bb.1583:
	v_trig_preop_f64 v[14:15], |v[12:13]|, 0
	s_mov_b32 s0, 0
	s_mov_b32 s1, 0x7b000000
	s_movk_i32 s5, 0xff80
	v_ldexp_f64 v[26:27], |v[12:13]|, s5
	v_cmp_ge_f64_e64 vcc, |v[12:13]|, s[0:1]
	v_trig_preop_f64 v[24:25], |v[12:13]|, 1
	v_and_b32_e32 v28, 0x7fffffff, v13
	v_trig_preop_f64 v[35:36], |v[12:13]|, 2
	s_mov_b32 s0, 0
	s_mov_b32 s1, 0x7ff00000
	v_mov_b32_e32 v46, 0x40100000
	v_mov_b32_e32 v45, 0
	v_cndmask_b32_e32 v27, v28, v27, vcc
	v_cndmask_b32_e32 v26, v12, v26, vcc
	s_mov_b32 s5, 0x3ff921fb
	v_mul_f64 v[28:29], v[14:15], v[26:27]
	v_mul_f64 v[31:32], v[24:25], v[26:27]
	v_mul_f64 v[41:42], v[35:36], v[26:27]
	v_fma_f64 v[14:15], v[14:15], v[26:27], -v[28:29]
	v_fma_f64 v[24:25], v[24:25], v[26:27], -v[31:32]
	;; [unrolled: 1-line block ×3, first 2 shown]
	v_add_f64 v[33:34], v[31:32], v[14:15]
	v_add_f64 v[37:38], v[33:34], -v[31:32]
	v_add_f64 v[43:44], v[28:29], v[33:34]
	v_add_f64 v[39:40], v[33:34], -v[37:38]
	v_add_f64 v[14:15], v[14:15], -v[37:38]
	v_add_f64 v[37:38], v[41:42], v[24:25]
	v_add_f64 v[28:29], v[43:44], -v[28:29]
	v_add_f64 v[31:32], v[31:32], -v[39:40]
	v_ldexp_f64 v[39:40], v[43:44], -2
	v_add_f64 v[47:48], v[37:38], -v[41:42]
	v_add_f64 v[28:29], v[33:34], -v[28:29]
	v_add_f64 v[14:15], v[14:15], v[31:32]
	v_fract_f64_e32 v[31:32], v[39:40]
	v_cmp_neq_f64_e64 vcc, |v[39:40]|, s[0:1]
	v_add_f64 v[24:25], v[24:25], -v[47:48]
	v_add_f64 v[33:34], v[37:38], v[14:15]
	v_ldexp_f64 v[31:32], v[31:32], 2
	v_add_f64 v[39:40], v[28:29], v[33:34]
	v_cndmask_b32_e32 v32, 0, v32, vcc
	v_cndmask_b32_e32 v31, 0, v31, vcc
	v_add_f64 v[49:50], v[33:34], -v[37:38]
	v_add_f64 v[43:44], v[39:40], v[31:32]
	v_add_f64 v[28:29], v[39:40], -v[28:29]
	v_add_f64 v[51:52], v[33:34], -v[49:50]
	v_add_f64 v[14:15], v[14:15], -v[49:50]
	v_cmp_gt_f64_e32 vcc, 0, v[43:44]
	v_add_f64 v[43:44], v[37:38], -v[47:48]
	v_add_f64 v[28:29], v[33:34], -v[28:29]
	;; [unrolled: 1-line block ×3, first 2 shown]
	v_cndmask_b32_e32 v46, 0, v46, vcc
	v_add_f64 v[31:32], v[31:32], v[45:46]
	v_add_f64 v[43:44], v[41:42], -v[43:44]
	v_add_f64 v[14:15], v[14:15], v[37:38]
	v_add_f64 v[53:54], v[39:40], v[31:32]
	;; [unrolled: 1-line block ×3, first 2 shown]
	v_cvt_i32_f64_e32 v48, v[53:54]
	v_add_f64 v[14:15], v[24:25], v[14:15]
	v_cvt_f64_i32_e32 v[46:47], v48
	v_add_f64 v[31:32], v[31:32], -v[46:47]
	v_add_f64 v[14:15], v[26:27], v[14:15]
	v_add_f64 v[24:25], v[39:40], v[31:32]
	;; [unrolled: 1-line block ×3, first 2 shown]
	v_mov_b32_e32 v29, 0x3ff00000
	v_add_f64 v[26:27], v[24:25], -v[31:32]
	v_cmp_le_f64_e32 vcc, 0.5, v[24:25]
	v_add_f64 v[27:28], v[39:40], -v[26:27]
	v_cndmask_b32_e32 v46, 0, v29, vcc
	v_add_f64 v[24:25], v[24:25], -v[45:46]
	v_addc_co_u32_e64 v26, s[0:1], 0, v48, vcc
	s_mov_b32 s0, 0x33145c07
	s_mov_b32 s1, 0x3c91a626
	v_add_f64 v[14:15], v[14:15], v[27:28]
	v_add_f64 v[27:28], v[24:25], v[14:15]
	v_mul_f64 v[31:32], v[27:28], s[4:5]
	v_add_f64 v[24:25], v[27:28], -v[24:25]
	v_fma_f64 v[33:34], v[27:28], s[4:5], -v[31:32]
	v_add_f64 v[14:15], v[14:15], -v[24:25]
	v_fma_f64 v[24:25], v[27:28], s[0:1], v[33:34]
	v_fma_f64 v[24:25], v[14:15], s[4:5], v[24:25]
	v_add_f64 v[14:15], v[31:32], v[24:25]
	v_add_f64 v[27:28], v[14:15], -v[31:32]
	v_add_f64 v[24:25], v[24:25], -v[27:28]
.LBB48_1584:
	s_andn2_saveexec_b64 s[0:1], s[6:7]
	s_cbranch_execz .LBB48_1586
; %bb.1585:
	s_mov_b32 s4, 0x6dc9c883
	s_mov_b32 s5, 0x3fe45f30
	v_mul_f64 v[14:15], |v[12:13]|, s[4:5]
	s_mov_b32 s4, 0x54442d18
	s_mov_b32 s5, 0xbff921fb
	s_mov_b32 s7, 0xbc91a626
	s_mov_b32 s6, 0x33145c00
	v_rndne_f64_e32 v[26:27], v[14:15]
	v_fma_f64 v[14:15], v[26:27], s[4:5], |v[12:13]|
	v_mul_f64 v[24:25], v[26:27], s[6:7]
	s_mov_b32 s4, 0x252049c0
	s_mov_b32 s5, 0xb97b839a
	v_fma_f64 v[33:34], v[26:27], s[6:7], v[14:15]
	v_add_f64 v[28:29], v[14:15], v[24:25]
	s_mov_b32 s7, 0x3c91a626
	v_add_f64 v[31:32], v[14:15], -v[28:29]
	v_add_f64 v[28:29], v[28:29], -v[33:34]
	v_add_f64 v[14:15], v[31:32], v[24:25]
	v_fma_f64 v[24:25], v[26:27], s[6:7], v[24:25]
	v_add_f64 v[14:15], v[28:29], v[14:15]
	v_add_f64 v[14:15], v[14:15], -v[24:25]
	v_fma_f64 v[24:25], v[26:27], s[4:5], v[14:15]
	v_cvt_i32_f64_e32 v26, v[26:27]
	v_add_f64 v[14:15], v[33:34], v[24:25]
	v_add_f64 v[28:29], v[14:15], -v[33:34]
	v_add_f64 v[24:25], v[24:25], -v[28:29]
.LBB48_1586:
	s_or_b64 exec, exec, s[0:1]
	v_mul_f64 v[27:28], v[14:15], v[14:15]
	s_mov_b32 s0, 0xf9a43bb8
	v_mov_b32_e32 v32, 0xb42fdfa7
	v_mov_b32_e32 v33, 0xbe5ae600
	s_mov_b32 s1, 0x3de5e0b2
	s_mov_b32 s4, 0x796cde01
	v_mov_b32_e32 v31, 0x9037ab78
	s_mov_b32 s5, 0x3ec71de3
	v_fma_f64 v[33:34], v[27:28], s[0:1], v[32:33]
	s_mov_b32 s0, 0x46cc5e42
	v_mov_b32_e32 v32, 0x3e21eeb6
	s_mov_b32 s1, 0xbda907db
	v_fma_f64 v[31:32], v[27:28], s[0:1], v[31:32]
	v_mul_f64 v[35:36], v[27:28], 0.5
	s_mov_b32 s0, 0xa17f65f6
	s_mov_b32 s6, 0x19e83e5c
	v_fma_f64 v[33:34], v[27:28], v[33:34], s[4:5]
	s_mov_b32 s1, 0xbe927e4f
	s_mov_b32 s7, 0xbf2a01a0
	;; [unrolled: 1-line block ×3, first 2 shown]
	v_fma_f64 v[31:32], v[27:28], v[31:32], s[0:1]
	v_add_f64 v[37:38], -v[35:36], 1.0
	s_mov_b32 s0, 0x11110bb3
	s_mov_b32 s5, 0x3efa01a0
	v_fma_f64 v[33:34], v[27:28], v[33:34], s[6:7]
	s_mov_b32 s1, 0x3f811111
	v_mul_f64 v[39:40], v[24:25], 0.5
	v_mul_f64 v[41:42], v[14:15], -v[27:28]
	v_fma_f64 v[31:32], v[27:28], v[31:32], s[4:5]
	v_add_f64 v[43:44], -v[37:38], 1.0
	v_add_f64 v[4:5], -v[4:5], 1.0
	v_fma_f64 v[33:34], v[27:28], v[33:34], s[0:1]
	s_mov_b32 s0, 0x16c16967
	s_mov_b32 s1, 0xbf56c16c
	v_fma_f64 v[31:32], v[27:28], v[31:32], s[0:1]
	v_add_f64 v[35:36], v[43:44], -v[35:36]
	s_mov_b32 s1, 0x3fa55555
	s_mov_b32 s0, 0x55555555
	v_fma_f64 v[33:34], v[41:42], v[33:34], v[39:40]
	v_mul_f64 v[39:40], v[27:28], v[27:28]
	v_fma_f64 v[31:32], v[27:28], v[31:32], s[0:1]
	v_fma_f64 v[35:36], v[14:15], -v[24:25], v[35:36]
	s_mov_b32 s1, 0xbfc55555
	v_fma_f64 v[24:25], v[27:28], v[33:34], -v[24:25]
	v_fma_f64 v[27:28], v[39:40], v[31:32], v[35:36]
	v_fma_f64 v[24:25], v[41:42], s[0:1], v[24:25]
	s_movk_i32 s0, 0x1f8
	v_cmp_class_f64_e64 s[0:1], v[12:13], s0
	v_lshlrev_b32_e32 v12, 30, v26
	v_xor_b32_e32 v12, v12, v13
	v_add_f64 v[27:28], v[37:38], v[27:28]
	v_and_b32_e32 v12, 0x80000000, v12
	v_add_f64 v[14:15], v[14:15], -v[24:25]
	v_and_b32_e32 v24, 1, v26
	v_cmp_eq_u32_e32 vcc, 0, v24
	v_mov_b32_e32 v24, 0x7ff80000
	v_cndmask_b32_e32 v13, v28, v15, vcc
	v_cndmask_b32_e32 v14, v27, v14, vcc
	v_xor_b32_e32 v13, v13, v12
	v_cndmask_b32_e64 v12, 0, v14, s[0:1]
	v_cndmask_b32_e64 v13, v24, v13, s[0:1]
	v_mul_f64 v[12:13], v[12:13], v[12:13]
	s_mov_b32 s0, 0xc9be45de
	s_mov_b32 s1, 0xc023bd3c
	v_div_scale_f64 v[14:15], s[4:5], v[12:13], v[12:13], s[0:1]
	v_rcp_f64_e32 v[24:25], v[14:15]
	v_fma_f64 v[26:27], -v[14:15], v[24:25], 1.0
	v_fma_f64 v[24:25], v[24:25], v[26:27], v[24:25]
	v_div_scale_f64 v[26:27], vcc, s[0:1], v[12:13], s[0:1]
	v_fma_f64 v[28:29], -v[14:15], v[24:25], 1.0
	v_fma_f64 v[24:25], v[24:25], v[28:29], v[24:25]
	v_mul_f64 v[28:29], v[26:27], v[24:25]
	v_fma_f64 v[14:15], -v[14:15], v[28:29], v[26:27]
	v_div_fmas_f64 v[14:15], v[14:15], v[24:25], v[28:29]
	v_div_fixup_f64 v[12:13], v[14:15], v[12:13], s[0:1]
	v_add_f64 v[14:15], v[12:13], 0
	v_mov_b32_e32 v12, 0
	v_mov_b32_e32 v13, 0xbff00000
.LBB48_1587:
	s_or_b64 exec, exec, s[2:3]
	v_mul_f64 v[24:25], v[0:1], v[0:1]
	v_add_f64 v[0:1], v[0:1], 1.0
	s_and_b32 s22, s33, 0xff
	s_cmp_lt_i32 s22, 11
	v_div_scale_f64 v[26:27], s[0:1], v[24:25], v[24:25], 1.0
	v_rcp_f64_e32 v[28:29], v[26:27]
	v_fma_f64 v[31:32], -v[26:27], v[28:29], 1.0
	v_fma_f64 v[28:29], v[28:29], v[31:32], v[28:29]
	v_fma_f64 v[31:32], -v[26:27], v[28:29], 1.0
	v_fma_f64 v[28:29], v[28:29], v[31:32], v[28:29]
	v_div_scale_f64 v[31:32], vcc, 1.0, v[24:25], 1.0
	v_mul_f64 v[33:34], v[31:32], v[28:29]
	v_fma_f64 v[26:27], -v[26:27], v[33:34], v[31:32]
	s_nop 1
	v_div_fmas_f64 v[26:27], v[26:27], v[28:29], v[33:34]
	v_div_fixup_f64 v[24:25], v[26:27], v[24:25], 1.0
	v_add_f64 v[22:23], v[22:23], v[24:25]
	v_mul_f64 v[24:25], v[0:1], v[0:1]
	v_add_f64 v[0:1], v[0:1], 1.0
	v_div_scale_f64 v[26:27], s[0:1], v[24:25], v[24:25], 1.0
	v_rcp_f64_e32 v[28:29], v[26:27]
	v_fma_f64 v[31:32], -v[26:27], v[28:29], 1.0
	v_fma_f64 v[28:29], v[28:29], v[31:32], v[28:29]
	v_fma_f64 v[31:32], -v[26:27], v[28:29], 1.0
	v_fma_f64 v[28:29], v[28:29], v[31:32], v[28:29]
	v_div_scale_f64 v[31:32], vcc, 1.0, v[24:25], 1.0
	v_mul_f64 v[33:34], v[31:32], v[28:29]
	v_fma_f64 v[26:27], -v[26:27], v[33:34], v[31:32]
	s_nop 1
	v_div_fmas_f64 v[26:27], v[26:27], v[28:29], v[33:34]
	v_div_fixup_f64 v[24:25], v[26:27], v[24:25], 1.0
	v_add_f64 v[22:23], v[22:23], v[24:25]
	v_mul_f64 v[24:25], v[0:1], v[0:1]
	v_add_f64 v[0:1], v[0:1], 1.0
	v_div_scale_f64 v[26:27], s[0:1], v[24:25], v[24:25], 1.0
	v_rcp_f64_e32 v[28:29], v[26:27]
	v_fma_f64 v[31:32], -v[26:27], v[28:29], 1.0
	v_fma_f64 v[28:29], v[28:29], v[31:32], v[28:29]
	v_fma_f64 v[31:32], -v[26:27], v[28:29], 1.0
	v_fma_f64 v[28:29], v[28:29], v[31:32], v[28:29]
	v_div_scale_f64 v[31:32], vcc, 1.0, v[24:25], 1.0
	v_mul_f64 v[33:34], v[31:32], v[28:29]
	v_fma_f64 v[26:27], -v[26:27], v[33:34], v[31:32]
	s_nop 1
	v_div_fmas_f64 v[26:27], v[26:27], v[28:29], v[33:34]
	v_div_fixup_f64 v[24:25], v[26:27], v[24:25], 1.0
	v_add_f64 v[22:23], v[22:23], v[24:25]
	v_mul_f64 v[24:25], v[0:1], v[0:1]
	v_add_f64 v[0:1], v[0:1], 1.0
	v_div_scale_f64 v[26:27], s[0:1], v[24:25], v[24:25], 1.0
	v_rcp_f64_e32 v[28:29], v[26:27]
	v_fma_f64 v[31:32], -v[26:27], v[28:29], 1.0
	v_fma_f64 v[28:29], v[28:29], v[31:32], v[28:29]
	v_fma_f64 v[31:32], -v[26:27], v[28:29], 1.0
	v_fma_f64 v[28:29], v[28:29], v[31:32], v[28:29]
	v_div_scale_f64 v[31:32], vcc, 1.0, v[24:25], 1.0
	v_mul_f64 v[33:34], v[31:32], v[28:29]
	v_fma_f64 v[26:27], -v[26:27], v[33:34], v[31:32]
	s_nop 1
	v_div_fmas_f64 v[26:27], v[26:27], v[28:29], v[33:34]
	v_div_fixup_f64 v[24:25], v[26:27], v[24:25], 1.0
	v_add_f64 v[22:23], v[22:23], v[24:25]
	v_mul_f64 v[24:25], v[0:1], v[0:1]
	v_div_scale_f64 v[26:27], s[0:1], v[24:25], v[24:25], 1.0
	v_rcp_f64_e32 v[28:29], v[26:27]
	v_fma_f64 v[31:32], -v[26:27], v[28:29], 1.0
	v_fma_f64 v[28:29], v[28:29], v[31:32], v[28:29]
	v_fma_f64 v[31:32], -v[26:27], v[28:29], 1.0
	v_fma_f64 v[28:29], v[28:29], v[31:32], v[28:29]
	v_div_scale_f64 v[31:32], vcc, 1.0, v[24:25], 1.0
	v_mul_f64 v[33:34], v[31:32], v[28:29]
	v_fma_f64 v[26:27], -v[26:27], v[33:34], v[31:32]
	s_nop 1
	v_div_fmas_f64 v[26:27], v[26:27], v[28:29], v[33:34]
	v_div_fixup_f64 v[24:25], v[26:27], v[24:25], 1.0
	v_add_f64 v[22:23], v[22:23], v[24:25]
	v_add_f64 v[24:25], v[0:1], 1.0
	v_mul_f64 v[0:1], v[24:25], v[24:25]
	v_div_scale_f64 v[26:27], s[0:1], v[0:1], v[0:1], 1.0
	v_rcp_f64_e32 v[28:29], v[26:27]
	v_fma_f64 v[31:32], -v[26:27], v[28:29], 1.0
	v_fma_f64 v[28:29], v[28:29], v[31:32], v[28:29]
	v_fma_f64 v[31:32], -v[26:27], v[28:29], 1.0
	v_fma_f64 v[28:29], v[28:29], v[31:32], v[28:29]
	v_div_scale_f64 v[31:32], vcc, 1.0, v[0:1], 1.0
	v_mul_f64 v[33:34], v[31:32], v[28:29]
	v_fma_f64 v[26:27], -v[26:27], v[33:34], v[31:32]
	s_nop 1
	v_div_fmas_f64 v[26:27], v[26:27], v[28:29], v[33:34]
	v_div_fixup_f64 v[0:1], v[26:27], v[0:1], 1.0
	v_add_f64 v[0:1], v[22:23], v[0:1]
	v_add_f64 v[22:23], v[24:25], 1.0
	v_mul_f64 v[24:25], v[22:23], v[22:23]
	v_div_scale_f64 v[26:27], s[0:1], v[24:25], v[24:25], 1.0
	v_rcp_f64_e32 v[28:29], v[26:27]
	v_fma_f64 v[31:32], -v[26:27], v[28:29], 1.0
	v_fma_f64 v[28:29], v[28:29], v[31:32], v[28:29]
	v_fma_f64 v[31:32], -v[26:27], v[28:29], 1.0
	v_fma_f64 v[28:29], v[28:29], v[31:32], v[28:29]
	v_div_scale_f64 v[31:32], vcc, 1.0, v[24:25], 1.0
	v_mul_f64 v[33:34], v[31:32], v[28:29]
	v_fma_f64 v[26:27], -v[26:27], v[33:34], v[31:32]
	s_nop 1
	v_div_fmas_f64 v[26:27], v[26:27], v[28:29], v[33:34]
	v_div_fixup_f64 v[24:25], v[26:27], v[24:25], 1.0
	v_add_f64 v[26:27], v[22:23], v[22:23]
	v_div_scale_f64 v[28:29], s[0:1], v[26:27], v[26:27], 1.0
	s_mov_b32 s0, 0x18618618
	s_mov_b32 s1, 0xbf986186
	v_rcp_f64_e32 v[31:32], v[28:29]
	v_fma_f64 v[33:34], -v[28:29], v[31:32], 1.0
	v_fma_f64 v[31:32], v[31:32], v[33:34], v[31:32]
	v_fma_f64 v[33:34], -v[28:29], v[31:32], 1.0
	v_fma_f64 v[31:32], v[31:32], v[33:34], v[31:32]
	v_div_scale_f64 v[33:34], vcc, 1.0, v[26:27], 1.0
	v_mul_f64 v[35:36], v[33:34], v[31:32]
	v_fma_f64 v[28:29], -v[28:29], v[35:36], v[33:34]
	s_nop 1
	v_div_fmas_f64 v[28:29], v[28:29], v[31:32], v[35:36]
	v_div_fixup_f64 v[26:27], v[28:29], v[26:27], 1.0
	v_mov_b32_e32 v28, 0x11111111
	v_mov_b32_e32 v29, 0x3fa11111
	v_fma_f64 v[28:29], v[24:25], s[0:1], v[28:29]
	s_mov_b32 s0, 0x55555555
	s_mov_b32 s1, 0x3fc55555
	v_add_f64 v[26:27], v[26:27], 1.0
	v_fma_f64 v[28:29], -v[24:25], v[28:29], s[0:1]
	v_fma_f64 v[24:25], v[24:25], v[28:29], v[26:27]
	v_div_scale_f64 v[26:27], s[0:1], v[22:23], v[22:23], v[24:25]
	v_rcp_f64_e32 v[28:29], v[26:27]
	v_fma_f64 v[31:32], -v[26:27], v[28:29], 1.0
	v_fma_f64 v[28:29], v[28:29], v[31:32], v[28:29]
	v_fma_f64 v[31:32], -v[26:27], v[28:29], 1.0
	v_fma_f64 v[28:29], v[28:29], v[31:32], v[28:29]
	v_div_scale_f64 v[31:32], vcc, v[24:25], v[22:23], v[24:25]
	v_mul_f64 v[33:34], v[31:32], v[28:29]
	v_fma_f64 v[26:27], -v[26:27], v[33:34], v[31:32]
	s_nop 1
	v_div_fmas_f64 v[26:27], v[26:27], v[28:29], v[33:34]
	v_div_fixup_f64 v[22:23], v[26:27], v[22:23], v[24:25]
	v_mul_lo_u32 v24, s12, v30
	v_add_f64 v[0:1], v[0:1], v[22:23]
	v_add_co_u32_e32 v22, vcc, s8, v24
	v_mul_f64 v[0:1], v[2:3], v[0:1]
	v_ashrrev_i32_e32 v2, 31, v24
	v_mov_b32_e32 v3, s9
	v_addc_co_u32_e32 v23, vcc, v3, v2, vcc
	s_cbranch_scc1 .LBB48_1665
; %bb.1588:
	s_and_b32 s13, 0xffff, s22
	s_mov_b64 s[6:7], -1
	s_mov_b64 s[2:3], 0
	s_cmp_gt_i32 s13, 25
	s_mov_b64 s[4:5], 0
	s_mov_b64 s[0:1], 0
	s_cbranch_scc0 .LBB48_1621
; %bb.1589:
	s_cmp_gt_i32 s13, 28
	s_cbranch_scc0 .LBB48_1604
; %bb.1590:
	s_cmp_gt_i32 s13, 43
	;; [unrolled: 3-line block ×3, first 2 shown]
	s_cbranch_scc0 .LBB48_1594
; %bb.1592:
	s_mov_b64 s[0:1], -1
	s_mov_b64 s[6:7], 0
	s_cmp_eq_u32 s13, 46
	s_cbranch_scc0 .LBB48_1594
; %bb.1593:
	v_cvt_f32_f64_e32 v2, v[0:1]
	s_movk_i32 s0, 0x7fff
	v_mov_b32_e32 v3, 0x7fc0
	s_mov_b64 s[4:5], -1
	v_bfe_u32 v25, v2, 16, 1
	v_cmp_o_f32_e32 vcc, v2, v2
	v_add3_u32 v2, v2, v25, s0
	v_cndmask_b32_sdwa v2, v3, v2, vcc dst_sel:DWORD dst_unused:UNUSED_PAD src0_sel:DWORD src1_sel:WORD_1
	global_store_dword v[22:23], v2, off
	s_mov_b64 s[0:1], 0
.LBB48_1594:
	s_and_b64 vcc, exec, s[6:7]
	s_cbranch_vccz .LBB48_1599
; %bb.1595:
	s_cmp_eq_u32 s13, 44
	s_mov_b64 s[0:1], -1
	s_cbranch_scc0 .LBB48_1599
; %bb.1596:
	v_cvt_f32_f64_e32 v2, v[0:1]
	s_movk_i32 s0, 0xff
	v_mov_b32_e32 v25, 0xff
	v_bfe_u32 v3, v2, 23, 8
	v_cmp_ne_u32_e32 vcc, s0, v3
	s_and_saveexec_b64 s[4:5], vcc
; %bb.1597:
	s_mov_b32 s0, 0x3fffff
	v_lshrrev_b32_e32 v25, 23, v2
	v_and_b32_e32 v26, 0x400000, v2
	v_and_or_b32 v2, v2, s0, v3
	v_cmp_ne_u32_e32 vcc, 0, v26
	v_cmp_ne_u32_e64 s[0:1], 0, v2
	s_and_b64 s[0:1], vcc, s[0:1]
	v_cndmask_b32_e64 v2, 0, 1, s[0:1]
	v_add_u32_e32 v25, v25, v2
; %bb.1598:
	s_or_b64 exec, exec, s[4:5]
	s_mov_b64 s[0:1], 0
	s_mov_b64 s[4:5], -1
	global_store_byte v[22:23], v25, off
.LBB48_1599:
	s_mov_b64 s[6:7], 0
.LBB48_1600:
	s_and_b64 vcc, exec, s[6:7]
	s_cbranch_vccz .LBB48_1603
; %bb.1601:
	s_cmp_eq_u32 s13, 29
	s_mov_b64 s[0:1], -1
	s_cbranch_scc0 .LBB48_1603
; %bb.1602:
	v_trunc_f64_e32 v[2:3], v[0:1]
	s_movk_i32 s0, 0xffe0
	s_mov_b64 s[4:5], -1
	v_ldexp_f64 v[25:26], v[2:3], s0
	s_mov_b32 s0, 0
	s_mov_b32 s1, 0xc1f00000
	v_floor_f64_e32 v[25:26], v[25:26]
	v_fma_f64 v[2:3], v[25:26], s[0:1], v[2:3]
	v_cvt_u32_f64_e32 v26, v[25:26]
	s_mov_b64 s[0:1], 0
	v_cvt_u32_f64_e32 v25, v[2:3]
	global_store_dwordx2 v[22:23], v[25:26], off
.LBB48_1603:
	s_mov_b64 s[6:7], 0
.LBB48_1604:
	s_and_b64 vcc, exec, s[6:7]
	s_cbranch_vccz .LBB48_1620
; %bb.1605:
	s_cmp_lt_i32 s13, 27
	s_mov_b64 s[4:5], -1
	s_cbranch_scc1 .LBB48_1611
; %bb.1606:
	v_cvt_u32_f64_e32 v2, v[0:1]
	s_cmp_gt_i32 s13, 27
	s_cbranch_scc0 .LBB48_1608
; %bb.1607:
	s_mov_b64 s[4:5], 0
	global_store_dword v[22:23], v2, off
.LBB48_1608:
	s_andn2_b64 vcc, exec, s[4:5]
	s_cbranch_vccnz .LBB48_1610
; %bb.1609:
	global_store_short v[22:23], v2, off
.LBB48_1610:
	s_mov_b64 s[4:5], 0
.LBB48_1611:
	s_andn2_b64 vcc, exec, s[4:5]
	s_cbranch_vccnz .LBB48_1619
; %bb.1612:
	v_cvt_f32_f64_e32 v2, v[0:1]
	s_mov_b32 s4, 0x43800000
	v_mov_b32_e32 v25, 0x80
	v_and_b32_e32 v3, 0x7fffffff, v2
	v_cmp_gt_u32_e32 vcc, s4, v3
	s_and_saveexec_b64 s[4:5], vcc
	s_cbranch_execz .LBB48_1618
; %bb.1613:
	s_mov_b32 s6, 0x3bffffff
	v_cmp_lt_u32_e32 vcc, s6, v3
	s_mov_b64 s[6:7], 0
                                        ; implicit-def: $vgpr3
	s_and_saveexec_b64 s[10:11], vcc
	s_xor_b64 s[10:11], exec, s[10:11]
	s_cbranch_execz .LBB48_2067
; %bb.1614:
	v_bfe_u32 v3, v2, 20, 1
	s_mov_b32 s20, 0x487ffff
	v_add3_u32 v3, v2, v3, s20
	s_mov_b64 s[6:7], exec
	v_lshrrev_b32_e32 v3, 20, v3
	s_andn2_saveexec_b64 s[10:11], s[10:11]
	s_cbranch_execnz .LBB48_2068
.LBB48_1615:
	s_or_b64 exec, exec, s[10:11]
	v_mov_b32_e32 v25, 0
	s_and_saveexec_b64 s[10:11], s[6:7]
.LBB48_1616:
	v_lshrrev_b32_e32 v2, 24, v2
	s_movk_i32 s6, 0x80
	v_and_or_b32 v25, v2, s6, v3
.LBB48_1617:
	s_or_b64 exec, exec, s[10:11]
.LBB48_1618:
	s_or_b64 exec, exec, s[4:5]
	global_store_byte v[22:23], v25, off
.LBB48_1619:
	s_mov_b64 s[4:5], -1
.LBB48_1620:
	s_mov_b64 s[6:7], 0
.LBB48_1621:
	s_and_b64 vcc, exec, s[6:7]
	s_cbranch_vccz .LBB48_1661
; %bb.1622:
	s_cmp_gt_i32 s13, 22
	s_mov_b64 s[2:3], -1
	s_cbranch_scc0 .LBB48_1654
; %bb.1623:
	s_cmp_lt_i32 s13, 24
	s_cbranch_scc1 .LBB48_1643
; %bb.1624:
	s_cmp_gt_i32 s13, 24
	s_cbranch_scc0 .LBB48_1632
; %bb.1625:
	v_cvt_f32_f64_e32 v2, v[0:1]
	s_mov_b32 s2, 0x47800000
	v_mov_b32_e32 v25, 0x80
	v_and_b32_e32 v3, 0x7fffffff, v2
	v_cmp_gt_u32_e32 vcc, s2, v3
	s_and_saveexec_b64 s[2:3], vcc
	s_cbranch_execz .LBB48_1631
; %bb.1626:
	s_mov_b32 s4, 0x37ffffff
	v_cmp_lt_u32_e32 vcc, s4, v3
	s_mov_b64 s[4:5], 0
                                        ; implicit-def: $vgpr3
	s_and_saveexec_b64 s[6:7], vcc
	s_xor_b64 s[6:7], exec, s[6:7]
	s_cbranch_execz .LBB48_2070
; %bb.1627:
	v_bfe_u32 v3, v2, 21, 1
	s_mov_b32 s10, 0x88fffff
	v_add3_u32 v3, v2, v3, s10
	s_mov_b64 s[4:5], exec
	v_lshrrev_b32_e32 v3, 21, v3
	s_andn2_saveexec_b64 s[6:7], s[6:7]
	s_cbranch_execnz .LBB48_2071
.LBB48_1628:
	s_or_b64 exec, exec, s[6:7]
	v_mov_b32_e32 v25, 0
	s_and_saveexec_b64 s[6:7], s[4:5]
.LBB48_1629:
	v_lshrrev_b32_e32 v2, 24, v2
	s_movk_i32 s4, 0x80
	v_and_or_b32 v25, v2, s4, v3
.LBB48_1630:
	s_or_b64 exec, exec, s[6:7]
.LBB48_1631:
	s_or_b64 exec, exec, s[2:3]
	s_mov_b64 s[2:3], 0
	global_store_byte v[22:23], v25, off
.LBB48_1632:
	s_and_b64 vcc, exec, s[2:3]
	s_cbranch_vccz .LBB48_1642
; %bb.1633:
	v_cvt_f32_f64_e32 v2, v[0:1]
	s_mov_b32 s2, 0x43f00000
                                        ; implicit-def: $vgpr3
	v_and_b32_e32 v25, 0x7fffffff, v2
	v_cmp_gt_u32_e32 vcc, s2, v25
	s_and_saveexec_b64 s[2:3], vcc
	s_xor_b64 s[2:3], exec, s[2:3]
	s_cbranch_execz .LBB48_1639
; %bb.1634:
	s_mov_b32 s4, 0x3c7fffff
	v_cmp_lt_u32_e32 vcc, s4, v25
                                        ; implicit-def: $vgpr3
	s_and_saveexec_b64 s[4:5], vcc
	s_xor_b64 s[4:5], exec, s[4:5]
; %bb.1635:
	v_bfe_u32 v3, v2, 20, 1
	s_mov_b32 s6, 0x407ffff
	v_add3_u32 v3, v2, v3, s6
	v_lshrrev_b32_e32 v25, 20, v3
	v_and_b32_e32 v3, 0xff00000, v3
	s_mov_b32 s6, 0x7f00000
	v_mov_b32_e32 v26, 0x7e
	v_cmp_ne_u32_e32 vcc, s6, v3
	v_cndmask_b32_e32 v3, v26, v25, vcc
; %bb.1636:
	s_andn2_saveexec_b64 s[4:5], s[4:5]
; %bb.1637:
	s_mov_b32 s6, 0x46800000
	v_add_f32_e64 v3, |v2|, s6
; %bb.1638:
	s_or_b64 exec, exec, s[4:5]
                                        ; implicit-def: $vgpr25
.LBB48_1639:
	s_andn2_saveexec_b64 s[2:3], s[2:3]
; %bb.1640:
	s_mov_b32 s4, 0x7f800000
	v_mov_b32_e32 v3, 0x7e
	v_mov_b32_e32 v26, 0x7f
	v_cmp_lt_u32_e32 vcc, s4, v25
	v_cndmask_b32_e32 v3, v3, v26, vcc
; %bb.1641:
	s_or_b64 exec, exec, s[2:3]
	v_lshrrev_b32_e32 v2, 24, v2
	s_movk_i32 s2, 0x80
	v_and_or_b32 v2, v2, s2, v3
	global_store_byte v[22:23], v2, off
.LBB48_1642:
	s_mov_b64 s[2:3], 0
.LBB48_1643:
	s_andn2_b64 vcc, exec, s[2:3]
	s_cbranch_vccnz .LBB48_1653
; %bb.1644:
	v_cvt_f32_f64_e32 v2, v[0:1]
	s_mov_b32 s2, 0x47800000
                                        ; implicit-def: $vgpr3
	v_and_b32_e32 v25, 0x7fffffff, v2
	v_cmp_gt_u32_e32 vcc, s2, v25
	s_and_saveexec_b64 s[2:3], vcc
	s_xor_b64 s[2:3], exec, s[2:3]
	s_cbranch_execz .LBB48_1650
; %bb.1645:
	s_mov_b32 s4, 0x387fffff
	v_cmp_lt_u32_e32 vcc, s4, v25
                                        ; implicit-def: $vgpr3
	s_and_saveexec_b64 s[4:5], vcc
	s_xor_b64 s[4:5], exec, s[4:5]
; %bb.1646:
	v_bfe_u32 v3, v2, 21, 1
	s_mov_b32 s6, 0x80fffff
	v_add3_u32 v3, v2, v3, s6
	v_lshrrev_b32_e32 v3, 21, v3
; %bb.1647:
	s_andn2_saveexec_b64 s[4:5], s[4:5]
; %bb.1648:
	s_mov_b32 s6, 0x43000000
	v_add_f32_e64 v3, |v2|, s6
; %bb.1649:
	s_or_b64 exec, exec, s[4:5]
                                        ; implicit-def: $vgpr25
.LBB48_1650:
	s_andn2_saveexec_b64 s[2:3], s[2:3]
; %bb.1651:
	s_mov_b32 s4, 0x7f800000
	v_mov_b32_e32 v3, 0x7c
	v_mov_b32_e32 v26, 0x7f
	v_cmp_lt_u32_e32 vcc, s4, v25
	v_cndmask_b32_e32 v3, v3, v26, vcc
; %bb.1652:
	s_or_b64 exec, exec, s[2:3]
	v_lshrrev_b32_e32 v2, 24, v2
	s_movk_i32 s2, 0x80
	v_and_or_b32 v2, v2, s2, v3
	global_store_byte v[22:23], v2, off
.LBB48_1653:
	s_mov_b64 s[2:3], 0
	s_mov_b64 s[4:5], -1
.LBB48_1654:
	s_andn2_b64 vcc, exec, s[2:3]
	s_mov_b64 s[2:3], 0
	s_cbranch_vccnz .LBB48_1661
; %bb.1655:
	s_cmp_gt_i32 s13, 14
	s_mov_b64 s[6:7], -1
	s_cbranch_scc0 .LBB48_1659
; %bb.1656:
	s_cmp_eq_u32 s13, 15
	s_mov_b64 s[0:1], -1
	s_cbranch_scc0 .LBB48_1658
; %bb.1657:
	v_cvt_f32_f64_e32 v2, v[0:1]
	s_movk_i32 s0, 0x7fff
	v_mov_b32_e32 v3, 0x7fc0
	s_mov_b64 s[4:5], -1
	v_bfe_u32 v25, v2, 16, 1
	v_cmp_o_f32_e32 vcc, v2, v2
	v_add3_u32 v2, v2, v25, s0
	v_cndmask_b32_sdwa v2, v3, v2, vcc dst_sel:DWORD dst_unused:UNUSED_PAD src0_sel:DWORD src1_sel:WORD_1
	global_store_short v[22:23], v2, off
	s_mov_b64 s[0:1], 0
.LBB48_1658:
	s_mov_b64 s[6:7], 0
.LBB48_1659:
	s_and_b64 vcc, exec, s[6:7]
	s_cbranch_vccz .LBB48_1661
; %bb.1660:
	s_cmp_lg_u32 s13, 11
	s_mov_b64 s[2:3], -1
	s_cselect_b64 s[0:1], -1, 0
.LBB48_1661:
	s_and_b64 vcc, exec, s[0:1]
	s_cbranch_vccnz .LBB48_2069
; %bb.1662:
	s_andn2_b64 vcc, exec, s[2:3]
	s_cbranch_vccnz .LBB48_1664
.LBB48_1663:
	v_cmp_neq_f64_e32 vcc, 0, v[0:1]
	s_mov_b64 s[4:5], -1
	v_cndmask_b32_e64 v2, 0, 1, vcc
	global_store_byte v[22:23], v2, off
.LBB48_1664:
	s_mov_b64 s[0:1], 0
	s_branch .LBB48_1666
.LBB48_1665:
	s_mov_b64 s[0:1], -1
	s_mov_b64 s[4:5], 0
.LBB48_1666:
	s_and_b64 vcc, exec, s[0:1]
	s_cbranch_vccz .LBB48_1705
; %bb.1667:
	s_and_b32 s2, 0xffff, s22
	s_cmp_lt_i32 s2, 5
	s_mov_b64 s[0:1], -1
	s_cbranch_scc1 .LBB48_1688
; %bb.1668:
	s_cmp_lt_i32 s2, 8
	s_cbranch_scc1 .LBB48_1678
; %bb.1669:
	s_cmp_lt_i32 s2, 9
	s_cbranch_scc1 .LBB48_1675
; %bb.1670:
	s_cmp_gt_i32 s2, 9
	s_cbranch_scc0 .LBB48_1672
; %bb.1671:
	v_mov_b32_e32 v2, 0
	v_mov_b32_e32 v3, v2
	global_store_dwordx4 v[22:23], v[0:3], off
	s_mov_b64 s[0:1], 0
.LBB48_1672:
	s_andn2_b64 vcc, exec, s[0:1]
	s_cbranch_vccnz .LBB48_1674
; %bb.1673:
	v_cvt_f32_f64_e32 v2, v[0:1]
	v_mov_b32_e32 v3, 0
	global_store_dwordx2 v[22:23], v[2:3], off
.LBB48_1674:
	s_mov_b64 s[0:1], 0
.LBB48_1675:
	s_andn2_b64 vcc, exec, s[0:1]
	s_cbranch_vccnz .LBB48_1677
; %bb.1676:
	s_movk_i32 s0, 0x1ff
	v_and_or_b32 v2, v1, s0, v0
	v_cmp_ne_u32_e32 vcc, 0, v2
	v_cndmask_b32_e64 v2, 0, 1, vcc
	v_lshrrev_b32_e32 v3, 8, v1
	s_movk_i32 s0, 0xffe
	v_bfe_u32 v25, v1, 20, 11
	v_and_or_b32 v2, v3, s0, v2
	v_sub_u32_e32 v26, 0x3f1, v25
	v_or_b32_e32 v3, 0x1000, v2
	v_med3_i32 v26, v26, 0, 13
	v_lshrrev_b32_e32 v27, v26, v3
	v_lshlrev_b32_e32 v26, v26, v27
	v_cmp_ne_u32_e32 vcc, v26, v3
	v_cndmask_b32_e64 v3, 0, 1, vcc
	v_add_u32_e32 v25, 0xfffffc10, v25
	v_or_b32_e32 v3, v27, v3
	v_lshl_or_b32 v26, v25, 12, v2
	v_cmp_gt_i32_e32 vcc, 1, v25
	v_cndmask_b32_e32 v3, v26, v3, vcc
	v_and_b32_e32 v26, 7, v3
	v_cmp_lt_i32_e32 vcc, 5, v26
	v_cndmask_b32_e64 v27, 0, 1, vcc
	v_cmp_eq_u32_e32 vcc, 3, v26
	v_cndmask_b32_e64 v26, 0, 1, vcc
	v_or_b32_e32 v26, v26, v27
	v_lshrrev_b32_e32 v3, 2, v3
	v_add_u32_e32 v3, v3, v26
	v_mov_b32_e32 v26, 0x7c00
	v_cmp_gt_i32_e32 vcc, 31, v25
	v_cndmask_b32_e32 v3, v26, v3, vcc
	v_mov_b32_e32 v27, 0x7e00
	v_cmp_ne_u32_e32 vcc, 0, v2
	s_movk_i32 s0, 0x40f
	v_cndmask_b32_e32 v2, v26, v27, vcc
	v_cmp_eq_u32_e32 vcc, s0, v25
	v_cndmask_b32_e32 v2, v3, v2, vcc
	v_lshrrev_b32_e32 v3, 16, v1
	s_mov_b32 s0, 0x8000
	v_and_or_b32 v2, v3, s0, v2
	v_and_b32_e32 v2, 0xffff, v2
	global_store_dword v[22:23], v2, off
.LBB48_1677:
	s_mov_b64 s[0:1], 0
.LBB48_1678:
	s_andn2_b64 vcc, exec, s[0:1]
	s_cbranch_vccnz .LBB48_1687
; %bb.1679:
	s_cmp_lt_i32 s2, 6
	s_mov_b64 s[0:1], -1
	s_cbranch_scc1 .LBB48_1685
; %bb.1680:
	s_cmp_gt_i32 s2, 6
	s_cbranch_scc0 .LBB48_1682
; %bb.1681:
	global_store_dwordx2 v[22:23], v[0:1], off
	s_mov_b64 s[0:1], 0
.LBB48_1682:
	s_andn2_b64 vcc, exec, s[0:1]
	s_cbranch_vccnz .LBB48_1684
; %bb.1683:
	v_cvt_f32_f64_e32 v2, v[0:1]
	global_store_dword v[22:23], v2, off
.LBB48_1684:
	s_mov_b64 s[0:1], 0
.LBB48_1685:
	s_andn2_b64 vcc, exec, s[0:1]
	s_cbranch_vccnz .LBB48_1687
; %bb.1686:
	s_movk_i32 s0, 0x1ff
	v_and_or_b32 v2, v1, s0, v0
	v_cmp_ne_u32_e32 vcc, 0, v2
	v_cndmask_b32_e64 v2, 0, 1, vcc
	v_lshrrev_b32_e32 v3, 8, v1
	s_movk_i32 s0, 0xffe
	v_bfe_u32 v25, v1, 20, 11
	v_and_or_b32 v2, v3, s0, v2
	v_sub_u32_e32 v26, 0x3f1, v25
	v_or_b32_e32 v3, 0x1000, v2
	v_med3_i32 v26, v26, 0, 13
	v_lshrrev_b32_e32 v27, v26, v3
	v_lshlrev_b32_e32 v26, v26, v27
	v_cmp_ne_u32_e32 vcc, v26, v3
	v_cndmask_b32_e64 v3, 0, 1, vcc
	v_add_u32_e32 v25, 0xfffffc10, v25
	v_or_b32_e32 v3, v27, v3
	v_lshl_or_b32 v26, v25, 12, v2
	v_cmp_gt_i32_e32 vcc, 1, v25
	v_cndmask_b32_e32 v3, v26, v3, vcc
	v_and_b32_e32 v26, 7, v3
	v_cmp_lt_i32_e32 vcc, 5, v26
	v_cndmask_b32_e64 v27, 0, 1, vcc
	v_cmp_eq_u32_e32 vcc, 3, v26
	v_cndmask_b32_e64 v26, 0, 1, vcc
	v_or_b32_e32 v26, v26, v27
	v_lshrrev_b32_e32 v3, 2, v3
	v_add_u32_e32 v3, v3, v26
	v_mov_b32_e32 v26, 0x7c00
	v_cmp_gt_i32_e32 vcc, 31, v25
	v_cndmask_b32_e32 v3, v26, v3, vcc
	v_mov_b32_e32 v27, 0x7e00
	v_cmp_ne_u32_e32 vcc, 0, v2
	s_movk_i32 s0, 0x40f
	v_cndmask_b32_e32 v2, v26, v27, vcc
	v_cmp_eq_u32_e32 vcc, s0, v25
	v_cndmask_b32_e32 v2, v3, v2, vcc
	v_lshrrev_b32_e32 v3, 16, v1
	s_mov_b32 s0, 0x8000
	v_and_or_b32 v2, v3, s0, v2
	global_store_short v[22:23], v2, off
.LBB48_1687:
	s_mov_b64 s[0:1], 0
.LBB48_1688:
	s_andn2_b64 vcc, exec, s[0:1]
	s_cbranch_vccnz .LBB48_1704
; %bb.1689:
	s_cmp_lt_i32 s2, 2
	s_mov_b64 s[0:1], -1
	s_cbranch_scc1 .LBB48_1699
; %bb.1690:
	s_cmp_lt_i32 s2, 3
	s_cbranch_scc1 .LBB48_1696
; %bb.1691:
	s_cmp_gt_i32 s2, 3
	s_cbranch_scc0 .LBB48_1693
; %bb.1692:
	v_trunc_f64_e32 v[2:3], v[0:1]
	s_movk_i32 s0, 0xffe0
	v_ldexp_f64 v[25:26], v[2:3], s0
	s_mov_b32 s0, 0
	s_mov_b32 s1, 0xc1f00000
	v_floor_f64_e32 v[25:26], v[25:26]
	v_fma_f64 v[2:3], v[25:26], s[0:1], v[2:3]
	v_cvt_i32_f64_e32 v26, v[25:26]
	s_mov_b64 s[0:1], 0
	v_cvt_u32_f64_e32 v25, v[2:3]
	global_store_dwordx2 v[22:23], v[25:26], off
.LBB48_1693:
	s_andn2_b64 vcc, exec, s[0:1]
	s_cbranch_vccnz .LBB48_1695
; %bb.1694:
	v_cvt_i32_f64_e32 v2, v[0:1]
	global_store_dword v[22:23], v2, off
.LBB48_1695:
	s_mov_b64 s[0:1], 0
.LBB48_1696:
	s_andn2_b64 vcc, exec, s[0:1]
	s_cbranch_vccnz .LBB48_1698
; %bb.1697:
	v_cvt_i32_f64_e32 v2, v[0:1]
	global_store_short v[22:23], v2, off
.LBB48_1698:
	s_mov_b64 s[0:1], 0
.LBB48_1699:
	s_andn2_b64 vcc, exec, s[0:1]
	s_cbranch_vccnz .LBB48_1704
; %bb.1700:
	s_cmp_gt_i32 s2, 0
	s_mov_b64 s[0:1], -1
	s_cbranch_scc0 .LBB48_1702
; %bb.1701:
	v_cvt_i32_f64_e32 v2, v[0:1]
	s_mov_b64 s[0:1], 0
	global_store_byte v[22:23], v2, off
.LBB48_1702:
	s_andn2_b64 vcc, exec, s[0:1]
	s_cbranch_vccnz .LBB48_1704
; %bb.1703:
	v_trunc_f64_e32 v[0:1], v[0:1]
	s_movk_i32 s0, 0xffe0
	v_ldexp_f64 v[2:3], v[0:1], s0
	s_mov_b32 s0, 0
	s_mov_b32 s1, 0xc1f00000
	v_floor_f64_e32 v[2:3], v[2:3]
	v_fma_f64 v[0:1], v[2:3], s[0:1], v[0:1]
	v_cvt_u32_f64_e32 v0, v[0:1]
	global_store_byte v[22:23], v0, off
.LBB48_1704:
	s_mov_b64 s[4:5], -1
.LBB48_1705:
	s_andn2_b64 vcc, exec, s[4:5]
	s_cbranch_vccnz .LBB48_2020
; %bb.1706:
	v_mul_f64 v[0:1], v[10:11], v[10:11]
	s_lshl_b32 s12, s12, 7
	s_cmp_lt_i32 s22, 11
	v_div_scale_f64 v[2:3], s[0:1], v[0:1], v[0:1], 1.0
	v_rcp_f64_e32 v[22:23], v[2:3]
	v_fma_f64 v[25:26], -v[2:3], v[22:23], 1.0
	v_fma_f64 v[22:23], v[22:23], v[25:26], v[22:23]
	v_fma_f64 v[25:26], -v[2:3], v[22:23], 1.0
	v_fma_f64 v[22:23], v[22:23], v[25:26], v[22:23]
	v_div_scale_f64 v[25:26], vcc, 1.0, v[0:1], 1.0
	v_mul_f64 v[27:28], v[25:26], v[22:23]
	v_fma_f64 v[2:3], -v[2:3], v[27:28], v[25:26]
	s_nop 1
	v_div_fmas_f64 v[2:3], v[2:3], v[22:23], v[27:28]
	v_div_fixup_f64 v[0:1], v[2:3], v[0:1], 1.0
	v_add_f64 v[2:3], v[10:11], 1.0
	v_add_f64 v[0:1], v[20:21], v[0:1]
	v_mul_f64 v[10:11], v[2:3], v[2:3]
	v_add_f64 v[2:3], v[2:3], 1.0
	v_div_scale_f64 v[20:21], s[0:1], v[10:11], v[10:11], 1.0
	v_rcp_f64_e32 v[22:23], v[20:21]
	v_fma_f64 v[25:26], -v[20:21], v[22:23], 1.0
	v_fma_f64 v[22:23], v[22:23], v[25:26], v[22:23]
	v_fma_f64 v[25:26], -v[20:21], v[22:23], 1.0
	v_fma_f64 v[22:23], v[22:23], v[25:26], v[22:23]
	v_div_scale_f64 v[25:26], vcc, 1.0, v[10:11], 1.0
	v_mul_f64 v[27:28], v[25:26], v[22:23]
	v_fma_f64 v[20:21], -v[20:21], v[27:28], v[25:26]
	s_nop 1
	v_div_fmas_f64 v[20:21], v[20:21], v[22:23], v[27:28]
	v_div_fixup_f64 v[10:11], v[20:21], v[10:11], 1.0
	v_add_f64 v[0:1], v[0:1], v[10:11]
	v_mul_f64 v[10:11], v[2:3], v[2:3]
	v_add_f64 v[2:3], v[2:3], 1.0
	v_div_scale_f64 v[20:21], s[0:1], v[10:11], v[10:11], 1.0
	v_rcp_f64_e32 v[22:23], v[20:21]
	v_fma_f64 v[25:26], -v[20:21], v[22:23], 1.0
	v_fma_f64 v[22:23], v[22:23], v[25:26], v[22:23]
	v_fma_f64 v[25:26], -v[20:21], v[22:23], 1.0
	v_fma_f64 v[22:23], v[22:23], v[25:26], v[22:23]
	v_div_scale_f64 v[25:26], vcc, 1.0, v[10:11], 1.0
	v_mul_f64 v[27:28], v[25:26], v[22:23]
	v_fma_f64 v[20:21], -v[20:21], v[27:28], v[25:26]
	s_nop 1
	v_div_fmas_f64 v[20:21], v[20:21], v[22:23], v[27:28]
	v_div_fixup_f64 v[10:11], v[20:21], v[10:11], 1.0
	;; [unrolled: 15-line block ×5, first 2 shown]
	v_add_f64 v[0:1], v[0:1], v[10:11]
	v_mul_f64 v[10:11], v[2:3], v[2:3]
	v_div_scale_f64 v[20:21], s[0:1], v[10:11], v[10:11], 1.0
	v_rcp_f64_e32 v[22:23], v[20:21]
	v_fma_f64 v[25:26], -v[20:21], v[22:23], 1.0
	v_fma_f64 v[22:23], v[22:23], v[25:26], v[22:23]
	v_fma_f64 v[25:26], -v[20:21], v[22:23], 1.0
	v_fma_f64 v[22:23], v[22:23], v[25:26], v[22:23]
	v_div_scale_f64 v[25:26], vcc, 1.0, v[10:11], 1.0
	v_mul_f64 v[27:28], v[25:26], v[22:23]
	v_fma_f64 v[20:21], -v[20:21], v[27:28], v[25:26]
	s_nop 1
	v_div_fmas_f64 v[20:21], v[20:21], v[22:23], v[27:28]
	v_div_fixup_f64 v[10:11], v[20:21], v[10:11], 1.0
	v_add_f64 v[20:21], v[2:3], v[2:3]
	v_div_scale_f64 v[22:23], s[0:1], v[20:21], v[20:21], 1.0
	s_mov_b32 s0, 0x18618618
	s_mov_b32 s1, 0xbf986186
	v_rcp_f64_e32 v[25:26], v[22:23]
	v_fma_f64 v[27:28], -v[22:23], v[25:26], 1.0
	v_fma_f64 v[25:26], v[25:26], v[27:28], v[25:26]
	v_fma_f64 v[27:28], -v[22:23], v[25:26], 1.0
	v_fma_f64 v[25:26], v[25:26], v[27:28], v[25:26]
	v_div_scale_f64 v[27:28], vcc, 1.0, v[20:21], 1.0
	v_mul_f64 v[29:30], v[27:28], v[25:26]
	v_fma_f64 v[22:23], -v[22:23], v[29:30], v[27:28]
	s_nop 1
	v_div_fmas_f64 v[22:23], v[22:23], v[25:26], v[29:30]
	v_div_fixup_f64 v[20:21], v[22:23], v[20:21], 1.0
	v_mov_b32_e32 v22, 0x11111111
	v_mov_b32_e32 v23, 0x3fa11111
	v_fma_f64 v[22:23], v[10:11], s[0:1], v[22:23]
	s_mov_b32 s0, 0x55555555
	s_mov_b32 s1, 0x3fc55555
	v_add_f64 v[20:21], v[20:21], 1.0
	v_fma_f64 v[22:23], -v[10:11], v[22:23], s[0:1]
	v_fma_f64 v[10:11], v[10:11], v[22:23], v[20:21]
	v_div_scale_f64 v[20:21], s[0:1], v[2:3], v[2:3], v[10:11]
	v_rcp_f64_e32 v[22:23], v[20:21]
	v_fma_f64 v[25:26], -v[20:21], v[22:23], 1.0
	v_fma_f64 v[22:23], v[22:23], v[25:26], v[22:23]
	v_fma_f64 v[25:26], -v[20:21], v[22:23], 1.0
	v_fma_f64 v[22:23], v[22:23], v[25:26], v[22:23]
	v_div_scale_f64 v[25:26], vcc, v[10:11], v[2:3], v[10:11]
	v_mul_f64 v[27:28], v[25:26], v[22:23]
	v_fma_f64 v[20:21], -v[20:21], v[27:28], v[25:26]
	s_nop 1
	v_div_fmas_f64 v[20:21], v[20:21], v[22:23], v[27:28]
	v_div_fixup_f64 v[2:3], v[20:21], v[2:3], v[10:11]
	v_add_u32_e32 v20, s12, v24
	v_add_co_u32_e32 v10, vcc, s8, v20
	v_add_f64 v[0:1], v[0:1], v[2:3]
	v_ashrrev_i32_e32 v2, 31, v20
	v_mov_b32_e32 v3, s9
	v_addc_co_u32_e32 v11, vcc, v3, v2, vcc
	v_mul_f64 v[0:1], v[16:17], v[0:1]
	s_cbranch_scc1 .LBB48_1784
; %bb.1707:
	s_and_b32 s13, 0xffff, s22
	s_mov_b64 s[6:7], -1
	s_mov_b64 s[2:3], 0
	s_cmp_gt_i32 s13, 25
	s_mov_b64 s[4:5], 0
	s_mov_b64 s[0:1], 0
	s_cbranch_scc0 .LBB48_1740
; %bb.1708:
	s_cmp_gt_i32 s13, 28
	s_cbranch_scc0 .LBB48_1723
; %bb.1709:
	s_cmp_gt_i32 s13, 43
	;; [unrolled: 3-line block ×3, first 2 shown]
	s_cbranch_scc0 .LBB48_1713
; %bb.1711:
	s_mov_b64 s[0:1], -1
	s_mov_b64 s[6:7], 0
	s_cmp_eq_u32 s13, 46
	s_cbranch_scc0 .LBB48_1713
; %bb.1712:
	v_cvt_f32_f64_e32 v2, v[0:1]
	s_movk_i32 s0, 0x7fff
	v_mov_b32_e32 v3, 0x7fc0
	s_mov_b64 s[4:5], -1
	v_bfe_u32 v16, v2, 16, 1
	v_cmp_o_f32_e32 vcc, v2, v2
	v_add3_u32 v2, v2, v16, s0
	v_cndmask_b32_sdwa v2, v3, v2, vcc dst_sel:DWORD dst_unused:UNUSED_PAD src0_sel:DWORD src1_sel:WORD_1
	global_store_dword v[10:11], v2, off
	s_mov_b64 s[0:1], 0
.LBB48_1713:
	s_and_b64 vcc, exec, s[6:7]
	s_cbranch_vccz .LBB48_1718
; %bb.1714:
	s_cmp_eq_u32 s13, 44
	s_mov_b64 s[0:1], -1
	s_cbranch_scc0 .LBB48_1718
; %bb.1715:
	v_cvt_f32_f64_e32 v2, v[0:1]
	s_movk_i32 s0, 0xff
	v_mov_b32_e32 v16, 0xff
	v_bfe_u32 v3, v2, 23, 8
	v_cmp_ne_u32_e32 vcc, s0, v3
	s_and_saveexec_b64 s[4:5], vcc
; %bb.1716:
	s_mov_b32 s0, 0x3fffff
	v_lshrrev_b32_e32 v16, 23, v2
	v_and_b32_e32 v17, 0x400000, v2
	v_and_or_b32 v2, v2, s0, v3
	v_cmp_ne_u32_e32 vcc, 0, v17
	v_cmp_ne_u32_e64 s[0:1], 0, v2
	s_and_b64 s[0:1], vcc, s[0:1]
	v_cndmask_b32_e64 v2, 0, 1, s[0:1]
	v_add_u32_e32 v16, v16, v2
; %bb.1717:
	s_or_b64 exec, exec, s[4:5]
	s_mov_b64 s[0:1], 0
	s_mov_b64 s[4:5], -1
	global_store_byte v[10:11], v16, off
.LBB48_1718:
	s_mov_b64 s[6:7], 0
.LBB48_1719:
	s_and_b64 vcc, exec, s[6:7]
	s_cbranch_vccz .LBB48_1722
; %bb.1720:
	s_cmp_eq_u32 s13, 29
	s_mov_b64 s[0:1], -1
	s_cbranch_scc0 .LBB48_1722
; %bb.1721:
	v_trunc_f64_e32 v[2:3], v[0:1]
	s_movk_i32 s0, 0xffe0
	s_mov_b64 s[4:5], -1
	v_ldexp_f64 v[16:17], v[2:3], s0
	s_mov_b32 s0, 0
	s_mov_b32 s1, 0xc1f00000
	v_floor_f64_e32 v[16:17], v[16:17]
	v_fma_f64 v[2:3], v[16:17], s[0:1], v[2:3]
	v_cvt_u32_f64_e32 v17, v[16:17]
	s_mov_b64 s[0:1], 0
	v_cvt_u32_f64_e32 v16, v[2:3]
	global_store_dwordx2 v[10:11], v[16:17], off
.LBB48_1722:
	s_mov_b64 s[6:7], 0
.LBB48_1723:
	s_and_b64 vcc, exec, s[6:7]
	s_cbranch_vccz .LBB48_1739
; %bb.1724:
	s_cmp_lt_i32 s13, 27
	s_mov_b64 s[4:5], -1
	s_cbranch_scc1 .LBB48_1730
; %bb.1725:
	v_cvt_u32_f64_e32 v2, v[0:1]
	s_cmp_gt_i32 s13, 27
	s_cbranch_scc0 .LBB48_1727
; %bb.1726:
	s_mov_b64 s[4:5], 0
	global_store_dword v[10:11], v2, off
.LBB48_1727:
	s_andn2_b64 vcc, exec, s[4:5]
	s_cbranch_vccnz .LBB48_1729
; %bb.1728:
	global_store_short v[10:11], v2, off
.LBB48_1729:
	s_mov_b64 s[4:5], 0
.LBB48_1730:
	s_andn2_b64 vcc, exec, s[4:5]
	s_cbranch_vccnz .LBB48_1738
; %bb.1731:
	v_cvt_f32_f64_e32 v2, v[0:1]
	s_mov_b32 s4, 0x43800000
	v_mov_b32_e32 v16, 0x80
	v_and_b32_e32 v3, 0x7fffffff, v2
	v_cmp_gt_u32_e32 vcc, s4, v3
	s_and_saveexec_b64 s[4:5], vcc
	s_cbranch_execz .LBB48_1737
; %bb.1732:
	s_mov_b32 s6, 0x3bffffff
	v_cmp_lt_u32_e32 vcc, s6, v3
	s_mov_b64 s[6:7], 0
                                        ; implicit-def: $vgpr3
	s_and_saveexec_b64 s[10:11], vcc
	s_xor_b64 s[10:11], exec, s[10:11]
	s_cbranch_execz .LBB48_2072
; %bb.1733:
	v_bfe_u32 v3, v2, 20, 1
	s_mov_b32 s20, 0x487ffff
	v_add3_u32 v3, v2, v3, s20
	s_mov_b64 s[6:7], exec
	v_lshrrev_b32_e32 v3, 20, v3
	s_andn2_saveexec_b64 s[10:11], s[10:11]
	s_cbranch_execnz .LBB48_2073
.LBB48_1734:
	s_or_b64 exec, exec, s[10:11]
	v_mov_b32_e32 v16, 0
	s_and_saveexec_b64 s[10:11], s[6:7]
.LBB48_1735:
	v_lshrrev_b32_e32 v2, 24, v2
	s_movk_i32 s6, 0x80
	v_and_or_b32 v16, v2, s6, v3
.LBB48_1736:
	s_or_b64 exec, exec, s[10:11]
.LBB48_1737:
	s_or_b64 exec, exec, s[4:5]
	global_store_byte v[10:11], v16, off
.LBB48_1738:
	s_mov_b64 s[4:5], -1
.LBB48_1739:
	s_mov_b64 s[6:7], 0
.LBB48_1740:
	s_and_b64 vcc, exec, s[6:7]
	s_cbranch_vccz .LBB48_1780
; %bb.1741:
	s_cmp_gt_i32 s13, 22
	s_mov_b64 s[2:3], -1
	s_cbranch_scc0 .LBB48_1773
; %bb.1742:
	s_cmp_lt_i32 s13, 24
	s_cbranch_scc1 .LBB48_1762
; %bb.1743:
	s_cmp_gt_i32 s13, 24
	s_cbranch_scc0 .LBB48_1751
; %bb.1744:
	v_cvt_f32_f64_e32 v2, v[0:1]
	s_mov_b32 s2, 0x47800000
	v_mov_b32_e32 v16, 0x80
	v_and_b32_e32 v3, 0x7fffffff, v2
	v_cmp_gt_u32_e32 vcc, s2, v3
	s_and_saveexec_b64 s[2:3], vcc
	s_cbranch_execz .LBB48_1750
; %bb.1745:
	s_mov_b32 s4, 0x37ffffff
	v_cmp_lt_u32_e32 vcc, s4, v3
	s_mov_b64 s[4:5], 0
                                        ; implicit-def: $vgpr3
	s_and_saveexec_b64 s[6:7], vcc
	s_xor_b64 s[6:7], exec, s[6:7]
	s_cbranch_execz .LBB48_2075
; %bb.1746:
	v_bfe_u32 v3, v2, 21, 1
	s_mov_b32 s10, 0x88fffff
	v_add3_u32 v3, v2, v3, s10
	s_mov_b64 s[4:5], exec
	v_lshrrev_b32_e32 v3, 21, v3
	s_andn2_saveexec_b64 s[6:7], s[6:7]
	s_cbranch_execnz .LBB48_2076
.LBB48_1747:
	s_or_b64 exec, exec, s[6:7]
	v_mov_b32_e32 v16, 0
	s_and_saveexec_b64 s[6:7], s[4:5]
.LBB48_1748:
	v_lshrrev_b32_e32 v2, 24, v2
	s_movk_i32 s4, 0x80
	v_and_or_b32 v16, v2, s4, v3
.LBB48_1749:
	s_or_b64 exec, exec, s[6:7]
.LBB48_1750:
	s_or_b64 exec, exec, s[2:3]
	s_mov_b64 s[2:3], 0
	global_store_byte v[10:11], v16, off
.LBB48_1751:
	s_and_b64 vcc, exec, s[2:3]
	s_cbranch_vccz .LBB48_1761
; %bb.1752:
	v_cvt_f32_f64_e32 v2, v[0:1]
	s_mov_b32 s2, 0x43f00000
                                        ; implicit-def: $vgpr3
	v_and_b32_e32 v16, 0x7fffffff, v2
	v_cmp_gt_u32_e32 vcc, s2, v16
	s_and_saveexec_b64 s[2:3], vcc
	s_xor_b64 s[2:3], exec, s[2:3]
	s_cbranch_execz .LBB48_1758
; %bb.1753:
	s_mov_b32 s4, 0x3c7fffff
	v_cmp_lt_u32_e32 vcc, s4, v16
                                        ; implicit-def: $vgpr3
	s_and_saveexec_b64 s[4:5], vcc
	s_xor_b64 s[4:5], exec, s[4:5]
; %bb.1754:
	v_bfe_u32 v3, v2, 20, 1
	s_mov_b32 s6, 0x407ffff
	v_add3_u32 v3, v2, v3, s6
	v_lshrrev_b32_e32 v16, 20, v3
	v_and_b32_e32 v3, 0xff00000, v3
	s_mov_b32 s6, 0x7f00000
	v_mov_b32_e32 v17, 0x7e
	v_cmp_ne_u32_e32 vcc, s6, v3
	v_cndmask_b32_e32 v3, v17, v16, vcc
; %bb.1755:
	s_andn2_saveexec_b64 s[4:5], s[4:5]
; %bb.1756:
	s_mov_b32 s6, 0x46800000
	v_add_f32_e64 v3, |v2|, s6
; %bb.1757:
	s_or_b64 exec, exec, s[4:5]
                                        ; implicit-def: $vgpr16
.LBB48_1758:
	s_andn2_saveexec_b64 s[2:3], s[2:3]
; %bb.1759:
	s_mov_b32 s4, 0x7f800000
	v_mov_b32_e32 v3, 0x7e
	v_mov_b32_e32 v17, 0x7f
	v_cmp_lt_u32_e32 vcc, s4, v16
	v_cndmask_b32_e32 v3, v3, v17, vcc
; %bb.1760:
	s_or_b64 exec, exec, s[2:3]
	v_lshrrev_b32_e32 v2, 24, v2
	s_movk_i32 s2, 0x80
	v_and_or_b32 v2, v2, s2, v3
	global_store_byte v[10:11], v2, off
.LBB48_1761:
	s_mov_b64 s[2:3], 0
.LBB48_1762:
	s_andn2_b64 vcc, exec, s[2:3]
	s_cbranch_vccnz .LBB48_1772
; %bb.1763:
	v_cvt_f32_f64_e32 v2, v[0:1]
	s_mov_b32 s2, 0x47800000
                                        ; implicit-def: $vgpr3
	v_and_b32_e32 v16, 0x7fffffff, v2
	v_cmp_gt_u32_e32 vcc, s2, v16
	s_and_saveexec_b64 s[2:3], vcc
	s_xor_b64 s[2:3], exec, s[2:3]
	s_cbranch_execz .LBB48_1769
; %bb.1764:
	s_mov_b32 s4, 0x387fffff
	v_cmp_lt_u32_e32 vcc, s4, v16
                                        ; implicit-def: $vgpr3
	s_and_saveexec_b64 s[4:5], vcc
	s_xor_b64 s[4:5], exec, s[4:5]
; %bb.1765:
	v_bfe_u32 v3, v2, 21, 1
	s_mov_b32 s6, 0x80fffff
	v_add3_u32 v3, v2, v3, s6
	v_lshrrev_b32_e32 v3, 21, v3
; %bb.1766:
	s_andn2_saveexec_b64 s[4:5], s[4:5]
; %bb.1767:
	s_mov_b32 s6, 0x43000000
	v_add_f32_e64 v3, |v2|, s6
; %bb.1768:
	s_or_b64 exec, exec, s[4:5]
                                        ; implicit-def: $vgpr16
.LBB48_1769:
	s_andn2_saveexec_b64 s[2:3], s[2:3]
; %bb.1770:
	s_mov_b32 s4, 0x7f800000
	v_mov_b32_e32 v3, 0x7c
	v_mov_b32_e32 v17, 0x7f
	v_cmp_lt_u32_e32 vcc, s4, v16
	v_cndmask_b32_e32 v3, v3, v17, vcc
; %bb.1771:
	s_or_b64 exec, exec, s[2:3]
	v_lshrrev_b32_e32 v2, 24, v2
	s_movk_i32 s2, 0x80
	v_and_or_b32 v2, v2, s2, v3
	global_store_byte v[10:11], v2, off
.LBB48_1772:
	s_mov_b64 s[2:3], 0
	s_mov_b64 s[4:5], -1
.LBB48_1773:
	s_andn2_b64 vcc, exec, s[2:3]
	s_mov_b64 s[2:3], 0
	s_cbranch_vccnz .LBB48_1780
; %bb.1774:
	s_cmp_gt_i32 s13, 14
	s_mov_b64 s[6:7], -1
	s_cbranch_scc0 .LBB48_1778
; %bb.1775:
	s_cmp_eq_u32 s13, 15
	s_mov_b64 s[0:1], -1
	s_cbranch_scc0 .LBB48_1777
; %bb.1776:
	v_cvt_f32_f64_e32 v2, v[0:1]
	s_movk_i32 s0, 0x7fff
	v_mov_b32_e32 v3, 0x7fc0
	s_mov_b64 s[4:5], -1
	v_bfe_u32 v16, v2, 16, 1
	v_cmp_o_f32_e32 vcc, v2, v2
	v_add3_u32 v2, v2, v16, s0
	v_cndmask_b32_sdwa v2, v3, v2, vcc dst_sel:DWORD dst_unused:UNUSED_PAD src0_sel:DWORD src1_sel:WORD_1
	global_store_short v[10:11], v2, off
	s_mov_b64 s[0:1], 0
.LBB48_1777:
	s_mov_b64 s[6:7], 0
.LBB48_1778:
	s_and_b64 vcc, exec, s[6:7]
	s_cbranch_vccz .LBB48_1780
; %bb.1779:
	s_cmp_lg_u32 s13, 11
	s_mov_b64 s[2:3], -1
	s_cselect_b64 s[0:1], -1, 0
.LBB48_1780:
	s_and_b64 vcc, exec, s[0:1]
	s_cbranch_vccnz .LBB48_2074
; %bb.1781:
	s_andn2_b64 vcc, exec, s[2:3]
	s_cbranch_vccnz .LBB48_1783
.LBB48_1782:
	v_cmp_neq_f64_e32 vcc, 0, v[0:1]
	s_mov_b64 s[4:5], -1
	v_cndmask_b32_e64 v2, 0, 1, vcc
	global_store_byte v[10:11], v2, off
.LBB48_1783:
	s_mov_b64 s[0:1], 0
	s_branch .LBB48_1785
.LBB48_1784:
	s_mov_b64 s[0:1], -1
	s_mov_b64 s[4:5], 0
.LBB48_1785:
	s_and_b64 vcc, exec, s[0:1]
	s_cbranch_vccz .LBB48_1824
; %bb.1786:
	s_and_b32 s2, 0xffff, s22
	s_cmp_lt_i32 s2, 5
	s_mov_b64 s[0:1], -1
	s_cbranch_scc1 .LBB48_1807
; %bb.1787:
	s_cmp_lt_i32 s2, 8
	s_cbranch_scc1 .LBB48_1797
; %bb.1788:
	s_cmp_lt_i32 s2, 9
	s_cbranch_scc1 .LBB48_1794
; %bb.1789:
	s_cmp_gt_i32 s2, 9
	s_cbranch_scc0 .LBB48_1791
; %bb.1790:
	v_mov_b32_e32 v2, 0
	v_mov_b32_e32 v3, v2
	global_store_dwordx4 v[10:11], v[0:3], off
	s_mov_b64 s[0:1], 0
.LBB48_1791:
	s_andn2_b64 vcc, exec, s[0:1]
	s_cbranch_vccnz .LBB48_1793
; %bb.1792:
	v_cvt_f32_f64_e32 v2, v[0:1]
	v_mov_b32_e32 v3, 0
	global_store_dwordx2 v[10:11], v[2:3], off
.LBB48_1793:
	s_mov_b64 s[0:1], 0
.LBB48_1794:
	s_andn2_b64 vcc, exec, s[0:1]
	s_cbranch_vccnz .LBB48_1796
; %bb.1795:
	s_movk_i32 s0, 0x1ff
	v_and_or_b32 v2, v1, s0, v0
	v_cmp_ne_u32_e32 vcc, 0, v2
	v_cndmask_b32_e64 v2, 0, 1, vcc
	v_lshrrev_b32_e32 v3, 8, v1
	s_movk_i32 s0, 0xffe
	v_bfe_u32 v16, v1, 20, 11
	v_and_or_b32 v2, v3, s0, v2
	v_sub_u32_e32 v17, 0x3f1, v16
	v_or_b32_e32 v3, 0x1000, v2
	v_med3_i32 v17, v17, 0, 13
	v_lshrrev_b32_e32 v21, v17, v3
	v_lshlrev_b32_e32 v17, v17, v21
	v_cmp_ne_u32_e32 vcc, v17, v3
	v_cndmask_b32_e64 v3, 0, 1, vcc
	v_add_u32_e32 v16, 0xfffffc10, v16
	v_or_b32_e32 v3, v21, v3
	v_lshl_or_b32 v17, v16, 12, v2
	v_cmp_gt_i32_e32 vcc, 1, v16
	v_cndmask_b32_e32 v3, v17, v3, vcc
	v_and_b32_e32 v17, 7, v3
	v_cmp_lt_i32_e32 vcc, 5, v17
	v_cndmask_b32_e64 v21, 0, 1, vcc
	v_cmp_eq_u32_e32 vcc, 3, v17
	v_cndmask_b32_e64 v17, 0, 1, vcc
	v_or_b32_e32 v17, v17, v21
	v_lshrrev_b32_e32 v3, 2, v3
	v_add_u32_e32 v3, v3, v17
	v_mov_b32_e32 v17, 0x7c00
	v_cmp_gt_i32_e32 vcc, 31, v16
	v_cndmask_b32_e32 v3, v17, v3, vcc
	v_mov_b32_e32 v21, 0x7e00
	v_cmp_ne_u32_e32 vcc, 0, v2
	s_movk_i32 s0, 0x40f
	v_cndmask_b32_e32 v2, v17, v21, vcc
	v_cmp_eq_u32_e32 vcc, s0, v16
	v_cndmask_b32_e32 v2, v3, v2, vcc
	v_lshrrev_b32_e32 v3, 16, v1
	s_mov_b32 s0, 0x8000
	v_and_or_b32 v2, v3, s0, v2
	v_and_b32_e32 v2, 0xffff, v2
	global_store_dword v[10:11], v2, off
.LBB48_1796:
	s_mov_b64 s[0:1], 0
.LBB48_1797:
	s_andn2_b64 vcc, exec, s[0:1]
	s_cbranch_vccnz .LBB48_1806
; %bb.1798:
	s_cmp_lt_i32 s2, 6
	s_mov_b64 s[0:1], -1
	s_cbranch_scc1 .LBB48_1804
; %bb.1799:
	s_cmp_gt_i32 s2, 6
	s_cbranch_scc0 .LBB48_1801
; %bb.1800:
	global_store_dwordx2 v[10:11], v[0:1], off
	s_mov_b64 s[0:1], 0
.LBB48_1801:
	s_andn2_b64 vcc, exec, s[0:1]
	s_cbranch_vccnz .LBB48_1803
; %bb.1802:
	v_cvt_f32_f64_e32 v2, v[0:1]
	global_store_dword v[10:11], v2, off
.LBB48_1803:
	s_mov_b64 s[0:1], 0
.LBB48_1804:
	s_andn2_b64 vcc, exec, s[0:1]
	s_cbranch_vccnz .LBB48_1806
; %bb.1805:
	s_movk_i32 s0, 0x1ff
	v_and_or_b32 v2, v1, s0, v0
	v_cmp_ne_u32_e32 vcc, 0, v2
	v_cndmask_b32_e64 v2, 0, 1, vcc
	v_lshrrev_b32_e32 v3, 8, v1
	s_movk_i32 s0, 0xffe
	v_bfe_u32 v16, v1, 20, 11
	v_and_or_b32 v2, v3, s0, v2
	v_sub_u32_e32 v17, 0x3f1, v16
	v_or_b32_e32 v3, 0x1000, v2
	v_med3_i32 v17, v17, 0, 13
	v_lshrrev_b32_e32 v21, v17, v3
	v_lshlrev_b32_e32 v17, v17, v21
	v_cmp_ne_u32_e32 vcc, v17, v3
	v_cndmask_b32_e64 v3, 0, 1, vcc
	v_add_u32_e32 v16, 0xfffffc10, v16
	v_or_b32_e32 v3, v21, v3
	v_lshl_or_b32 v17, v16, 12, v2
	v_cmp_gt_i32_e32 vcc, 1, v16
	v_cndmask_b32_e32 v3, v17, v3, vcc
	v_and_b32_e32 v17, 7, v3
	v_cmp_lt_i32_e32 vcc, 5, v17
	v_cndmask_b32_e64 v21, 0, 1, vcc
	v_cmp_eq_u32_e32 vcc, 3, v17
	v_cndmask_b32_e64 v17, 0, 1, vcc
	v_or_b32_e32 v17, v17, v21
	v_lshrrev_b32_e32 v3, 2, v3
	v_add_u32_e32 v3, v3, v17
	v_mov_b32_e32 v17, 0x7c00
	v_cmp_gt_i32_e32 vcc, 31, v16
	v_cndmask_b32_e32 v3, v17, v3, vcc
	v_mov_b32_e32 v21, 0x7e00
	v_cmp_ne_u32_e32 vcc, 0, v2
	s_movk_i32 s0, 0x40f
	v_cndmask_b32_e32 v2, v17, v21, vcc
	v_cmp_eq_u32_e32 vcc, s0, v16
	v_cndmask_b32_e32 v2, v3, v2, vcc
	v_lshrrev_b32_e32 v3, 16, v1
	s_mov_b32 s0, 0x8000
	v_and_or_b32 v2, v3, s0, v2
	global_store_short v[10:11], v2, off
.LBB48_1806:
	s_mov_b64 s[0:1], 0
.LBB48_1807:
	s_andn2_b64 vcc, exec, s[0:1]
	s_cbranch_vccnz .LBB48_1823
; %bb.1808:
	s_cmp_lt_i32 s2, 2
	s_mov_b64 s[0:1], -1
	s_cbranch_scc1 .LBB48_1818
; %bb.1809:
	s_cmp_lt_i32 s2, 3
	s_cbranch_scc1 .LBB48_1815
; %bb.1810:
	s_cmp_gt_i32 s2, 3
	s_cbranch_scc0 .LBB48_1812
; %bb.1811:
	v_trunc_f64_e32 v[2:3], v[0:1]
	s_movk_i32 s0, 0xffe0
	v_ldexp_f64 v[16:17], v[2:3], s0
	s_mov_b32 s0, 0
	s_mov_b32 s1, 0xc1f00000
	v_floor_f64_e32 v[16:17], v[16:17]
	v_fma_f64 v[2:3], v[16:17], s[0:1], v[2:3]
	v_cvt_i32_f64_e32 v17, v[16:17]
	s_mov_b64 s[0:1], 0
	v_cvt_u32_f64_e32 v16, v[2:3]
	global_store_dwordx2 v[10:11], v[16:17], off
.LBB48_1812:
	s_andn2_b64 vcc, exec, s[0:1]
	s_cbranch_vccnz .LBB48_1814
; %bb.1813:
	v_cvt_i32_f64_e32 v2, v[0:1]
	global_store_dword v[10:11], v2, off
.LBB48_1814:
	s_mov_b64 s[0:1], 0
.LBB48_1815:
	s_andn2_b64 vcc, exec, s[0:1]
	s_cbranch_vccnz .LBB48_1817
; %bb.1816:
	v_cvt_i32_f64_e32 v2, v[0:1]
	global_store_short v[10:11], v2, off
.LBB48_1817:
	s_mov_b64 s[0:1], 0
.LBB48_1818:
	s_andn2_b64 vcc, exec, s[0:1]
	s_cbranch_vccnz .LBB48_1823
; %bb.1819:
	s_cmp_gt_i32 s2, 0
	s_mov_b64 s[0:1], -1
	s_cbranch_scc0 .LBB48_1821
; %bb.1820:
	v_cvt_i32_f64_e32 v2, v[0:1]
	s_mov_b64 s[0:1], 0
	global_store_byte v[10:11], v2, off
.LBB48_1821:
	s_andn2_b64 vcc, exec, s[0:1]
	s_cbranch_vccnz .LBB48_1823
; %bb.1822:
	v_trunc_f64_e32 v[0:1], v[0:1]
	s_movk_i32 s0, 0xffe0
	v_ldexp_f64 v[2:3], v[0:1], s0
	s_mov_b32 s0, 0
	s_mov_b32 s1, 0xc1f00000
	v_floor_f64_e32 v[2:3], v[2:3]
	v_fma_f64 v[0:1], v[2:3], s[0:1], v[0:1]
	v_cvt_u32_f64_e32 v0, v[0:1]
	global_store_byte v[10:11], v0, off
.LBB48_1823:
	s_mov_b64 s[4:5], -1
.LBB48_1824:
	s_andn2_b64 vcc, exec, s[4:5]
	s_cbranch_vccnz .LBB48_2020
; %bb.1825:
	v_mul_f64 v[0:1], v[6:7], v[6:7]
	s_cmp_lt_i32 s22, 11
	v_div_scale_f64 v[2:3], s[0:1], v[0:1], v[0:1], 1.0
	v_rcp_f64_e32 v[10:11], v[2:3]
	v_fma_f64 v[16:17], -v[2:3], v[10:11], 1.0
	v_fma_f64 v[10:11], v[10:11], v[16:17], v[10:11]
	v_fma_f64 v[16:17], -v[2:3], v[10:11], 1.0
	v_fma_f64 v[10:11], v[10:11], v[16:17], v[10:11]
	v_div_scale_f64 v[16:17], vcc, 1.0, v[0:1], 1.0
	v_mul_f64 v[21:22], v[16:17], v[10:11]
	v_fma_f64 v[2:3], -v[2:3], v[21:22], v[16:17]
	s_nop 1
	v_div_fmas_f64 v[2:3], v[2:3], v[10:11], v[21:22]
	v_div_fixup_f64 v[0:1], v[2:3], v[0:1], 1.0
	v_add_f64 v[2:3], v[6:7], 1.0
	v_add_f64 v[0:1], v[18:19], v[0:1]
	v_mul_f64 v[6:7], v[2:3], v[2:3]
	v_add_f64 v[2:3], v[2:3], 1.0
	v_div_scale_f64 v[10:11], s[0:1], v[6:7], v[6:7], 1.0
	v_rcp_f64_e32 v[16:17], v[10:11]
	v_fma_f64 v[18:19], -v[10:11], v[16:17], 1.0
	v_fma_f64 v[16:17], v[16:17], v[18:19], v[16:17]
	v_fma_f64 v[18:19], -v[10:11], v[16:17], 1.0
	v_fma_f64 v[16:17], v[16:17], v[18:19], v[16:17]
	v_div_scale_f64 v[18:19], vcc, 1.0, v[6:7], 1.0
	v_mul_f64 v[21:22], v[18:19], v[16:17]
	v_fma_f64 v[10:11], -v[10:11], v[21:22], v[18:19]
	s_nop 1
	v_div_fmas_f64 v[10:11], v[10:11], v[16:17], v[21:22]
	v_div_fixup_f64 v[6:7], v[10:11], v[6:7], 1.0
	v_add_f64 v[0:1], v[0:1], v[6:7]
	v_mul_f64 v[6:7], v[2:3], v[2:3]
	v_add_f64 v[2:3], v[2:3], 1.0
	v_div_scale_f64 v[10:11], s[0:1], v[6:7], v[6:7], 1.0
	v_rcp_f64_e32 v[16:17], v[10:11]
	v_fma_f64 v[18:19], -v[10:11], v[16:17], 1.0
	v_fma_f64 v[16:17], v[16:17], v[18:19], v[16:17]
	v_fma_f64 v[18:19], -v[10:11], v[16:17], 1.0
	v_fma_f64 v[16:17], v[16:17], v[18:19], v[16:17]
	v_div_scale_f64 v[18:19], vcc, 1.0, v[6:7], 1.0
	v_mul_f64 v[21:22], v[18:19], v[16:17]
	v_fma_f64 v[10:11], -v[10:11], v[21:22], v[18:19]
	s_nop 1
	v_div_fmas_f64 v[10:11], v[10:11], v[16:17], v[21:22]
	v_div_fixup_f64 v[6:7], v[10:11], v[6:7], 1.0
	;; [unrolled: 15-line block ×5, first 2 shown]
	v_add_f64 v[0:1], v[0:1], v[6:7]
	v_mul_f64 v[6:7], v[2:3], v[2:3]
	v_div_scale_f64 v[10:11], s[0:1], v[6:7], v[6:7], 1.0
	v_rcp_f64_e32 v[16:17], v[10:11]
	v_fma_f64 v[18:19], -v[10:11], v[16:17], 1.0
	v_fma_f64 v[16:17], v[16:17], v[18:19], v[16:17]
	v_fma_f64 v[18:19], -v[10:11], v[16:17], 1.0
	v_fma_f64 v[16:17], v[16:17], v[18:19], v[16:17]
	v_div_scale_f64 v[18:19], vcc, 1.0, v[6:7], 1.0
	v_mul_f64 v[21:22], v[18:19], v[16:17]
	v_fma_f64 v[10:11], -v[10:11], v[21:22], v[18:19]
	s_nop 1
	v_div_fmas_f64 v[10:11], v[10:11], v[16:17], v[21:22]
	v_div_fixup_f64 v[6:7], v[10:11], v[6:7], 1.0
	v_add_f64 v[10:11], v[2:3], v[2:3]
	v_div_scale_f64 v[16:17], s[0:1], v[10:11], v[10:11], 1.0
	s_mov_b32 s0, 0x18618618
	s_mov_b32 s1, 0xbf986186
	v_rcp_f64_e32 v[18:19], v[16:17]
	v_fma_f64 v[21:22], -v[16:17], v[18:19], 1.0
	v_fma_f64 v[18:19], v[18:19], v[21:22], v[18:19]
	v_fma_f64 v[21:22], -v[16:17], v[18:19], 1.0
	v_fma_f64 v[18:19], v[18:19], v[21:22], v[18:19]
	v_div_scale_f64 v[21:22], vcc, 1.0, v[10:11], 1.0
	v_mul_f64 v[23:24], v[21:22], v[18:19]
	v_fma_f64 v[16:17], -v[16:17], v[23:24], v[21:22]
	s_nop 1
	v_div_fmas_f64 v[16:17], v[16:17], v[18:19], v[23:24]
	v_div_fixup_f64 v[10:11], v[16:17], v[10:11], 1.0
	v_mov_b32_e32 v16, 0x11111111
	v_mov_b32_e32 v17, 0x3fa11111
	v_fma_f64 v[16:17], v[6:7], s[0:1], v[16:17]
	s_mov_b32 s0, 0x55555555
	s_mov_b32 s1, 0x3fc55555
	v_add_f64 v[10:11], v[10:11], 1.0
	v_fma_f64 v[16:17], -v[6:7], v[16:17], s[0:1]
	v_fma_f64 v[6:7], v[6:7], v[16:17], v[10:11]
	v_div_scale_f64 v[10:11], s[0:1], v[2:3], v[2:3], v[6:7]
	v_rcp_f64_e32 v[16:17], v[10:11]
	v_fma_f64 v[18:19], -v[10:11], v[16:17], 1.0
	v_fma_f64 v[16:17], v[16:17], v[18:19], v[16:17]
	v_fma_f64 v[18:19], -v[10:11], v[16:17], 1.0
	v_fma_f64 v[16:17], v[16:17], v[18:19], v[16:17]
	v_div_scale_f64 v[18:19], vcc, v[6:7], v[2:3], v[6:7]
	v_mul_f64 v[21:22], v[18:19], v[16:17]
	v_fma_f64 v[10:11], -v[10:11], v[21:22], v[18:19]
	v_add_u32_e32 v18, s12, v20
	s_nop 0
	v_div_fmas_f64 v[10:11], v[10:11], v[16:17], v[21:22]
	v_div_fixup_f64 v[2:3], v[10:11], v[2:3], v[6:7]
	v_add_co_u32_e32 v6, vcc, s8, v18
	v_add_f64 v[0:1], v[0:1], v[2:3]
	v_ashrrev_i32_e32 v2, 31, v18
	v_mov_b32_e32 v3, s9
	v_addc_co_u32_e32 v7, vcc, v3, v2, vcc
	v_mul_f64 v[0:1], v[8:9], v[0:1]
	s_cbranch_scc1 .LBB48_1903
; %bb.1826:
	s_and_b32 s13, 0xffff, s22
	s_mov_b64 s[6:7], -1
	s_mov_b64 s[2:3], 0
	s_cmp_gt_i32 s13, 25
	s_mov_b64 s[4:5], 0
	s_mov_b64 s[0:1], 0
	s_cbranch_scc0 .LBB48_1859
; %bb.1827:
	s_cmp_gt_i32 s13, 28
	s_cbranch_scc0 .LBB48_1842
; %bb.1828:
	s_cmp_gt_i32 s13, 43
	;; [unrolled: 3-line block ×3, first 2 shown]
	s_cbranch_scc0 .LBB48_1832
; %bb.1830:
	s_mov_b64 s[0:1], -1
	s_mov_b64 s[6:7], 0
	s_cmp_eq_u32 s13, 46
	s_cbranch_scc0 .LBB48_1832
; %bb.1831:
	v_cvt_f32_f64_e32 v2, v[0:1]
	s_movk_i32 s0, 0x7fff
	v_mov_b32_e32 v3, 0x7fc0
	s_mov_b64 s[4:5], -1
	v_bfe_u32 v8, v2, 16, 1
	v_cmp_o_f32_e32 vcc, v2, v2
	v_add3_u32 v2, v2, v8, s0
	v_cndmask_b32_sdwa v2, v3, v2, vcc dst_sel:DWORD dst_unused:UNUSED_PAD src0_sel:DWORD src1_sel:WORD_1
	global_store_dword v[6:7], v2, off
	s_mov_b64 s[0:1], 0
.LBB48_1832:
	s_and_b64 vcc, exec, s[6:7]
	s_cbranch_vccz .LBB48_1837
; %bb.1833:
	s_cmp_eq_u32 s13, 44
	s_mov_b64 s[0:1], -1
	s_cbranch_scc0 .LBB48_1837
; %bb.1834:
	v_cvt_f32_f64_e32 v2, v[0:1]
	s_movk_i32 s0, 0xff
	v_mov_b32_e32 v8, 0xff
	v_bfe_u32 v3, v2, 23, 8
	v_cmp_ne_u32_e32 vcc, s0, v3
	s_and_saveexec_b64 s[4:5], vcc
; %bb.1835:
	s_mov_b32 s0, 0x3fffff
	v_lshrrev_b32_e32 v8, 23, v2
	v_and_b32_e32 v9, 0x400000, v2
	v_and_or_b32 v2, v2, s0, v3
	v_cmp_ne_u32_e32 vcc, 0, v9
	v_cmp_ne_u32_e64 s[0:1], 0, v2
	s_and_b64 s[0:1], vcc, s[0:1]
	v_cndmask_b32_e64 v2, 0, 1, s[0:1]
	v_add_u32_e32 v8, v8, v2
; %bb.1836:
	s_or_b64 exec, exec, s[4:5]
	s_mov_b64 s[0:1], 0
	s_mov_b64 s[4:5], -1
	global_store_byte v[6:7], v8, off
.LBB48_1837:
	s_mov_b64 s[6:7], 0
.LBB48_1838:
	s_and_b64 vcc, exec, s[6:7]
	s_cbranch_vccz .LBB48_1841
; %bb.1839:
	s_cmp_eq_u32 s13, 29
	s_mov_b64 s[0:1], -1
	s_cbranch_scc0 .LBB48_1841
; %bb.1840:
	v_trunc_f64_e32 v[2:3], v[0:1]
	s_movk_i32 s0, 0xffe0
	s_mov_b64 s[4:5], -1
	v_ldexp_f64 v[8:9], v[2:3], s0
	s_mov_b32 s0, 0
	s_mov_b32 s1, 0xc1f00000
	v_floor_f64_e32 v[8:9], v[8:9]
	v_fma_f64 v[2:3], v[8:9], s[0:1], v[2:3]
	v_cvt_u32_f64_e32 v9, v[8:9]
	s_mov_b64 s[0:1], 0
	v_cvt_u32_f64_e32 v8, v[2:3]
	global_store_dwordx2 v[6:7], v[8:9], off
.LBB48_1841:
	s_mov_b64 s[6:7], 0
.LBB48_1842:
	s_and_b64 vcc, exec, s[6:7]
	s_cbranch_vccz .LBB48_1858
; %bb.1843:
	s_cmp_lt_i32 s13, 27
	s_mov_b64 s[4:5], -1
	s_cbranch_scc1 .LBB48_1849
; %bb.1844:
	v_cvt_u32_f64_e32 v2, v[0:1]
	s_cmp_gt_i32 s13, 27
	s_cbranch_scc0 .LBB48_1846
; %bb.1845:
	s_mov_b64 s[4:5], 0
	global_store_dword v[6:7], v2, off
.LBB48_1846:
	s_andn2_b64 vcc, exec, s[4:5]
	s_cbranch_vccnz .LBB48_1848
; %bb.1847:
	global_store_short v[6:7], v2, off
.LBB48_1848:
	s_mov_b64 s[4:5], 0
.LBB48_1849:
	s_andn2_b64 vcc, exec, s[4:5]
	s_cbranch_vccnz .LBB48_1857
; %bb.1850:
	v_cvt_f32_f64_e32 v2, v[0:1]
	s_mov_b32 s4, 0x43800000
	v_mov_b32_e32 v8, 0x80
	v_and_b32_e32 v3, 0x7fffffff, v2
	v_cmp_gt_u32_e32 vcc, s4, v3
	s_and_saveexec_b64 s[4:5], vcc
	s_cbranch_execz .LBB48_1856
; %bb.1851:
	s_mov_b32 s6, 0x3bffffff
	v_cmp_lt_u32_e32 vcc, s6, v3
	s_mov_b64 s[6:7], 0
                                        ; implicit-def: $vgpr3
	s_and_saveexec_b64 s[10:11], vcc
	s_xor_b64 s[10:11], exec, s[10:11]
	s_cbranch_execz .LBB48_2077
; %bb.1852:
	v_bfe_u32 v3, v2, 20, 1
	s_mov_b32 s20, 0x487ffff
	v_add3_u32 v3, v2, v3, s20
	s_mov_b64 s[6:7], exec
	v_lshrrev_b32_e32 v3, 20, v3
	s_andn2_saveexec_b64 s[10:11], s[10:11]
	s_cbranch_execnz .LBB48_2078
.LBB48_1853:
	s_or_b64 exec, exec, s[10:11]
	v_mov_b32_e32 v8, 0
	s_and_saveexec_b64 s[10:11], s[6:7]
.LBB48_1854:
	v_lshrrev_b32_e32 v2, 24, v2
	s_movk_i32 s6, 0x80
	v_and_or_b32 v8, v2, s6, v3
.LBB48_1855:
	s_or_b64 exec, exec, s[10:11]
.LBB48_1856:
	s_or_b64 exec, exec, s[4:5]
	global_store_byte v[6:7], v8, off
.LBB48_1857:
	s_mov_b64 s[4:5], -1
.LBB48_1858:
	s_mov_b64 s[6:7], 0
.LBB48_1859:
	s_and_b64 vcc, exec, s[6:7]
	s_cbranch_vccz .LBB48_1899
; %bb.1860:
	s_cmp_gt_i32 s13, 22
	s_mov_b64 s[2:3], -1
	s_cbranch_scc0 .LBB48_1892
; %bb.1861:
	s_cmp_lt_i32 s13, 24
	s_cbranch_scc1 .LBB48_1881
; %bb.1862:
	s_cmp_gt_i32 s13, 24
	s_cbranch_scc0 .LBB48_1870
; %bb.1863:
	v_cvt_f32_f64_e32 v2, v[0:1]
	s_mov_b32 s2, 0x47800000
	v_mov_b32_e32 v8, 0x80
	v_and_b32_e32 v3, 0x7fffffff, v2
	v_cmp_gt_u32_e32 vcc, s2, v3
	s_and_saveexec_b64 s[2:3], vcc
	s_cbranch_execz .LBB48_1869
; %bb.1864:
	s_mov_b32 s4, 0x37ffffff
	v_cmp_lt_u32_e32 vcc, s4, v3
	s_mov_b64 s[4:5], 0
                                        ; implicit-def: $vgpr3
	s_and_saveexec_b64 s[6:7], vcc
	s_xor_b64 s[6:7], exec, s[6:7]
	s_cbranch_execz .LBB48_2080
; %bb.1865:
	v_bfe_u32 v3, v2, 21, 1
	s_mov_b32 s10, 0x88fffff
	v_add3_u32 v3, v2, v3, s10
	s_mov_b64 s[4:5], exec
	v_lshrrev_b32_e32 v3, 21, v3
	s_andn2_saveexec_b64 s[6:7], s[6:7]
	s_cbranch_execnz .LBB48_2081
.LBB48_1866:
	s_or_b64 exec, exec, s[6:7]
	v_mov_b32_e32 v8, 0
	s_and_saveexec_b64 s[6:7], s[4:5]
.LBB48_1867:
	v_lshrrev_b32_e32 v2, 24, v2
	s_movk_i32 s4, 0x80
	v_and_or_b32 v8, v2, s4, v3
.LBB48_1868:
	s_or_b64 exec, exec, s[6:7]
.LBB48_1869:
	s_or_b64 exec, exec, s[2:3]
	s_mov_b64 s[2:3], 0
	global_store_byte v[6:7], v8, off
.LBB48_1870:
	s_and_b64 vcc, exec, s[2:3]
	s_cbranch_vccz .LBB48_1880
; %bb.1871:
	v_cvt_f32_f64_e32 v2, v[0:1]
	s_mov_b32 s2, 0x43f00000
                                        ; implicit-def: $vgpr3
	v_and_b32_e32 v8, 0x7fffffff, v2
	v_cmp_gt_u32_e32 vcc, s2, v8
	s_and_saveexec_b64 s[2:3], vcc
	s_xor_b64 s[2:3], exec, s[2:3]
	s_cbranch_execz .LBB48_1877
; %bb.1872:
	s_mov_b32 s4, 0x3c7fffff
	v_cmp_lt_u32_e32 vcc, s4, v8
                                        ; implicit-def: $vgpr3
	s_and_saveexec_b64 s[4:5], vcc
	s_xor_b64 s[4:5], exec, s[4:5]
; %bb.1873:
	v_bfe_u32 v3, v2, 20, 1
	s_mov_b32 s6, 0x407ffff
	v_add3_u32 v3, v2, v3, s6
	v_lshrrev_b32_e32 v8, 20, v3
	v_and_b32_e32 v3, 0xff00000, v3
	s_mov_b32 s6, 0x7f00000
	v_mov_b32_e32 v9, 0x7e
	v_cmp_ne_u32_e32 vcc, s6, v3
	v_cndmask_b32_e32 v3, v9, v8, vcc
; %bb.1874:
	s_andn2_saveexec_b64 s[4:5], s[4:5]
; %bb.1875:
	s_mov_b32 s6, 0x46800000
	v_add_f32_e64 v3, |v2|, s6
; %bb.1876:
	s_or_b64 exec, exec, s[4:5]
                                        ; implicit-def: $vgpr8
.LBB48_1877:
	s_andn2_saveexec_b64 s[2:3], s[2:3]
; %bb.1878:
	s_mov_b32 s4, 0x7f800000
	v_mov_b32_e32 v3, 0x7e
	v_mov_b32_e32 v9, 0x7f
	v_cmp_lt_u32_e32 vcc, s4, v8
	v_cndmask_b32_e32 v3, v3, v9, vcc
; %bb.1879:
	s_or_b64 exec, exec, s[2:3]
	v_lshrrev_b32_e32 v2, 24, v2
	s_movk_i32 s2, 0x80
	v_and_or_b32 v2, v2, s2, v3
	global_store_byte v[6:7], v2, off
.LBB48_1880:
	s_mov_b64 s[2:3], 0
.LBB48_1881:
	s_andn2_b64 vcc, exec, s[2:3]
	s_cbranch_vccnz .LBB48_1891
; %bb.1882:
	v_cvt_f32_f64_e32 v2, v[0:1]
	s_mov_b32 s2, 0x47800000
                                        ; implicit-def: $vgpr3
	v_and_b32_e32 v8, 0x7fffffff, v2
	v_cmp_gt_u32_e32 vcc, s2, v8
	s_and_saveexec_b64 s[2:3], vcc
	s_xor_b64 s[2:3], exec, s[2:3]
	s_cbranch_execz .LBB48_1888
; %bb.1883:
	s_mov_b32 s4, 0x387fffff
	v_cmp_lt_u32_e32 vcc, s4, v8
                                        ; implicit-def: $vgpr3
	s_and_saveexec_b64 s[4:5], vcc
	s_xor_b64 s[4:5], exec, s[4:5]
; %bb.1884:
	v_bfe_u32 v3, v2, 21, 1
	s_mov_b32 s6, 0x80fffff
	v_add3_u32 v3, v2, v3, s6
	v_lshrrev_b32_e32 v3, 21, v3
; %bb.1885:
	s_andn2_saveexec_b64 s[4:5], s[4:5]
; %bb.1886:
	s_mov_b32 s6, 0x43000000
	v_add_f32_e64 v3, |v2|, s6
; %bb.1887:
	s_or_b64 exec, exec, s[4:5]
                                        ; implicit-def: $vgpr8
.LBB48_1888:
	s_andn2_saveexec_b64 s[2:3], s[2:3]
; %bb.1889:
	s_mov_b32 s4, 0x7f800000
	v_mov_b32_e32 v3, 0x7c
	v_mov_b32_e32 v9, 0x7f
	v_cmp_lt_u32_e32 vcc, s4, v8
	v_cndmask_b32_e32 v3, v3, v9, vcc
; %bb.1890:
	s_or_b64 exec, exec, s[2:3]
	v_lshrrev_b32_e32 v2, 24, v2
	s_movk_i32 s2, 0x80
	v_and_or_b32 v2, v2, s2, v3
	global_store_byte v[6:7], v2, off
.LBB48_1891:
	s_mov_b64 s[2:3], 0
	s_mov_b64 s[4:5], -1
.LBB48_1892:
	s_andn2_b64 vcc, exec, s[2:3]
	s_mov_b64 s[2:3], 0
	s_cbranch_vccnz .LBB48_1899
; %bb.1893:
	s_cmp_gt_i32 s13, 14
	s_mov_b64 s[6:7], -1
	s_cbranch_scc0 .LBB48_1897
; %bb.1894:
	s_cmp_eq_u32 s13, 15
	s_mov_b64 s[0:1], -1
	s_cbranch_scc0 .LBB48_1896
; %bb.1895:
	v_cvt_f32_f64_e32 v2, v[0:1]
	s_movk_i32 s0, 0x7fff
	v_mov_b32_e32 v3, 0x7fc0
	s_mov_b64 s[4:5], -1
	v_bfe_u32 v8, v2, 16, 1
	v_cmp_o_f32_e32 vcc, v2, v2
	v_add3_u32 v2, v2, v8, s0
	v_cndmask_b32_sdwa v2, v3, v2, vcc dst_sel:DWORD dst_unused:UNUSED_PAD src0_sel:DWORD src1_sel:WORD_1
	global_store_short v[6:7], v2, off
	s_mov_b64 s[0:1], 0
.LBB48_1896:
	s_mov_b64 s[6:7], 0
.LBB48_1897:
	s_and_b64 vcc, exec, s[6:7]
	s_cbranch_vccz .LBB48_1899
; %bb.1898:
	s_cmp_lg_u32 s13, 11
	s_mov_b64 s[2:3], -1
	s_cselect_b64 s[0:1], -1, 0
.LBB48_1899:
	s_and_b64 vcc, exec, s[0:1]
	s_cbranch_vccnz .LBB48_2079
; %bb.1900:
	s_andn2_b64 vcc, exec, s[2:3]
	s_cbranch_vccnz .LBB48_1902
.LBB48_1901:
	v_cmp_neq_f64_e32 vcc, 0, v[0:1]
	s_mov_b64 s[4:5], -1
	v_cndmask_b32_e64 v2, 0, 1, vcc
	global_store_byte v[6:7], v2, off
.LBB48_1902:
	s_mov_b64 s[0:1], 0
	s_branch .LBB48_1904
.LBB48_1903:
	s_mov_b64 s[0:1], -1
	s_mov_b64 s[4:5], 0
.LBB48_1904:
	s_and_b64 vcc, exec, s[0:1]
	s_cbranch_vccz .LBB48_1943
; %bb.1905:
	s_and_b32 s2, 0xffff, s22
	s_cmp_lt_i32 s2, 5
	s_mov_b64 s[0:1], -1
	s_cbranch_scc1 .LBB48_1926
; %bb.1906:
	s_cmp_lt_i32 s2, 8
	s_cbranch_scc1 .LBB48_1916
; %bb.1907:
	s_cmp_lt_i32 s2, 9
	s_cbranch_scc1 .LBB48_1913
; %bb.1908:
	s_cmp_gt_i32 s2, 9
	s_cbranch_scc0 .LBB48_1910
; %bb.1909:
	v_mov_b32_e32 v2, 0
	v_mov_b32_e32 v3, v2
	global_store_dwordx4 v[6:7], v[0:3], off
	s_mov_b64 s[0:1], 0
.LBB48_1910:
	s_andn2_b64 vcc, exec, s[0:1]
	s_cbranch_vccnz .LBB48_1912
; %bb.1911:
	v_cvt_f32_f64_e32 v2, v[0:1]
	v_mov_b32_e32 v3, 0
	global_store_dwordx2 v[6:7], v[2:3], off
.LBB48_1912:
	s_mov_b64 s[0:1], 0
.LBB48_1913:
	s_andn2_b64 vcc, exec, s[0:1]
	s_cbranch_vccnz .LBB48_1915
; %bb.1914:
	s_movk_i32 s0, 0x1ff
	v_and_or_b32 v2, v1, s0, v0
	v_cmp_ne_u32_e32 vcc, 0, v2
	v_cndmask_b32_e64 v2, 0, 1, vcc
	v_lshrrev_b32_e32 v3, 8, v1
	s_movk_i32 s0, 0xffe
	v_bfe_u32 v8, v1, 20, 11
	v_and_or_b32 v2, v3, s0, v2
	v_sub_u32_e32 v9, 0x3f1, v8
	v_or_b32_e32 v3, 0x1000, v2
	v_med3_i32 v9, v9, 0, 13
	v_lshrrev_b32_e32 v10, v9, v3
	v_lshlrev_b32_e32 v9, v9, v10
	v_cmp_ne_u32_e32 vcc, v9, v3
	v_cndmask_b32_e64 v3, 0, 1, vcc
	v_add_u32_e32 v8, 0xfffffc10, v8
	v_or_b32_e32 v3, v10, v3
	v_lshl_or_b32 v9, v8, 12, v2
	v_cmp_gt_i32_e32 vcc, 1, v8
	v_cndmask_b32_e32 v3, v9, v3, vcc
	v_and_b32_e32 v9, 7, v3
	v_cmp_lt_i32_e32 vcc, 5, v9
	v_cndmask_b32_e64 v10, 0, 1, vcc
	v_cmp_eq_u32_e32 vcc, 3, v9
	v_cndmask_b32_e64 v9, 0, 1, vcc
	v_or_b32_e32 v9, v9, v10
	v_lshrrev_b32_e32 v3, 2, v3
	v_add_u32_e32 v3, v3, v9
	v_mov_b32_e32 v9, 0x7c00
	v_cmp_gt_i32_e32 vcc, 31, v8
	v_cndmask_b32_e32 v3, v9, v3, vcc
	v_mov_b32_e32 v10, 0x7e00
	v_cmp_ne_u32_e32 vcc, 0, v2
	s_movk_i32 s0, 0x40f
	v_cndmask_b32_e32 v2, v9, v10, vcc
	v_cmp_eq_u32_e32 vcc, s0, v8
	v_cndmask_b32_e32 v2, v3, v2, vcc
	v_lshrrev_b32_e32 v3, 16, v1
	s_mov_b32 s0, 0x8000
	v_and_or_b32 v2, v3, s0, v2
	v_and_b32_e32 v2, 0xffff, v2
	global_store_dword v[6:7], v2, off
.LBB48_1915:
	s_mov_b64 s[0:1], 0
.LBB48_1916:
	s_andn2_b64 vcc, exec, s[0:1]
	s_cbranch_vccnz .LBB48_1925
; %bb.1917:
	s_cmp_lt_i32 s2, 6
	s_mov_b64 s[0:1], -1
	s_cbranch_scc1 .LBB48_1923
; %bb.1918:
	s_cmp_gt_i32 s2, 6
	s_cbranch_scc0 .LBB48_1920
; %bb.1919:
	global_store_dwordx2 v[6:7], v[0:1], off
	s_mov_b64 s[0:1], 0
.LBB48_1920:
	s_andn2_b64 vcc, exec, s[0:1]
	s_cbranch_vccnz .LBB48_1922
; %bb.1921:
	v_cvt_f32_f64_e32 v2, v[0:1]
	global_store_dword v[6:7], v2, off
.LBB48_1922:
	s_mov_b64 s[0:1], 0
.LBB48_1923:
	s_andn2_b64 vcc, exec, s[0:1]
	s_cbranch_vccnz .LBB48_1925
; %bb.1924:
	s_movk_i32 s0, 0x1ff
	v_and_or_b32 v2, v1, s0, v0
	v_cmp_ne_u32_e32 vcc, 0, v2
	v_cndmask_b32_e64 v2, 0, 1, vcc
	v_lshrrev_b32_e32 v3, 8, v1
	s_movk_i32 s0, 0xffe
	v_bfe_u32 v8, v1, 20, 11
	v_and_or_b32 v2, v3, s0, v2
	v_sub_u32_e32 v9, 0x3f1, v8
	v_or_b32_e32 v3, 0x1000, v2
	v_med3_i32 v9, v9, 0, 13
	v_lshrrev_b32_e32 v10, v9, v3
	v_lshlrev_b32_e32 v9, v9, v10
	v_cmp_ne_u32_e32 vcc, v9, v3
	v_cndmask_b32_e64 v3, 0, 1, vcc
	v_add_u32_e32 v8, 0xfffffc10, v8
	v_or_b32_e32 v3, v10, v3
	v_lshl_or_b32 v9, v8, 12, v2
	v_cmp_gt_i32_e32 vcc, 1, v8
	v_cndmask_b32_e32 v3, v9, v3, vcc
	v_and_b32_e32 v9, 7, v3
	v_cmp_lt_i32_e32 vcc, 5, v9
	v_cndmask_b32_e64 v10, 0, 1, vcc
	v_cmp_eq_u32_e32 vcc, 3, v9
	v_cndmask_b32_e64 v9, 0, 1, vcc
	v_or_b32_e32 v9, v9, v10
	v_lshrrev_b32_e32 v3, 2, v3
	v_add_u32_e32 v3, v3, v9
	v_mov_b32_e32 v9, 0x7c00
	v_cmp_gt_i32_e32 vcc, 31, v8
	v_cndmask_b32_e32 v3, v9, v3, vcc
	v_mov_b32_e32 v10, 0x7e00
	v_cmp_ne_u32_e32 vcc, 0, v2
	s_movk_i32 s0, 0x40f
	v_cndmask_b32_e32 v2, v9, v10, vcc
	v_cmp_eq_u32_e32 vcc, s0, v8
	v_cndmask_b32_e32 v2, v3, v2, vcc
	v_lshrrev_b32_e32 v3, 16, v1
	s_mov_b32 s0, 0x8000
	v_and_or_b32 v2, v3, s0, v2
	global_store_short v[6:7], v2, off
.LBB48_1925:
	s_mov_b64 s[0:1], 0
.LBB48_1926:
	s_andn2_b64 vcc, exec, s[0:1]
	s_cbranch_vccnz .LBB48_1942
; %bb.1927:
	s_cmp_lt_i32 s2, 2
	s_mov_b64 s[0:1], -1
	s_cbranch_scc1 .LBB48_1937
; %bb.1928:
	s_cmp_lt_i32 s2, 3
	s_cbranch_scc1 .LBB48_1934
; %bb.1929:
	s_cmp_gt_i32 s2, 3
	s_cbranch_scc0 .LBB48_1931
; %bb.1930:
	v_trunc_f64_e32 v[2:3], v[0:1]
	s_movk_i32 s0, 0xffe0
	v_ldexp_f64 v[8:9], v[2:3], s0
	s_mov_b32 s0, 0
	s_mov_b32 s1, 0xc1f00000
	v_floor_f64_e32 v[8:9], v[8:9]
	v_fma_f64 v[2:3], v[8:9], s[0:1], v[2:3]
	v_cvt_i32_f64_e32 v9, v[8:9]
	s_mov_b64 s[0:1], 0
	v_cvt_u32_f64_e32 v8, v[2:3]
	global_store_dwordx2 v[6:7], v[8:9], off
.LBB48_1931:
	s_andn2_b64 vcc, exec, s[0:1]
	s_cbranch_vccnz .LBB48_1933
; %bb.1932:
	v_cvt_i32_f64_e32 v2, v[0:1]
	global_store_dword v[6:7], v2, off
.LBB48_1933:
	s_mov_b64 s[0:1], 0
.LBB48_1934:
	s_andn2_b64 vcc, exec, s[0:1]
	s_cbranch_vccnz .LBB48_1936
; %bb.1935:
	v_cvt_i32_f64_e32 v2, v[0:1]
	global_store_short v[6:7], v2, off
.LBB48_1936:
	s_mov_b64 s[0:1], 0
.LBB48_1937:
	s_andn2_b64 vcc, exec, s[0:1]
	s_cbranch_vccnz .LBB48_1942
; %bb.1938:
	s_cmp_gt_i32 s2, 0
	s_mov_b64 s[0:1], -1
	s_cbranch_scc0 .LBB48_1940
; %bb.1939:
	v_cvt_i32_f64_e32 v2, v[0:1]
	s_mov_b64 s[0:1], 0
	global_store_byte v[6:7], v2, off
.LBB48_1940:
	s_andn2_b64 vcc, exec, s[0:1]
	s_cbranch_vccnz .LBB48_1942
; %bb.1941:
	v_trunc_f64_e32 v[0:1], v[0:1]
	s_movk_i32 s0, 0xffe0
	v_ldexp_f64 v[2:3], v[0:1], s0
	s_mov_b32 s0, 0
	s_mov_b32 s1, 0xc1f00000
	v_floor_f64_e32 v[2:3], v[2:3]
	v_fma_f64 v[0:1], v[2:3], s[0:1], v[0:1]
	v_cvt_u32_f64_e32 v0, v[0:1]
	global_store_byte v[6:7], v0, off
.LBB48_1942:
	s_mov_b64 s[4:5], -1
.LBB48_1943:
	s_andn2_b64 vcc, exec, s[4:5]
	s_cbranch_vccnz .LBB48_2020
; %bb.1944:
	v_add_f64 v[6:7], v[4:5], 1.0
	v_mul_f64 v[2:3], v[4:5], v[4:5]
	s_cmp_lt_i32 s22, 11
	v_mul_f64 v[0:1], v[6:7], v[6:7]
	v_div_scale_f64 v[19:20], s[0:1], v[2:3], v[2:3], 1.0
	v_add_f64 v[6:7], v[6:7], 1.0
	v_div_scale_f64 v[35:36], vcc, 1.0, v[2:3], 1.0
	v_div_scale_f64 v[21:22], s[0:1], v[0:1], v[0:1], 1.0
	v_mul_f64 v[4:5], v[6:7], v[6:7]
	v_add_f64 v[8:9], v[6:7], 1.0
	v_rcp_f64_e32 v[10:11], v[19:20]
	v_div_scale_f64 v[23:24], s[0:1], v[4:5], v[4:5], 1.0
	v_mul_f64 v[6:7], v[8:9], v[8:9]
	v_add_f64 v[8:9], v[8:9], 1.0
	v_rcp_f64_e32 v[16:17], v[21:22]
	v_div_scale_f64 v[25:26], s[0:1], v[6:7], v[6:7], 1.0
	v_add_f64 v[31:32], v[8:9], 1.0
	v_mul_f64 v[8:9], v[8:9], v[8:9]
	v_fma_f64 v[27:28], -v[19:20], v[10:11], 1.0
	v_div_scale_f64 v[39:40], s[0:1], 1.0, v[0:1], 1.0
	v_rcp_f64_e32 v[29:30], v[23:24]
	v_div_scale_f64 v[43:44], s[2:3], v[8:9], v[8:9], 1.0
	v_fma_f64 v[33:34], -v[21:22], v[16:17], 1.0
	v_fma_f64 v[27:28], v[10:11], v[27:28], v[10:11]
	v_add_f64 v[10:11], v[31:32], 1.0
	v_rcp_f64_e32 v[37:38], v[25:26]
	v_fma_f64 v[33:34], v[16:17], v[33:34], v[16:17]
	v_mul_f64 v[16:17], v[31:32], v[31:32]
	v_fma_f64 v[31:32], -v[19:20], v[27:28], 1.0
	v_fma_f64 v[41:42], -v[23:24], v[29:30], 1.0
	v_mul_f64 v[47:48], v[10:11], v[10:11]
	v_add_f64 v[51:52], v[10:11], v[10:11]
	v_fma_f64 v[45:46], -v[21:22], v[33:34], 1.0
	v_div_scale_f64 v[49:50], s[2:3], v[16:17], v[16:17], 1.0
	v_fma_f64 v[27:28], v[27:28], v[31:32], v[27:28]
	v_fma_f64 v[29:30], v[29:30], v[41:42], v[29:30]
	v_fma_f64 v[31:32], -v[25:26], v[37:38], 1.0
	v_div_scale_f64 v[41:42], s[2:3], v[47:48], v[47:48], 1.0
	v_fma_f64 v[33:34], v[33:34], v[45:46], v[33:34]
	v_div_scale_f64 v[45:46], s[2:3], 1.0, v[4:5], 1.0
	v_mul_f64 v[53:54], v[35:36], v[27:28]
	v_fma_f64 v[55:56], -v[23:24], v[29:30], 1.0
	v_fma_f64 v[31:32], v[37:38], v[31:32], v[37:38]
	v_div_scale_f64 v[57:58], s[4:5], v[51:52], v[51:52], 1.0
	v_mul_f64 v[37:38], v[39:40], v[33:34]
	v_fma_f64 v[19:20], -v[19:20], v[53:54], v[35:36]
	v_rcp_f64_e32 v[35:36], v[43:44]
	v_fma_f64 v[29:30], v[29:30], v[55:56], v[29:30]
	v_rcp_f64_e32 v[55:56], v[49:50]
	v_fma_f64 v[21:22], -v[21:22], v[37:38], v[39:40]
	v_rcp_f64_e32 v[39:40], v[41:42]
	v_div_fmas_f64 v[19:20], v[19:20], v[27:28], v[53:54]
	s_mov_b64 vcc, s[0:1]
	v_fma_f64 v[27:28], -v[25:26], v[31:32], 1.0
	v_mul_f64 v[53:54], v[45:46], v[29:30]
	v_div_fmas_f64 v[21:22], v[21:22], v[33:34], v[37:38]
	v_rcp_f64_e32 v[33:34], v[57:58]
	v_div_scale_f64 v[37:38], s[0:1], 1.0, v[6:7], 1.0
	s_mov_b64 vcc, s[2:3]
	v_fma_f64 v[27:28], v[31:32], v[27:28], v[31:32]
	v_fma_f64 v[31:32], -v[43:44], v[35:36], 1.0
	v_fma_f64 v[23:24], -v[23:24], v[53:54], v[45:46]
	v_fma_f64 v[45:46], -v[49:50], v[55:56], 1.0
	v_div_fixup_f64 v[2:3], v[19:20], v[2:3], 1.0
	v_fma_f64 v[31:32], v[35:36], v[31:32], v[35:36]
	v_fma_f64 v[35:36], -v[41:42], v[39:40], 1.0
	v_fma_f64 v[45:46], v[55:56], v[45:46], v[55:56]
	v_fma_f64 v[55:56], -v[57:58], v[33:34], 1.0
	v_div_fmas_f64 v[23:24], v[23:24], v[29:30], v[53:54]
	v_mul_f64 v[29:30], v[37:38], v[27:28]
	s_mov_b64 vcc, s[0:1]
	v_add_f64 v[2:3], v[14:15], v[2:3]
	v_fma_f64 v[53:54], -v[43:44], v[31:32], 1.0
	v_fma_f64 v[35:36], v[39:40], v[35:36], v[39:40]
	v_fma_f64 v[39:40], -v[49:50], v[45:46], 1.0
	v_fma_f64 v[33:34], v[33:34], v[55:56], v[33:34]
	v_div_scale_f64 v[55:56], s[2:3], 1.0, v[8:9], 1.0
	v_fma_f64 v[25:26], -v[25:26], v[29:30], v[37:38]
	v_div_scale_f64 v[37:38], s[4:5], 1.0, v[16:17], 1.0
	v_fma_f64 v[31:32], v[31:32], v[53:54], v[31:32]
	v_fma_f64 v[39:40], v[45:46], v[39:40], v[45:46]
	v_fma_f64 v[45:46], -v[41:42], v[35:36], 1.0
	v_div_scale_f64 v[53:54], s[6:7], 1.0, v[47:48], 1.0
	v_div_fmas_f64 v[25:26], v[25:26], v[27:28], v[29:30]
	v_fma_f64 v[27:28], -v[57:58], v[33:34], 1.0
	v_div_scale_f64 v[29:30], s[0:1], 1.0, v[51:52], 1.0
	s_mov_b64 vcc, s[2:3]
	v_fma_f64 v[35:36], v[35:36], v[45:46], v[35:36]
	v_mul_f64 v[45:46], v[55:56], v[31:32]
	v_div_fixup_f64 v[0:1], v[21:22], v[0:1], 1.0
	v_fma_f64 v[27:28], v[33:34], v[27:28], v[33:34]
	v_mul_f64 v[33:34], v[37:38], v[39:40]
	v_fma_f64 v[43:44], -v[43:44], v[45:46], v[55:56]
	v_mul_f64 v[55:56], v[53:54], v[35:36]
	v_add_f64 v[0:1], v[2:3], v[0:1]
	v_div_fixup_f64 v[2:3], v[23:24], v[4:5], 1.0
	v_fma_f64 v[37:38], -v[49:50], v[33:34], v[37:38]
	v_mul_f64 v[49:50], v[29:30], v[27:28]
	v_div_fmas_f64 v[31:32], v[43:44], v[31:32], v[45:46]
	v_fma_f64 v[41:42], -v[41:42], v[55:56], v[53:54]
	s_mov_b64 vcc, s[4:5]
	v_add_f64 v[0:1], v[0:1], v[2:3]
	v_div_fmas_f64 v[33:34], v[37:38], v[39:40], v[33:34]
	s_mov_b64 vcc, s[6:7]
	v_fma_f64 v[29:30], -v[57:58], v[49:50], v[29:30]
	v_div_fixup_f64 v[2:3], v[25:26], v[6:7], 1.0
	v_div_fmas_f64 v[35:36], v[41:42], v[35:36], v[55:56]
	s_mov_b64 vcc, s[0:1]
	s_mov_b32 s0, 0x18618618
	s_mov_b32 s1, 0xbf986186
	v_div_fmas_f64 v[27:28], v[29:30], v[27:28], v[49:50]
	v_add_f64 v[0:1], v[0:1], v[2:3]
	v_div_fixup_f64 v[2:3], v[31:32], v[8:9], 1.0
	v_add_f64 v[0:1], v[0:1], v[2:3]
	v_div_fixup_f64 v[29:30], v[35:36], v[47:48], 1.0
	v_mov_b32_e32 v35, 0x11111111
	v_mov_b32_e32 v36, 0x3fa11111
	v_div_fixup_f64 v[2:3], v[33:34], v[16:17], 1.0
	v_div_fixup_f64 v[27:28], v[27:28], v[51:52], 1.0
	v_fma_f64 v[35:36], v[29:30], s[0:1], v[35:36]
	s_mov_b32 s0, 0x55555555
	s_mov_b32 s1, 0x3fc55555
	v_add_f64 v[0:1], v[0:1], v[2:3]
	v_add_f64 v[27:28], v[27:28], 1.0
	v_fma_f64 v[35:36], -v[29:30], v[35:36], s[0:1]
	v_fma_f64 v[27:28], v[29:30], v[35:36], v[27:28]
	v_div_scale_f64 v[29:30], s[0:1], v[10:11], v[10:11], v[27:28]
	v_div_scale_f64 v[19:20], vcc, v[27:28], v[10:11], v[27:28]
	v_rcp_f64_e32 v[35:36], v[29:30]
	v_fma_f64 v[37:38], -v[29:30], v[35:36], 1.0
	v_fma_f64 v[35:36], v[35:36], v[37:38], v[35:36]
	v_fma_f64 v[37:38], -v[29:30], v[35:36], 1.0
	v_fma_f64 v[14:15], v[35:36], v[37:38], v[35:36]
	v_mul_f64 v[4:5], v[19:20], v[14:15]
	v_fma_f64 v[6:7], -v[29:30], v[4:5], v[19:20]
	v_div_fmas_f64 v[4:5], v[6:7], v[14:15], v[4:5]
	v_div_fixup_f64 v[2:3], v[4:5], v[10:11], v[27:28]
	v_mov_b32_e32 v5, s9
	v_add_f64 v[0:1], v[0:1], v[2:3]
	v_add_u32_e32 v2, s12, v18
	v_ashrrev_i32_e32 v3, 31, v2
	v_add_co_u32_e32 v4, vcc, s8, v2
	v_addc_co_u32_e32 v5, vcc, v5, v3, vcc
	v_mul_f64 v[0:1], v[12:13], v[0:1]
	s_cbranch_scc1 .LBB48_2065
; %bb.1945:
	s_and_b32 s10, 0xffff, s22
	s_mov_b64 s[4:5], -1
	s_mov_b64 s[2:3], 0
	s_cmp_gt_i32 s10, 25
	s_mov_b64 s[0:1], 0
	s_cbranch_scc0 .LBB48_1978
; %bb.1946:
	s_cmp_gt_i32 s10, 28
	s_cbranch_scc0 .LBB48_1962
; %bb.1947:
	s_cmp_gt_i32 s10, 43
	;; [unrolled: 3-line block ×3, first 2 shown]
	s_cbranch_scc0 .LBB48_1952
; %bb.1949:
	s_cmp_eq_u32 s10, 46
	s_mov_b64 s[0:1], -1
	s_cbranch_scc0 .LBB48_1951
; %bb.1950:
	v_cvt_f32_f64_e32 v2, v[0:1]
	s_movk_i32 s0, 0x7fff
	v_mov_b32_e32 v3, 0x7fc0
	v_bfe_u32 v6, v2, 16, 1
	v_cmp_o_f32_e32 vcc, v2, v2
	v_add3_u32 v2, v2, v6, s0
	v_cndmask_b32_sdwa v2, v3, v2, vcc dst_sel:DWORD dst_unused:UNUSED_PAD src0_sel:DWORD src1_sel:WORD_1
	global_store_dword v[4:5], v2, off
	s_mov_b64 s[0:1], 0
.LBB48_1951:
	s_mov_b64 s[4:5], 0
.LBB48_1952:
	s_and_b64 vcc, exec, s[4:5]
	s_cbranch_vccz .LBB48_1957
; %bb.1953:
	s_cmp_eq_u32 s10, 44
	s_mov_b64 s[0:1], -1
	s_cbranch_scc0 .LBB48_1957
; %bb.1954:
	v_cvt_f32_f64_e32 v2, v[0:1]
	s_movk_i32 s0, 0xff
	v_mov_b32_e32 v6, 0xff
	v_bfe_u32 v3, v2, 23, 8
	v_cmp_ne_u32_e32 vcc, s0, v3
	s_and_saveexec_b64 s[4:5], vcc
; %bb.1955:
	s_mov_b32 s0, 0x3fffff
	v_lshrrev_b32_e32 v6, 23, v2
	v_and_b32_e32 v7, 0x400000, v2
	v_and_or_b32 v2, v2, s0, v3
	v_cmp_ne_u32_e32 vcc, 0, v7
	v_cmp_ne_u32_e64 s[0:1], 0, v2
	s_and_b64 s[0:1], vcc, s[0:1]
	v_cndmask_b32_e64 v2, 0, 1, s[0:1]
	v_add_u32_e32 v6, v6, v2
; %bb.1956:
	s_or_b64 exec, exec, s[4:5]
	s_mov_b64 s[0:1], 0
	global_store_byte v[4:5], v6, off
.LBB48_1957:
	s_mov_b64 s[4:5], 0
.LBB48_1958:
	s_and_b64 vcc, exec, s[4:5]
	s_cbranch_vccz .LBB48_1961
; %bb.1959:
	s_cmp_eq_u32 s10, 29
	s_mov_b64 s[0:1], -1
	s_cbranch_scc0 .LBB48_1961
; %bb.1960:
	v_trunc_f64_e32 v[2:3], v[0:1]
	s_movk_i32 s0, 0xffe0
	v_ldexp_f64 v[6:7], v[2:3], s0
	s_mov_b32 s0, 0
	s_mov_b32 s1, 0xc1f00000
	v_floor_f64_e32 v[6:7], v[6:7]
	v_fma_f64 v[2:3], v[6:7], s[0:1], v[2:3]
	v_cvt_u32_f64_e32 v7, v[6:7]
	s_mov_b64 s[0:1], 0
	v_cvt_u32_f64_e32 v6, v[2:3]
	global_store_dwordx2 v[4:5], v[6:7], off
.LBB48_1961:
	s_mov_b64 s[4:5], 0
.LBB48_1962:
	s_and_b64 vcc, exec, s[4:5]
	s_cbranch_vccz .LBB48_1977
; %bb.1963:
	s_cmp_lt_i32 s10, 27
	s_mov_b64 s[4:5], -1
	s_cbranch_scc1 .LBB48_1969
; %bb.1964:
	v_cvt_u32_f64_e32 v2, v[0:1]
	s_cmp_gt_i32 s10, 27
	s_cbranch_scc0 .LBB48_1966
; %bb.1965:
	global_store_dword v[4:5], v2, off
	s_mov_b64 s[4:5], 0
.LBB48_1966:
	s_andn2_b64 vcc, exec, s[4:5]
	s_cbranch_vccnz .LBB48_1968
; %bb.1967:
	global_store_short v[4:5], v2, off
.LBB48_1968:
	s_mov_b64 s[4:5], 0
.LBB48_1969:
	s_andn2_b64 vcc, exec, s[4:5]
	s_cbranch_vccnz .LBB48_1977
; %bb.1970:
	v_cvt_f32_f64_e32 v2, v[0:1]
	s_mov_b32 s4, 0x43800000
	v_mov_b32_e32 v6, 0x80
	v_and_b32_e32 v3, 0x7fffffff, v2
	v_cmp_gt_u32_e32 vcc, s4, v3
	s_and_saveexec_b64 s[4:5], vcc
	s_cbranch_execz .LBB48_1976
; %bb.1971:
	s_mov_b32 s6, 0x3bffffff
	v_cmp_lt_u32_e32 vcc, s6, v3
	s_mov_b64 s[6:7], 0
                                        ; implicit-def: $vgpr3
	s_and_saveexec_b64 s[8:9], vcc
	s_xor_b64 s[8:9], exec, s[8:9]
	s_cbranch_execz .LBB48_2082
; %bb.1972:
	v_bfe_u32 v3, v2, 20, 1
	s_mov_b32 s11, 0x487ffff
	v_add3_u32 v3, v2, v3, s11
	s_mov_b64 s[6:7], exec
	v_lshrrev_b32_e32 v3, 20, v3
	s_andn2_saveexec_b64 s[8:9], s[8:9]
	s_cbranch_execnz .LBB48_2083
.LBB48_1973:
	s_or_b64 exec, exec, s[8:9]
	v_mov_b32_e32 v6, 0
	s_and_saveexec_b64 s[8:9], s[6:7]
.LBB48_1974:
	v_lshrrev_b32_e32 v2, 24, v2
	s_movk_i32 s6, 0x80
	v_and_or_b32 v6, v2, s6, v3
.LBB48_1975:
	s_or_b64 exec, exec, s[8:9]
.LBB48_1976:
	s_or_b64 exec, exec, s[4:5]
	global_store_byte v[4:5], v6, off
.LBB48_1977:
	s_mov_b64 s[4:5], 0
.LBB48_1978:
	s_and_b64 vcc, exec, s[4:5]
	s_cbranch_vccz .LBB48_2018
; %bb.1979:
	s_cmp_gt_i32 s10, 22
	s_mov_b64 s[2:3], -1
	s_cbranch_scc0 .LBB48_2011
; %bb.1980:
	s_cmp_lt_i32 s10, 24
	s_cbranch_scc1 .LBB48_2000
; %bb.1981:
	s_cmp_gt_i32 s10, 24
	s_cbranch_scc0 .LBB48_1989
; %bb.1982:
	v_cvt_f32_f64_e32 v2, v[0:1]
	s_mov_b32 s2, 0x47800000
	v_mov_b32_e32 v6, 0x80
	v_and_b32_e32 v3, 0x7fffffff, v2
	v_cmp_gt_u32_e32 vcc, s2, v3
	s_and_saveexec_b64 s[2:3], vcc
	s_cbranch_execz .LBB48_1988
; %bb.1983:
	s_mov_b32 s4, 0x37ffffff
	v_cmp_lt_u32_e32 vcc, s4, v3
	s_mov_b64 s[4:5], 0
                                        ; implicit-def: $vgpr3
	s_and_saveexec_b64 s[6:7], vcc
	s_xor_b64 s[6:7], exec, s[6:7]
	s_cbranch_execz .LBB48_2085
; %bb.1984:
	v_bfe_u32 v3, v2, 21, 1
	s_mov_b32 s8, 0x88fffff
	v_add3_u32 v3, v2, v3, s8
	s_mov_b64 s[4:5], exec
	v_lshrrev_b32_e32 v3, 21, v3
	s_andn2_saveexec_b64 s[6:7], s[6:7]
	s_cbranch_execnz .LBB48_2086
.LBB48_1985:
	s_or_b64 exec, exec, s[6:7]
	v_mov_b32_e32 v6, 0
	s_and_saveexec_b64 s[6:7], s[4:5]
.LBB48_1986:
	v_lshrrev_b32_e32 v2, 24, v2
	s_movk_i32 s4, 0x80
	v_and_or_b32 v6, v2, s4, v3
.LBB48_1987:
	s_or_b64 exec, exec, s[6:7]
.LBB48_1988:
	s_or_b64 exec, exec, s[2:3]
	s_mov_b64 s[2:3], 0
	global_store_byte v[4:5], v6, off
.LBB48_1989:
	s_and_b64 vcc, exec, s[2:3]
	s_cbranch_vccz .LBB48_1999
; %bb.1990:
	v_cvt_f32_f64_e32 v2, v[0:1]
	s_mov_b32 s2, 0x43f00000
                                        ; implicit-def: $vgpr3
	v_and_b32_e32 v6, 0x7fffffff, v2
	v_cmp_gt_u32_e32 vcc, s2, v6
	s_and_saveexec_b64 s[2:3], vcc
	s_xor_b64 s[2:3], exec, s[2:3]
	s_cbranch_execz .LBB48_1996
; %bb.1991:
	s_mov_b32 s4, 0x3c7fffff
	v_cmp_lt_u32_e32 vcc, s4, v6
                                        ; implicit-def: $vgpr3
	s_and_saveexec_b64 s[4:5], vcc
	s_xor_b64 s[4:5], exec, s[4:5]
; %bb.1992:
	v_bfe_u32 v3, v2, 20, 1
	s_mov_b32 s6, 0x407ffff
	v_add3_u32 v3, v2, v3, s6
	v_lshrrev_b32_e32 v6, 20, v3
	v_and_b32_e32 v3, 0xff00000, v3
	s_mov_b32 s6, 0x7f00000
	v_mov_b32_e32 v7, 0x7e
	v_cmp_ne_u32_e32 vcc, s6, v3
	v_cndmask_b32_e32 v3, v7, v6, vcc
; %bb.1993:
	s_andn2_saveexec_b64 s[4:5], s[4:5]
; %bb.1994:
	s_mov_b32 s6, 0x46800000
	v_add_f32_e64 v3, |v2|, s6
; %bb.1995:
	s_or_b64 exec, exec, s[4:5]
                                        ; implicit-def: $vgpr6
.LBB48_1996:
	s_andn2_saveexec_b64 s[2:3], s[2:3]
; %bb.1997:
	s_mov_b32 s4, 0x7f800000
	v_mov_b32_e32 v3, 0x7e
	v_mov_b32_e32 v7, 0x7f
	v_cmp_lt_u32_e32 vcc, s4, v6
	v_cndmask_b32_e32 v3, v3, v7, vcc
; %bb.1998:
	s_or_b64 exec, exec, s[2:3]
	v_lshrrev_b32_e32 v2, 24, v2
	s_movk_i32 s2, 0x80
	v_and_or_b32 v2, v2, s2, v3
	global_store_byte v[4:5], v2, off
.LBB48_1999:
	s_mov_b64 s[2:3], 0
.LBB48_2000:
	s_andn2_b64 vcc, exec, s[2:3]
	s_cbranch_vccnz .LBB48_2010
; %bb.2001:
	v_cvt_f32_f64_e32 v2, v[0:1]
	s_mov_b32 s2, 0x47800000
                                        ; implicit-def: $vgpr3
	v_and_b32_e32 v6, 0x7fffffff, v2
	v_cmp_gt_u32_e32 vcc, s2, v6
	s_and_saveexec_b64 s[2:3], vcc
	s_xor_b64 s[2:3], exec, s[2:3]
	s_cbranch_execz .LBB48_2007
; %bb.2002:
	s_mov_b32 s4, 0x387fffff
	v_cmp_lt_u32_e32 vcc, s4, v6
                                        ; implicit-def: $vgpr3
	s_and_saveexec_b64 s[4:5], vcc
	s_xor_b64 s[4:5], exec, s[4:5]
; %bb.2003:
	v_bfe_u32 v3, v2, 21, 1
	s_mov_b32 s6, 0x80fffff
	v_add3_u32 v3, v2, v3, s6
	v_lshrrev_b32_e32 v3, 21, v3
; %bb.2004:
	s_andn2_saveexec_b64 s[4:5], s[4:5]
; %bb.2005:
	s_mov_b32 s6, 0x43000000
	v_add_f32_e64 v3, |v2|, s6
; %bb.2006:
	s_or_b64 exec, exec, s[4:5]
                                        ; implicit-def: $vgpr6
.LBB48_2007:
	s_andn2_saveexec_b64 s[2:3], s[2:3]
; %bb.2008:
	s_mov_b32 s4, 0x7f800000
	v_mov_b32_e32 v3, 0x7c
	v_mov_b32_e32 v7, 0x7f
	v_cmp_lt_u32_e32 vcc, s4, v6
	v_cndmask_b32_e32 v3, v3, v7, vcc
; %bb.2009:
	s_or_b64 exec, exec, s[2:3]
	v_lshrrev_b32_e32 v2, 24, v2
	s_movk_i32 s2, 0x80
	v_and_or_b32 v2, v2, s2, v3
	global_store_byte v[4:5], v2, off
.LBB48_2010:
	s_mov_b64 s[2:3], 0
.LBB48_2011:
	s_andn2_b64 vcc, exec, s[2:3]
	s_mov_b64 s[2:3], 0
	s_cbranch_vccnz .LBB48_2018
; %bb.2012:
	s_cmp_gt_i32 s10, 14
	s_mov_b64 s[4:5], -1
	s_cbranch_scc0 .LBB48_2016
; %bb.2013:
	s_cmp_eq_u32 s10, 15
	s_mov_b64 s[0:1], -1
	s_cbranch_scc0 .LBB48_2015
; %bb.2014:
	v_cvt_f32_f64_e32 v2, v[0:1]
	s_movk_i32 s0, 0x7fff
	v_mov_b32_e32 v3, 0x7fc0
	v_bfe_u32 v6, v2, 16, 1
	v_cmp_o_f32_e32 vcc, v2, v2
	v_add3_u32 v2, v2, v6, s0
	v_cndmask_b32_sdwa v2, v3, v2, vcc dst_sel:DWORD dst_unused:UNUSED_PAD src0_sel:DWORD src1_sel:WORD_1
	global_store_short v[4:5], v2, off
	s_mov_b64 s[0:1], 0
.LBB48_2015:
	s_mov_b64 s[4:5], 0
.LBB48_2016:
	s_and_b64 vcc, exec, s[4:5]
	s_cbranch_vccz .LBB48_2018
; %bb.2017:
	s_cmp_lg_u32 s10, 11
	s_mov_b64 s[2:3], -1
	s_cselect_b64 s[0:1], -1, 0
.LBB48_2018:
	s_and_b64 vcc, exec, s[0:1]
	s_cbranch_vccnz .LBB48_2084
.LBB48_2019:
	s_mov_b64 s[0:1], 0
	s_branch .LBB48_2021
.LBB48_2020:
	s_mov_b64 s[0:1], 0
	s_mov_b64 s[2:3], 0
                                        ; implicit-def: $sgpr22
                                        ; implicit-def: $vgpr4_vgpr5
                                        ; implicit-def: $vgpr0_vgpr1
.LBB48_2021:
	s_and_b64 s[20:21], s[2:3], exec
	s_andn2_b64 s[2:3], s[14:15], exec
	s_and_b64 s[4:5], s[18:19], exec
	s_and_b64 s[0:1], s[0:1], exec
	s_or_b64 s[14:15], s[2:3], s[4:5]
.LBB48_2022:
	s_or_b64 exec, exec, s[16:17]
	s_and_saveexec_b64 s[2:3], s[14:15]
	s_cbranch_execz .LBB48_2025
; %bb.2023:
	; divergent unreachable
	s_or_b64 exec, exec, s[2:3]
	s_and_saveexec_b64 s[2:3], s[20:21]
	s_xor_b64 s[2:3], exec, s[2:3]
	s_cbranch_execnz .LBB48_2026
.LBB48_2024:
	s_or_b64 exec, exec, s[2:3]
	s_and_saveexec_b64 s[2:3], s[0:1]
	s_cbranch_execnz .LBB48_2027
	s_branch .LBB48_2064
.LBB48_2025:
	s_or_b64 exec, exec, s[2:3]
	s_and_saveexec_b64 s[2:3], s[20:21]
	s_xor_b64 s[2:3], exec, s[2:3]
	s_cbranch_execz .LBB48_2024
.LBB48_2026:
	s_waitcnt vmcnt(0)
	v_cmp_neq_f64_e32 vcc, 0, v[0:1]
	v_cndmask_b32_e64 v2, 0, 1, vcc
	global_store_byte v[4:5], v2, off
	s_or_b64 exec, exec, s[2:3]
	s_and_saveexec_b64 s[2:3], s[0:1]
	s_cbranch_execz .LBB48_2064
.LBB48_2027:
	s_sext_i32_i16 s2, s22
	s_cmp_lt_i32 s2, 5
	s_mov_b64 s[0:1], -1
	s_cbranch_scc1 .LBB48_2048
; %bb.2028:
	s_cmp_lt_i32 s2, 8
	s_cbranch_scc1 .LBB48_2038
; %bb.2029:
	s_cmp_lt_i32 s2, 9
	s_cbranch_scc1 .LBB48_2035
; %bb.2030:
	s_cmp_gt_i32 s2, 9
	s_cbranch_scc0 .LBB48_2032
; %bb.2031:
	s_waitcnt vmcnt(0)
	v_mov_b32_e32 v2, 0
	v_mov_b32_e32 v3, v2
	global_store_dwordx4 v[4:5], v[0:3], off
	s_mov_b64 s[0:1], 0
.LBB48_2032:
	s_andn2_b64 vcc, exec, s[0:1]
	s_cbranch_vccnz .LBB48_2034
; %bb.2033:
	s_waitcnt vmcnt(0)
	v_cvt_f32_f64_e32 v2, v[0:1]
	v_mov_b32_e32 v3, 0
	global_store_dwordx2 v[4:5], v[2:3], off
.LBB48_2034:
	s_mov_b64 s[0:1], 0
.LBB48_2035:
	s_andn2_b64 vcc, exec, s[0:1]
	s_cbranch_vccnz .LBB48_2037
; %bb.2036:
	s_movk_i32 s0, 0x1ff
	s_waitcnt vmcnt(0)
	v_and_or_b32 v2, v1, s0, v0
	v_cmp_ne_u32_e32 vcc, 0, v2
	v_cndmask_b32_e64 v2, 0, 1, vcc
	v_lshrrev_b32_e32 v3, 8, v1
	s_movk_i32 s0, 0xffe
	v_bfe_u32 v6, v1, 20, 11
	v_and_or_b32 v2, v3, s0, v2
	v_sub_u32_e32 v7, 0x3f1, v6
	v_or_b32_e32 v3, 0x1000, v2
	v_med3_i32 v7, v7, 0, 13
	v_lshrrev_b32_e32 v8, v7, v3
	v_lshlrev_b32_e32 v7, v7, v8
	v_cmp_ne_u32_e32 vcc, v7, v3
	v_cndmask_b32_e64 v3, 0, 1, vcc
	v_add_u32_e32 v6, 0xfffffc10, v6
	v_or_b32_e32 v3, v8, v3
	v_lshl_or_b32 v7, v6, 12, v2
	v_cmp_gt_i32_e32 vcc, 1, v6
	v_cndmask_b32_e32 v3, v7, v3, vcc
	v_and_b32_e32 v7, 7, v3
	v_cmp_lt_i32_e32 vcc, 5, v7
	v_cndmask_b32_e64 v8, 0, 1, vcc
	v_cmp_eq_u32_e32 vcc, 3, v7
	v_cndmask_b32_e64 v7, 0, 1, vcc
	v_or_b32_e32 v7, v7, v8
	v_lshrrev_b32_e32 v3, 2, v3
	v_add_u32_e32 v3, v3, v7
	v_mov_b32_e32 v7, 0x7c00
	v_cmp_gt_i32_e32 vcc, 31, v6
	v_cndmask_b32_e32 v3, v7, v3, vcc
	v_mov_b32_e32 v8, 0x7e00
	v_cmp_ne_u32_e32 vcc, 0, v2
	s_movk_i32 s0, 0x40f
	v_cndmask_b32_e32 v2, v7, v8, vcc
	v_cmp_eq_u32_e32 vcc, s0, v6
	v_cndmask_b32_e32 v2, v3, v2, vcc
	v_lshrrev_b32_e32 v3, 16, v1
	s_mov_b32 s0, 0x8000
	v_and_or_b32 v2, v3, s0, v2
	v_and_b32_e32 v2, 0xffff, v2
	global_store_dword v[4:5], v2, off
.LBB48_2037:
	s_mov_b64 s[0:1], 0
.LBB48_2038:
	s_andn2_b64 vcc, exec, s[0:1]
	s_cbranch_vccnz .LBB48_2047
; %bb.2039:
	s_sext_i32_i16 s2, s22
	s_cmp_lt_i32 s2, 6
	s_mov_b64 s[0:1], -1
	s_cbranch_scc1 .LBB48_2045
; %bb.2040:
	s_cmp_gt_i32 s2, 6
	s_cbranch_scc0 .LBB48_2042
; %bb.2041:
	s_waitcnt vmcnt(0)
	global_store_dwordx2 v[4:5], v[0:1], off
	s_mov_b64 s[0:1], 0
.LBB48_2042:
	s_andn2_b64 vcc, exec, s[0:1]
	s_cbranch_vccnz .LBB48_2044
; %bb.2043:
	s_waitcnt vmcnt(0)
	v_cvt_f32_f64_e32 v2, v[0:1]
	global_store_dword v[4:5], v2, off
.LBB48_2044:
	s_mov_b64 s[0:1], 0
.LBB48_2045:
	s_andn2_b64 vcc, exec, s[0:1]
	s_cbranch_vccnz .LBB48_2047
; %bb.2046:
	s_movk_i32 s0, 0x1ff
	s_waitcnt vmcnt(0)
	v_and_or_b32 v2, v1, s0, v0
	v_cmp_ne_u32_e32 vcc, 0, v2
	v_cndmask_b32_e64 v2, 0, 1, vcc
	v_lshrrev_b32_e32 v3, 8, v1
	s_movk_i32 s0, 0xffe
	v_bfe_u32 v6, v1, 20, 11
	v_and_or_b32 v2, v3, s0, v2
	v_sub_u32_e32 v7, 0x3f1, v6
	v_or_b32_e32 v3, 0x1000, v2
	v_med3_i32 v7, v7, 0, 13
	v_lshrrev_b32_e32 v8, v7, v3
	v_lshlrev_b32_e32 v7, v7, v8
	v_cmp_ne_u32_e32 vcc, v7, v3
	v_cndmask_b32_e64 v3, 0, 1, vcc
	v_add_u32_e32 v6, 0xfffffc10, v6
	v_or_b32_e32 v3, v8, v3
	v_lshl_or_b32 v7, v6, 12, v2
	v_cmp_gt_i32_e32 vcc, 1, v6
	v_cndmask_b32_e32 v3, v7, v3, vcc
	v_and_b32_e32 v7, 7, v3
	v_cmp_lt_i32_e32 vcc, 5, v7
	v_cndmask_b32_e64 v8, 0, 1, vcc
	v_cmp_eq_u32_e32 vcc, 3, v7
	v_cndmask_b32_e64 v7, 0, 1, vcc
	v_or_b32_e32 v7, v7, v8
	v_lshrrev_b32_e32 v3, 2, v3
	v_add_u32_e32 v3, v3, v7
	v_mov_b32_e32 v7, 0x7c00
	v_cmp_gt_i32_e32 vcc, 31, v6
	v_cndmask_b32_e32 v3, v7, v3, vcc
	v_mov_b32_e32 v8, 0x7e00
	v_cmp_ne_u32_e32 vcc, 0, v2
	s_movk_i32 s0, 0x40f
	v_cndmask_b32_e32 v2, v7, v8, vcc
	v_cmp_eq_u32_e32 vcc, s0, v6
	v_cndmask_b32_e32 v2, v3, v2, vcc
	v_lshrrev_b32_e32 v3, 16, v1
	s_mov_b32 s0, 0x8000
	v_and_or_b32 v2, v3, s0, v2
	global_store_short v[4:5], v2, off
.LBB48_2047:
	s_mov_b64 s[0:1], 0
.LBB48_2048:
	s_andn2_b64 vcc, exec, s[0:1]
	s_cbranch_vccnz .LBB48_2064
; %bb.2049:
	s_sext_i32_i16 s2, s22
	s_cmp_lt_i32 s2, 2
	s_mov_b64 s[0:1], -1
	s_cbranch_scc1 .LBB48_2059
; %bb.2050:
	s_cmp_lt_i32 s2, 3
	s_cbranch_scc1 .LBB48_2056
; %bb.2051:
	s_cmp_gt_i32 s2, 3
	s_cbranch_scc0 .LBB48_2053
; %bb.2052:
	s_waitcnt vmcnt(0)
	v_trunc_f64_e32 v[2:3], v[0:1]
	s_movk_i32 s0, 0xffe0
	v_ldexp_f64 v[6:7], v[2:3], s0
	s_mov_b32 s0, 0
	s_mov_b32 s1, 0xc1f00000
	v_floor_f64_e32 v[6:7], v[6:7]
	v_fma_f64 v[2:3], v[6:7], s[0:1], v[2:3]
	v_cvt_i32_f64_e32 v7, v[6:7]
	s_mov_b64 s[0:1], 0
	v_cvt_u32_f64_e32 v6, v[2:3]
	global_store_dwordx2 v[4:5], v[6:7], off
.LBB48_2053:
	s_andn2_b64 vcc, exec, s[0:1]
	s_cbranch_vccnz .LBB48_2055
; %bb.2054:
	s_waitcnt vmcnt(0)
	v_cvt_i32_f64_e32 v2, v[0:1]
	global_store_dword v[4:5], v2, off
.LBB48_2055:
	s_mov_b64 s[0:1], 0
.LBB48_2056:
	s_andn2_b64 vcc, exec, s[0:1]
	s_cbranch_vccnz .LBB48_2058
; %bb.2057:
	s_waitcnt vmcnt(0)
	v_cvt_i32_f64_e32 v2, v[0:1]
	global_store_short v[4:5], v2, off
.LBB48_2058:
	s_mov_b64 s[0:1], 0
.LBB48_2059:
	s_andn2_b64 vcc, exec, s[0:1]
	s_cbranch_vccnz .LBB48_2064
; %bb.2060:
	s_sext_i32_i16 s0, s22
	s_cmp_gt_i32 s0, 0
	s_mov_b64 s[0:1], -1
	s_cbranch_scc0 .LBB48_2062
; %bb.2061:
	s_waitcnt vmcnt(0)
	v_cvt_i32_f64_e32 v2, v[0:1]
	s_mov_b64 s[0:1], 0
	global_store_byte v[4:5], v2, off
.LBB48_2062:
	s_andn2_b64 vcc, exec, s[0:1]
	s_cbranch_vccnz .LBB48_2064
; %bb.2063:
	s_waitcnt vmcnt(0)
	v_trunc_f64_e32 v[0:1], v[0:1]
	s_movk_i32 s0, 0xffe0
	v_ldexp_f64 v[2:3], v[0:1], s0
	s_mov_b32 s0, 0
	s_mov_b32 s1, 0xc1f00000
	v_floor_f64_e32 v[2:3], v[2:3]
	v_fma_f64 v[0:1], v[2:3], s[0:1], v[0:1]
	v_cvt_u32_f64_e32 v0, v[0:1]
	global_store_byte v[4:5], v0, off
	s_endpgm
.LBB48_2064:
	s_endpgm
.LBB48_2065:
	s_mov_b64 s[2:3], 0
	s_mov_b64 s[0:1], -1
	s_branch .LBB48_2021
.LBB48_2066:
	s_trap 2
	s_or_b64 s[18:19], s[18:19], exec
	s_cbranch_execz .LBB48_1529
	s_branch .LBB48_1530
.LBB48_2067:
	s_andn2_saveexec_b64 s[10:11], s[10:11]
	s_cbranch_execz .LBB48_1615
.LBB48_2068:
	s_mov_b32 s20, 0x46000000
	v_add_f32_e64 v3, |v2|, s20
	v_and_b32_e32 v3, 0xff, v3
	v_cmp_ne_u32_e32 vcc, 0, v3
	s_andn2_b64 s[6:7], s[6:7], exec
	s_and_b64 s[20:21], vcc, exec
	s_or_b64 s[6:7], s[6:7], s[20:21]
	s_or_b64 exec, exec, s[10:11]
	v_mov_b32_e32 v25, 0
	s_and_saveexec_b64 s[10:11], s[6:7]
	s_cbranch_execnz .LBB48_1616
	s_branch .LBB48_1617
.LBB48_2069:
	s_trap 2
	s_or_b64 s[18:19], s[18:19], exec
	s_cbranch_execz .LBB48_1663
	s_branch .LBB48_1664
.LBB48_2070:
	s_andn2_saveexec_b64 s[6:7], s[6:7]
	s_cbranch_execz .LBB48_1628
.LBB48_2071:
	s_mov_b32 s10, 0x42800000
	v_add_f32_e64 v3, |v2|, s10
	v_and_b32_e32 v3, 0xff, v3
	v_cmp_ne_u32_e32 vcc, 0, v3
	s_andn2_b64 s[4:5], s[4:5], exec
	s_and_b64 s[10:11], vcc, exec
	s_or_b64 s[4:5], s[4:5], s[10:11]
	s_or_b64 exec, exec, s[6:7]
	v_mov_b32_e32 v25, 0
	s_and_saveexec_b64 s[6:7], s[4:5]
	s_cbranch_execnz .LBB48_1629
	s_branch .LBB48_1630
.LBB48_2072:
	s_andn2_saveexec_b64 s[10:11], s[10:11]
	s_cbranch_execz .LBB48_1734
.LBB48_2073:
	s_mov_b32 s20, 0x46000000
	v_add_f32_e64 v3, |v2|, s20
	v_and_b32_e32 v3, 0xff, v3
	v_cmp_ne_u32_e32 vcc, 0, v3
	s_andn2_b64 s[6:7], s[6:7], exec
	s_and_b64 s[20:21], vcc, exec
	s_or_b64 s[6:7], s[6:7], s[20:21]
	s_or_b64 exec, exec, s[10:11]
	v_mov_b32_e32 v16, 0
	s_and_saveexec_b64 s[10:11], s[6:7]
	s_cbranch_execnz .LBB48_1735
	s_branch .LBB48_1736
.LBB48_2074:
	s_trap 2
	s_or_b64 s[18:19], s[18:19], exec
	s_cbranch_execz .LBB48_1782
	s_branch .LBB48_1783
.LBB48_2075:
	s_andn2_saveexec_b64 s[6:7], s[6:7]
	s_cbranch_execz .LBB48_1747
.LBB48_2076:
	s_mov_b32 s10, 0x42800000
	v_add_f32_e64 v3, |v2|, s10
	v_and_b32_e32 v3, 0xff, v3
	v_cmp_ne_u32_e32 vcc, 0, v3
	s_andn2_b64 s[4:5], s[4:5], exec
	s_and_b64 s[10:11], vcc, exec
	s_or_b64 s[4:5], s[4:5], s[10:11]
	s_or_b64 exec, exec, s[6:7]
	v_mov_b32_e32 v16, 0
	s_and_saveexec_b64 s[6:7], s[4:5]
	s_cbranch_execnz .LBB48_1748
	s_branch .LBB48_1749
.LBB48_2077:
	s_andn2_saveexec_b64 s[10:11], s[10:11]
	s_cbranch_execz .LBB48_1853
.LBB48_2078:
	s_mov_b32 s20, 0x46000000
	v_add_f32_e64 v3, |v2|, s20
	v_and_b32_e32 v3, 0xff, v3
	v_cmp_ne_u32_e32 vcc, 0, v3
	s_andn2_b64 s[6:7], s[6:7], exec
	s_and_b64 s[20:21], vcc, exec
	s_or_b64 s[6:7], s[6:7], s[20:21]
	s_or_b64 exec, exec, s[10:11]
	v_mov_b32_e32 v8, 0
	s_and_saveexec_b64 s[10:11], s[6:7]
	s_cbranch_execnz .LBB48_1854
	s_branch .LBB48_1855
.LBB48_2079:
	s_trap 2
	s_or_b64 s[18:19], s[18:19], exec
	s_cbranch_execz .LBB48_1901
	s_branch .LBB48_1902
.LBB48_2080:
	s_andn2_saveexec_b64 s[6:7], s[6:7]
	s_cbranch_execz .LBB48_1866
.LBB48_2081:
	s_mov_b32 s10, 0x42800000
	v_add_f32_e64 v3, |v2|, s10
	v_and_b32_e32 v3, 0xff, v3
	v_cmp_ne_u32_e32 vcc, 0, v3
	s_andn2_b64 s[4:5], s[4:5], exec
	s_and_b64 s[10:11], vcc, exec
	s_or_b64 s[4:5], s[4:5], s[10:11]
	s_or_b64 exec, exec, s[6:7]
	v_mov_b32_e32 v8, 0
	s_and_saveexec_b64 s[6:7], s[4:5]
	s_cbranch_execnz .LBB48_1867
	s_branch .LBB48_1868
.LBB48_2082:
	s_andn2_saveexec_b64 s[8:9], s[8:9]
	s_cbranch_execz .LBB48_1973
.LBB48_2083:
	s_mov_b32 s11, 0x46000000
	v_add_f32_e64 v3, |v2|, s11
	v_and_b32_e32 v3, 0xff, v3
	v_cmp_ne_u32_e32 vcc, 0, v3
	s_andn2_b64 s[6:7], s[6:7], exec
	s_and_b64 s[12:13], vcc, exec
	s_or_b64 s[6:7], s[6:7], s[12:13]
	s_or_b64 exec, exec, s[8:9]
	v_mov_b32_e32 v6, 0
	s_and_saveexec_b64 s[8:9], s[6:7]
	s_cbranch_execnz .LBB48_1974
	s_branch .LBB48_1975
.LBB48_2084:
	s_mov_b64 s[2:3], 0
	s_or_b64 s[18:19], s[18:19], exec
	s_trap 2
	s_branch .LBB48_2019
.LBB48_2085:
	s_andn2_saveexec_b64 s[6:7], s[6:7]
	s_cbranch_execz .LBB48_1985
.LBB48_2086:
	s_mov_b32 s8, 0x42800000
	v_add_f32_e64 v3, |v2|, s8
	v_and_b32_e32 v3, 0xff, v3
	v_cmp_ne_u32_e32 vcc, 0, v3
	s_andn2_b64 s[4:5], s[4:5], exec
	s_and_b64 s[8:9], vcc, exec
	s_or_b64 s[4:5], s[4:5], s[8:9]
	s_or_b64 exec, exec, s[6:7]
	v_mov_b32_e32 v6, 0
	s_and_saveexec_b64 s[6:7], s[4:5]
	s_cbranch_execnz .LBB48_1986
	s_branch .LBB48_1987
	.section	.rodata,"a",@progbits
	.p2align	6, 0x0
	.amdhsa_kernel _ZN2at6native32elementwise_kernel_manual_unrollILi128ELi4EZNS0_15gpu_kernel_implIZZZNS0_20trigamma_kernel_cudaERNS_18TensorIteratorBaseEENKUlvE_clEvENKUlvE_clEvEUldE_EEvS4_RKT_EUlibE_EEviT1_
		.amdhsa_group_segment_fixed_size 0
		.amdhsa_private_segment_fixed_size 0
		.amdhsa_kernarg_size 40
		.amdhsa_user_sgpr_count 6
		.amdhsa_user_sgpr_private_segment_buffer 1
		.amdhsa_user_sgpr_dispatch_ptr 0
		.amdhsa_user_sgpr_queue_ptr 0
		.amdhsa_user_sgpr_kernarg_segment_ptr 1
		.amdhsa_user_sgpr_dispatch_id 0
		.amdhsa_user_sgpr_flat_scratch_init 0
		.amdhsa_user_sgpr_private_segment_size 0
		.amdhsa_uses_dynamic_stack 0
		.amdhsa_system_sgpr_private_segment_wavefront_offset 0
		.amdhsa_system_sgpr_workgroup_id_x 1
		.amdhsa_system_sgpr_workgroup_id_y 0
		.amdhsa_system_sgpr_workgroup_id_z 0
		.amdhsa_system_sgpr_workgroup_info 0
		.amdhsa_system_vgpr_workitem_id 0
		.amdhsa_next_free_vgpr 59
		.amdhsa_next_free_sgpr 44
		.amdhsa_reserve_vcc 1
		.amdhsa_reserve_flat_scratch 0
		.amdhsa_float_round_mode_32 0
		.amdhsa_float_round_mode_16_64 0
		.amdhsa_float_denorm_mode_32 3
		.amdhsa_float_denorm_mode_16_64 3
		.amdhsa_dx10_clamp 1
		.amdhsa_ieee_mode 1
		.amdhsa_fp16_overflow 0
		.amdhsa_exception_fp_ieee_invalid_op 0
		.amdhsa_exception_fp_denorm_src 0
		.amdhsa_exception_fp_ieee_div_zero 0
		.amdhsa_exception_fp_ieee_overflow 0
		.amdhsa_exception_fp_ieee_underflow 0
		.amdhsa_exception_fp_ieee_inexact 0
		.amdhsa_exception_int_div_zero 0
	.end_amdhsa_kernel
	.section	.text._ZN2at6native32elementwise_kernel_manual_unrollILi128ELi4EZNS0_15gpu_kernel_implIZZZNS0_20trigamma_kernel_cudaERNS_18TensorIteratorBaseEENKUlvE_clEvENKUlvE_clEvEUldE_EEvS4_RKT_EUlibE_EEviT1_,"axG",@progbits,_ZN2at6native32elementwise_kernel_manual_unrollILi128ELi4EZNS0_15gpu_kernel_implIZZZNS0_20trigamma_kernel_cudaERNS_18TensorIteratorBaseEENKUlvE_clEvENKUlvE_clEvEUldE_EEvS4_RKT_EUlibE_EEviT1_,comdat
.Lfunc_end48:
	.size	_ZN2at6native32elementwise_kernel_manual_unrollILi128ELi4EZNS0_15gpu_kernel_implIZZZNS0_20trigamma_kernel_cudaERNS_18TensorIteratorBaseEENKUlvE_clEvENKUlvE_clEvEUldE_EEvS4_RKT_EUlibE_EEviT1_, .Lfunc_end48-_ZN2at6native32elementwise_kernel_manual_unrollILi128ELi4EZNS0_15gpu_kernel_implIZZZNS0_20trigamma_kernel_cudaERNS_18TensorIteratorBaseEENKUlvE_clEvENKUlvE_clEvEUldE_EEvS4_RKT_EUlibE_EEviT1_
                                        ; -- End function
	.set _ZN2at6native32elementwise_kernel_manual_unrollILi128ELi4EZNS0_15gpu_kernel_implIZZZNS0_20trigamma_kernel_cudaERNS_18TensorIteratorBaseEENKUlvE_clEvENKUlvE_clEvEUldE_EEvS4_RKT_EUlibE_EEviT1_.num_vgpr, 59
	.set _ZN2at6native32elementwise_kernel_manual_unrollILi128ELi4EZNS0_15gpu_kernel_implIZZZNS0_20trigamma_kernel_cudaERNS_18TensorIteratorBaseEENKUlvE_clEvENKUlvE_clEvEUldE_EEvS4_RKT_EUlibE_EEviT1_.num_agpr, 0
	.set _ZN2at6native32elementwise_kernel_manual_unrollILi128ELi4EZNS0_15gpu_kernel_implIZZZNS0_20trigamma_kernel_cudaERNS_18TensorIteratorBaseEENKUlvE_clEvENKUlvE_clEvEUldE_EEvS4_RKT_EUlibE_EEviT1_.numbered_sgpr, 44
	.set _ZN2at6native32elementwise_kernel_manual_unrollILi128ELi4EZNS0_15gpu_kernel_implIZZZNS0_20trigamma_kernel_cudaERNS_18TensorIteratorBaseEENKUlvE_clEvENKUlvE_clEvEUldE_EEvS4_RKT_EUlibE_EEviT1_.num_named_barrier, 0
	.set _ZN2at6native32elementwise_kernel_manual_unrollILi128ELi4EZNS0_15gpu_kernel_implIZZZNS0_20trigamma_kernel_cudaERNS_18TensorIteratorBaseEENKUlvE_clEvENKUlvE_clEvEUldE_EEvS4_RKT_EUlibE_EEviT1_.private_seg_size, 0
	.set _ZN2at6native32elementwise_kernel_manual_unrollILi128ELi4EZNS0_15gpu_kernel_implIZZZNS0_20trigamma_kernel_cudaERNS_18TensorIteratorBaseEENKUlvE_clEvENKUlvE_clEvEUldE_EEvS4_RKT_EUlibE_EEviT1_.uses_vcc, 1
	.set _ZN2at6native32elementwise_kernel_manual_unrollILi128ELi4EZNS0_15gpu_kernel_implIZZZNS0_20trigamma_kernel_cudaERNS_18TensorIteratorBaseEENKUlvE_clEvENKUlvE_clEvEUldE_EEvS4_RKT_EUlibE_EEviT1_.uses_flat_scratch, 0
	.set _ZN2at6native32elementwise_kernel_manual_unrollILi128ELi4EZNS0_15gpu_kernel_implIZZZNS0_20trigamma_kernel_cudaERNS_18TensorIteratorBaseEENKUlvE_clEvENKUlvE_clEvEUldE_EEvS4_RKT_EUlibE_EEviT1_.has_dyn_sized_stack, 0
	.set _ZN2at6native32elementwise_kernel_manual_unrollILi128ELi4EZNS0_15gpu_kernel_implIZZZNS0_20trigamma_kernel_cudaERNS_18TensorIteratorBaseEENKUlvE_clEvENKUlvE_clEvEUldE_EEvS4_RKT_EUlibE_EEviT1_.has_recursion, 0
	.set _ZN2at6native32elementwise_kernel_manual_unrollILi128ELi4EZNS0_15gpu_kernel_implIZZZNS0_20trigamma_kernel_cudaERNS_18TensorIteratorBaseEENKUlvE_clEvENKUlvE_clEvEUldE_EEvS4_RKT_EUlibE_EEviT1_.has_indirect_call, 0
	.section	.AMDGPU.csdata,"",@progbits
; Kernel info:
; codeLenInByte = 55800
; TotalNumSgprs: 48
; NumVgprs: 59
; ScratchSize: 0
; MemoryBound: 1
; FloatMode: 240
; IeeeMode: 1
; LDSByteSize: 0 bytes/workgroup (compile time only)
; SGPRBlocks: 5
; VGPRBlocks: 14
; NumSGPRsForWavesPerEU: 48
; NumVGPRsForWavesPerEU: 59
; Occupancy: 4
; WaveLimiterHint : 0
; COMPUTE_PGM_RSRC2:SCRATCH_EN: 0
; COMPUTE_PGM_RSRC2:USER_SGPR: 6
; COMPUTE_PGM_RSRC2:TRAP_HANDLER: 0
; COMPUTE_PGM_RSRC2:TGID_X_EN: 1
; COMPUTE_PGM_RSRC2:TGID_Y_EN: 0
; COMPUTE_PGM_RSRC2:TGID_Z_EN: 0
; COMPUTE_PGM_RSRC2:TIDIG_COMP_CNT: 0
	.section	.text._ZN2at6native32elementwise_kernel_manual_unrollILi128ELi4EZNS0_15gpu_kernel_implIZZZNS0_20trigamma_kernel_cudaERNS_18TensorIteratorBaseEENKUlvE_clEvENKUlvE_clEvEUldE_EEvS4_RKT_EUlibE0_EEviT1_,"axG",@progbits,_ZN2at6native32elementwise_kernel_manual_unrollILi128ELi4EZNS0_15gpu_kernel_implIZZZNS0_20trigamma_kernel_cudaERNS_18TensorIteratorBaseEENKUlvE_clEvENKUlvE_clEvEUldE_EEvS4_RKT_EUlibE0_EEviT1_,comdat
	.globl	_ZN2at6native32elementwise_kernel_manual_unrollILi128ELi4EZNS0_15gpu_kernel_implIZZZNS0_20trigamma_kernel_cudaERNS_18TensorIteratorBaseEENKUlvE_clEvENKUlvE_clEvEUldE_EEvS4_RKT_EUlibE0_EEviT1_ ; -- Begin function _ZN2at6native32elementwise_kernel_manual_unrollILi128ELi4EZNS0_15gpu_kernel_implIZZZNS0_20trigamma_kernel_cudaERNS_18TensorIteratorBaseEENKUlvE_clEvENKUlvE_clEvEUldE_EEvS4_RKT_EUlibE0_EEviT1_
	.p2align	8
	.type	_ZN2at6native32elementwise_kernel_manual_unrollILi128ELi4EZNS0_15gpu_kernel_implIZZZNS0_20trigamma_kernel_cudaERNS_18TensorIteratorBaseEENKUlvE_clEvENKUlvE_clEvEUldE_EEvS4_RKT_EUlibE0_EEviT1_,@function
_ZN2at6native32elementwise_kernel_manual_unrollILi128ELi4EZNS0_15gpu_kernel_implIZZZNS0_20trigamma_kernel_cudaERNS_18TensorIteratorBaseEENKUlvE_clEvENKUlvE_clEvEUldE_EEvS4_RKT_EUlibE0_EEviT1_: ; @_ZN2at6native32elementwise_kernel_manual_unrollILi128ELi4EZNS0_15gpu_kernel_implIZZZNS0_20trigamma_kernel_cudaERNS_18TensorIteratorBaseEENKUlvE_clEvENKUlvE_clEvEUldE_EEvS4_RKT_EUlibE0_EEviT1_
; %bb.0:
	s_load_dword s70, s[4:5], 0x0
	s_load_dword s33, s[4:5], 0x8
	s_add_u32 s34, s4, 8
	s_addc_u32 s35, s5, 0
	v_lshl_or_b32 v19, s6, 9, v0
	v_or_b32_e32 v13, 0x180, v19
	s_waitcnt lgkmcnt(0)
	s_add_i32 s72, s33, -1
	s_cmp_gt_u32 s72, 1
	v_cmp_le_i32_e32 vcc, s70, v13
	s_cselect_b64 s[42:43], -1, 0
	s_mov_b64 s[40:41], 0
	s_mov_b64 s[28:29], 0
	s_and_saveexec_b64 s[0:1], vcc
	s_xor_b64 s[44:45], exec, s[0:1]
	s_cbranch_execz .LBB49_1110
; %bb.1:
	v_mov_b32_e32 v0, 0
	global_load_ushort v0, v0, s[34:35] offset:345
	s_load_dwordx4 s[36:39], s[34:35], 0x4
	s_load_dwordx2 s[46:47], s[34:35], 0x14
	s_load_dwordx4 s[28:31], s[34:35], 0xc4
	s_load_dwordx4 s[24:27], s[34:35], 0x148
	s_cmp_lg_u32 s33, 0
	s_cselect_b64 s[52:53], -1, 0
	s_add_u32 s50, s34, 0xc4
	s_addc_u32 s51, s35, 0
	s_min_u32 s75, s72, 15
	s_cmp_gt_u32 s33, 1
	s_cselect_b64 s[48:49], -1, 0
	v_cmp_gt_i32_e32 vcc, s70, v19
	s_mov_b64 s[2:3], -1
	s_mov_b64 s[62:63], 0
	s_mov_b64 s[56:57], 0
	s_mov_b64 s[54:55], 0
	s_waitcnt vmcnt(0)
	v_readfirstlane_b32 s73, v0
	s_and_b32 s0, 0xffff, s73
	s_lshr_b32 s74, s0, 8
	s_and_saveexec_b64 s[58:59], vcc
	s_cbranch_execz .LBB49_272
; %bb.2:
	s_andn2_b64 vcc, exec, s[42:43]
	s_cbranch_vccnz .LBB49_7
; %bb.3:
	s_andn2_b64 vcc, exec, s[52:53]
	s_cbranch_vccnz .LBB49_8
; %bb.4:
	s_add_i32 s57, s75, 1
	s_cmp_eq_u32 s72, 2
	s_cbranch_scc1 .LBB49_9
; %bb.5:
	s_and_b32 s56, s57, 28
	v_mov_b32_e32 v0, 0
	s_mov_b32 s60, 0
	s_mov_b64 s[6:7], s[34:35]
	s_mov_b64 s[54:55], s[50:51]
	v_mov_b32_e32 v2, 0
	v_mov_b32_e32 v1, v19
.LBB49_6:                               ; =>This Inner Loop Header: Depth=1
	s_load_dwordx8 s[16:23], s[6:7], 0x4
	s_load_dwordx4 s[0:3], s[6:7], 0x24
	s_load_dwordx8 s[8:15], s[54:55], 0x0
	s_add_u32 s6, s6, 48
	s_addc_u32 s7, s7, 0
	s_waitcnt lgkmcnt(0)
	v_mul_hi_u32 v3, s17, v1
	s_add_i32 s60, s60, 4
	s_add_u32 s54, s54, 32
	s_addc_u32 s55, s55, 0
	v_add_u32_e32 v3, v1, v3
	v_lshrrev_b32_e32 v3, s18, v3
	v_mul_lo_u32 v4, v3, s16
	v_mul_hi_u32 v5, s20, v3
	s_cmp_lg_u32 s56, s60
	v_sub_u32_e32 v1, v1, v4
	v_add_u32_e32 v4, v3, v5
	v_mul_lo_u32 v5, v1, s8
	v_mul_lo_u32 v6, v1, s9
	v_lshrrev_b32_e32 v1, s21, v4
	v_mul_lo_u32 v4, v1, s19
	v_mul_hi_u32 v7, s23, v1
	v_sub_u32_e32 v3, v3, v4
	v_add_u32_e32 v4, v1, v7
	v_lshrrev_b32_e32 v4, s0, v4
	v_mul_hi_u32 v8, s2, v4
	v_mul_lo_u32 v9, v4, s22
	v_mul_lo_u32 v7, v3, s10
	;; [unrolled: 1-line block ×3, first 2 shown]
	v_sub_u32_e32 v9, v1, v9
	v_add_u32_e32 v1, v4, v8
	v_lshrrev_b32_e32 v1, s3, v1
	v_mul_lo_u32 v8, v1, s1
	v_mul_lo_u32 v10, v9, s12
	;; [unrolled: 1-line block ×3, first 2 shown]
	v_add3_u32 v2, v5, v2, v7
	v_sub_u32_e32 v4, v4, v8
	v_mul_lo_u32 v8, v4, s14
	v_mul_lo_u32 v4, v4, s15
	v_add3_u32 v0, v6, v0, v3
	v_add3_u32 v2, v10, v2, v8
	;; [unrolled: 1-line block ×3, first 2 shown]
	s_cbranch_scc1 .LBB49_6
	s_branch .LBB49_10
.LBB49_7:
                                        ; implicit-def: $vgpr2
                                        ; implicit-def: $vgpr0
	s_branch .LBB49_14
.LBB49_8:
	v_mov_b32_e32 v2, 0
	v_mov_b32_e32 v0, 0
	s_branch .LBB49_13
.LBB49_9:
	s_mov_b32 s56, 0
	v_mov_b32_e32 v2, 0
	v_mov_b32_e32 v0, 0
	;; [unrolled: 1-line block ×3, first 2 shown]
.LBB49_10:
	s_and_b32 s6, s57, 3
	s_cmp_eq_u32 s6, 0
	s_cbranch_scc1 .LBB49_13
; %bb.11:
	s_lshl_b32 s0, s56, 3
	s_add_u32 s0, s34, s0
	s_addc_u32 s1, s35, 0
	s_add_u32 s0, s0, 0xc4
	s_addc_u32 s1, s1, 0
	s_mul_i32 s2, s56, 12
	s_add_u32 s2, s34, s2
	s_addc_u32 s3, s35, 0
.LBB49_12:                              ; =>This Inner Loop Header: Depth=1
	s_load_dwordx2 s[8:9], s[2:3], 0x4
	s_load_dword s7, s[2:3], 0xc
	s_load_dwordx2 s[10:11], s[0:1], 0x0
	s_add_u32 s2, s2, 12
	s_addc_u32 s3, s3, 0
	s_waitcnt lgkmcnt(0)
	v_mul_hi_u32 v3, s9, v1
	s_add_u32 s0, s0, 8
	s_addc_u32 s1, s1, 0
	s_add_i32 s6, s6, -1
	v_add_u32_e32 v3, v1, v3
	v_lshrrev_b32_e32 v4, s7, v3
	v_mul_lo_u32 v3, v4, s8
	s_cmp_lg_u32 s6, 0
	v_sub_u32_e32 v1, v1, v3
	v_mad_u64_u32 v[2:3], s[8:9], v1, s10, v[2:3]
	v_mad_u64_u32 v[0:1], s[8:9], v1, s11, v[0:1]
	v_mov_b32_e32 v1, v4
	s_cbranch_scc1 .LBB49_12
.LBB49_13:
	s_cbranch_execnz .LBB49_16
.LBB49_14:
	s_waitcnt lgkmcnt(0)
	v_mul_hi_u32 v0, s37, v19
	s_andn2_b64 vcc, exec, s[48:49]
	v_add_u32_e32 v0, v19, v0
	v_lshrrev_b32_e32 v1, s38, v0
	v_mul_lo_u32 v0, v1, s36
	v_sub_u32_e32 v0, v19, v0
	v_mul_lo_u32 v2, v0, s28
	v_mul_lo_u32 v0, v0, s29
	s_cbranch_vccnz .LBB49_16
; %bb.15:
	v_mul_hi_u32 v3, s46, v1
	v_add_u32_e32 v3, v1, v3
	v_lshrrev_b32_e32 v3, s47, v3
	v_mul_lo_u32 v3, v3, s39
	v_sub_u32_e32 v1, v1, v3
	v_mad_u64_u32 v[2:3], s[0:1], v1, s30, v[2:3]
	v_mad_u64_u32 v[0:1], s[0:1], v1, s31, v[0:1]
.LBB49_16:
	s_waitcnt lgkmcnt(0)
	v_mov_b32_e32 v1, s27
	s_and_b32 s8, 0xffff, s74
	v_add_co_u32_e32 v3, vcc, s26, v0
	s_cmp_lt_i32 s8, 11
	v_addc_co_u32_e32 v4, vcc, 0, v1, vcc
	s_cbranch_scc1 .LBB49_23
; %bb.17:
	s_cmp_gt_i32 s8, 25
	s_cbranch_scc0 .LBB49_38
; %bb.18:
	s_cmp_gt_i32 s8, 28
	s_cbranch_scc0 .LBB49_41
	;; [unrolled: 3-line block ×4, first 2 shown]
; %bb.21:
	s_cmp_eq_u32 s8, 46
	s_mov_b64 s[2:3], 0
	s_cbranch_scc0 .LBB49_47
; %bb.22:
	global_load_dword v0, v[3:4], off
	s_mov_b64 s[0:1], -1
	s_mov_b64 s[10:11], 0
	s_waitcnt vmcnt(0)
	v_lshlrev_b32_e32 v0, 16, v0
	v_cvt_f64_f32_e32 v[0:1], v0
	s_branch .LBB49_49
.LBB49_23:
	s_mov_b64 s[10:11], 0
                                        ; implicit-def: $vgpr0_vgpr1
	s_mov_b64 s[0:1], 0
	s_cbranch_execnz .LBB49_222
.LBB49_24:
	s_andn2_b64 vcc, exec, s[0:1]
	s_cbranch_vccnz .LBB49_269
.LBB49_25:
	s_waitcnt vmcnt(0)
	v_cmp_gt_f64_e32 vcc, 0.5, v[0:1]
	v_mov_b32_e32 v5, 0
	v_mov_b32_e32 v3, 0
	;; [unrolled: 1-line block ×4, first 2 shown]
	s_and_saveexec_b64 s[2:3], vcc
	s_cbranch_execz .LBB49_31
; %bb.26:
	s_mov_b32 s7, 0x400921fb
	s_mov_b32 s6, 0x54442d18
	v_mul_f64 v[3:4], v[0:1], s[6:7]
	s_mov_b32 s0, 0
	s_mov_b32 s1, 0x41d00000
                                        ; implicit-def: $vgpr9
                                        ; implicit-def: $vgpr5_vgpr6
                                        ; implicit-def: $vgpr7_vgpr8
	v_cmp_nlt_f64_e64 s[0:1], |v[3:4]|, s[0:1]
	s_and_saveexec_b64 s[8:9], s[0:1]
	s_xor_b64 s[8:9], exec, s[8:9]
	s_cbranch_execz .LBB49_28
; %bb.27:
	v_trig_preop_f64 v[5:6], |v[3:4]|, 0
	s_mov_b32 s0, 0
	s_mov_b32 s1, 0x7b000000
	s_movk_i32 s7, 0xff80
	v_ldexp_f64 v[9:10], |v[3:4]|, s7
	v_cmp_ge_f64_e64 vcc, |v[3:4]|, s[0:1]
	v_trig_preop_f64 v[7:8], |v[3:4]|, 1
	v_and_b32_e32 v11, 0x7fffffff, v4
	v_trig_preop_f64 v[17:18], |v[3:4]|, 2
	s_mov_b32 s0, 0
	s_mov_b32 s1, 0x7ff00000
	v_mov_b32_e32 v29, 0x40100000
	v_mov_b32_e32 v28, 0
	v_cndmask_b32_e32 v10, v11, v10, vcc
	v_cndmask_b32_e32 v9, v3, v9, vcc
	s_mov_b32 s7, 0x3ff921fb
	v_mul_f64 v[11:12], v[5:6], v[9:10]
	v_mul_f64 v[13:14], v[7:8], v[9:10]
	;; [unrolled: 1-line block ×3, first 2 shown]
	v_fma_f64 v[5:6], v[5:6], v[9:10], -v[11:12]
	v_fma_f64 v[7:8], v[7:8], v[9:10], -v[13:14]
	;; [unrolled: 1-line block ×3, first 2 shown]
	v_add_f64 v[15:16], v[13:14], v[5:6]
	v_add_f64 v[20:21], v[15:16], -v[13:14]
	v_add_f64 v[26:27], v[11:12], v[15:16]
	v_add_f64 v[22:23], v[15:16], -v[20:21]
	v_add_f64 v[5:6], v[5:6], -v[20:21]
	v_add_f64 v[20:21], v[24:25], v[7:8]
	v_add_f64 v[11:12], v[26:27], -v[11:12]
	v_add_f64 v[13:14], v[13:14], -v[22:23]
	v_ldexp_f64 v[22:23], v[26:27], -2
	v_add_f64 v[30:31], v[20:21], -v[24:25]
	v_add_f64 v[11:12], v[15:16], -v[11:12]
	v_add_f64 v[5:6], v[5:6], v[13:14]
	v_fract_f64_e32 v[13:14], v[22:23]
	v_cmp_neq_f64_e64 vcc, |v[22:23]|, s[0:1]
	v_add_f64 v[7:8], v[7:8], -v[30:31]
	v_add_f64 v[15:16], v[20:21], v[5:6]
	v_ldexp_f64 v[13:14], v[13:14], 2
	v_add_f64 v[22:23], v[11:12], v[15:16]
	v_cndmask_b32_e32 v14, 0, v14, vcc
	v_cndmask_b32_e32 v13, 0, v13, vcc
	v_add_f64 v[32:33], v[15:16], -v[20:21]
	v_add_f64 v[26:27], v[22:23], v[13:14]
	v_add_f64 v[11:12], v[22:23], -v[11:12]
	v_add_f64 v[34:35], v[15:16], -v[32:33]
	;; [unrolled: 1-line block ×3, first 2 shown]
	v_cmp_gt_f64_e32 vcc, 0, v[26:27]
	v_add_f64 v[26:27], v[20:21], -v[30:31]
	v_add_f64 v[11:12], v[15:16], -v[11:12]
	;; [unrolled: 1-line block ×3, first 2 shown]
	v_cndmask_b32_e32 v29, 0, v29, vcc
	v_add_f64 v[13:14], v[13:14], v[28:29]
	v_add_f64 v[26:27], v[24:25], -v[26:27]
	v_add_f64 v[5:6], v[5:6], v[20:21]
	v_add_f64 v[36:37], v[22:23], v[13:14]
	;; [unrolled: 1-line block ×3, first 2 shown]
	v_cvt_i32_f64_e32 v31, v[36:37]
	v_add_f64 v[5:6], v[7:8], v[5:6]
	v_cvt_f64_i32_e32 v[29:30], v31
	v_add_f64 v[13:14], v[13:14], -v[29:30]
	v_add_f64 v[5:6], v[9:10], v[5:6]
	v_add_f64 v[7:8], v[22:23], v[13:14]
	;; [unrolled: 1-line block ×3, first 2 shown]
	v_mov_b32_e32 v12, 0x3ff00000
	v_add_f64 v[9:10], v[7:8], -v[13:14]
	v_cmp_le_f64_e32 vcc, 0.5, v[7:8]
	v_add_f64 v[10:11], v[22:23], -v[9:10]
	v_cndmask_b32_e32 v29, 0, v12, vcc
	v_add_f64 v[7:8], v[7:8], -v[28:29]
	v_addc_co_u32_e64 v9, s[0:1], 0, v31, vcc
	s_mov_b32 s0, 0x33145c07
	s_mov_b32 s1, 0x3c91a626
	v_add_f64 v[5:6], v[5:6], v[10:11]
	v_add_f64 v[10:11], v[7:8], v[5:6]
	v_mul_f64 v[12:13], v[10:11], s[6:7]
	v_add_f64 v[7:8], v[10:11], -v[7:8]
	v_fma_f64 v[14:15], v[10:11], s[6:7], -v[12:13]
	v_add_f64 v[5:6], v[5:6], -v[7:8]
	v_fma_f64 v[7:8], v[10:11], s[0:1], v[14:15]
	v_fma_f64 v[7:8], v[5:6], s[6:7], v[7:8]
	v_add_f64 v[5:6], v[12:13], v[7:8]
	v_add_f64 v[10:11], v[5:6], -v[12:13]
	v_add_f64 v[7:8], v[7:8], -v[10:11]
.LBB49_28:
	s_andn2_saveexec_b64 s[0:1], s[8:9]
	s_cbranch_execz .LBB49_30
; %bb.29:
	s_mov_b32 s6, 0x6dc9c883
	s_mov_b32 s7, 0x3fe45f30
	v_mul_f64 v[5:6], |v[3:4]|, s[6:7]
	s_mov_b32 s6, 0x54442d18
	s_mov_b32 s7, 0xbff921fb
	;; [unrolled: 1-line block ×4, first 2 shown]
	v_rndne_f64_e32 v[9:10], v[5:6]
	v_fma_f64 v[5:6], v[9:10], s[6:7], |v[3:4]|
	v_mul_f64 v[7:8], v[9:10], s[8:9]
	s_mov_b32 s6, 0x252049c0
	s_mov_b32 s7, 0xb97b839a
	v_fma_f64 v[15:16], v[9:10], s[8:9], v[5:6]
	v_add_f64 v[11:12], v[5:6], v[7:8]
	s_mov_b32 s9, 0x3c91a626
	v_add_f64 v[13:14], v[5:6], -v[11:12]
	v_add_f64 v[11:12], v[11:12], -v[15:16]
	v_add_f64 v[5:6], v[13:14], v[7:8]
	v_fma_f64 v[7:8], v[9:10], s[8:9], v[7:8]
	v_add_f64 v[5:6], v[11:12], v[5:6]
	v_add_f64 v[5:6], v[5:6], -v[7:8]
	v_fma_f64 v[7:8], v[9:10], s[6:7], v[5:6]
	v_cvt_i32_f64_e32 v9, v[9:10]
	v_add_f64 v[5:6], v[15:16], v[7:8]
	v_add_f64 v[11:12], v[5:6], -v[15:16]
	v_add_f64 v[7:8], v[7:8], -v[11:12]
.LBB49_30:
	s_or_b64 exec, exec, s[0:1]
	v_mul_f64 v[10:11], v[5:6], v[5:6]
	s_mov_b32 s0, 0xf9a43bb8
	v_mov_b32_e32 v13, 0xb42fdfa7
	v_mov_b32_e32 v14, 0xbe5ae600
	s_mov_b32 s1, 0x3de5e0b2
	s_mov_b32 s6, 0x796cde01
	v_mov_b32_e32 v12, 0x9037ab78
	s_mov_b32 s7, 0x3ec71de3
	v_fma_f64 v[14:15], v[10:11], s[0:1], v[13:14]
	s_mov_b32 s0, 0x46cc5e42
	v_mov_b32_e32 v13, 0x3e21eeb6
	s_mov_b32 s1, 0xbda907db
	v_fma_f64 v[12:13], v[10:11], s[0:1], v[12:13]
	v_mul_f64 v[16:17], v[10:11], 0.5
	s_mov_b32 s0, 0xa17f65f6
	s_mov_b32 s8, 0x19e83e5c
	v_fma_f64 v[14:15], v[10:11], v[14:15], s[6:7]
	s_mov_b32 s1, 0xbe927e4f
	s_mov_b32 s9, 0xbf2a01a0
	;; [unrolled: 1-line block ×3, first 2 shown]
	v_fma_f64 v[12:13], v[10:11], v[12:13], s[0:1]
	v_add_f64 v[20:21], -v[16:17], 1.0
	s_mov_b32 s0, 0x11110bb3
	s_mov_b32 s7, 0x3efa01a0
	v_fma_f64 v[14:15], v[10:11], v[14:15], s[8:9]
	s_mov_b32 s1, 0x3f811111
	v_mul_f64 v[22:23], v[7:8], 0.5
	v_mul_f64 v[24:25], v[5:6], -v[10:11]
	v_fma_f64 v[12:13], v[10:11], v[12:13], s[6:7]
	v_add_f64 v[26:27], -v[20:21], 1.0
	v_add_f64 v[0:1], -v[0:1], 1.0
	v_fma_f64 v[14:15], v[10:11], v[14:15], s[0:1]
	s_mov_b32 s0, 0x16c16967
	s_mov_b32 s1, 0xbf56c16c
	v_fma_f64 v[12:13], v[10:11], v[12:13], s[0:1]
	v_add_f64 v[16:17], v[26:27], -v[16:17]
	s_mov_b32 s1, 0x3fa55555
	s_mov_b32 s0, 0x55555555
	v_fma_f64 v[14:15], v[24:25], v[14:15], v[22:23]
	v_mul_f64 v[22:23], v[10:11], v[10:11]
	v_fma_f64 v[12:13], v[10:11], v[12:13], s[0:1]
	v_fma_f64 v[16:17], v[5:6], -v[7:8], v[16:17]
	s_mov_b32 s1, 0xbfc55555
	v_fma_f64 v[7:8], v[10:11], v[14:15], -v[7:8]
	v_fma_f64 v[10:11], v[22:23], v[12:13], v[16:17]
	v_fma_f64 v[7:8], v[24:25], s[0:1], v[7:8]
	s_movk_i32 s0, 0x1f8
	v_cmp_class_f64_e64 s[0:1], v[3:4], s0
	v_lshlrev_b32_e32 v3, 30, v9
	v_xor_b32_e32 v3, v3, v4
	v_add_f64 v[10:11], v[20:21], v[10:11]
	v_and_b32_e32 v3, 0x80000000, v3
	v_add_f64 v[5:6], v[5:6], -v[7:8]
	v_and_b32_e32 v7, 1, v9
	v_cmp_eq_u32_e32 vcc, 0, v7
	v_mov_b32_e32 v7, 0x7ff80000
	v_cndmask_b32_e32 v4, v11, v6, vcc
	v_cndmask_b32_e32 v5, v10, v5, vcc
	v_xor_b32_e32 v4, v4, v3
	v_cndmask_b32_e64 v3, 0, v5, s[0:1]
	v_cndmask_b32_e64 v4, v7, v4, s[0:1]
	v_mul_f64 v[3:4], v[3:4], v[3:4]
	s_mov_b32 s0, 0xc9be45de
	s_mov_b32 s1, 0xc023bd3c
	v_div_scale_f64 v[5:6], s[6:7], v[3:4], v[3:4], s[0:1]
	v_rcp_f64_e32 v[7:8], v[5:6]
	v_fma_f64 v[9:10], -v[5:6], v[7:8], 1.0
	v_fma_f64 v[7:8], v[7:8], v[9:10], v[7:8]
	v_div_scale_f64 v[9:10], vcc, s[0:1], v[3:4], s[0:1]
	v_fma_f64 v[11:12], -v[5:6], v[7:8], 1.0
	v_fma_f64 v[7:8], v[7:8], v[11:12], v[7:8]
	v_mul_f64 v[11:12], v[9:10], v[7:8]
	v_fma_f64 v[5:6], -v[5:6], v[11:12], v[9:10]
	v_div_fmas_f64 v[5:6], v[5:6], v[7:8], v[11:12]
	v_div_fixup_f64 v[3:4], v[5:6], v[3:4], s[0:1]
	v_add_f64 v[5:6], v[3:4], 0
	v_mov_b32_e32 v3, 0
	v_mov_b32_e32 v4, 0xbff00000
.LBB49_31:
	s_or_b64 exec, exec, s[2:3]
	v_add_f64 v[9:10], v[0:1], 1.0
	v_mul_f64 v[7:8], v[0:1], v[0:1]
	s_and_b32 s12, s73, 0xff
	s_cmp_lt_i32 s12, 11
	v_mul_f64 v[0:1], v[9:10], v[9:10]
	v_div_scale_f64 v[20:21], s[0:1], v[7:8], v[7:8], 1.0
	v_add_f64 v[11:12], v[9:10], 1.0
	v_div_scale_f64 v[36:37], vcc, 1.0, v[7:8], 1.0
	v_div_scale_f64 v[22:23], s[0:1], v[0:1], v[0:1], 1.0
	v_mul_f64 v[9:10], v[11:12], v[11:12]
	v_add_f64 v[13:14], v[11:12], 1.0
	v_rcp_f64_e32 v[15:16], v[20:21]
	v_div_scale_f64 v[24:25], s[0:1], v[9:10], v[9:10], 1.0
	v_mul_f64 v[11:12], v[13:14], v[13:14]
	v_add_f64 v[13:14], v[13:14], 1.0
	v_rcp_f64_e32 v[17:18], v[22:23]
	v_div_scale_f64 v[26:27], s[0:1], v[11:12], v[11:12], 1.0
	v_add_f64 v[32:33], v[13:14], 1.0
	v_mul_f64 v[13:14], v[13:14], v[13:14]
	v_fma_f64 v[28:29], -v[20:21], v[15:16], 1.0
	v_div_scale_f64 v[40:41], s[0:1], 1.0, v[0:1], 1.0
	v_rcp_f64_e32 v[30:31], v[24:25]
	v_div_scale_f64 v[44:45], s[2:3], v[13:14], v[13:14], 1.0
	v_fma_f64 v[34:35], -v[22:23], v[17:18], 1.0
	v_fma_f64 v[28:29], v[15:16], v[28:29], v[15:16]
	v_add_f64 v[15:16], v[32:33], 1.0
	v_rcp_f64_e32 v[38:39], v[26:27]
	v_fma_f64 v[34:35], v[17:18], v[34:35], v[17:18]
	v_mul_f64 v[17:18], v[32:33], v[32:33]
	v_fma_f64 v[32:33], -v[20:21], v[28:29], 1.0
	v_fma_f64 v[42:43], -v[24:25], v[30:31], 1.0
	v_mul_f64 v[48:49], v[15:16], v[15:16]
	v_add_f64 v[52:53], v[15:16], v[15:16]
	v_fma_f64 v[46:47], -v[22:23], v[34:35], 1.0
	v_div_scale_f64 v[50:51], s[2:3], v[17:18], v[17:18], 1.0
	v_fma_f64 v[28:29], v[28:29], v[32:33], v[28:29]
	v_fma_f64 v[30:31], v[30:31], v[42:43], v[30:31]
	v_fma_f64 v[32:33], -v[26:27], v[38:39], 1.0
	v_div_scale_f64 v[42:43], s[2:3], v[48:49], v[48:49], 1.0
	v_fma_f64 v[34:35], v[34:35], v[46:47], v[34:35]
	v_div_scale_f64 v[46:47], s[2:3], 1.0, v[9:10], 1.0
	v_mul_f64 v[54:55], v[36:37], v[28:29]
	v_fma_f64 v[56:57], -v[24:25], v[30:31], 1.0
	v_fma_f64 v[32:33], v[38:39], v[32:33], v[38:39]
	v_div_scale_f64 v[58:59], s[6:7], v[52:53], v[52:53], 1.0
	v_mul_f64 v[38:39], v[40:41], v[34:35]
	v_fma_f64 v[20:21], -v[20:21], v[54:55], v[36:37]
	v_rcp_f64_e32 v[36:37], v[44:45]
	v_fma_f64 v[30:31], v[30:31], v[56:57], v[30:31]
	v_rcp_f64_e32 v[56:57], v[50:51]
	v_fma_f64 v[22:23], -v[22:23], v[38:39], v[40:41]
	v_rcp_f64_e32 v[40:41], v[42:43]
	v_div_fmas_f64 v[20:21], v[20:21], v[28:29], v[54:55]
	s_mov_b64 vcc, s[0:1]
	v_fma_f64 v[28:29], -v[26:27], v[32:33], 1.0
	v_mul_f64 v[54:55], v[46:47], v[30:31]
	v_div_fmas_f64 v[22:23], v[22:23], v[34:35], v[38:39]
	v_rcp_f64_e32 v[34:35], v[58:59]
	v_div_scale_f64 v[38:39], s[0:1], 1.0, v[11:12], 1.0
	s_mov_b64 vcc, s[2:3]
	v_fma_f64 v[28:29], v[32:33], v[28:29], v[32:33]
	v_fma_f64 v[32:33], -v[44:45], v[36:37], 1.0
	v_fma_f64 v[24:25], -v[24:25], v[54:55], v[46:47]
	v_fma_f64 v[46:47], -v[50:51], v[56:57], 1.0
	v_div_fixup_f64 v[7:8], v[20:21], v[7:8], 1.0
	v_fma_f64 v[32:33], v[36:37], v[32:33], v[36:37]
	v_fma_f64 v[36:37], -v[42:43], v[40:41], 1.0
	v_fma_f64 v[46:47], v[56:57], v[46:47], v[56:57]
	v_fma_f64 v[56:57], -v[58:59], v[34:35], 1.0
	v_div_fmas_f64 v[24:25], v[24:25], v[30:31], v[54:55]
	v_mul_f64 v[30:31], v[38:39], v[28:29]
	s_mov_b64 vcc, s[0:1]
	v_add_f64 v[5:6], v[5:6], v[7:8]
	v_fma_f64 v[54:55], -v[44:45], v[32:33], 1.0
	v_fma_f64 v[36:37], v[40:41], v[36:37], v[40:41]
	v_fma_f64 v[40:41], -v[50:51], v[46:47], 1.0
	v_fma_f64 v[34:35], v[34:35], v[56:57], v[34:35]
	v_div_scale_f64 v[56:57], s[2:3], 1.0, v[13:14], 1.0
	v_fma_f64 v[26:27], -v[26:27], v[30:31], v[38:39]
	v_div_scale_f64 v[38:39], s[6:7], 1.0, v[17:18], 1.0
	v_fma_f64 v[32:33], v[32:33], v[54:55], v[32:33]
	v_fma_f64 v[40:41], v[46:47], v[40:41], v[46:47]
	v_fma_f64 v[46:47], -v[42:43], v[36:37], 1.0
	v_div_scale_f64 v[54:55], s[8:9], 1.0, v[48:49], 1.0
	v_div_fmas_f64 v[26:27], v[26:27], v[28:29], v[30:31]
	v_fma_f64 v[28:29], -v[58:59], v[34:35], 1.0
	v_div_scale_f64 v[30:31], s[0:1], 1.0, v[52:53], 1.0
	s_mov_b64 vcc, s[2:3]
	v_fma_f64 v[36:37], v[36:37], v[46:47], v[36:37]
	v_mul_f64 v[46:47], v[56:57], v[32:33]
	v_div_fixup_f64 v[0:1], v[22:23], v[0:1], 1.0
	v_fma_f64 v[28:29], v[34:35], v[28:29], v[34:35]
	v_mul_f64 v[34:35], v[38:39], v[40:41]
	v_fma_f64 v[44:45], -v[44:45], v[46:47], v[56:57]
	v_mul_f64 v[56:57], v[54:55], v[36:37]
	v_add_f64 v[0:1], v[5:6], v[0:1]
	v_div_fixup_f64 v[5:6], v[24:25], v[9:10], 1.0
	v_fma_f64 v[38:39], -v[50:51], v[34:35], v[38:39]
	v_mul_f64 v[50:51], v[30:31], v[28:29]
	v_div_fmas_f64 v[32:33], v[44:45], v[32:33], v[46:47]
	v_fma_f64 v[42:43], -v[42:43], v[56:57], v[54:55]
	s_mov_b64 vcc, s[6:7]
	v_add_f64 v[0:1], v[0:1], v[5:6]
	v_div_fmas_f64 v[34:35], v[38:39], v[40:41], v[34:35]
	s_mov_b64 vcc, s[8:9]
	v_fma_f64 v[30:31], -v[58:59], v[50:51], v[30:31]
	v_div_fixup_f64 v[5:6], v[26:27], v[11:12], 1.0
	v_div_fmas_f64 v[36:37], v[42:43], v[36:37], v[56:57]
	s_mov_b64 vcc, s[0:1]
	s_mov_b32 s0, 0x18618618
	s_mov_b32 s1, 0xbf986186
	v_div_fmas_f64 v[28:29], v[30:31], v[28:29], v[50:51]
	v_add_f64 v[0:1], v[0:1], v[5:6]
	v_div_fixup_f64 v[5:6], v[32:33], v[13:14], 1.0
	v_add_f64 v[0:1], v[0:1], v[5:6]
	v_div_fixup_f64 v[30:31], v[36:37], v[48:49], 1.0
	v_mov_b32_e32 v36, 0x11111111
	v_mov_b32_e32 v37, 0x3fa11111
	v_div_fixup_f64 v[5:6], v[34:35], v[17:18], 1.0
	v_div_fixup_f64 v[28:29], v[28:29], v[52:53], 1.0
	v_fma_f64 v[36:37], v[30:31], s[0:1], v[36:37]
	s_mov_b32 s0, 0x55555555
	s_mov_b32 s1, 0x3fc55555
	v_add_f64 v[0:1], v[0:1], v[5:6]
	v_add_f64 v[28:29], v[28:29], 1.0
	v_fma_f64 v[36:37], -v[30:31], v[36:37], s[0:1]
	v_fma_f64 v[28:29], v[30:31], v[36:37], v[28:29]
	v_div_scale_f64 v[30:31], s[0:1], v[15:16], v[15:16], v[28:29]
	v_rcp_f64_e32 v[36:37], v[30:31]
	v_fma_f64 v[38:39], -v[30:31], v[36:37], 1.0
	v_fma_f64 v[36:37], v[36:37], v[38:39], v[36:37]
	v_div_scale_f64 v[38:39], vcc, v[28:29], v[15:16], v[28:29]
	v_fma_f64 v[20:21], -v[30:31], v[36:37], 1.0
	v_fma_f64 v[7:8], v[36:37], v[20:21], v[36:37]
	v_mul_f64 v[9:10], v[38:39], v[7:8]
	v_fma_f64 v[11:12], -v[30:31], v[9:10], v[38:39]
	v_div_fmas_f64 v[7:8], v[11:12], v[7:8], v[9:10]
	v_div_fixup_f64 v[5:6], v[7:8], v[15:16], v[28:29]
	v_add_f64 v[0:1], v[0:1], v[5:6]
	v_mul_f64 v[0:1], v[3:4], v[0:1]
	v_mov_b32_e32 v3, s25
	v_add_co_u32_e32 v4, vcc, s24, v2
	v_addc_co_u32_e32 v5, vcc, 0, v3, vcc
	s_cbranch_scc1 .LBB49_39
; %bb.32:
	s_and_b32 s13, 0xffff, s12
	s_cmp_gt_i32 s13, 25
	s_cbranch_scc0 .LBB49_42
; %bb.33:
	s_cmp_gt_i32 s13, 28
	s_cbranch_scc0 .LBB49_44
; %bb.34:
	;; [unrolled: 3-line block ×4, first 2 shown]
	s_mov_b64 s[6:7], 0
	s_mov_b64 s[0:1], -1
	s_cmp_eq_u32 s13, 46
	s_mov_b64 s[2:3], 0
	s_cbranch_scc0 .LBB49_53
; %bb.37:
	v_cvt_f32_f64_e32 v2, v[0:1]
	s_movk_i32 s0, 0x7fff
	v_mov_b32_e32 v3, 0x7fc0
	s_mov_b64 s[2:3], -1
	v_bfe_u32 v6, v2, 16, 1
	v_cmp_o_f32_e32 vcc, v2, v2
	v_add3_u32 v2, v2, v6, s0
	v_cndmask_b32_sdwa v2, v3, v2, vcc dst_sel:DWORD dst_unused:UNUSED_PAD src0_sel:DWORD src1_sel:WORD_1
	global_store_dword v[4:5], v2, off
	s_mov_b64 s[0:1], 0
	s_branch .LBB49_53
.LBB49_38:
	s_mov_b64 s[10:11], 0
	s_mov_b64 s[0:1], 0
                                        ; implicit-def: $vgpr0_vgpr1
	s_cbranch_execnz .LBB49_189
	s_branch .LBB49_221
.LBB49_39:
	s_mov_b64 s[0:1], 0
	s_mov_b64 s[2:3], 0
	s_cbranch_execnz .LBB49_122
.LBB49_40:
	s_andn2_b64 vcc, exec, s[2:3]
	s_cbranch_vccnz .LBB49_270
	s_branch .LBB49_160
.LBB49_41:
	s_mov_b64 s[2:3], -1
	s_mov_b64 s[10:11], 0
	s_mov_b64 s[0:1], 0
                                        ; implicit-def: $vgpr0_vgpr1
	s_branch .LBB49_168
.LBB49_42:
	s_mov_b64 s[6:7], -1
	s_mov_b64 s[0:1], 0
	s_mov_b64 s[2:3], 0
	s_branch .LBB49_80
.LBB49_43:
	s_mov_b64 s[2:3], -1
	s_mov_b64 s[10:11], 0
	s_mov_b64 s[0:1], 0
                                        ; implicit-def: $vgpr0_vgpr1
	s_branch .LBB49_163
.LBB49_44:
	s_mov_b64 s[6:7], -1
	s_mov_b64 s[0:1], 0
	s_mov_b64 s[2:3], 0
	s_branch .LBB49_63
.LBB49_45:
	s_mov_b64 s[2:3], -1
	s_mov_b64 s[10:11], 0
	s_branch .LBB49_48
.LBB49_46:
	s_mov_b64 s[6:7], -1
	s_mov_b64 s[0:1], 0
	s_mov_b64 s[2:3], 0
	s_branch .LBB49_59
.LBB49_47:
	s_mov_b64 s[10:11], -1
.LBB49_48:
	s_mov_b64 s[0:1], 0
                                        ; implicit-def: $vgpr0_vgpr1
.LBB49_49:
	s_and_b64 vcc, exec, s[2:3]
	s_cbranch_vccz .LBB49_162
; %bb.50:
	s_cmp_eq_u32 s8, 44
	s_cbranch_scc0 .LBB49_161
; %bb.51:
	global_load_ubyte v5, v[3:4], off
	s_movk_i32 s2, 0xff
	v_bfrev_b32_e32 v6, 4
	v_mov_b32_e32 v7, 0x7ff80000
	v_bfrev_b32_e32 v8, 28
	s_mov_b64 s[0:1], -1
	s_mov_b64 s[10:11], 0
	s_waitcnt vmcnt(0)
	v_lshlrev_b32_e32 v0, 23, v5
	v_cvt_f64_f32_e32 v[0:1], v0
	v_cmp_ne_u32_e32 vcc, s2, v5
	v_cndmask_b32_e32 v0, v6, v0, vcc
	v_cndmask_b32_e32 v1, v7, v1, vcc
	v_cmp_ne_u32_e32 vcc, 0, v5
	v_cndmask_b32_e32 v1, v8, v1, vcc
	v_cndmask_b32_e32 v0, 0, v0, vcc
	s_branch .LBB49_162
.LBB49_52:
	s_mov_b64 s[6:7], -1
	s_mov_b64 s[0:1], 0
	s_mov_b64 s[2:3], 0
.LBB49_53:
	s_and_b64 vcc, exec, s[6:7]
	s_cbranch_vccz .LBB49_58
; %bb.54:
	s_cmp_eq_u32 s13, 44
	s_mov_b64 s[0:1], -1
	s_cbranch_scc0 .LBB49_58
; %bb.55:
	v_cvt_f32_f64_e32 v2, v[0:1]
	s_movk_i32 s0, 0xff
	v_mov_b32_e32 v6, 0xff
	v_bfe_u32 v3, v2, 23, 8
	v_cmp_ne_u32_e32 vcc, s0, v3
	s_and_saveexec_b64 s[2:3], vcc
; %bb.56:
	s_mov_b32 s0, 0x3fffff
	v_lshrrev_b32_e32 v6, 23, v2
	v_and_b32_e32 v7, 0x400000, v2
	v_and_or_b32 v2, v2, s0, v3
	v_cmp_ne_u32_e32 vcc, 0, v7
	v_cmp_ne_u32_e64 s[0:1], 0, v2
	s_and_b64 s[0:1], vcc, s[0:1]
	v_cndmask_b32_e64 v2, 0, 1, s[0:1]
	v_add_u32_e32 v6, v6, v2
; %bb.57:
	s_or_b64 exec, exec, s[2:3]
	s_mov_b64 s[2:3], -1
	s_mov_b64 s[0:1], 0
	global_store_byte v[4:5], v6, off
.LBB49_58:
	s_mov_b64 s[6:7], 0
.LBB49_59:
	s_and_b64 vcc, exec, s[6:7]
	s_cbranch_vccz .LBB49_62
; %bb.60:
	s_cmp_eq_u32 s13, 29
	s_mov_b64 s[0:1], -1
	s_cbranch_scc0 .LBB49_62
; %bb.61:
	v_trunc_f64_e32 v[2:3], v[0:1]
	s_movk_i32 s0, 0xffe0
	s_mov_b64 s[2:3], -1
	s_mov_b64 s[6:7], 0
	v_ldexp_f64 v[6:7], v[2:3], s0
	s_mov_b32 s0, 0
	s_mov_b32 s1, 0xc1f00000
	v_floor_f64_e32 v[6:7], v[6:7]
	v_fma_f64 v[2:3], v[6:7], s[0:1], v[2:3]
	v_cvt_u32_f64_e32 v7, v[6:7]
	s_mov_b64 s[0:1], 0
	v_cvt_u32_f64_e32 v6, v[2:3]
	global_store_dwordx2 v[4:5], v[6:7], off
	s_branch .LBB49_63
.LBB49_62:
	s_mov_b64 s[6:7], 0
.LBB49_63:
	s_and_b64 vcc, exec, s[6:7]
	s_cbranch_vccz .LBB49_79
; %bb.64:
	s_cmp_lt_i32 s13, 27
	s_mov_b64 s[2:3], -1
	s_cbranch_scc1 .LBB49_70
; %bb.65:
	v_cvt_u32_f64_e32 v2, v[0:1]
	s_cmp_gt_i32 s13, 27
	s_cbranch_scc0 .LBB49_67
; %bb.66:
	s_mov_b64 s[2:3], 0
	global_store_dword v[4:5], v2, off
.LBB49_67:
	s_andn2_b64 vcc, exec, s[2:3]
	s_cbranch_vccnz .LBB49_69
; %bb.68:
	global_store_short v[4:5], v2, off
.LBB49_69:
	s_mov_b64 s[2:3], 0
.LBB49_70:
	s_andn2_b64 vcc, exec, s[2:3]
	s_cbranch_vccnz .LBB49_78
; %bb.71:
	v_cvt_f32_f64_e32 v2, v[0:1]
	s_mov_b32 s2, 0x43800000
	v_mov_b32_e32 v6, 0x80
	v_and_b32_e32 v3, 0x7fffffff, v2
	v_cmp_gt_u32_e32 vcc, s2, v3
	s_and_saveexec_b64 s[2:3], vcc
	s_cbranch_execz .LBB49_77
; %bb.72:
	s_mov_b32 s6, 0x3bffffff
	v_cmp_lt_u32_e32 vcc, s6, v3
	s_mov_b64 s[6:7], 0
                                        ; implicit-def: $vgpr3
	s_and_saveexec_b64 s[8:9], vcc
	s_xor_b64 s[8:9], exec, s[8:9]
	s_cbranch_execz .LBB49_319
; %bb.73:
	v_bfe_u32 v3, v2, 20, 1
	s_mov_b32 s14, 0x487ffff
	v_add3_u32 v3, v2, v3, s14
	s_mov_b64 s[6:7], exec
	v_lshrrev_b32_e32 v3, 20, v3
	s_andn2_saveexec_b64 s[8:9], s[8:9]
	s_cbranch_execnz .LBB49_320
.LBB49_74:
	s_or_b64 exec, exec, s[8:9]
	v_mov_b32_e32 v6, 0
	s_and_saveexec_b64 s[8:9], s[6:7]
.LBB49_75:
	v_lshrrev_b32_e32 v2, 24, v2
	s_movk_i32 s6, 0x80
	v_and_or_b32 v6, v2, s6, v3
.LBB49_76:
	s_or_b64 exec, exec, s[8:9]
.LBB49_77:
	s_or_b64 exec, exec, s[2:3]
	global_store_byte v[4:5], v6, off
.LBB49_78:
	s_mov_b64 s[2:3], -1
.LBB49_79:
	s_mov_b64 s[6:7], 0
.LBB49_80:
	s_and_b64 vcc, exec, s[6:7]
	s_cbranch_vccz .LBB49_121
; %bb.81:
	s_cmp_gt_i32 s13, 22
	s_mov_b64 s[6:7], -1
	s_cbranch_scc0 .LBB49_113
; %bb.82:
	s_cmp_lt_i32 s13, 24
	s_mov_b64 s[2:3], -1
	s_cbranch_scc1 .LBB49_102
; %bb.83:
	s_cmp_gt_i32 s13, 24
	s_cbranch_scc0 .LBB49_91
; %bb.84:
	v_cvt_f32_f64_e32 v2, v[0:1]
	s_mov_b32 s2, 0x47800000
	v_mov_b32_e32 v6, 0x80
	v_and_b32_e32 v3, 0x7fffffff, v2
	v_cmp_gt_u32_e32 vcc, s2, v3
	s_and_saveexec_b64 s[2:3], vcc
	s_cbranch_execz .LBB49_90
; %bb.85:
	s_mov_b32 s6, 0x37ffffff
	v_cmp_lt_u32_e32 vcc, s6, v3
	s_mov_b64 s[6:7], 0
                                        ; implicit-def: $vgpr3
	s_and_saveexec_b64 s[8:9], vcc
	s_xor_b64 s[8:9], exec, s[8:9]
	s_cbranch_execz .LBB49_323
; %bb.86:
	v_bfe_u32 v3, v2, 21, 1
	s_mov_b32 s14, 0x88fffff
	v_add3_u32 v3, v2, v3, s14
	s_mov_b64 s[6:7], exec
	v_lshrrev_b32_e32 v3, 21, v3
	s_andn2_saveexec_b64 s[8:9], s[8:9]
	s_cbranch_execnz .LBB49_324
.LBB49_87:
	s_or_b64 exec, exec, s[8:9]
	v_mov_b32_e32 v6, 0
	s_and_saveexec_b64 s[8:9], s[6:7]
.LBB49_88:
	v_lshrrev_b32_e32 v2, 24, v2
	s_movk_i32 s6, 0x80
	v_and_or_b32 v6, v2, s6, v3
.LBB49_89:
	s_or_b64 exec, exec, s[8:9]
.LBB49_90:
	s_or_b64 exec, exec, s[2:3]
	s_mov_b64 s[2:3], 0
	global_store_byte v[4:5], v6, off
.LBB49_91:
	s_and_b64 vcc, exec, s[2:3]
	s_cbranch_vccz .LBB49_101
; %bb.92:
	v_cvt_f32_f64_e32 v2, v[0:1]
	s_mov_b32 s2, 0x43f00000
                                        ; implicit-def: $vgpr3
	v_and_b32_e32 v6, 0x7fffffff, v2
	v_cmp_gt_u32_e32 vcc, s2, v6
	s_and_saveexec_b64 s[2:3], vcc
	s_xor_b64 s[2:3], exec, s[2:3]
	s_cbranch_execz .LBB49_98
; %bb.93:
	s_mov_b32 s6, 0x3c7fffff
	v_cmp_lt_u32_e32 vcc, s6, v6
                                        ; implicit-def: $vgpr3
	s_and_saveexec_b64 s[6:7], vcc
	s_xor_b64 s[6:7], exec, s[6:7]
; %bb.94:
	v_bfe_u32 v3, v2, 20, 1
	s_mov_b32 s8, 0x407ffff
	v_add3_u32 v3, v2, v3, s8
	v_lshrrev_b32_e32 v6, 20, v3
	v_and_b32_e32 v3, 0xff00000, v3
	s_mov_b32 s8, 0x7f00000
	v_mov_b32_e32 v7, 0x7e
	v_cmp_ne_u32_e32 vcc, s8, v3
	v_cndmask_b32_e32 v3, v7, v6, vcc
; %bb.95:
	s_andn2_saveexec_b64 s[6:7], s[6:7]
; %bb.96:
	s_mov_b32 s8, 0x46800000
	v_add_f32_e64 v3, |v2|, s8
; %bb.97:
	s_or_b64 exec, exec, s[6:7]
                                        ; implicit-def: $vgpr6
.LBB49_98:
	s_andn2_saveexec_b64 s[2:3], s[2:3]
; %bb.99:
	s_mov_b32 s6, 0x7f800000
	v_mov_b32_e32 v3, 0x7e
	v_mov_b32_e32 v7, 0x7f
	v_cmp_lt_u32_e32 vcc, s6, v6
	v_cndmask_b32_e32 v3, v3, v7, vcc
; %bb.100:
	s_or_b64 exec, exec, s[2:3]
	v_lshrrev_b32_e32 v2, 24, v2
	s_movk_i32 s2, 0x80
	v_and_or_b32 v2, v2, s2, v3
	global_store_byte v[4:5], v2, off
.LBB49_101:
	s_mov_b64 s[2:3], 0
.LBB49_102:
	s_andn2_b64 vcc, exec, s[2:3]
	s_cbranch_vccnz .LBB49_112
; %bb.103:
	v_cvt_f32_f64_e32 v2, v[0:1]
	s_mov_b32 s2, 0x47800000
                                        ; implicit-def: $vgpr3
	v_and_b32_e32 v6, 0x7fffffff, v2
	v_cmp_gt_u32_e32 vcc, s2, v6
	s_and_saveexec_b64 s[2:3], vcc
	s_xor_b64 s[2:3], exec, s[2:3]
	s_cbranch_execz .LBB49_109
; %bb.104:
	s_mov_b32 s6, 0x387fffff
	v_cmp_lt_u32_e32 vcc, s6, v6
                                        ; implicit-def: $vgpr3
	s_and_saveexec_b64 s[6:7], vcc
	s_xor_b64 s[6:7], exec, s[6:7]
; %bb.105:
	v_bfe_u32 v3, v2, 21, 1
	s_mov_b32 s8, 0x80fffff
	v_add3_u32 v3, v2, v3, s8
	v_lshrrev_b32_e32 v3, 21, v3
; %bb.106:
	s_andn2_saveexec_b64 s[6:7], s[6:7]
; %bb.107:
	s_mov_b32 s8, 0x43000000
	v_add_f32_e64 v3, |v2|, s8
; %bb.108:
	s_or_b64 exec, exec, s[6:7]
                                        ; implicit-def: $vgpr6
.LBB49_109:
	s_andn2_saveexec_b64 s[2:3], s[2:3]
; %bb.110:
	s_mov_b32 s6, 0x7f800000
	v_mov_b32_e32 v3, 0x7c
	v_mov_b32_e32 v7, 0x7f
	v_cmp_lt_u32_e32 vcc, s6, v6
	v_cndmask_b32_e32 v3, v3, v7, vcc
; %bb.111:
	s_or_b64 exec, exec, s[2:3]
	v_lshrrev_b32_e32 v2, 24, v2
	s_movk_i32 s2, 0x80
	v_and_or_b32 v2, v2, s2, v3
	global_store_byte v[4:5], v2, off
.LBB49_112:
	s_mov_b64 s[6:7], 0
	s_mov_b64 s[2:3], -1
.LBB49_113:
	s_andn2_b64 vcc, exec, s[6:7]
	s_cbranch_vccnz .LBB49_121
; %bb.114:
	s_cmp_gt_i32 s13, 14
	s_mov_b64 s[6:7], -1
	s_cbranch_scc0 .LBB49_118
; %bb.115:
	s_cmp_eq_u32 s13, 15
	s_mov_b64 s[0:1], -1
	s_cbranch_scc0 .LBB49_117
; %bb.116:
	v_cvt_f32_f64_e32 v2, v[0:1]
	s_movk_i32 s0, 0x7fff
	v_mov_b32_e32 v3, 0x7fc0
	s_mov_b64 s[2:3], -1
	v_bfe_u32 v6, v2, 16, 1
	v_cmp_o_f32_e32 vcc, v2, v2
	v_add3_u32 v2, v2, v6, s0
	v_cndmask_b32_sdwa v2, v3, v2, vcc dst_sel:DWORD dst_unused:UNUSED_PAD src0_sel:DWORD src1_sel:WORD_1
	global_store_short v[4:5], v2, off
	s_mov_b64 s[0:1], 0
.LBB49_117:
	s_mov_b64 s[6:7], 0
.LBB49_118:
	s_and_b64 vcc, exec, s[6:7]
	s_cbranch_vccz .LBB49_121
; %bb.119:
	s_cmp_eq_u32 s13, 11
	s_mov_b64 s[0:1], -1
	s_cbranch_scc0 .LBB49_121
; %bb.120:
	v_cmp_neq_f64_e32 vcc, 0, v[0:1]
	s_mov_b64 s[0:1], 0
	s_mov_b64 s[2:3], -1
	v_cndmask_b32_e64 v2, 0, 1, vcc
	global_store_byte v[4:5], v2, off
.LBB49_121:
	s_branch .LBB49_40
.LBB49_122:
	s_and_b32 s6, 0xffff, s12
	s_cmp_lt_i32 s6, 5
	s_mov_b64 s[2:3], -1
	s_cbranch_scc1 .LBB49_143
; %bb.123:
	s_cmp_lt_i32 s6, 8
	s_cbranch_scc1 .LBB49_133
; %bb.124:
	s_cmp_lt_i32 s6, 9
	s_cbranch_scc1 .LBB49_130
; %bb.125:
	s_cmp_gt_i32 s6, 9
	s_cbranch_scc0 .LBB49_127
; %bb.126:
	v_mov_b32_e32 v2, 0
	v_mov_b32_e32 v3, v2
	global_store_dwordx4 v[4:5], v[0:3], off
	s_mov_b64 s[2:3], 0
.LBB49_127:
	s_andn2_b64 vcc, exec, s[2:3]
	s_cbranch_vccnz .LBB49_129
; %bb.128:
	v_cvt_f32_f64_e32 v2, v[0:1]
	v_mov_b32_e32 v3, 0
	global_store_dwordx2 v[4:5], v[2:3], off
.LBB49_129:
	s_mov_b64 s[2:3], 0
.LBB49_130:
	s_andn2_b64 vcc, exec, s[2:3]
	s_cbranch_vccnz .LBB49_132
; %bb.131:
	s_movk_i32 s2, 0x1ff
	v_and_or_b32 v2, v1, s2, v0
	v_cmp_ne_u32_e32 vcc, 0, v2
	v_cndmask_b32_e64 v2, 0, 1, vcc
	v_lshrrev_b32_e32 v3, 8, v1
	s_movk_i32 s2, 0xffe
	v_bfe_u32 v6, v1, 20, 11
	v_and_or_b32 v2, v3, s2, v2
	v_sub_u32_e32 v7, 0x3f1, v6
	v_or_b32_e32 v3, 0x1000, v2
	v_med3_i32 v7, v7, 0, 13
	v_lshrrev_b32_e32 v8, v7, v3
	v_lshlrev_b32_e32 v7, v7, v8
	v_cmp_ne_u32_e32 vcc, v7, v3
	v_cndmask_b32_e64 v3, 0, 1, vcc
	v_add_u32_e32 v6, 0xfffffc10, v6
	v_or_b32_e32 v3, v8, v3
	v_lshl_or_b32 v7, v6, 12, v2
	v_cmp_gt_i32_e32 vcc, 1, v6
	v_cndmask_b32_e32 v3, v7, v3, vcc
	v_and_b32_e32 v7, 7, v3
	v_cmp_lt_i32_e32 vcc, 5, v7
	v_cndmask_b32_e64 v8, 0, 1, vcc
	v_cmp_eq_u32_e32 vcc, 3, v7
	v_cndmask_b32_e64 v7, 0, 1, vcc
	v_or_b32_e32 v7, v7, v8
	v_lshrrev_b32_e32 v3, 2, v3
	v_add_u32_e32 v3, v3, v7
	v_mov_b32_e32 v7, 0x7c00
	v_cmp_gt_i32_e32 vcc, 31, v6
	v_cndmask_b32_e32 v3, v7, v3, vcc
	v_mov_b32_e32 v8, 0x7e00
	v_cmp_ne_u32_e32 vcc, 0, v2
	s_movk_i32 s2, 0x40f
	v_cndmask_b32_e32 v2, v7, v8, vcc
	v_cmp_eq_u32_e32 vcc, s2, v6
	v_cndmask_b32_e32 v2, v3, v2, vcc
	v_lshrrev_b32_e32 v3, 16, v1
	s_mov_b32 s2, 0x8000
	v_and_or_b32 v2, v3, s2, v2
	v_and_b32_e32 v2, 0xffff, v2
	global_store_dword v[4:5], v2, off
.LBB49_132:
	s_mov_b64 s[2:3], 0
.LBB49_133:
	s_andn2_b64 vcc, exec, s[2:3]
	s_cbranch_vccnz .LBB49_142
; %bb.134:
	s_cmp_lt_i32 s6, 6
	s_mov_b64 s[2:3], -1
	s_cbranch_scc1 .LBB49_140
; %bb.135:
	s_cmp_gt_i32 s6, 6
	s_cbranch_scc0 .LBB49_137
; %bb.136:
	global_store_dwordx2 v[4:5], v[0:1], off
	s_mov_b64 s[2:3], 0
.LBB49_137:
	s_andn2_b64 vcc, exec, s[2:3]
	s_cbranch_vccnz .LBB49_139
; %bb.138:
	v_cvt_f32_f64_e32 v2, v[0:1]
	global_store_dword v[4:5], v2, off
.LBB49_139:
	s_mov_b64 s[2:3], 0
.LBB49_140:
	s_andn2_b64 vcc, exec, s[2:3]
	s_cbranch_vccnz .LBB49_142
; %bb.141:
	s_movk_i32 s2, 0x1ff
	v_and_or_b32 v2, v1, s2, v0
	v_cmp_ne_u32_e32 vcc, 0, v2
	v_cndmask_b32_e64 v2, 0, 1, vcc
	v_lshrrev_b32_e32 v3, 8, v1
	s_movk_i32 s2, 0xffe
	v_bfe_u32 v6, v1, 20, 11
	v_and_or_b32 v2, v3, s2, v2
	v_sub_u32_e32 v7, 0x3f1, v6
	v_or_b32_e32 v3, 0x1000, v2
	v_med3_i32 v7, v7, 0, 13
	v_lshrrev_b32_e32 v8, v7, v3
	v_lshlrev_b32_e32 v7, v7, v8
	v_cmp_ne_u32_e32 vcc, v7, v3
	v_cndmask_b32_e64 v3, 0, 1, vcc
	v_add_u32_e32 v6, 0xfffffc10, v6
	v_or_b32_e32 v3, v8, v3
	v_lshl_or_b32 v7, v6, 12, v2
	v_cmp_gt_i32_e32 vcc, 1, v6
	v_cndmask_b32_e32 v3, v7, v3, vcc
	v_and_b32_e32 v7, 7, v3
	v_cmp_lt_i32_e32 vcc, 5, v7
	v_cndmask_b32_e64 v8, 0, 1, vcc
	v_cmp_eq_u32_e32 vcc, 3, v7
	v_cndmask_b32_e64 v7, 0, 1, vcc
	v_or_b32_e32 v7, v7, v8
	v_lshrrev_b32_e32 v3, 2, v3
	v_add_u32_e32 v3, v3, v7
	v_mov_b32_e32 v7, 0x7c00
	v_cmp_gt_i32_e32 vcc, 31, v6
	v_cndmask_b32_e32 v3, v7, v3, vcc
	v_mov_b32_e32 v8, 0x7e00
	v_cmp_ne_u32_e32 vcc, 0, v2
	s_movk_i32 s2, 0x40f
	v_cndmask_b32_e32 v2, v7, v8, vcc
	v_cmp_eq_u32_e32 vcc, s2, v6
	v_cndmask_b32_e32 v2, v3, v2, vcc
	v_lshrrev_b32_e32 v3, 16, v1
	s_mov_b32 s2, 0x8000
	v_and_or_b32 v2, v3, s2, v2
	global_store_short v[4:5], v2, off
.LBB49_142:
	s_mov_b64 s[2:3], 0
.LBB49_143:
	s_andn2_b64 vcc, exec, s[2:3]
	s_cbranch_vccnz .LBB49_159
; %bb.144:
	s_cmp_lt_i32 s6, 2
	s_mov_b64 s[2:3], -1
	s_cbranch_scc1 .LBB49_154
; %bb.145:
	s_cmp_lt_i32 s6, 3
	s_cbranch_scc1 .LBB49_151
; %bb.146:
	s_cmp_gt_i32 s6, 3
	s_cbranch_scc0 .LBB49_148
; %bb.147:
	v_trunc_f64_e32 v[2:3], v[0:1]
	s_movk_i32 s2, 0xffe0
	v_ldexp_f64 v[6:7], v[2:3], s2
	s_mov_b32 s2, 0
	s_mov_b32 s3, 0xc1f00000
	v_floor_f64_e32 v[6:7], v[6:7]
	v_fma_f64 v[2:3], v[6:7], s[2:3], v[2:3]
	v_cvt_i32_f64_e32 v7, v[6:7]
	s_mov_b64 s[2:3], 0
	v_cvt_u32_f64_e32 v6, v[2:3]
	global_store_dwordx2 v[4:5], v[6:7], off
.LBB49_148:
	s_andn2_b64 vcc, exec, s[2:3]
	s_cbranch_vccnz .LBB49_150
; %bb.149:
	v_cvt_i32_f64_e32 v2, v[0:1]
	global_store_dword v[4:5], v2, off
.LBB49_150:
	s_mov_b64 s[2:3], 0
.LBB49_151:
	s_andn2_b64 vcc, exec, s[2:3]
	s_cbranch_vccnz .LBB49_153
; %bb.152:
	v_cvt_i32_f64_e32 v2, v[0:1]
	global_store_short v[4:5], v2, off
.LBB49_153:
	s_mov_b64 s[2:3], 0
.LBB49_154:
	s_andn2_b64 vcc, exec, s[2:3]
	s_cbranch_vccnz .LBB49_159
; %bb.155:
	s_cmp_gt_i32 s6, 0
	s_mov_b64 s[2:3], -1
	s_cbranch_scc0 .LBB49_157
; %bb.156:
	v_cvt_i32_f64_e32 v2, v[0:1]
	s_mov_b64 s[2:3], 0
	global_store_byte v[4:5], v2, off
.LBB49_157:
	s_andn2_b64 vcc, exec, s[2:3]
	s_cbranch_vccnz .LBB49_159
; %bb.158:
	v_trunc_f64_e32 v[0:1], v[0:1]
	s_movk_i32 s2, 0xffe0
	v_ldexp_f64 v[2:3], v[0:1], s2
	s_mov_b32 s2, 0
	s_mov_b32 s3, 0xc1f00000
	v_floor_f64_e32 v[2:3], v[2:3]
	v_fma_f64 v[0:1], v[2:3], s[2:3], v[0:1]
	v_cvt_u32_f64_e32 v0, v[0:1]
	global_store_byte v[4:5], v0, off
.LBB49_159:
.LBB49_160:
	v_add_u32_e32 v19, 0x80, v19
	s_mov_b64 s[2:3], -1
	s_branch .LBB49_271
.LBB49_161:
	s_mov_b64 s[10:11], -1
                                        ; implicit-def: $vgpr0_vgpr1
.LBB49_162:
	s_mov_b64 s[2:3], 0
.LBB49_163:
	s_and_b64 vcc, exec, s[2:3]
	s_cbranch_vccz .LBB49_167
; %bb.164:
	s_cmp_eq_u32 s8, 29
	s_cbranch_scc0 .LBB49_166
; %bb.165:
	global_load_dwordx2 v[0:1], v[3:4], off
	s_mov_b64 s[0:1], -1
	s_mov_b64 s[10:11], 0
	s_mov_b64 s[2:3], 0
	s_waitcnt vmcnt(0)
	v_cvt_f64_u32_e32 v[5:6], v1
	v_cvt_f64_u32_e32 v[0:1], v0
	v_ldexp_f64 v[5:6], v[5:6], 32
	v_add_f64 v[0:1], v[5:6], v[0:1]
	s_branch .LBB49_168
.LBB49_166:
	s_mov_b64 s[10:11], -1
                                        ; implicit-def: $vgpr0_vgpr1
.LBB49_167:
	s_mov_b64 s[2:3], 0
.LBB49_168:
	s_and_b64 vcc, exec, s[2:3]
	s_cbranch_vccz .LBB49_188
; %bb.169:
	s_cmp_lt_i32 s8, 27
	s_cbranch_scc1 .LBB49_172
; %bb.170:
	s_cmp_gt_i32 s8, 27
	s_cbranch_scc0 .LBB49_173
; %bb.171:
	global_load_dword v0, v[3:4], off
	s_mov_b64 s[0:1], 0
	s_waitcnt vmcnt(0)
	v_cvt_f64_u32_e32 v[0:1], v0
	s_branch .LBB49_174
.LBB49_172:
	s_mov_b64 s[0:1], -1
                                        ; implicit-def: $vgpr0_vgpr1
	s_branch .LBB49_177
.LBB49_173:
	s_mov_b64 s[0:1], -1
                                        ; implicit-def: $vgpr0_vgpr1
.LBB49_174:
	s_andn2_b64 vcc, exec, s[0:1]
	s_cbranch_vccnz .LBB49_176
; %bb.175:
	global_load_ushort v0, v[3:4], off
	s_waitcnt vmcnt(0)
	v_cvt_f64_u32_e32 v[0:1], v0
.LBB49_176:
	s_mov_b64 s[0:1], 0
.LBB49_177:
	s_andn2_b64 vcc, exec, s[0:1]
	s_cbranch_vccnz .LBB49_187
; %bb.178:
	global_load_ubyte v5, v[3:4], off
	s_movk_i32 s0, 0x7f
	s_waitcnt vmcnt(0)
	v_cmp_lt_i16_e32 vcc, s0, v5
	s_mov_b64 s[0:1], 0
	s_and_saveexec_b64 s[2:3], vcc
	s_xor_b64 s[2:3], exec, s[2:3]
	s_cbranch_execz .LBB49_182
; %bb.179:
	s_movk_i32 s0, 0x80
	v_cmp_eq_u16_e32 vcc, s0, v5
	s_mov_b64 s[0:1], -1
	s_and_saveexec_b64 s[6:7], vcc
; %bb.180:
	s_xor_b64 s[0:1], exec, -1
; %bb.181:
	s_or_b64 exec, exec, s[6:7]
	s_and_b64 s[0:1], s[0:1], exec
.LBB49_182:
	s_or_saveexec_b64 s[2:3], s[2:3]
	v_bfrev_b32_e32 v0, 4
	v_mov_b32_e32 v1, 0x7ff80000
	s_xor_b64 exec, exec, s[2:3]
; %bb.183:
	v_cmp_ne_u16_e32 vcc, 0, v5
	v_mov_b32_e32 v0, 0
	s_andn2_b64 s[0:1], s[0:1], exec
	s_and_b64 s[6:7], vcc, exec
	v_mov_b32_e32 v1, 0
	s_or_b64 s[0:1], s[0:1], s[6:7]
; %bb.184:
	s_or_b64 exec, exec, s[2:3]
	s_and_saveexec_b64 s[2:3], s[0:1]
	s_cbranch_execz .LBB49_186
; %bb.185:
	v_and_b32_e32 v1, 0xffff, v5
	v_lshlrev_b32_e32 v0, 24, v5
	v_and_b32_e32 v5, 7, v1
	v_ffbh_u32_e32 v7, v5
	v_min_u32_e32 v7, 32, v7
	v_subrev_u32_e32 v8, 28, v7
	v_bfe_u32 v6, v1, 3, 4
	v_lshlrev_b32_e32 v1, v8, v1
	v_sub_u32_e32 v7, 29, v7
	v_and_b32_e32 v1, 7, v1
	v_cmp_eq_u32_e32 vcc, 0, v6
	v_cndmask_b32_e32 v6, v6, v7, vcc
	v_cndmask_b32_e32 v1, v5, v1, vcc
	v_mov_b32_e32 v5, 0x3b800000
	v_lshlrev_b32_e32 v1, 20, v1
	v_and_b32_e32 v0, 0x80000000, v0
	v_lshl_add_u32 v5, v6, 23, v5
	v_or3_b32 v0, v0, v5, v1
	v_cvt_f64_f32_e32 v[0:1], v0
.LBB49_186:
	s_or_b64 exec, exec, s[2:3]
.LBB49_187:
	s_mov_b64 s[0:1], -1
.LBB49_188:
	s_branch .LBB49_221
.LBB49_189:
	s_cmp_gt_i32 s8, 22
	s_cbranch_scc0 .LBB49_201
; %bb.190:
	s_cmp_lt_i32 s8, 24
	s_cbranch_scc1 .LBB49_202
; %bb.191:
	s_cmp_gt_i32 s8, 24
	s_cbranch_scc0 .LBB49_203
; %bb.192:
	global_load_ubyte v5, v[3:4], off
	s_movk_i32 s0, 0x7f
	s_waitcnt vmcnt(0)
	v_cmp_lt_i16_e32 vcc, s0, v5
	s_mov_b64 s[0:1], 0
	s_and_saveexec_b64 s[2:3], vcc
	s_xor_b64 s[2:3], exec, s[2:3]
	s_cbranch_execz .LBB49_196
; %bb.193:
	s_movk_i32 s0, 0x80
	v_cmp_eq_u16_e32 vcc, s0, v5
	s_mov_b64 s[0:1], -1
	s_and_saveexec_b64 s[6:7], vcc
; %bb.194:
	s_xor_b64 s[0:1], exec, -1
; %bb.195:
	s_or_b64 exec, exec, s[6:7]
	s_and_b64 s[0:1], s[0:1], exec
.LBB49_196:
	s_or_saveexec_b64 s[2:3], s[2:3]
	v_bfrev_b32_e32 v0, 4
	v_mov_b32_e32 v1, 0x7ff80000
	s_xor_b64 exec, exec, s[2:3]
; %bb.197:
	v_cmp_ne_u16_e32 vcc, 0, v5
	v_mov_b32_e32 v0, 0
	s_andn2_b64 s[0:1], s[0:1], exec
	s_and_b64 s[6:7], vcc, exec
	v_mov_b32_e32 v1, 0
	s_or_b64 s[0:1], s[0:1], s[6:7]
; %bb.198:
	s_or_b64 exec, exec, s[2:3]
	s_and_saveexec_b64 s[2:3], s[0:1]
	s_cbranch_execz .LBB49_200
; %bb.199:
	v_and_b32_e32 v1, 0xffff, v5
	v_lshlrev_b32_e32 v0, 24, v5
	v_and_b32_e32 v5, 3, v1
	v_ffbh_u32_e32 v7, v5
	v_min_u32_e32 v7, 32, v7
	v_subrev_u32_e32 v8, 29, v7
	v_bfe_u32 v6, v1, 2, 5
	v_lshlrev_b32_e32 v1, v8, v1
	v_sub_u32_e32 v7, 30, v7
	v_and_b32_e32 v1, 3, v1
	v_cmp_eq_u32_e32 vcc, 0, v6
	v_cndmask_b32_e32 v6, v6, v7, vcc
	v_cndmask_b32_e32 v1, v5, v1, vcc
	v_mov_b32_e32 v5, 0x37800000
	v_lshlrev_b32_e32 v1, 21, v1
	v_and_b32_e32 v0, 0x80000000, v0
	v_lshl_add_u32 v5, v6, 23, v5
	v_or3_b32 v0, v0, v5, v1
	v_cvt_f64_f32_e32 v[0:1], v0
.LBB49_200:
	s_or_b64 exec, exec, s[2:3]
	s_mov_b64 s[0:1], 0
	s_branch .LBB49_204
.LBB49_201:
	s_mov_b64 s[2:3], -1
                                        ; implicit-def: $vgpr0_vgpr1
	s_branch .LBB49_210
.LBB49_202:
	s_mov_b64 s[0:1], -1
                                        ; implicit-def: $vgpr0_vgpr1
	s_branch .LBB49_207
.LBB49_203:
	s_mov_b64 s[0:1], -1
                                        ; implicit-def: $vgpr0_vgpr1
.LBB49_204:
	s_and_b64 vcc, exec, s[0:1]
	s_cbranch_vccz .LBB49_206
; %bb.205:
	global_load_ubyte v0, v[3:4], off
	s_mov_b32 s0, 0x7f800000
	s_waitcnt vmcnt(0)
	v_lshlrev_b32_e32 v0, 24, v0
	v_and_b32_e32 v1, 0x7f000000, v0
	v_ffbh_u32_e32 v5, v1
	v_min_u32_e32 v5, 32, v5
	v_sub_u32_e64 v5, v5, 4 clamp
	v_lshlrev_b32_e32 v7, v5, v1
	v_lshlrev_b32_e32 v5, 23, v5
	v_lshrrev_b32_e32 v7, 4, v7
	v_add_u32_e32 v6, 0x1000000, v1
	v_sub_u32_e32 v5, v7, v5
	v_ashrrev_i32_e32 v6, 8, v6
	v_add_u32_e32 v5, 0x3c000000, v5
	v_and_or_b32 v5, v6, s0, v5
	v_cmp_ne_u32_e32 vcc, 0, v1
	v_cndmask_b32_e32 v1, 0, v5, vcc
	s_brev_b32 s0, 1
	v_and_or_b32 v0, v0, s0, v1
	v_cvt_f64_f32_e32 v[0:1], v0
.LBB49_206:
	s_mov_b64 s[0:1], 0
.LBB49_207:
	s_andn2_b64 vcc, exec, s[0:1]
	s_cbranch_vccnz .LBB49_209
; %bb.208:
	global_load_ubyte v0, v[3:4], off
	s_movk_i32 s0, 0x7f00
	s_brev_b32 s1, 16
	s_waitcnt vmcnt(0)
	v_lshlrev_b16_e32 v1, 8, v0
	v_lshlrev_b32_e32 v0, 25, v0
	v_lshrrev_b32_e32 v5, 4, v0
	v_and_or_b32 v6, v1, s0, 0.5
	v_or_b32_e32 v5, 0x70000000, v5
	v_add_f32_e32 v6, -0.5, v6
	v_mul_f32_e32 v5, 0x7800000, v5
	v_cmp_gt_u32_e32 vcc, s1, v0
	v_bfe_i32 v1, v1, 0, 16
	v_cndmask_b32_e32 v0, v5, v6, vcc
	s_brev_b32 s0, 1
	v_and_or_b32 v0, v1, s0, v0
	v_cvt_f64_f32_e32 v[0:1], v0
.LBB49_209:
	s_mov_b64 s[2:3], 0
	s_mov_b64 s[0:1], -1
.LBB49_210:
	s_andn2_b64 vcc, exec, s[2:3]
	s_cbranch_vccnz .LBB49_221
; %bb.211:
	s_cmp_gt_i32 s8, 14
	s_cbranch_scc0 .LBB49_214
; %bb.212:
	s_cmp_eq_u32 s8, 15
	s_cbranch_scc0 .LBB49_215
; %bb.213:
	global_load_ushort v0, v[3:4], off
	s_mov_b64 s[0:1], -1
	s_mov_b64 s[10:11], 0
	s_waitcnt vmcnt(0)
	v_lshlrev_b32_e32 v0, 16, v0
	v_cvt_f64_f32_e32 v[0:1], v0
	s_branch .LBB49_216
.LBB49_214:
	s_mov_b64 s[2:3], -1
                                        ; implicit-def: $vgpr0_vgpr1
	s_branch .LBB49_217
.LBB49_215:
	s_mov_b64 s[10:11], -1
                                        ; implicit-def: $vgpr0_vgpr1
.LBB49_216:
	s_mov_b64 s[2:3], 0
.LBB49_217:
	s_and_b64 vcc, exec, s[2:3]
	s_cbranch_vccz .LBB49_221
; %bb.218:
	s_cmp_eq_u32 s8, 11
	s_cbranch_scc0 .LBB49_220
; %bb.219:
	global_load_ubyte v1, v[3:4], off
	v_mov_b32_e32 v5, 0x3ff00000
	v_mov_b32_e32 v0, 0
	s_mov_b64 s[0:1], -1
	s_mov_b64 s[10:11], 0
	s_waitcnt vmcnt(0)
	v_cmp_ne_u16_e32 vcc, 0, v1
	v_cndmask_b32_e32 v1, 0, v5, vcc
	s_branch .LBB49_221
.LBB49_220:
	s_mov_b64 s[10:11], -1
                                        ; implicit-def: $vgpr0_vgpr1
.LBB49_221:
	s_branch .LBB49_24
.LBB49_222:
	s_cmp_lt_i32 s8, 5
	s_cbranch_scc1 .LBB49_227
; %bb.223:
	s_cmp_lt_i32 s8, 8
	s_cbranch_scc1 .LBB49_228
; %bb.224:
	;; [unrolled: 3-line block ×3, first 2 shown]
	s_cmp_gt_i32 s8, 9
	s_cbranch_scc0 .LBB49_230
; %bb.226:
	global_load_dwordx2 v[0:1], v[3:4], off
	s_mov_b64 s[0:1], 0
	s_branch .LBB49_231
.LBB49_227:
                                        ; implicit-def: $vgpr0_vgpr1
	s_branch .LBB49_249
.LBB49_228:
	s_mov_b64 s[0:1], -1
                                        ; implicit-def: $vgpr0_vgpr1
	s_branch .LBB49_237
.LBB49_229:
	s_mov_b64 s[0:1], -1
                                        ; implicit-def: $vgpr0_vgpr1
	s_branch .LBB49_234
.LBB49_230:
	s_mov_b64 s[0:1], -1
                                        ; implicit-def: $vgpr0_vgpr1
.LBB49_231:
	s_andn2_b64 vcc, exec, s[0:1]
	s_cbranch_vccnz .LBB49_233
; %bb.232:
	global_load_dword v0, v[3:4], off
	s_waitcnt vmcnt(0)
	v_cvt_f64_f32_e32 v[0:1], v0
.LBB49_233:
	s_mov_b64 s[0:1], 0
.LBB49_234:
	s_andn2_b64 vcc, exec, s[0:1]
	s_cbranch_vccnz .LBB49_236
; %bb.235:
	global_load_dword v0, v[3:4], off
	s_waitcnt vmcnt(0)
	v_cvt_f32_f16_e32 v0, v0
	v_cvt_f64_f32_e32 v[0:1], v0
.LBB49_236:
	s_mov_b64 s[0:1], 0
.LBB49_237:
	s_andn2_b64 vcc, exec, s[0:1]
	s_cbranch_vccnz .LBB49_248
; %bb.238:
	s_cmp_lt_i32 s8, 6
	s_cbranch_scc1 .LBB49_241
; %bb.239:
	s_cmp_gt_i32 s8, 6
	s_cbranch_scc0 .LBB49_242
; %bb.240:
	global_load_dwordx2 v[0:1], v[3:4], off
	s_mov_b64 s[0:1], 0
	s_branch .LBB49_243
.LBB49_241:
	s_mov_b64 s[0:1], -1
                                        ; implicit-def: $vgpr0_vgpr1
	s_branch .LBB49_246
.LBB49_242:
	s_mov_b64 s[0:1], -1
                                        ; implicit-def: $vgpr0_vgpr1
.LBB49_243:
	s_andn2_b64 vcc, exec, s[0:1]
	s_cbranch_vccnz .LBB49_245
; %bb.244:
	global_load_dword v0, v[3:4], off
	s_waitcnt vmcnt(0)
	v_cvt_f64_f32_e32 v[0:1], v0
.LBB49_245:
	s_mov_b64 s[0:1], 0
.LBB49_246:
	s_andn2_b64 vcc, exec, s[0:1]
	s_cbranch_vccnz .LBB49_248
; %bb.247:
	global_load_ushort v0, v[3:4], off
	s_waitcnt vmcnt(0)
	v_cvt_f32_f16_e32 v0, v0
	v_cvt_f64_f32_e32 v[0:1], v0
.LBB49_248:
	s_cbranch_execnz .LBB49_268
.LBB49_249:
	s_cmp_lt_i32 s8, 2
	s_cbranch_scc1 .LBB49_253
; %bb.250:
	s_cmp_lt_i32 s8, 3
	s_cbranch_scc1 .LBB49_254
; %bb.251:
	s_cmp_gt_i32 s8, 3
	s_cbranch_scc0 .LBB49_255
; %bb.252:
	global_load_dwordx2 v[0:1], v[3:4], off
	s_mov_b64 s[0:1], 0
	s_waitcnt vmcnt(0)
	v_cvt_f64_i32_e32 v[5:6], v1
	v_cvt_f64_u32_e32 v[0:1], v0
	v_ldexp_f64 v[5:6], v[5:6], 32
	v_add_f64 v[0:1], v[5:6], v[0:1]
	s_branch .LBB49_256
.LBB49_253:
	s_mov_b64 s[0:1], -1
                                        ; implicit-def: $vgpr0_vgpr1
	s_branch .LBB49_262
.LBB49_254:
	s_mov_b64 s[0:1], -1
                                        ; implicit-def: $vgpr0_vgpr1
	s_branch .LBB49_259
.LBB49_255:
	s_mov_b64 s[0:1], -1
                                        ; implicit-def: $vgpr0_vgpr1
.LBB49_256:
	s_andn2_b64 vcc, exec, s[0:1]
	s_cbranch_vccnz .LBB49_258
; %bb.257:
	global_load_dword v0, v[3:4], off
	s_waitcnt vmcnt(0)
	v_cvt_f64_i32_e32 v[0:1], v0
.LBB49_258:
	s_mov_b64 s[0:1], 0
.LBB49_259:
	s_andn2_b64 vcc, exec, s[0:1]
	s_cbranch_vccnz .LBB49_261
; %bb.260:
	global_load_sshort v0, v[3:4], off
	s_waitcnt vmcnt(0)
	v_cvt_f64_i32_e32 v[0:1], v0
.LBB49_261:
	s_mov_b64 s[0:1], 0
.LBB49_262:
	s_andn2_b64 vcc, exec, s[0:1]
	s_cbranch_vccnz .LBB49_268
; %bb.263:
	s_cmp_gt_i32 s8, 0
	s_cbranch_scc0 .LBB49_265
; %bb.264:
	global_load_sbyte v0, v[3:4], off
	s_mov_b64 s[0:1], 0
	s_waitcnt vmcnt(0)
	v_cvt_f64_i32_e32 v[0:1], v0
	s_branch .LBB49_266
.LBB49_265:
	s_mov_b64 s[0:1], -1
                                        ; implicit-def: $vgpr0_vgpr1
.LBB49_266:
	s_andn2_b64 vcc, exec, s[0:1]
	s_cbranch_vccnz .LBB49_268
; %bb.267:
	global_load_ubyte v0, v[3:4], off
	s_waitcnt vmcnt(0)
	v_cvt_f64_u32_e32 v[0:1], v0
.LBB49_268:
	s_branch .LBB49_25
.LBB49_269:
	s_mov_b64 s[0:1], 0
.LBB49_270:
	s_mov_b64 s[2:3], 0
                                        ; implicit-def: $vgpr19
.LBB49_271:
	s_and_b64 s[54:55], s[0:1], exec
	s_and_b64 s[56:57], s[10:11], exec
	s_orn2_b64 s[2:3], s[2:3], exec
.LBB49_272:
	s_or_b64 exec, exec, s[58:59]
	s_mov_b64 s[6:7], 0
	s_mov_b64 s[0:1], 0
                                        ; implicit-def: $vgpr0_vgpr1
                                        ; implicit-def: $vgpr2
                                        ; implicit-def: $vgpr3_vgpr4
	s_and_saveexec_b64 s[58:59], s[2:3]
	s_cbranch_execz .LBB49_279
; %bb.273:
	v_cmp_gt_i32_e32 vcc, s70, v19
	s_mov_b64 s[0:1], -1
	s_mov_b64 s[60:61], s[56:57]
	s_mov_b64 s[62:63], s[54:55]
	s_and_saveexec_b64 s[64:65], vcc
	s_cbranch_execz .LBB49_554
; %bb.274:
	s_andn2_b64 vcc, exec, s[42:43]
	s_cbranch_vccnz .LBB49_282
; %bb.275:
	s_andn2_b64 vcc, exec, s[52:53]
	s_cbranch_vccnz .LBB49_283
; %bb.276:
	s_add_i32 s63, s75, 1
	s_cmp_eq_u32 s72, 2
	s_cbranch_scc1 .LBB49_284
; %bb.277:
	s_and_b32 s62, s63, 28
	s_waitcnt vmcnt(0)
	v_mov_b32_e32 v0, 0
	s_mov_b32 s66, 0
	s_mov_b64 s[6:7], s[34:35]
	s_mov_b64 s[60:61], s[50:51]
	v_mov_b32_e32 v2, 0
	v_mov_b32_e32 v1, v19
.LBB49_278:                             ; =>This Inner Loop Header: Depth=1
	s_load_dwordx8 s[16:23], s[6:7], 0x4
	s_load_dwordx4 s[0:3], s[6:7], 0x24
	s_load_dwordx8 s[8:15], s[60:61], 0x0
	s_add_u32 s6, s6, 48
	s_addc_u32 s7, s7, 0
	s_waitcnt lgkmcnt(0)
	v_mul_hi_u32 v3, s17, v1
	s_add_i32 s66, s66, 4
	s_add_u32 s60, s60, 32
	s_addc_u32 s61, s61, 0
	v_add_u32_e32 v3, v1, v3
	v_lshrrev_b32_e32 v3, s18, v3
	v_mul_lo_u32 v4, v3, s16
	v_mul_hi_u32 v5, s20, v3
	s_cmp_eq_u32 s62, s66
	v_sub_u32_e32 v1, v1, v4
	v_add_u32_e32 v4, v3, v5
	v_mul_lo_u32 v5, v1, s8
	v_mul_lo_u32 v6, v1, s9
	v_lshrrev_b32_e32 v1, s21, v4
	v_mul_lo_u32 v4, v1, s19
	v_mul_hi_u32 v7, s23, v1
	v_sub_u32_e32 v3, v3, v4
	v_add_u32_e32 v4, v1, v7
	v_lshrrev_b32_e32 v4, s0, v4
	v_mul_hi_u32 v8, s2, v4
	v_mul_lo_u32 v9, v4, s22
	v_mul_lo_u32 v7, v3, s10
	v_mul_lo_u32 v3, v3, s11
	v_sub_u32_e32 v9, v1, v9
	v_add_u32_e32 v1, v4, v8
	v_lshrrev_b32_e32 v1, s3, v1
	v_mul_lo_u32 v8, v1, s1
	v_mul_lo_u32 v10, v9, s12
	;; [unrolled: 1-line block ×3, first 2 shown]
	v_add3_u32 v2, v5, v2, v7
	v_sub_u32_e32 v4, v4, v8
	v_mul_lo_u32 v8, v4, s14
	v_mul_lo_u32 v4, v4, s15
	v_add3_u32 v0, v6, v0, v3
	v_add3_u32 v2, v10, v2, v8
	;; [unrolled: 1-line block ×3, first 2 shown]
	s_cbranch_scc0 .LBB49_278
	s_branch .LBB49_285
.LBB49_279:
	s_or_b64 exec, exec, s[58:59]
	s_mov_b64 s[10:11], 0
	s_and_saveexec_b64 s[2:3], s[56:57]
	s_cbranch_execnz .LBB49_936
.LBB49_280:
	s_or_b64 exec, exec, s[2:3]
	s_and_saveexec_b64 s[2:3], s[62:63]
	s_xor_b64 s[2:3], exec, s[2:3]
	s_cbranch_execz .LBB49_937
.LBB49_281:
	s_waitcnt vmcnt(0)
	global_load_ubyte v4, v[0:1], off
	v_mov_b32_e32 v5, 0x3ff00000
	v_mov_b32_e32 v3, 0
	s_or_b64 s[0:1], s[0:1], exec
	s_waitcnt vmcnt(0)
	v_cmp_ne_u16_e32 vcc, 0, v4
	v_cndmask_b32_e32 v4, 0, v5, vcc
	s_or_b64 exec, exec, s[2:3]
	s_and_saveexec_b64 s[2:3], s[6:7]
	s_cbranch_execz .LBB49_983
	s_branch .LBB49_938
.LBB49_282:
                                        ; implicit-def: $vgpr2
                                        ; implicit-def: $vgpr0
	s_andn2_b64 vcc, exec, s[0:1]
	s_cbranch_vccz .LBB49_289
	s_branch .LBB49_291
.LBB49_283:
	v_mov_b32_e32 v2, 0
	s_waitcnt vmcnt(0)
	v_mov_b32_e32 v0, 0
	s_branch .LBB49_288
.LBB49_284:
	s_mov_b32 s62, 0
	v_mov_b32_e32 v2, 0
	s_waitcnt vmcnt(0)
	v_mov_b32_e32 v0, 0
	v_mov_b32_e32 v1, v19
.LBB49_285:
	s_and_b32 s6, s63, 3
	s_cmp_eq_u32 s6, 0
	s_cbranch_scc1 .LBB49_288
; %bb.286:
	s_lshl_b32 s0, s62, 3
	s_add_u32 s0, s34, s0
	s_addc_u32 s1, s35, 0
	s_add_u32 s0, s0, 0xc4
	s_addc_u32 s1, s1, 0
	s_mul_i32 s2, s62, 12
	s_add_u32 s2, s34, s2
	s_addc_u32 s3, s35, 0
.LBB49_287:                             ; =>This Inner Loop Header: Depth=1
	s_load_dwordx2 s[8:9], s[2:3], 0x4
	s_load_dword s7, s[2:3], 0xc
	s_load_dwordx2 s[10:11], s[0:1], 0x0
	s_add_u32 s2, s2, 12
	s_addc_u32 s3, s3, 0
	s_waitcnt lgkmcnt(0)
	v_mul_hi_u32 v3, s9, v1
	s_add_u32 s0, s0, 8
	s_addc_u32 s1, s1, 0
	s_add_i32 s6, s6, -1
	v_add_u32_e32 v3, v1, v3
	v_lshrrev_b32_e32 v4, s7, v3
	v_mul_lo_u32 v3, v4, s8
	s_cmp_lg_u32 s6, 0
	v_sub_u32_e32 v1, v1, v3
	v_mad_u64_u32 v[2:3], s[8:9], v1, s10, v[2:3]
	v_mad_u64_u32 v[0:1], s[8:9], v1, s11, v[0:1]
	v_mov_b32_e32 v1, v4
	s_cbranch_scc1 .LBB49_287
.LBB49_288:
	s_cbranch_execnz .LBB49_291
.LBB49_289:
	s_waitcnt vmcnt(0) lgkmcnt(0)
	v_mul_hi_u32 v0, s37, v19
	s_andn2_b64 vcc, exec, s[48:49]
	v_add_u32_e32 v0, v19, v0
	v_lshrrev_b32_e32 v1, s38, v0
	v_mul_lo_u32 v0, v1, s36
	v_sub_u32_e32 v0, v19, v0
	v_mul_lo_u32 v2, v0, s28
	v_mul_lo_u32 v0, v0, s29
	s_cbranch_vccnz .LBB49_291
; %bb.290:
	v_mul_hi_u32 v3, s46, v1
	v_add_u32_e32 v3, v1, v3
	v_lshrrev_b32_e32 v3, s47, v3
	v_mul_lo_u32 v3, v3, s39
	v_sub_u32_e32 v1, v1, v3
	v_mad_u64_u32 v[2:3], s[0:1], v1, s30, v[2:3]
	v_mad_u64_u32 v[0:1], s[0:1], v1, s31, v[0:1]
.LBB49_291:
	s_waitcnt vmcnt(0) lgkmcnt(0)
	v_mov_b32_e32 v1, s27
	s_and_b32 s8, 0xffff, s74
	v_add_co_u32_e32 v3, vcc, s26, v0
	s_cmp_lt_i32 s8, 11
	v_addc_co_u32_e32 v4, vcc, 0, v1, vcc
	s_cbranch_scc1 .LBB49_298
; %bb.292:
	s_cmp_gt_i32 s8, 25
	s_cbranch_scc0 .LBB49_313
; %bb.293:
	s_cmp_gt_i32 s8, 28
	s_cbranch_scc0 .LBB49_315
	;; [unrolled: 3-line block ×4, first 2 shown]
; %bb.296:
	s_cmp_eq_u32 s8, 46
	s_mov_b64 s[2:3], 0
	s_cbranch_scc0 .LBB49_325
; %bb.297:
	global_load_dword v0, v[3:4], off
	s_mov_b64 s[0:1], -1
	s_mov_b64 s[10:11], 0
	s_waitcnt vmcnt(0)
	v_lshlrev_b32_e32 v0, 16, v0
	v_cvt_f64_f32_e32 v[0:1], v0
	s_branch .LBB49_326
.LBB49_298:
	s_mov_b64 s[0:1], 0
                                        ; implicit-def: $vgpr0_vgpr1
	s_mov_b64 s[10:11], s[56:57]
	s_cbranch_execnz .LBB49_503
.LBB49_299:
	s_andn2_b64 vcc, exec, s[0:1]
	s_cbranch_vccnz .LBB49_551
.LBB49_300:
	s_waitcnt vmcnt(0)
	v_cmp_gt_f64_e32 vcc, 0.5, v[0:1]
	v_mov_b32_e32 v5, 0
	v_mov_b32_e32 v3, 0
	v_mov_b32_e32 v6, 0
	v_mov_b32_e32 v4, 0x3ff00000
	s_and_saveexec_b64 s[2:3], vcc
	s_cbranch_execz .LBB49_306
; %bb.301:
	s_mov_b32 s7, 0x400921fb
	s_mov_b32 s6, 0x54442d18
	v_mul_f64 v[3:4], v[0:1], s[6:7]
	s_mov_b32 s0, 0
	s_mov_b32 s1, 0x41d00000
                                        ; implicit-def: $vgpr9
                                        ; implicit-def: $vgpr5_vgpr6
                                        ; implicit-def: $vgpr7_vgpr8
	v_cmp_nlt_f64_e64 s[0:1], |v[3:4]|, s[0:1]
	s_and_saveexec_b64 s[8:9], s[0:1]
	s_xor_b64 s[8:9], exec, s[8:9]
	s_cbranch_execz .LBB49_303
; %bb.302:
	v_trig_preop_f64 v[5:6], |v[3:4]|, 0
	s_mov_b32 s0, 0
	s_mov_b32 s1, 0x7b000000
	s_movk_i32 s7, 0xff80
	v_ldexp_f64 v[9:10], |v[3:4]|, s7
	v_cmp_ge_f64_e64 vcc, |v[3:4]|, s[0:1]
	v_trig_preop_f64 v[7:8], |v[3:4]|, 1
	v_and_b32_e32 v11, 0x7fffffff, v4
	v_trig_preop_f64 v[17:18], |v[3:4]|, 2
	s_mov_b32 s0, 0
	s_mov_b32 s1, 0x7ff00000
	v_mov_b32_e32 v29, 0x40100000
	v_mov_b32_e32 v28, 0
	v_cndmask_b32_e32 v10, v11, v10, vcc
	v_cndmask_b32_e32 v9, v3, v9, vcc
	s_mov_b32 s7, 0x3ff921fb
	v_mul_f64 v[11:12], v[5:6], v[9:10]
	v_mul_f64 v[13:14], v[7:8], v[9:10]
	;; [unrolled: 1-line block ×3, first 2 shown]
	v_fma_f64 v[5:6], v[5:6], v[9:10], -v[11:12]
	v_fma_f64 v[7:8], v[7:8], v[9:10], -v[13:14]
	;; [unrolled: 1-line block ×3, first 2 shown]
	v_add_f64 v[15:16], v[13:14], v[5:6]
	v_add_f64 v[20:21], v[15:16], -v[13:14]
	v_add_f64 v[26:27], v[11:12], v[15:16]
	v_add_f64 v[22:23], v[15:16], -v[20:21]
	v_add_f64 v[5:6], v[5:6], -v[20:21]
	v_add_f64 v[20:21], v[24:25], v[7:8]
	v_add_f64 v[11:12], v[26:27], -v[11:12]
	v_add_f64 v[13:14], v[13:14], -v[22:23]
	v_ldexp_f64 v[22:23], v[26:27], -2
	v_add_f64 v[30:31], v[20:21], -v[24:25]
	v_add_f64 v[11:12], v[15:16], -v[11:12]
	v_add_f64 v[5:6], v[5:6], v[13:14]
	v_fract_f64_e32 v[13:14], v[22:23]
	v_cmp_neq_f64_e64 vcc, |v[22:23]|, s[0:1]
	v_add_f64 v[7:8], v[7:8], -v[30:31]
	v_add_f64 v[15:16], v[20:21], v[5:6]
	v_ldexp_f64 v[13:14], v[13:14], 2
	v_add_f64 v[22:23], v[11:12], v[15:16]
	v_cndmask_b32_e32 v14, 0, v14, vcc
	v_cndmask_b32_e32 v13, 0, v13, vcc
	v_add_f64 v[32:33], v[15:16], -v[20:21]
	v_add_f64 v[26:27], v[22:23], v[13:14]
	v_add_f64 v[11:12], v[22:23], -v[11:12]
	v_add_f64 v[34:35], v[15:16], -v[32:33]
	;; [unrolled: 1-line block ×3, first 2 shown]
	v_cmp_gt_f64_e32 vcc, 0, v[26:27]
	v_add_f64 v[26:27], v[20:21], -v[30:31]
	v_add_f64 v[11:12], v[15:16], -v[11:12]
	;; [unrolled: 1-line block ×3, first 2 shown]
	v_cndmask_b32_e32 v29, 0, v29, vcc
	v_add_f64 v[13:14], v[13:14], v[28:29]
	v_add_f64 v[26:27], v[24:25], -v[26:27]
	v_add_f64 v[5:6], v[5:6], v[20:21]
	v_add_f64 v[36:37], v[22:23], v[13:14]
	;; [unrolled: 1-line block ×3, first 2 shown]
	v_cvt_i32_f64_e32 v31, v[36:37]
	v_add_f64 v[5:6], v[7:8], v[5:6]
	v_cvt_f64_i32_e32 v[29:30], v31
	v_add_f64 v[13:14], v[13:14], -v[29:30]
	v_add_f64 v[5:6], v[9:10], v[5:6]
	v_add_f64 v[7:8], v[22:23], v[13:14]
	;; [unrolled: 1-line block ×3, first 2 shown]
	v_mov_b32_e32 v12, 0x3ff00000
	v_add_f64 v[9:10], v[7:8], -v[13:14]
	v_cmp_le_f64_e32 vcc, 0.5, v[7:8]
	v_add_f64 v[10:11], v[22:23], -v[9:10]
	v_cndmask_b32_e32 v29, 0, v12, vcc
	v_add_f64 v[7:8], v[7:8], -v[28:29]
	v_addc_co_u32_e64 v9, s[0:1], 0, v31, vcc
	s_mov_b32 s0, 0x33145c07
	s_mov_b32 s1, 0x3c91a626
	v_add_f64 v[5:6], v[5:6], v[10:11]
	v_add_f64 v[10:11], v[7:8], v[5:6]
	v_mul_f64 v[12:13], v[10:11], s[6:7]
	v_add_f64 v[7:8], v[10:11], -v[7:8]
	v_fma_f64 v[14:15], v[10:11], s[6:7], -v[12:13]
	v_add_f64 v[5:6], v[5:6], -v[7:8]
	v_fma_f64 v[7:8], v[10:11], s[0:1], v[14:15]
	v_fma_f64 v[7:8], v[5:6], s[6:7], v[7:8]
	v_add_f64 v[5:6], v[12:13], v[7:8]
	v_add_f64 v[10:11], v[5:6], -v[12:13]
	v_add_f64 v[7:8], v[7:8], -v[10:11]
.LBB49_303:
	s_andn2_saveexec_b64 s[0:1], s[8:9]
	s_cbranch_execz .LBB49_305
; %bb.304:
	s_mov_b32 s6, 0x6dc9c883
	s_mov_b32 s7, 0x3fe45f30
	v_mul_f64 v[5:6], |v[3:4]|, s[6:7]
	s_mov_b32 s6, 0x54442d18
	s_mov_b32 s7, 0xbff921fb
	;; [unrolled: 1-line block ×4, first 2 shown]
	v_rndne_f64_e32 v[9:10], v[5:6]
	v_fma_f64 v[5:6], v[9:10], s[6:7], |v[3:4]|
	v_mul_f64 v[7:8], v[9:10], s[8:9]
	s_mov_b32 s6, 0x252049c0
	s_mov_b32 s7, 0xb97b839a
	v_fma_f64 v[15:16], v[9:10], s[8:9], v[5:6]
	v_add_f64 v[11:12], v[5:6], v[7:8]
	s_mov_b32 s9, 0x3c91a626
	v_add_f64 v[13:14], v[5:6], -v[11:12]
	v_add_f64 v[11:12], v[11:12], -v[15:16]
	v_add_f64 v[5:6], v[13:14], v[7:8]
	v_fma_f64 v[7:8], v[9:10], s[8:9], v[7:8]
	v_add_f64 v[5:6], v[11:12], v[5:6]
	v_add_f64 v[5:6], v[5:6], -v[7:8]
	v_fma_f64 v[7:8], v[9:10], s[6:7], v[5:6]
	v_cvt_i32_f64_e32 v9, v[9:10]
	v_add_f64 v[5:6], v[15:16], v[7:8]
	v_add_f64 v[11:12], v[5:6], -v[15:16]
	v_add_f64 v[7:8], v[7:8], -v[11:12]
.LBB49_305:
	s_or_b64 exec, exec, s[0:1]
	v_mul_f64 v[10:11], v[5:6], v[5:6]
	s_mov_b32 s0, 0xf9a43bb8
	v_mov_b32_e32 v13, 0xb42fdfa7
	v_mov_b32_e32 v14, 0xbe5ae600
	s_mov_b32 s1, 0x3de5e0b2
	s_mov_b32 s6, 0x796cde01
	v_mov_b32_e32 v12, 0x9037ab78
	s_mov_b32 s7, 0x3ec71de3
	v_fma_f64 v[14:15], v[10:11], s[0:1], v[13:14]
	s_mov_b32 s0, 0x46cc5e42
	v_mov_b32_e32 v13, 0x3e21eeb6
	s_mov_b32 s1, 0xbda907db
	v_fma_f64 v[12:13], v[10:11], s[0:1], v[12:13]
	v_mul_f64 v[16:17], v[10:11], 0.5
	s_mov_b32 s0, 0xa17f65f6
	s_mov_b32 s8, 0x19e83e5c
	v_fma_f64 v[14:15], v[10:11], v[14:15], s[6:7]
	s_mov_b32 s1, 0xbe927e4f
	s_mov_b32 s9, 0xbf2a01a0
	;; [unrolled: 1-line block ×3, first 2 shown]
	v_fma_f64 v[12:13], v[10:11], v[12:13], s[0:1]
	v_add_f64 v[20:21], -v[16:17], 1.0
	s_mov_b32 s0, 0x11110bb3
	s_mov_b32 s7, 0x3efa01a0
	v_fma_f64 v[14:15], v[10:11], v[14:15], s[8:9]
	s_mov_b32 s1, 0x3f811111
	v_mul_f64 v[22:23], v[7:8], 0.5
	v_mul_f64 v[24:25], v[5:6], -v[10:11]
	v_fma_f64 v[12:13], v[10:11], v[12:13], s[6:7]
	v_add_f64 v[26:27], -v[20:21], 1.0
	v_add_f64 v[0:1], -v[0:1], 1.0
	v_fma_f64 v[14:15], v[10:11], v[14:15], s[0:1]
	s_mov_b32 s0, 0x16c16967
	s_mov_b32 s1, 0xbf56c16c
	v_fma_f64 v[12:13], v[10:11], v[12:13], s[0:1]
	v_add_f64 v[16:17], v[26:27], -v[16:17]
	s_mov_b32 s1, 0x3fa55555
	s_mov_b32 s0, 0x55555555
	v_fma_f64 v[14:15], v[24:25], v[14:15], v[22:23]
	v_mul_f64 v[22:23], v[10:11], v[10:11]
	v_fma_f64 v[12:13], v[10:11], v[12:13], s[0:1]
	v_fma_f64 v[16:17], v[5:6], -v[7:8], v[16:17]
	s_mov_b32 s1, 0xbfc55555
	v_fma_f64 v[7:8], v[10:11], v[14:15], -v[7:8]
	v_fma_f64 v[10:11], v[22:23], v[12:13], v[16:17]
	v_fma_f64 v[7:8], v[24:25], s[0:1], v[7:8]
	s_movk_i32 s0, 0x1f8
	v_cmp_class_f64_e64 s[0:1], v[3:4], s0
	v_lshlrev_b32_e32 v3, 30, v9
	v_xor_b32_e32 v3, v3, v4
	v_add_f64 v[10:11], v[20:21], v[10:11]
	v_and_b32_e32 v3, 0x80000000, v3
	v_add_f64 v[5:6], v[5:6], -v[7:8]
	v_and_b32_e32 v7, 1, v9
	v_cmp_eq_u32_e32 vcc, 0, v7
	v_mov_b32_e32 v7, 0x7ff80000
	v_cndmask_b32_e32 v4, v11, v6, vcc
	v_cndmask_b32_e32 v5, v10, v5, vcc
	v_xor_b32_e32 v4, v4, v3
	v_cndmask_b32_e64 v3, 0, v5, s[0:1]
	v_cndmask_b32_e64 v4, v7, v4, s[0:1]
	v_mul_f64 v[3:4], v[3:4], v[3:4]
	s_mov_b32 s0, 0xc9be45de
	s_mov_b32 s1, 0xc023bd3c
	v_div_scale_f64 v[5:6], s[6:7], v[3:4], v[3:4], s[0:1]
	v_rcp_f64_e32 v[7:8], v[5:6]
	v_fma_f64 v[9:10], -v[5:6], v[7:8], 1.0
	v_fma_f64 v[7:8], v[7:8], v[9:10], v[7:8]
	v_div_scale_f64 v[9:10], vcc, s[0:1], v[3:4], s[0:1]
	v_fma_f64 v[11:12], -v[5:6], v[7:8], 1.0
	v_fma_f64 v[7:8], v[7:8], v[11:12], v[7:8]
	v_mul_f64 v[11:12], v[9:10], v[7:8]
	v_fma_f64 v[5:6], -v[5:6], v[11:12], v[9:10]
	v_div_fmas_f64 v[5:6], v[5:6], v[7:8], v[11:12]
	v_div_fixup_f64 v[3:4], v[5:6], v[3:4], s[0:1]
	v_add_f64 v[5:6], v[3:4], 0
	v_mov_b32_e32 v3, 0
	v_mov_b32_e32 v4, 0xbff00000
.LBB49_306:
	s_or_b64 exec, exec, s[2:3]
	v_add_f64 v[9:10], v[0:1], 1.0
	v_mul_f64 v[7:8], v[0:1], v[0:1]
	s_and_b32 s12, s73, 0xff
	s_cmp_lt_i32 s12, 11
	v_mul_f64 v[0:1], v[9:10], v[9:10]
	v_div_scale_f64 v[20:21], s[0:1], v[7:8], v[7:8], 1.0
	v_add_f64 v[11:12], v[9:10], 1.0
	v_div_scale_f64 v[36:37], vcc, 1.0, v[7:8], 1.0
	v_div_scale_f64 v[22:23], s[0:1], v[0:1], v[0:1], 1.0
	v_mul_f64 v[9:10], v[11:12], v[11:12]
	v_add_f64 v[13:14], v[11:12], 1.0
	v_rcp_f64_e32 v[15:16], v[20:21]
	v_div_scale_f64 v[24:25], s[0:1], v[9:10], v[9:10], 1.0
	v_mul_f64 v[11:12], v[13:14], v[13:14]
	v_add_f64 v[13:14], v[13:14], 1.0
	v_rcp_f64_e32 v[17:18], v[22:23]
	v_div_scale_f64 v[26:27], s[0:1], v[11:12], v[11:12], 1.0
	v_add_f64 v[32:33], v[13:14], 1.0
	v_mul_f64 v[13:14], v[13:14], v[13:14]
	v_fma_f64 v[28:29], -v[20:21], v[15:16], 1.0
	v_div_scale_f64 v[40:41], s[0:1], 1.0, v[0:1], 1.0
	v_rcp_f64_e32 v[30:31], v[24:25]
	v_div_scale_f64 v[44:45], s[2:3], v[13:14], v[13:14], 1.0
	v_fma_f64 v[34:35], -v[22:23], v[17:18], 1.0
	v_fma_f64 v[28:29], v[15:16], v[28:29], v[15:16]
	v_add_f64 v[15:16], v[32:33], 1.0
	v_rcp_f64_e32 v[38:39], v[26:27]
	v_fma_f64 v[34:35], v[17:18], v[34:35], v[17:18]
	v_mul_f64 v[17:18], v[32:33], v[32:33]
	v_fma_f64 v[32:33], -v[20:21], v[28:29], 1.0
	v_fma_f64 v[42:43], -v[24:25], v[30:31], 1.0
	v_mul_f64 v[48:49], v[15:16], v[15:16]
	v_add_f64 v[52:53], v[15:16], v[15:16]
	v_fma_f64 v[46:47], -v[22:23], v[34:35], 1.0
	v_div_scale_f64 v[50:51], s[2:3], v[17:18], v[17:18], 1.0
	v_fma_f64 v[28:29], v[28:29], v[32:33], v[28:29]
	v_fma_f64 v[30:31], v[30:31], v[42:43], v[30:31]
	v_fma_f64 v[32:33], -v[26:27], v[38:39], 1.0
	v_div_scale_f64 v[42:43], s[2:3], v[48:49], v[48:49], 1.0
	v_fma_f64 v[34:35], v[34:35], v[46:47], v[34:35]
	v_div_scale_f64 v[46:47], s[2:3], 1.0, v[9:10], 1.0
	v_mul_f64 v[54:55], v[36:37], v[28:29]
	v_fma_f64 v[56:57], -v[24:25], v[30:31], 1.0
	v_fma_f64 v[32:33], v[38:39], v[32:33], v[38:39]
	v_div_scale_f64 v[58:59], s[6:7], v[52:53], v[52:53], 1.0
	v_mul_f64 v[38:39], v[40:41], v[34:35]
	v_fma_f64 v[20:21], -v[20:21], v[54:55], v[36:37]
	v_rcp_f64_e32 v[36:37], v[44:45]
	v_fma_f64 v[30:31], v[30:31], v[56:57], v[30:31]
	v_rcp_f64_e32 v[56:57], v[50:51]
	v_fma_f64 v[22:23], -v[22:23], v[38:39], v[40:41]
	v_rcp_f64_e32 v[40:41], v[42:43]
	v_div_fmas_f64 v[20:21], v[20:21], v[28:29], v[54:55]
	s_mov_b64 vcc, s[0:1]
	v_fma_f64 v[28:29], -v[26:27], v[32:33], 1.0
	v_mul_f64 v[54:55], v[46:47], v[30:31]
	v_div_fmas_f64 v[22:23], v[22:23], v[34:35], v[38:39]
	v_rcp_f64_e32 v[34:35], v[58:59]
	v_div_scale_f64 v[38:39], s[0:1], 1.0, v[11:12], 1.0
	s_mov_b64 vcc, s[2:3]
	v_fma_f64 v[28:29], v[32:33], v[28:29], v[32:33]
	v_fma_f64 v[32:33], -v[44:45], v[36:37], 1.0
	v_fma_f64 v[24:25], -v[24:25], v[54:55], v[46:47]
	v_fma_f64 v[46:47], -v[50:51], v[56:57], 1.0
	v_div_fixup_f64 v[7:8], v[20:21], v[7:8], 1.0
	v_fma_f64 v[32:33], v[36:37], v[32:33], v[36:37]
	v_fma_f64 v[36:37], -v[42:43], v[40:41], 1.0
	v_fma_f64 v[46:47], v[56:57], v[46:47], v[56:57]
	v_fma_f64 v[56:57], -v[58:59], v[34:35], 1.0
	v_div_fmas_f64 v[24:25], v[24:25], v[30:31], v[54:55]
	v_mul_f64 v[30:31], v[38:39], v[28:29]
	s_mov_b64 vcc, s[0:1]
	v_add_f64 v[5:6], v[5:6], v[7:8]
	v_fma_f64 v[54:55], -v[44:45], v[32:33], 1.0
	v_fma_f64 v[36:37], v[40:41], v[36:37], v[40:41]
	v_fma_f64 v[40:41], -v[50:51], v[46:47], 1.0
	v_fma_f64 v[34:35], v[34:35], v[56:57], v[34:35]
	v_div_scale_f64 v[56:57], s[2:3], 1.0, v[13:14], 1.0
	v_fma_f64 v[26:27], -v[26:27], v[30:31], v[38:39]
	v_div_scale_f64 v[38:39], s[6:7], 1.0, v[17:18], 1.0
	v_fma_f64 v[32:33], v[32:33], v[54:55], v[32:33]
	v_fma_f64 v[40:41], v[46:47], v[40:41], v[46:47]
	v_fma_f64 v[46:47], -v[42:43], v[36:37], 1.0
	v_div_scale_f64 v[54:55], s[8:9], 1.0, v[48:49], 1.0
	v_div_fmas_f64 v[26:27], v[26:27], v[28:29], v[30:31]
	v_fma_f64 v[28:29], -v[58:59], v[34:35], 1.0
	v_div_scale_f64 v[30:31], s[0:1], 1.0, v[52:53], 1.0
	s_mov_b64 vcc, s[2:3]
	v_fma_f64 v[36:37], v[36:37], v[46:47], v[36:37]
	v_mul_f64 v[46:47], v[56:57], v[32:33]
	v_div_fixup_f64 v[0:1], v[22:23], v[0:1], 1.0
	v_fma_f64 v[28:29], v[34:35], v[28:29], v[34:35]
	v_mul_f64 v[34:35], v[38:39], v[40:41]
	v_fma_f64 v[44:45], -v[44:45], v[46:47], v[56:57]
	v_mul_f64 v[56:57], v[54:55], v[36:37]
	v_add_f64 v[0:1], v[5:6], v[0:1]
	v_div_fixup_f64 v[5:6], v[24:25], v[9:10], 1.0
	v_fma_f64 v[38:39], -v[50:51], v[34:35], v[38:39]
	v_mul_f64 v[50:51], v[30:31], v[28:29]
	v_div_fmas_f64 v[32:33], v[44:45], v[32:33], v[46:47]
	v_fma_f64 v[42:43], -v[42:43], v[56:57], v[54:55]
	s_mov_b64 vcc, s[6:7]
	v_add_f64 v[0:1], v[0:1], v[5:6]
	v_div_fmas_f64 v[34:35], v[38:39], v[40:41], v[34:35]
	s_mov_b64 vcc, s[8:9]
	v_fma_f64 v[30:31], -v[58:59], v[50:51], v[30:31]
	v_div_fixup_f64 v[5:6], v[26:27], v[11:12], 1.0
	v_div_fmas_f64 v[36:37], v[42:43], v[36:37], v[56:57]
	s_mov_b64 vcc, s[0:1]
	s_mov_b32 s0, 0x18618618
	s_mov_b32 s1, 0xbf986186
	v_div_fmas_f64 v[28:29], v[30:31], v[28:29], v[50:51]
	v_add_f64 v[0:1], v[0:1], v[5:6]
	v_div_fixup_f64 v[5:6], v[32:33], v[13:14], 1.0
	v_add_f64 v[0:1], v[0:1], v[5:6]
	v_div_fixup_f64 v[30:31], v[36:37], v[48:49], 1.0
	v_mov_b32_e32 v36, 0x11111111
	v_mov_b32_e32 v37, 0x3fa11111
	v_div_fixup_f64 v[5:6], v[34:35], v[17:18], 1.0
	v_div_fixup_f64 v[28:29], v[28:29], v[52:53], 1.0
	v_fma_f64 v[36:37], v[30:31], s[0:1], v[36:37]
	s_mov_b32 s0, 0x55555555
	s_mov_b32 s1, 0x3fc55555
	v_add_f64 v[0:1], v[0:1], v[5:6]
	v_add_f64 v[28:29], v[28:29], 1.0
	v_fma_f64 v[36:37], -v[30:31], v[36:37], s[0:1]
	v_fma_f64 v[28:29], v[30:31], v[36:37], v[28:29]
	v_div_scale_f64 v[30:31], s[0:1], v[15:16], v[15:16], v[28:29]
	v_rcp_f64_e32 v[36:37], v[30:31]
	v_fma_f64 v[38:39], -v[30:31], v[36:37], 1.0
	v_fma_f64 v[36:37], v[36:37], v[38:39], v[36:37]
	v_div_scale_f64 v[38:39], vcc, v[28:29], v[15:16], v[28:29]
	v_fma_f64 v[20:21], -v[30:31], v[36:37], 1.0
	v_fma_f64 v[7:8], v[36:37], v[20:21], v[36:37]
	v_mul_f64 v[9:10], v[38:39], v[7:8]
	v_fma_f64 v[11:12], -v[30:31], v[9:10], v[38:39]
	v_div_fmas_f64 v[7:8], v[11:12], v[7:8], v[9:10]
	v_div_fixup_f64 v[5:6], v[7:8], v[15:16], v[28:29]
	v_add_f64 v[0:1], v[0:1], v[5:6]
	v_mul_f64 v[0:1], v[3:4], v[0:1]
	v_mov_b32_e32 v3, s25
	v_add_co_u32_e32 v4, vcc, s24, v2
	v_addc_co_u32_e32 v5, vcc, 0, v3, vcc
	s_cbranch_scc1 .LBB49_314
; %bb.307:
	s_and_b32 s13, 0xffff, s12
	s_cmp_gt_i32 s13, 25
	s_cbranch_scc0 .LBB49_316
; %bb.308:
	s_cmp_gt_i32 s13, 28
	s_cbranch_scc0 .LBB49_318
; %bb.309:
	;; [unrolled: 3-line block ×4, first 2 shown]
	s_mov_b64 s[6:7], 0
	s_mov_b64 s[0:1], -1
	s_cmp_eq_u32 s13, 46
	s_mov_b64 s[2:3], 0
	s_cbranch_scc0 .LBB49_330
; %bb.312:
	v_cvt_f32_f64_e32 v2, v[0:1]
	s_movk_i32 s0, 0x7fff
	v_mov_b32_e32 v3, 0x7fc0
	s_mov_b64 s[2:3], -1
	v_bfe_u32 v6, v2, 16, 1
	v_cmp_o_f32_e32 vcc, v2, v2
	v_add3_u32 v2, v2, v6, s0
	v_cndmask_b32_sdwa v2, v3, v2, vcc dst_sel:DWORD dst_unused:UNUSED_PAD src0_sel:DWORD src1_sel:WORD_1
	global_store_dword v[4:5], v2, off
	s_mov_b64 s[0:1], 0
	s_branch .LBB49_330
.LBB49_313:
	s_mov_b64 s[2:3], -1
	s_mov_b64 s[0:1], 0
	s_mov_b64 s[10:11], s[56:57]
                                        ; implicit-def: $vgpr0_vgpr1
	s_branch .LBB49_469
.LBB49_314:
	s_mov_b64 s[6:7], -1
	s_mov_b64 s[2:3], 0
	s_mov_b64 s[0:1], s[54:55]
	s_branch .LBB49_399
.LBB49_315:
	s_mov_b64 s[2:3], -1
	s_mov_b64 s[0:1], 0
	s_mov_b64 s[10:11], s[56:57]
                                        ; implicit-def: $vgpr0_vgpr1
	s_branch .LBB49_448
.LBB49_316:
	s_mov_b64 s[6:7], -1
	s_mov_b64 s[2:3], 0
	s_mov_b64 s[0:1], s[54:55]
	s_branch .LBB49_357
.LBB49_317:
	s_mov_b64 s[2:3], -1
	s_mov_b64 s[0:1], 0
	s_mov_b64 s[10:11], s[56:57]
                                        ; implicit-def: $vgpr0_vgpr1
	s_branch .LBB49_443
.LBB49_318:
	s_mov_b64 s[6:7], -1
	s_mov_b64 s[2:3], 0
	s_mov_b64 s[0:1], s[54:55]
	s_branch .LBB49_340
.LBB49_319:
	s_andn2_saveexec_b64 s[8:9], s[8:9]
	s_cbranch_execz .LBB49_74
.LBB49_320:
	s_mov_b32 s14, 0x46000000
	v_add_f32_e64 v3, |v2|, s14
	v_and_b32_e32 v3, 0xff, v3
	v_cmp_ne_u32_e32 vcc, 0, v3
	s_andn2_b64 s[6:7], s[6:7], exec
	s_and_b64 s[14:15], vcc, exec
	s_or_b64 s[6:7], s[6:7], s[14:15]
	s_or_b64 exec, exec, s[8:9]
	v_mov_b32_e32 v6, 0
	s_and_saveexec_b64 s[8:9], s[6:7]
	s_cbranch_execnz .LBB49_75
	s_branch .LBB49_76
.LBB49_321:
	s_mov_b64 s[2:3], -1
	s_mov_b64 s[0:1], 0
	s_mov_b64 s[10:11], s[56:57]
                                        ; implicit-def: $vgpr0_vgpr1
	s_branch .LBB49_326
.LBB49_322:
	s_mov_b64 s[6:7], -1
	s_mov_b64 s[2:3], 0
	s_mov_b64 s[0:1], s[54:55]
	s_branch .LBB49_336
.LBB49_323:
	s_andn2_saveexec_b64 s[8:9], s[8:9]
	s_cbranch_execz .LBB49_87
.LBB49_324:
	s_mov_b32 s14, 0x42800000
	v_add_f32_e64 v3, |v2|, s14
	v_and_b32_e32 v3, 0xff, v3
	v_cmp_ne_u32_e32 vcc, 0, v3
	s_andn2_b64 s[6:7], s[6:7], exec
	s_and_b64 s[14:15], vcc, exec
	s_or_b64 s[6:7], s[6:7], s[14:15]
	s_or_b64 exec, exec, s[8:9]
	v_mov_b32_e32 v6, 0
	s_and_saveexec_b64 s[8:9], s[6:7]
	s_cbranch_execnz .LBB49_88
	s_branch .LBB49_89
.LBB49_325:
	s_mov_b64 s[10:11], -1
                                        ; implicit-def: $vgpr0_vgpr1
	s_mov_b64 s[0:1], 0
.LBB49_326:
	s_and_b64 vcc, exec, s[2:3]
	s_cbranch_vccz .LBB49_442
; %bb.327:
	s_cmp_eq_u32 s8, 44
	s_cbranch_scc0 .LBB49_441
; %bb.328:
	global_load_ubyte v5, v[3:4], off
	s_movk_i32 s2, 0xff
	v_bfrev_b32_e32 v6, 4
	v_mov_b32_e32 v7, 0x7ff80000
	v_bfrev_b32_e32 v8, 28
	s_mov_b64 s[0:1], -1
	s_mov_b64 s[10:11], 0
	s_waitcnt vmcnt(0)
	v_lshlrev_b32_e32 v0, 23, v5
	v_cvt_f64_f32_e32 v[0:1], v0
	v_cmp_ne_u32_e32 vcc, s2, v5
	v_cndmask_b32_e32 v0, v6, v0, vcc
	v_cndmask_b32_e32 v1, v7, v1, vcc
	v_cmp_ne_u32_e32 vcc, 0, v5
	v_cndmask_b32_e32 v1, v8, v1, vcc
	v_cndmask_b32_e32 v0, 0, v0, vcc
	s_branch .LBB49_442
.LBB49_329:
	s_mov_b64 s[6:7], -1
	s_mov_b64 s[2:3], 0
	s_mov_b64 s[0:1], s[54:55]
.LBB49_330:
	s_and_b64 vcc, exec, s[6:7]
	s_cbranch_vccz .LBB49_335
; %bb.331:
	s_cmp_eq_u32 s13, 44
	s_mov_b64 s[0:1], -1
	s_cbranch_scc0 .LBB49_335
; %bb.332:
	v_cvt_f32_f64_e32 v2, v[0:1]
	s_movk_i32 s0, 0xff
	v_mov_b32_e32 v6, 0xff
	v_bfe_u32 v3, v2, 23, 8
	v_cmp_ne_u32_e32 vcc, s0, v3
	s_and_saveexec_b64 s[2:3], vcc
; %bb.333:
	s_mov_b32 s0, 0x3fffff
	v_lshrrev_b32_e32 v6, 23, v2
	v_and_b32_e32 v7, 0x400000, v2
	v_and_or_b32 v2, v2, s0, v3
	v_cmp_ne_u32_e32 vcc, 0, v7
	v_cmp_ne_u32_e64 s[0:1], 0, v2
	s_and_b64 s[0:1], vcc, s[0:1]
	v_cndmask_b32_e64 v2, 0, 1, s[0:1]
	v_add_u32_e32 v6, v6, v2
; %bb.334:
	s_or_b64 exec, exec, s[2:3]
	s_mov_b64 s[2:3], -1
	s_mov_b64 s[0:1], 0
	global_store_byte v[4:5], v6, off
.LBB49_335:
	s_mov_b64 s[6:7], 0
.LBB49_336:
	s_and_b64 vcc, exec, s[6:7]
	s_cbranch_vccz .LBB49_339
; %bb.337:
	s_cmp_eq_u32 s13, 29
	s_mov_b64 s[0:1], -1
	s_cbranch_scc0 .LBB49_339
; %bb.338:
	v_trunc_f64_e32 v[2:3], v[0:1]
	s_movk_i32 s0, 0xffe0
	s_mov_b64 s[2:3], -1
	s_mov_b64 s[6:7], 0
	v_ldexp_f64 v[6:7], v[2:3], s0
	s_mov_b32 s0, 0
	s_mov_b32 s1, 0xc1f00000
	v_floor_f64_e32 v[6:7], v[6:7]
	v_fma_f64 v[2:3], v[6:7], s[0:1], v[2:3]
	v_cvt_u32_f64_e32 v7, v[6:7]
	s_mov_b64 s[0:1], 0
	v_cvt_u32_f64_e32 v6, v[2:3]
	global_store_dwordx2 v[4:5], v[6:7], off
	s_branch .LBB49_340
.LBB49_339:
	s_mov_b64 s[6:7], 0
.LBB49_340:
	s_and_b64 vcc, exec, s[6:7]
	s_cbranch_vccz .LBB49_356
; %bb.341:
	s_cmp_lt_i32 s13, 27
	s_mov_b64 s[2:3], -1
	s_cbranch_scc1 .LBB49_347
; %bb.342:
	v_cvt_u32_f64_e32 v2, v[0:1]
	s_cmp_gt_i32 s13, 27
	s_cbranch_scc0 .LBB49_344
; %bb.343:
	s_mov_b64 s[2:3], 0
	global_store_dword v[4:5], v2, off
.LBB49_344:
	s_andn2_b64 vcc, exec, s[2:3]
	s_cbranch_vccnz .LBB49_346
; %bb.345:
	global_store_short v[4:5], v2, off
.LBB49_346:
	s_mov_b64 s[2:3], 0
.LBB49_347:
	s_andn2_b64 vcc, exec, s[2:3]
	s_cbranch_vccnz .LBB49_355
; %bb.348:
	v_cvt_f32_f64_e32 v2, v[0:1]
	s_mov_b32 s2, 0x43800000
	v_mov_b32_e32 v6, 0x80
	v_and_b32_e32 v3, 0x7fffffff, v2
	v_cmp_gt_u32_e32 vcc, s2, v3
	s_and_saveexec_b64 s[2:3], vcc
	s_cbranch_execz .LBB49_354
; %bb.349:
	s_mov_b32 s6, 0x3bffffff
	v_cmp_lt_u32_e32 vcc, s6, v3
	s_mov_b64 s[6:7], 0
                                        ; implicit-def: $vgpr3
	s_and_saveexec_b64 s[8:9], vcc
	s_xor_b64 s[8:9], exec, s[8:9]
	s_cbranch_execz .LBB49_582
; %bb.350:
	v_bfe_u32 v3, v2, 20, 1
	s_mov_b32 s14, 0x487ffff
	v_add3_u32 v3, v2, v3, s14
	s_mov_b64 s[6:7], exec
	v_lshrrev_b32_e32 v3, 20, v3
	s_andn2_saveexec_b64 s[8:9], s[8:9]
	s_cbranch_execnz .LBB49_583
.LBB49_351:
	s_or_b64 exec, exec, s[8:9]
	v_mov_b32_e32 v6, 0
	s_and_saveexec_b64 s[8:9], s[6:7]
.LBB49_352:
	v_lshrrev_b32_e32 v2, 24, v2
	s_movk_i32 s6, 0x80
	v_and_or_b32 v6, v2, s6, v3
.LBB49_353:
	s_or_b64 exec, exec, s[8:9]
.LBB49_354:
	s_or_b64 exec, exec, s[2:3]
	global_store_byte v[4:5], v6, off
.LBB49_355:
	s_mov_b64 s[2:3], -1
.LBB49_356:
	s_mov_b64 s[6:7], 0
.LBB49_357:
	s_and_b64 vcc, exec, s[6:7]
	s_cbranch_vccz .LBB49_398
; %bb.358:
	s_cmp_gt_i32 s13, 22
	s_mov_b64 s[6:7], -1
	s_cbranch_scc0 .LBB49_390
; %bb.359:
	s_cmp_lt_i32 s13, 24
	s_mov_b64 s[2:3], -1
	s_cbranch_scc1 .LBB49_379
; %bb.360:
	s_cmp_gt_i32 s13, 24
	s_cbranch_scc0 .LBB49_368
; %bb.361:
	v_cvt_f32_f64_e32 v2, v[0:1]
	s_mov_b32 s2, 0x47800000
	v_mov_b32_e32 v6, 0x80
	v_and_b32_e32 v3, 0x7fffffff, v2
	v_cmp_gt_u32_e32 vcc, s2, v3
	s_and_saveexec_b64 s[2:3], vcc
	s_cbranch_execz .LBB49_367
; %bb.362:
	s_mov_b32 s6, 0x37ffffff
	v_cmp_lt_u32_e32 vcc, s6, v3
	s_mov_b64 s[6:7], 0
                                        ; implicit-def: $vgpr3
	s_and_saveexec_b64 s[8:9], vcc
	s_xor_b64 s[8:9], exec, s[8:9]
	s_cbranch_execz .LBB49_585
; %bb.363:
	v_bfe_u32 v3, v2, 21, 1
	s_mov_b32 s14, 0x88fffff
	v_add3_u32 v3, v2, v3, s14
	s_mov_b64 s[6:7], exec
	v_lshrrev_b32_e32 v3, 21, v3
	s_andn2_saveexec_b64 s[8:9], s[8:9]
	s_cbranch_execnz .LBB49_586
.LBB49_364:
	s_or_b64 exec, exec, s[8:9]
	v_mov_b32_e32 v6, 0
	s_and_saveexec_b64 s[8:9], s[6:7]
.LBB49_365:
	v_lshrrev_b32_e32 v2, 24, v2
	s_movk_i32 s6, 0x80
	v_and_or_b32 v6, v2, s6, v3
.LBB49_366:
	s_or_b64 exec, exec, s[8:9]
.LBB49_367:
	s_or_b64 exec, exec, s[2:3]
	s_mov_b64 s[2:3], 0
	global_store_byte v[4:5], v6, off
.LBB49_368:
	s_and_b64 vcc, exec, s[2:3]
	s_cbranch_vccz .LBB49_378
; %bb.369:
	v_cvt_f32_f64_e32 v2, v[0:1]
	s_mov_b32 s2, 0x43f00000
                                        ; implicit-def: $vgpr3
	v_and_b32_e32 v6, 0x7fffffff, v2
	v_cmp_gt_u32_e32 vcc, s2, v6
	s_and_saveexec_b64 s[2:3], vcc
	s_xor_b64 s[2:3], exec, s[2:3]
	s_cbranch_execz .LBB49_375
; %bb.370:
	s_mov_b32 s6, 0x3c7fffff
	v_cmp_lt_u32_e32 vcc, s6, v6
                                        ; implicit-def: $vgpr3
	s_and_saveexec_b64 s[6:7], vcc
	s_xor_b64 s[6:7], exec, s[6:7]
; %bb.371:
	v_bfe_u32 v3, v2, 20, 1
	s_mov_b32 s8, 0x407ffff
	v_add3_u32 v3, v2, v3, s8
	v_lshrrev_b32_e32 v6, 20, v3
	v_and_b32_e32 v3, 0xff00000, v3
	s_mov_b32 s8, 0x7f00000
	v_mov_b32_e32 v7, 0x7e
	v_cmp_ne_u32_e32 vcc, s8, v3
	v_cndmask_b32_e32 v3, v7, v6, vcc
; %bb.372:
	s_andn2_saveexec_b64 s[6:7], s[6:7]
; %bb.373:
	s_mov_b32 s8, 0x46800000
	v_add_f32_e64 v3, |v2|, s8
; %bb.374:
	s_or_b64 exec, exec, s[6:7]
                                        ; implicit-def: $vgpr6
.LBB49_375:
	s_andn2_saveexec_b64 s[2:3], s[2:3]
; %bb.376:
	s_mov_b32 s6, 0x7f800000
	v_mov_b32_e32 v3, 0x7e
	v_mov_b32_e32 v7, 0x7f
	v_cmp_lt_u32_e32 vcc, s6, v6
	v_cndmask_b32_e32 v3, v3, v7, vcc
; %bb.377:
	s_or_b64 exec, exec, s[2:3]
	v_lshrrev_b32_e32 v2, 24, v2
	s_movk_i32 s2, 0x80
	v_and_or_b32 v2, v2, s2, v3
	global_store_byte v[4:5], v2, off
.LBB49_378:
	s_mov_b64 s[2:3], 0
.LBB49_379:
	s_andn2_b64 vcc, exec, s[2:3]
	s_cbranch_vccnz .LBB49_389
; %bb.380:
	v_cvt_f32_f64_e32 v2, v[0:1]
	s_mov_b32 s2, 0x47800000
                                        ; implicit-def: $vgpr3
	v_and_b32_e32 v6, 0x7fffffff, v2
	v_cmp_gt_u32_e32 vcc, s2, v6
	s_and_saveexec_b64 s[2:3], vcc
	s_xor_b64 s[2:3], exec, s[2:3]
	s_cbranch_execz .LBB49_386
; %bb.381:
	s_mov_b32 s6, 0x387fffff
	v_cmp_lt_u32_e32 vcc, s6, v6
                                        ; implicit-def: $vgpr3
	s_and_saveexec_b64 s[6:7], vcc
	s_xor_b64 s[6:7], exec, s[6:7]
; %bb.382:
	v_bfe_u32 v3, v2, 21, 1
	s_mov_b32 s8, 0x80fffff
	v_add3_u32 v3, v2, v3, s8
	v_lshrrev_b32_e32 v3, 21, v3
; %bb.383:
	s_andn2_saveexec_b64 s[6:7], s[6:7]
; %bb.384:
	s_mov_b32 s8, 0x43000000
	v_add_f32_e64 v3, |v2|, s8
; %bb.385:
	s_or_b64 exec, exec, s[6:7]
                                        ; implicit-def: $vgpr6
.LBB49_386:
	s_andn2_saveexec_b64 s[2:3], s[2:3]
; %bb.387:
	s_mov_b32 s6, 0x7f800000
	v_mov_b32_e32 v3, 0x7c
	v_mov_b32_e32 v7, 0x7f
	v_cmp_lt_u32_e32 vcc, s6, v6
	v_cndmask_b32_e32 v3, v3, v7, vcc
; %bb.388:
	s_or_b64 exec, exec, s[2:3]
	v_lshrrev_b32_e32 v2, 24, v2
	s_movk_i32 s2, 0x80
	v_and_or_b32 v2, v2, s2, v3
	global_store_byte v[4:5], v2, off
.LBB49_389:
	s_mov_b64 s[6:7], 0
	s_mov_b64 s[2:3], -1
.LBB49_390:
	s_andn2_b64 vcc, exec, s[6:7]
	s_cbranch_vccnz .LBB49_398
; %bb.391:
	s_cmp_gt_i32 s13, 14
	s_mov_b64 s[6:7], -1
	s_cbranch_scc0 .LBB49_395
; %bb.392:
	s_cmp_eq_u32 s13, 15
	s_mov_b64 s[0:1], -1
	s_cbranch_scc0 .LBB49_394
; %bb.393:
	v_cvt_f32_f64_e32 v2, v[0:1]
	s_movk_i32 s0, 0x7fff
	v_mov_b32_e32 v3, 0x7fc0
	s_mov_b64 s[2:3], -1
	v_bfe_u32 v6, v2, 16, 1
	v_cmp_o_f32_e32 vcc, v2, v2
	v_add3_u32 v2, v2, v6, s0
	v_cndmask_b32_sdwa v2, v3, v2, vcc dst_sel:DWORD dst_unused:UNUSED_PAD src0_sel:DWORD src1_sel:WORD_1
	global_store_short v[4:5], v2, off
	s_mov_b64 s[0:1], 0
.LBB49_394:
	s_mov_b64 s[6:7], 0
.LBB49_395:
	s_and_b64 vcc, exec, s[6:7]
	s_cbranch_vccz .LBB49_398
; %bb.396:
	s_cmp_eq_u32 s13, 11
	s_mov_b64 s[0:1], -1
	s_cbranch_scc0 .LBB49_398
; %bb.397:
	v_cmp_neq_f64_e32 vcc, 0, v[0:1]
	s_mov_b64 s[0:1], 0
	s_mov_b64 s[2:3], -1
	v_cndmask_b32_e64 v2, 0, 1, vcc
	global_store_byte v[4:5], v2, off
.LBB49_398:
	s_mov_b64 s[6:7], 0
.LBB49_399:
	s_and_b64 vcc, exec, s[6:7]
	s_cbranch_vccz .LBB49_438
; %bb.400:
	s_and_b32 s6, 0xffff, s12
	s_cmp_lt_i32 s6, 5
	s_mov_b64 s[2:3], -1
	s_cbranch_scc1 .LBB49_421
; %bb.401:
	s_cmp_lt_i32 s6, 8
	s_cbranch_scc1 .LBB49_411
; %bb.402:
	s_cmp_lt_i32 s6, 9
	s_cbranch_scc1 .LBB49_408
; %bb.403:
	s_cmp_gt_i32 s6, 9
	s_cbranch_scc0 .LBB49_405
; %bb.404:
	v_mov_b32_e32 v2, 0
	v_mov_b32_e32 v3, v2
	s_mov_b64 s[2:3], 0
	global_store_dwordx4 v[4:5], v[0:3], off
.LBB49_405:
	s_andn2_b64 vcc, exec, s[2:3]
	s_cbranch_vccnz .LBB49_407
; %bb.406:
	v_cvt_f32_f64_e32 v2, v[0:1]
	v_mov_b32_e32 v3, 0
	global_store_dwordx2 v[4:5], v[2:3], off
.LBB49_407:
	s_mov_b64 s[2:3], 0
.LBB49_408:
	s_andn2_b64 vcc, exec, s[2:3]
	s_cbranch_vccnz .LBB49_410
; %bb.409:
	s_movk_i32 s2, 0x1ff
	v_and_or_b32 v2, v1, s2, v0
	v_cmp_ne_u32_e32 vcc, 0, v2
	v_cndmask_b32_e64 v2, 0, 1, vcc
	v_lshrrev_b32_e32 v3, 8, v1
	s_movk_i32 s2, 0xffe
	v_bfe_u32 v6, v1, 20, 11
	v_and_or_b32 v2, v3, s2, v2
	v_sub_u32_e32 v7, 0x3f1, v6
	v_or_b32_e32 v3, 0x1000, v2
	v_med3_i32 v7, v7, 0, 13
	v_lshrrev_b32_e32 v8, v7, v3
	v_lshlrev_b32_e32 v7, v7, v8
	v_cmp_ne_u32_e32 vcc, v7, v3
	v_cndmask_b32_e64 v3, 0, 1, vcc
	v_add_u32_e32 v6, 0xfffffc10, v6
	v_or_b32_e32 v3, v8, v3
	v_lshl_or_b32 v7, v6, 12, v2
	v_cmp_gt_i32_e32 vcc, 1, v6
	v_cndmask_b32_e32 v3, v7, v3, vcc
	v_and_b32_e32 v7, 7, v3
	v_cmp_lt_i32_e32 vcc, 5, v7
	v_cndmask_b32_e64 v8, 0, 1, vcc
	v_cmp_eq_u32_e32 vcc, 3, v7
	v_cndmask_b32_e64 v7, 0, 1, vcc
	v_or_b32_e32 v7, v7, v8
	v_lshrrev_b32_e32 v3, 2, v3
	v_add_u32_e32 v3, v3, v7
	v_mov_b32_e32 v7, 0x7c00
	v_cmp_gt_i32_e32 vcc, 31, v6
	v_cndmask_b32_e32 v3, v7, v3, vcc
	v_mov_b32_e32 v8, 0x7e00
	v_cmp_ne_u32_e32 vcc, 0, v2
	s_movk_i32 s2, 0x40f
	v_cndmask_b32_e32 v2, v7, v8, vcc
	v_cmp_eq_u32_e32 vcc, s2, v6
	v_cndmask_b32_e32 v2, v3, v2, vcc
	v_lshrrev_b32_e32 v3, 16, v1
	s_mov_b32 s2, 0x8000
	v_and_or_b32 v2, v3, s2, v2
	v_and_b32_e32 v2, 0xffff, v2
	global_store_dword v[4:5], v2, off
.LBB49_410:
	s_mov_b64 s[2:3], 0
.LBB49_411:
	s_andn2_b64 vcc, exec, s[2:3]
	s_cbranch_vccnz .LBB49_420
; %bb.412:
	s_cmp_lt_i32 s6, 6
	s_mov_b64 s[2:3], -1
	s_cbranch_scc1 .LBB49_418
; %bb.413:
	s_cmp_gt_i32 s6, 6
	s_cbranch_scc0 .LBB49_415
; %bb.414:
	s_mov_b64 s[2:3], 0
	global_store_dwordx2 v[4:5], v[0:1], off
.LBB49_415:
	s_andn2_b64 vcc, exec, s[2:3]
	s_cbranch_vccnz .LBB49_417
; %bb.416:
	v_cvt_f32_f64_e32 v2, v[0:1]
	global_store_dword v[4:5], v2, off
.LBB49_417:
	s_mov_b64 s[2:3], 0
.LBB49_418:
	s_andn2_b64 vcc, exec, s[2:3]
	s_cbranch_vccnz .LBB49_420
; %bb.419:
	s_movk_i32 s2, 0x1ff
	v_and_or_b32 v2, v1, s2, v0
	v_cmp_ne_u32_e32 vcc, 0, v2
	v_cndmask_b32_e64 v2, 0, 1, vcc
	v_lshrrev_b32_e32 v3, 8, v1
	s_movk_i32 s2, 0xffe
	v_bfe_u32 v6, v1, 20, 11
	v_and_or_b32 v2, v3, s2, v2
	v_sub_u32_e32 v7, 0x3f1, v6
	v_or_b32_e32 v3, 0x1000, v2
	v_med3_i32 v7, v7, 0, 13
	v_lshrrev_b32_e32 v8, v7, v3
	v_lshlrev_b32_e32 v7, v7, v8
	v_cmp_ne_u32_e32 vcc, v7, v3
	v_cndmask_b32_e64 v3, 0, 1, vcc
	v_add_u32_e32 v6, 0xfffffc10, v6
	v_or_b32_e32 v3, v8, v3
	v_lshl_or_b32 v7, v6, 12, v2
	v_cmp_gt_i32_e32 vcc, 1, v6
	v_cndmask_b32_e32 v3, v7, v3, vcc
	v_and_b32_e32 v7, 7, v3
	v_cmp_lt_i32_e32 vcc, 5, v7
	v_cndmask_b32_e64 v8, 0, 1, vcc
	v_cmp_eq_u32_e32 vcc, 3, v7
	v_cndmask_b32_e64 v7, 0, 1, vcc
	v_or_b32_e32 v7, v7, v8
	v_lshrrev_b32_e32 v3, 2, v3
	v_add_u32_e32 v3, v3, v7
	v_mov_b32_e32 v7, 0x7c00
	v_cmp_gt_i32_e32 vcc, 31, v6
	v_cndmask_b32_e32 v3, v7, v3, vcc
	v_mov_b32_e32 v8, 0x7e00
	v_cmp_ne_u32_e32 vcc, 0, v2
	s_movk_i32 s2, 0x40f
	v_cndmask_b32_e32 v2, v7, v8, vcc
	v_cmp_eq_u32_e32 vcc, s2, v6
	v_cndmask_b32_e32 v2, v3, v2, vcc
	v_lshrrev_b32_e32 v3, 16, v1
	s_mov_b32 s2, 0x8000
	v_and_or_b32 v2, v3, s2, v2
	global_store_short v[4:5], v2, off
.LBB49_420:
	s_mov_b64 s[2:3], 0
.LBB49_421:
	s_andn2_b64 vcc, exec, s[2:3]
	s_cbranch_vccnz .LBB49_437
; %bb.422:
	s_cmp_lt_i32 s6, 2
	s_mov_b64 s[2:3], -1
	s_cbranch_scc1 .LBB49_432
; %bb.423:
	s_cmp_lt_i32 s6, 3
	s_cbranch_scc1 .LBB49_429
; %bb.424:
	s_cmp_gt_i32 s6, 3
	s_cbranch_scc0 .LBB49_426
; %bb.425:
	v_trunc_f64_e32 v[2:3], v[0:1]
	s_movk_i32 s2, 0xffe0
	v_ldexp_f64 v[6:7], v[2:3], s2
	s_mov_b32 s2, 0
	s_mov_b32 s3, 0xc1f00000
	v_floor_f64_e32 v[6:7], v[6:7]
	v_fma_f64 v[2:3], v[6:7], s[2:3], v[2:3]
	v_cvt_i32_f64_e32 v7, v[6:7]
	s_mov_b64 s[2:3], 0
	v_cvt_u32_f64_e32 v6, v[2:3]
	global_store_dwordx2 v[4:5], v[6:7], off
.LBB49_426:
	s_andn2_b64 vcc, exec, s[2:3]
	s_cbranch_vccnz .LBB49_428
; %bb.427:
	v_cvt_i32_f64_e32 v2, v[0:1]
	global_store_dword v[4:5], v2, off
.LBB49_428:
	s_mov_b64 s[2:3], 0
.LBB49_429:
	s_andn2_b64 vcc, exec, s[2:3]
	s_cbranch_vccnz .LBB49_431
; %bb.430:
	v_cvt_i32_f64_e32 v2, v[0:1]
	global_store_short v[4:5], v2, off
.LBB49_431:
	s_mov_b64 s[2:3], 0
.LBB49_432:
	s_andn2_b64 vcc, exec, s[2:3]
	s_cbranch_vccnz .LBB49_437
; %bb.433:
	s_cmp_gt_i32 s6, 0
	s_mov_b64 s[2:3], -1
	s_cbranch_scc0 .LBB49_435
; %bb.434:
	v_cvt_i32_f64_e32 v2, v[0:1]
	s_mov_b64 s[2:3], 0
	global_store_byte v[4:5], v2, off
.LBB49_435:
	s_andn2_b64 vcc, exec, s[2:3]
	s_cbranch_vccnz .LBB49_437
; %bb.436:
	v_trunc_f64_e32 v[0:1], v[0:1]
	s_movk_i32 s2, 0xffe0
	v_ldexp_f64 v[2:3], v[0:1], s2
	s_mov_b32 s2, 0
	s_mov_b32 s3, 0xc1f00000
	v_floor_f64_e32 v[2:3], v[2:3]
	v_fma_f64 v[0:1], v[2:3], s[2:3], v[0:1]
	v_cvt_u32_f64_e32 v0, v[0:1]
	global_store_byte v[4:5], v0, off
.LBB49_437:
	s_mov_b64 s[2:3], -1
.LBB49_438:
	s_andn2_b64 vcc, exec, s[2:3]
	s_cbranch_vccnz .LBB49_440
; %bb.439:
	v_add_u32_e32 v19, 0x80, v19
	s_mov_b64 s[2:3], -1
	s_branch .LBB49_553
.LBB49_440:
	s_mov_b64 s[2:3], 0
	s_branch .LBB49_552
.LBB49_441:
	s_mov_b64 s[10:11], -1
                                        ; implicit-def: $vgpr0_vgpr1
.LBB49_442:
	s_mov_b64 s[2:3], 0
.LBB49_443:
	s_and_b64 vcc, exec, s[2:3]
	s_cbranch_vccz .LBB49_447
; %bb.444:
	s_cmp_eq_u32 s8, 29
	s_cbranch_scc0 .LBB49_446
; %bb.445:
	global_load_dwordx2 v[0:1], v[3:4], off
	s_mov_b64 s[0:1], -1
	s_mov_b64 s[10:11], 0
	s_mov_b64 s[2:3], 0
	s_waitcnt vmcnt(0)
	v_cvt_f64_u32_e32 v[5:6], v1
	v_cvt_f64_u32_e32 v[0:1], v0
	v_ldexp_f64 v[5:6], v[5:6], 32
	v_add_f64 v[0:1], v[5:6], v[0:1]
	s_branch .LBB49_448
.LBB49_446:
	s_mov_b64 s[10:11], -1
                                        ; implicit-def: $vgpr0_vgpr1
.LBB49_447:
	s_mov_b64 s[2:3], 0
.LBB49_448:
	s_and_b64 vcc, exec, s[2:3]
	s_cbranch_vccz .LBB49_468
; %bb.449:
	s_cmp_lt_i32 s8, 27
	s_cbranch_scc1 .LBB49_452
; %bb.450:
	s_cmp_gt_i32 s8, 27
	s_cbranch_scc0 .LBB49_453
; %bb.451:
	global_load_dword v0, v[3:4], off
	s_mov_b64 s[0:1], 0
	s_waitcnt vmcnt(0)
	v_cvt_f64_u32_e32 v[0:1], v0
	s_branch .LBB49_454
.LBB49_452:
	s_mov_b64 s[0:1], -1
                                        ; implicit-def: $vgpr0_vgpr1
	s_branch .LBB49_457
.LBB49_453:
	s_mov_b64 s[0:1], -1
                                        ; implicit-def: $vgpr0_vgpr1
.LBB49_454:
	s_andn2_b64 vcc, exec, s[0:1]
	s_cbranch_vccnz .LBB49_456
; %bb.455:
	global_load_ushort v0, v[3:4], off
	s_waitcnt vmcnt(0)
	v_cvt_f64_u32_e32 v[0:1], v0
.LBB49_456:
	s_mov_b64 s[0:1], 0
.LBB49_457:
	s_andn2_b64 vcc, exec, s[0:1]
	s_cbranch_vccnz .LBB49_467
; %bb.458:
	global_load_ubyte v5, v[3:4], off
	s_movk_i32 s0, 0x7f
	s_waitcnt vmcnt(0)
	v_cmp_lt_i16_e32 vcc, s0, v5
	s_mov_b64 s[0:1], 0
	s_and_saveexec_b64 s[2:3], vcc
	s_xor_b64 s[2:3], exec, s[2:3]
	s_cbranch_execz .LBB49_462
; %bb.459:
	s_movk_i32 s0, 0x80
	v_cmp_eq_u16_e32 vcc, s0, v5
	s_mov_b64 s[0:1], -1
	s_and_saveexec_b64 s[6:7], vcc
; %bb.460:
	s_xor_b64 s[0:1], exec, -1
; %bb.461:
	s_or_b64 exec, exec, s[6:7]
	s_and_b64 s[0:1], s[0:1], exec
.LBB49_462:
	s_or_saveexec_b64 s[2:3], s[2:3]
	v_bfrev_b32_e32 v0, 4
	v_mov_b32_e32 v1, 0x7ff80000
	s_xor_b64 exec, exec, s[2:3]
; %bb.463:
	v_cmp_ne_u16_e32 vcc, 0, v5
	v_mov_b32_e32 v0, 0
	s_andn2_b64 s[0:1], s[0:1], exec
	s_and_b64 s[6:7], vcc, exec
	v_mov_b32_e32 v1, 0
	s_or_b64 s[0:1], s[0:1], s[6:7]
; %bb.464:
	s_or_b64 exec, exec, s[2:3]
	s_and_saveexec_b64 s[2:3], s[0:1]
	s_cbranch_execz .LBB49_466
; %bb.465:
	v_and_b32_e32 v1, 0xffff, v5
	v_lshlrev_b32_e32 v0, 24, v5
	v_and_b32_e32 v5, 7, v1
	v_ffbh_u32_e32 v7, v5
	v_min_u32_e32 v7, 32, v7
	v_subrev_u32_e32 v8, 28, v7
	v_bfe_u32 v6, v1, 3, 4
	v_lshlrev_b32_e32 v1, v8, v1
	v_sub_u32_e32 v7, 29, v7
	v_and_b32_e32 v1, 7, v1
	v_cmp_eq_u32_e32 vcc, 0, v6
	v_cndmask_b32_e32 v6, v6, v7, vcc
	v_cndmask_b32_e32 v1, v5, v1, vcc
	v_mov_b32_e32 v5, 0x3b800000
	v_lshlrev_b32_e32 v1, 20, v1
	v_and_b32_e32 v0, 0x80000000, v0
	v_lshl_add_u32 v5, v6, 23, v5
	v_or3_b32 v0, v0, v5, v1
	v_cvt_f64_f32_e32 v[0:1], v0
.LBB49_466:
	s_or_b64 exec, exec, s[2:3]
.LBB49_467:
	s_mov_b64 s[0:1], -1
.LBB49_468:
	s_mov_b64 s[2:3], 0
.LBB49_469:
	s_and_b64 vcc, exec, s[2:3]
	s_cbranch_vccz .LBB49_502
; %bb.470:
	s_cmp_gt_i32 s8, 22
	s_cbranch_scc0 .LBB49_482
; %bb.471:
	s_cmp_lt_i32 s8, 24
	s_cbranch_scc1 .LBB49_483
; %bb.472:
	s_cmp_gt_i32 s8, 24
	s_cbranch_scc0 .LBB49_484
; %bb.473:
	global_load_ubyte v5, v[3:4], off
	s_movk_i32 s0, 0x7f
	s_waitcnt vmcnt(0)
	v_cmp_lt_i16_e32 vcc, s0, v5
	s_mov_b64 s[0:1], 0
	s_and_saveexec_b64 s[2:3], vcc
	s_xor_b64 s[2:3], exec, s[2:3]
	s_cbranch_execz .LBB49_477
; %bb.474:
	s_movk_i32 s0, 0x80
	v_cmp_eq_u16_e32 vcc, s0, v5
	s_mov_b64 s[0:1], -1
	s_and_saveexec_b64 s[6:7], vcc
; %bb.475:
	s_xor_b64 s[0:1], exec, -1
; %bb.476:
	s_or_b64 exec, exec, s[6:7]
	s_and_b64 s[0:1], s[0:1], exec
.LBB49_477:
	s_or_saveexec_b64 s[2:3], s[2:3]
	v_bfrev_b32_e32 v0, 4
	v_mov_b32_e32 v1, 0x7ff80000
	s_xor_b64 exec, exec, s[2:3]
; %bb.478:
	v_cmp_ne_u16_e32 vcc, 0, v5
	v_mov_b32_e32 v0, 0
	s_andn2_b64 s[0:1], s[0:1], exec
	s_and_b64 s[6:7], vcc, exec
	v_mov_b32_e32 v1, 0
	s_or_b64 s[0:1], s[0:1], s[6:7]
; %bb.479:
	s_or_b64 exec, exec, s[2:3]
	s_and_saveexec_b64 s[2:3], s[0:1]
	s_cbranch_execz .LBB49_481
; %bb.480:
	v_and_b32_e32 v1, 0xffff, v5
	v_lshlrev_b32_e32 v0, 24, v5
	v_and_b32_e32 v5, 3, v1
	v_ffbh_u32_e32 v7, v5
	v_min_u32_e32 v7, 32, v7
	v_subrev_u32_e32 v8, 29, v7
	v_bfe_u32 v6, v1, 2, 5
	v_lshlrev_b32_e32 v1, v8, v1
	v_sub_u32_e32 v7, 30, v7
	v_and_b32_e32 v1, 3, v1
	v_cmp_eq_u32_e32 vcc, 0, v6
	v_cndmask_b32_e32 v6, v6, v7, vcc
	v_cndmask_b32_e32 v1, v5, v1, vcc
	v_mov_b32_e32 v5, 0x37800000
	v_lshlrev_b32_e32 v1, 21, v1
	v_and_b32_e32 v0, 0x80000000, v0
	v_lshl_add_u32 v5, v6, 23, v5
	v_or3_b32 v0, v0, v5, v1
	v_cvt_f64_f32_e32 v[0:1], v0
.LBB49_481:
	s_or_b64 exec, exec, s[2:3]
	s_mov_b64 s[0:1], 0
	s_branch .LBB49_485
.LBB49_482:
	s_mov_b64 s[2:3], -1
                                        ; implicit-def: $vgpr0_vgpr1
	s_branch .LBB49_491
.LBB49_483:
	s_mov_b64 s[0:1], -1
                                        ; implicit-def: $vgpr0_vgpr1
	s_branch .LBB49_488
.LBB49_484:
	s_mov_b64 s[0:1], -1
                                        ; implicit-def: $vgpr0_vgpr1
.LBB49_485:
	s_and_b64 vcc, exec, s[0:1]
	s_cbranch_vccz .LBB49_487
; %bb.486:
	global_load_ubyte v0, v[3:4], off
	s_mov_b32 s0, 0x7f800000
	s_waitcnt vmcnt(0)
	v_lshlrev_b32_e32 v0, 24, v0
	v_and_b32_e32 v1, 0x7f000000, v0
	v_ffbh_u32_e32 v5, v1
	v_min_u32_e32 v5, 32, v5
	v_sub_u32_e64 v5, v5, 4 clamp
	v_lshlrev_b32_e32 v7, v5, v1
	v_lshlrev_b32_e32 v5, 23, v5
	v_lshrrev_b32_e32 v7, 4, v7
	v_add_u32_e32 v6, 0x1000000, v1
	v_sub_u32_e32 v5, v7, v5
	v_ashrrev_i32_e32 v6, 8, v6
	v_add_u32_e32 v5, 0x3c000000, v5
	v_and_or_b32 v5, v6, s0, v5
	v_cmp_ne_u32_e32 vcc, 0, v1
	v_cndmask_b32_e32 v1, 0, v5, vcc
	s_brev_b32 s0, 1
	v_and_or_b32 v0, v0, s0, v1
	v_cvt_f64_f32_e32 v[0:1], v0
.LBB49_487:
	s_mov_b64 s[0:1], 0
.LBB49_488:
	s_andn2_b64 vcc, exec, s[0:1]
	s_cbranch_vccnz .LBB49_490
; %bb.489:
	global_load_ubyte v0, v[3:4], off
	s_movk_i32 s0, 0x7f00
	s_brev_b32 s1, 16
	s_waitcnt vmcnt(0)
	v_lshlrev_b16_e32 v1, 8, v0
	v_lshlrev_b32_e32 v0, 25, v0
	v_lshrrev_b32_e32 v5, 4, v0
	v_and_or_b32 v6, v1, s0, 0.5
	v_or_b32_e32 v5, 0x70000000, v5
	v_add_f32_e32 v6, -0.5, v6
	v_mul_f32_e32 v5, 0x7800000, v5
	v_cmp_gt_u32_e32 vcc, s1, v0
	v_bfe_i32 v1, v1, 0, 16
	v_cndmask_b32_e32 v0, v5, v6, vcc
	s_brev_b32 s0, 1
	v_and_or_b32 v0, v1, s0, v0
	v_cvt_f64_f32_e32 v[0:1], v0
.LBB49_490:
	s_mov_b64 s[2:3], 0
	s_mov_b64 s[0:1], -1
.LBB49_491:
	s_andn2_b64 vcc, exec, s[2:3]
	s_cbranch_vccnz .LBB49_502
; %bb.492:
	s_cmp_gt_i32 s8, 14
	s_cbranch_scc0 .LBB49_495
; %bb.493:
	s_cmp_eq_u32 s8, 15
	s_cbranch_scc0 .LBB49_496
; %bb.494:
	global_load_ushort v0, v[3:4], off
	s_mov_b64 s[0:1], -1
	s_mov_b64 s[10:11], 0
	s_waitcnt vmcnt(0)
	v_lshlrev_b32_e32 v0, 16, v0
	v_cvt_f64_f32_e32 v[0:1], v0
	s_branch .LBB49_497
.LBB49_495:
	s_mov_b64 s[2:3], -1
                                        ; implicit-def: $vgpr0_vgpr1
	s_branch .LBB49_498
.LBB49_496:
	s_mov_b64 s[10:11], -1
                                        ; implicit-def: $vgpr0_vgpr1
.LBB49_497:
	s_mov_b64 s[2:3], 0
.LBB49_498:
	s_and_b64 vcc, exec, s[2:3]
	s_cbranch_vccz .LBB49_502
; %bb.499:
	s_cmp_eq_u32 s8, 11
	s_cbranch_scc0 .LBB49_501
; %bb.500:
	global_load_ubyte v1, v[3:4], off
	v_mov_b32_e32 v5, 0x3ff00000
	v_mov_b32_e32 v0, 0
	s_mov_b64 s[0:1], -1
	s_mov_b64 s[10:11], 0
	s_waitcnt vmcnt(0)
	v_cmp_ne_u16_e32 vcc, 0, v1
	v_cndmask_b32_e32 v1, 0, v5, vcc
	s_branch .LBB49_502
.LBB49_501:
	s_mov_b64 s[10:11], -1
                                        ; implicit-def: $vgpr0_vgpr1
.LBB49_502:
	s_branch .LBB49_299
.LBB49_503:
	s_cmp_lt_i32 s8, 5
	s_cbranch_scc1 .LBB49_508
; %bb.504:
	s_cmp_lt_i32 s8, 8
	s_cbranch_scc1 .LBB49_509
; %bb.505:
	;; [unrolled: 3-line block ×3, first 2 shown]
	s_cmp_gt_i32 s8, 9
	s_cbranch_scc0 .LBB49_511
; %bb.507:
	global_load_dwordx2 v[0:1], v[3:4], off
	s_mov_b64 s[0:1], 0
	s_branch .LBB49_512
.LBB49_508:
	s_mov_b64 s[0:1], -1
                                        ; implicit-def: $vgpr0_vgpr1
	s_branch .LBB49_530
.LBB49_509:
	s_mov_b64 s[0:1], -1
                                        ; implicit-def: $vgpr0_vgpr1
	s_branch .LBB49_518
.LBB49_510:
	s_mov_b64 s[0:1], -1
                                        ; implicit-def: $vgpr0_vgpr1
	s_branch .LBB49_515
.LBB49_511:
	s_mov_b64 s[0:1], -1
                                        ; implicit-def: $vgpr0_vgpr1
.LBB49_512:
	s_andn2_b64 vcc, exec, s[0:1]
	s_cbranch_vccnz .LBB49_514
; %bb.513:
	global_load_dword v0, v[3:4], off
	s_waitcnt vmcnt(0)
	v_cvt_f64_f32_e32 v[0:1], v0
.LBB49_514:
	s_mov_b64 s[0:1], 0
.LBB49_515:
	s_andn2_b64 vcc, exec, s[0:1]
	s_cbranch_vccnz .LBB49_517
; %bb.516:
	global_load_dword v0, v[3:4], off
	s_waitcnt vmcnt(0)
	v_cvt_f32_f16_e32 v0, v0
	v_cvt_f64_f32_e32 v[0:1], v0
.LBB49_517:
	s_mov_b64 s[0:1], 0
.LBB49_518:
	s_andn2_b64 vcc, exec, s[0:1]
	s_cbranch_vccnz .LBB49_529
; %bb.519:
	s_cmp_lt_i32 s8, 6
	s_cbranch_scc1 .LBB49_522
; %bb.520:
	s_cmp_gt_i32 s8, 6
	s_cbranch_scc0 .LBB49_523
; %bb.521:
	global_load_dwordx2 v[0:1], v[3:4], off
	s_mov_b64 s[0:1], 0
	s_branch .LBB49_524
.LBB49_522:
	s_mov_b64 s[0:1], -1
                                        ; implicit-def: $vgpr0_vgpr1
	s_branch .LBB49_527
.LBB49_523:
	s_mov_b64 s[0:1], -1
                                        ; implicit-def: $vgpr0_vgpr1
.LBB49_524:
	s_andn2_b64 vcc, exec, s[0:1]
	s_cbranch_vccnz .LBB49_526
; %bb.525:
	global_load_dword v0, v[3:4], off
	s_waitcnt vmcnt(0)
	v_cvt_f64_f32_e32 v[0:1], v0
.LBB49_526:
	s_mov_b64 s[0:1], 0
.LBB49_527:
	s_andn2_b64 vcc, exec, s[0:1]
	s_cbranch_vccnz .LBB49_529
; %bb.528:
	global_load_ushort v0, v[3:4], off
	s_waitcnt vmcnt(0)
	v_cvt_f32_f16_e32 v0, v0
	v_cvt_f64_f32_e32 v[0:1], v0
.LBB49_529:
	s_mov_b64 s[0:1], 0
.LBB49_530:
	s_andn2_b64 vcc, exec, s[0:1]
	s_cbranch_vccnz .LBB49_550
; %bb.531:
	s_cmp_lt_i32 s8, 2
	s_cbranch_scc1 .LBB49_535
; %bb.532:
	s_cmp_lt_i32 s8, 3
	s_cbranch_scc1 .LBB49_536
; %bb.533:
	s_cmp_gt_i32 s8, 3
	s_cbranch_scc0 .LBB49_537
; %bb.534:
	global_load_dwordx2 v[0:1], v[3:4], off
	s_mov_b64 s[0:1], 0
	s_waitcnt vmcnt(0)
	v_cvt_f64_i32_e32 v[5:6], v1
	v_cvt_f64_u32_e32 v[0:1], v0
	v_ldexp_f64 v[5:6], v[5:6], 32
	v_add_f64 v[0:1], v[5:6], v[0:1]
	s_branch .LBB49_538
.LBB49_535:
	s_mov_b64 s[0:1], -1
                                        ; implicit-def: $vgpr0_vgpr1
	s_branch .LBB49_544
.LBB49_536:
	s_mov_b64 s[0:1], -1
                                        ; implicit-def: $vgpr0_vgpr1
	s_branch .LBB49_541
.LBB49_537:
	s_mov_b64 s[0:1], -1
                                        ; implicit-def: $vgpr0_vgpr1
.LBB49_538:
	s_andn2_b64 vcc, exec, s[0:1]
	s_cbranch_vccnz .LBB49_540
; %bb.539:
	global_load_dword v0, v[3:4], off
	s_waitcnt vmcnt(0)
	v_cvt_f64_i32_e32 v[0:1], v0
.LBB49_540:
	s_mov_b64 s[0:1], 0
.LBB49_541:
	s_andn2_b64 vcc, exec, s[0:1]
	s_cbranch_vccnz .LBB49_543
; %bb.542:
	global_load_sshort v0, v[3:4], off
	s_waitcnt vmcnt(0)
	v_cvt_f64_i32_e32 v[0:1], v0
.LBB49_543:
	s_mov_b64 s[0:1], 0
.LBB49_544:
	s_andn2_b64 vcc, exec, s[0:1]
	s_cbranch_vccnz .LBB49_550
; %bb.545:
	s_cmp_gt_i32 s8, 0
	s_cbranch_scc0 .LBB49_547
; %bb.546:
	global_load_sbyte v0, v[3:4], off
	s_mov_b64 s[0:1], 0
	s_waitcnt vmcnt(0)
	v_cvt_f64_i32_e32 v[0:1], v0
	s_branch .LBB49_548
.LBB49_547:
	s_mov_b64 s[0:1], -1
                                        ; implicit-def: $vgpr0_vgpr1
.LBB49_548:
	s_andn2_b64 vcc, exec, s[0:1]
	s_cbranch_vccnz .LBB49_550
; %bb.549:
	global_load_ubyte v0, v[3:4], off
	s_waitcnt vmcnt(0)
	v_cvt_f64_u32_e32 v[0:1], v0
.LBB49_550:
	s_branch .LBB49_300
.LBB49_551:
	s_mov_b64 s[2:3], 0
	s_mov_b64 s[0:1], s[54:55]
.LBB49_552:
                                        ; implicit-def: $vgpr19
.LBB49_553:
	s_andn2_b64 s[6:7], s[54:55], exec
	s_and_b64 s[0:1], s[0:1], exec
	s_or_b64 s[62:63], s[6:7], s[0:1]
	s_andn2_b64 s[0:1], s[56:57], exec
	s_and_b64 s[6:7], s[10:11], exec
	s_or_b64 s[60:61], s[0:1], s[6:7]
	s_orn2_b64 s[0:1], s[2:3], exec
.LBB49_554:
	s_or_b64 exec, exec, s[64:65]
	s_mov_b64 s[2:3], 0
	s_mov_b64 s[8:9], 0
	;; [unrolled: 1-line block ×3, first 2 shown]
                                        ; implicit-def: $vgpr0_vgpr1
                                        ; implicit-def: $vgpr2
                                        ; implicit-def: $vgpr3_vgpr4
	s_and_saveexec_b64 s[64:65], s[0:1]
	s_cbranch_execz .LBB49_935
; %bb.555:
	v_cmp_gt_i32_e32 vcc, s70, v19
	s_mov_b64 s[2:3], -1
	s_mov_b64 s[6:7], s[60:61]
	s_mov_b64 s[68:69], s[62:63]
	s_and_saveexec_b64 s[66:67], vcc
	s_cbranch_execz .LBB49_835
; %bb.556:
	s_andn2_b64 vcc, exec, s[42:43]
	s_cbranch_vccnz .LBB49_561
; %bb.557:
	s_andn2_b64 vcc, exec, s[52:53]
	s_cbranch_vccnz .LBB49_562
; %bb.558:
	s_add_i32 s76, s75, 1
	s_cmp_eq_u32 s72, 2
	s_cbranch_scc1 .LBB49_563
; %bb.559:
	s_and_b32 s71, s76, 28
	s_waitcnt vmcnt(0)
	v_mov_b32_e32 v0, 0
	s_mov_b32 s77, 0
	s_mov_b64 s[6:7], s[34:35]
	s_mov_b64 s[68:69], s[50:51]
	v_mov_b32_e32 v2, 0
	v_mov_b32_e32 v1, v19
.LBB49_560:                             ; =>This Inner Loop Header: Depth=1
	s_load_dwordx8 s[16:23], s[6:7], 0x4
	s_load_dwordx4 s[0:3], s[6:7], 0x24
	s_load_dwordx8 s[8:15], s[68:69], 0x0
	s_add_u32 s6, s6, 48
	s_addc_u32 s7, s7, 0
	s_waitcnt lgkmcnt(0)
	v_mul_hi_u32 v3, s17, v1
	s_add_i32 s77, s77, 4
	s_add_u32 s68, s68, 32
	s_addc_u32 s69, s69, 0
	v_add_u32_e32 v3, v1, v3
	v_lshrrev_b32_e32 v3, s18, v3
	v_mul_lo_u32 v4, v3, s16
	v_mul_hi_u32 v5, s20, v3
	s_cmp_eq_u32 s71, s77
	v_sub_u32_e32 v1, v1, v4
	v_add_u32_e32 v4, v3, v5
	v_mul_lo_u32 v5, v1, s8
	v_mul_lo_u32 v6, v1, s9
	v_lshrrev_b32_e32 v1, s21, v4
	v_mul_lo_u32 v4, v1, s19
	v_mul_hi_u32 v7, s23, v1
	v_sub_u32_e32 v3, v3, v4
	v_add_u32_e32 v4, v1, v7
	v_lshrrev_b32_e32 v4, s0, v4
	v_mul_hi_u32 v8, s2, v4
	v_mul_lo_u32 v9, v4, s22
	v_mul_lo_u32 v7, v3, s10
	;; [unrolled: 1-line block ×3, first 2 shown]
	v_sub_u32_e32 v9, v1, v9
	v_add_u32_e32 v1, v4, v8
	v_lshrrev_b32_e32 v1, s3, v1
	v_mul_lo_u32 v8, v1, s1
	v_mul_lo_u32 v10, v9, s12
	;; [unrolled: 1-line block ×3, first 2 shown]
	v_add3_u32 v2, v5, v2, v7
	v_sub_u32_e32 v4, v4, v8
	v_mul_lo_u32 v8, v4, s14
	v_mul_lo_u32 v4, v4, s15
	v_add3_u32 v0, v6, v0, v3
	v_add3_u32 v2, v10, v2, v8
	;; [unrolled: 1-line block ×3, first 2 shown]
	s_cbranch_scc0 .LBB49_560
	s_branch .LBB49_564
.LBB49_561:
	s_mov_b64 s[0:1], -1
                                        ; implicit-def: $vgpr2
                                        ; implicit-def: $vgpr0
	s_branch .LBB49_568
.LBB49_562:
	v_mov_b32_e32 v2, 0
	s_waitcnt vmcnt(0)
	v_mov_b32_e32 v0, 0
	s_branch .LBB49_567
.LBB49_563:
	s_mov_b32 s71, 0
	v_mov_b32_e32 v2, 0
	s_waitcnt vmcnt(0)
	v_mov_b32_e32 v0, 0
	v_mov_b32_e32 v1, v19
.LBB49_564:
	s_and_b32 s6, s76, 3
	s_cmp_eq_u32 s6, 0
	s_cbranch_scc1 .LBB49_567
; %bb.565:
	s_lshl_b32 s0, s71, 3
	s_add_u32 s0, s34, s0
	s_addc_u32 s1, s35, 0
	s_add_u32 s0, s0, 0xc4
	s_addc_u32 s1, s1, 0
	s_mul_i32 s2, s71, 12
	s_add_u32 s2, s34, s2
	s_addc_u32 s3, s35, 0
.LBB49_566:                             ; =>This Inner Loop Header: Depth=1
	s_load_dwordx2 s[8:9], s[2:3], 0x4
	s_load_dword s7, s[2:3], 0xc
	s_load_dwordx2 s[10:11], s[0:1], 0x0
	s_add_u32 s2, s2, 12
	s_addc_u32 s3, s3, 0
	s_waitcnt lgkmcnt(0)
	v_mul_hi_u32 v3, s9, v1
	s_add_u32 s0, s0, 8
	s_addc_u32 s1, s1, 0
	s_add_i32 s6, s6, -1
	v_add_u32_e32 v3, v1, v3
	v_lshrrev_b32_e32 v4, s7, v3
	v_mul_lo_u32 v3, v4, s8
	s_cmp_lg_u32 s6, 0
	v_sub_u32_e32 v1, v1, v3
	v_mad_u64_u32 v[2:3], s[8:9], v1, s10, v[2:3]
	v_mad_u64_u32 v[0:1], s[8:9], v1, s11, v[0:1]
	v_mov_b32_e32 v1, v4
	s_cbranch_scc1 .LBB49_566
.LBB49_567:
	s_mov_b64 s[0:1], 0
.LBB49_568:
	s_andn2_b64 vcc, exec, s[0:1]
	s_cbranch_vccnz .LBB49_571
; %bb.569:
	s_waitcnt vmcnt(0) lgkmcnt(0)
	v_mul_hi_u32 v0, s37, v19
	s_andn2_b64 vcc, exec, s[48:49]
	v_add_u32_e32 v0, v19, v0
	v_lshrrev_b32_e32 v1, s38, v0
	v_mul_lo_u32 v0, v1, s36
	v_sub_u32_e32 v0, v19, v0
	v_mul_lo_u32 v2, v0, s28
	v_mul_lo_u32 v0, v0, s29
	s_cbranch_vccnz .LBB49_571
; %bb.570:
	v_mul_hi_u32 v3, s46, v1
	v_add_u32_e32 v3, v1, v3
	v_lshrrev_b32_e32 v3, s47, v3
	v_mul_lo_u32 v3, v3, s39
	v_sub_u32_e32 v1, v1, v3
	v_mad_u64_u32 v[2:3], s[0:1], v1, s30, v[2:3]
	v_mad_u64_u32 v[0:1], s[0:1], v1, s31, v[0:1]
.LBB49_571:
	s_waitcnt vmcnt(0) lgkmcnt(0)
	v_mov_b32_e32 v1, s27
	s_and_b32 s8, 0xffff, s74
	v_add_co_u32_e32 v3, vcc, s26, v0
	s_cmp_lt_i32 s8, 11
	v_addc_co_u32_e32 v4, vcc, 0, v1, vcc
	s_cbranch_scc1 .LBB49_578
; %bb.572:
	s_cmp_gt_i32 s8, 25
	s_cbranch_scc0 .LBB49_579
; %bb.573:
	s_cmp_gt_i32 s8, 28
	s_cbranch_scc0 .LBB49_580
	;; [unrolled: 3-line block ×4, first 2 shown]
; %bb.576:
	s_cmp_eq_u32 s8, 46
	s_mov_b64 s[2:3], 0
	s_cbranch_scc0 .LBB49_587
; %bb.577:
	global_load_dword v0, v[3:4], off
	s_mov_b64 s[0:1], -1
	s_mov_b64 s[10:11], 0
	s_waitcnt vmcnt(0)
	v_lshlrev_b32_e32 v0, 16, v0
	v_cvt_f64_f32_e32 v[0:1], v0
	s_branch .LBB49_588
.LBB49_578:
	s_mov_b64 s[2:3], -1
	s_mov_b64 s[0:1], 0
                                        ; implicit-def: $vgpr0_vgpr1
	s_mov_b64 s[10:11], s[60:61]
	s_branch .LBB49_653
.LBB49_579:
	s_mov_b64 s[2:3], -1
	s_mov_b64 s[0:1], 0
	s_mov_b64 s[10:11], s[60:61]
                                        ; implicit-def: $vgpr0_vgpr1
	s_branch .LBB49_619
.LBB49_580:
	s_mov_b64 s[2:3], -1
	s_mov_b64 s[0:1], 0
	s_mov_b64 s[10:11], s[60:61]
                                        ; implicit-def: $vgpr0_vgpr1
	s_branch .LBB49_598
.LBB49_581:
	s_mov_b64 s[2:3], -1
	s_mov_b64 s[0:1], 0
	s_mov_b64 s[10:11], s[60:61]
                                        ; implicit-def: $vgpr0_vgpr1
	s_branch .LBB49_593
.LBB49_582:
	s_andn2_saveexec_b64 s[8:9], s[8:9]
	s_cbranch_execz .LBB49_351
.LBB49_583:
	s_mov_b32 s14, 0x46000000
	v_add_f32_e64 v3, |v2|, s14
	v_and_b32_e32 v3, 0xff, v3
	v_cmp_ne_u32_e32 vcc, 0, v3
	s_andn2_b64 s[6:7], s[6:7], exec
	s_and_b64 s[14:15], vcc, exec
	s_or_b64 s[6:7], s[6:7], s[14:15]
	s_or_b64 exec, exec, s[8:9]
	v_mov_b32_e32 v6, 0
	s_and_saveexec_b64 s[8:9], s[6:7]
	s_cbranch_execnz .LBB49_352
	s_branch .LBB49_353
.LBB49_584:
	s_mov_b64 s[2:3], -1
	s_mov_b64 s[0:1], 0
	s_mov_b64 s[10:11], s[60:61]
                                        ; implicit-def: $vgpr0_vgpr1
	s_branch .LBB49_588
.LBB49_585:
	s_andn2_saveexec_b64 s[8:9], s[8:9]
	s_cbranch_execz .LBB49_364
.LBB49_586:
	s_mov_b32 s14, 0x42800000
	v_add_f32_e64 v3, |v2|, s14
	v_and_b32_e32 v3, 0xff, v3
	v_cmp_ne_u32_e32 vcc, 0, v3
	s_andn2_b64 s[6:7], s[6:7], exec
	s_and_b64 s[14:15], vcc, exec
	s_or_b64 s[6:7], s[6:7], s[14:15]
	s_or_b64 exec, exec, s[8:9]
	v_mov_b32_e32 v6, 0
	s_and_saveexec_b64 s[8:9], s[6:7]
	s_cbranch_execnz .LBB49_365
	s_branch .LBB49_366
.LBB49_587:
	s_mov_b64 s[10:11], -1
                                        ; implicit-def: $vgpr0_vgpr1
	s_mov_b64 s[0:1], 0
.LBB49_588:
	s_and_b64 vcc, exec, s[2:3]
	s_cbranch_vccz .LBB49_592
; %bb.589:
	s_cmp_eq_u32 s8, 44
	s_cbranch_scc0 .LBB49_591
; %bb.590:
	global_load_ubyte v5, v[3:4], off
	s_movk_i32 s2, 0xff
	v_bfrev_b32_e32 v6, 4
	v_mov_b32_e32 v7, 0x7ff80000
	v_bfrev_b32_e32 v8, 28
	s_mov_b64 s[0:1], -1
	s_mov_b64 s[10:11], 0
	s_waitcnt vmcnt(0)
	v_lshlrev_b32_e32 v0, 23, v5
	v_cvt_f64_f32_e32 v[0:1], v0
	v_cmp_ne_u32_e32 vcc, s2, v5
	v_cndmask_b32_e32 v0, v6, v0, vcc
	v_cndmask_b32_e32 v1, v7, v1, vcc
	v_cmp_ne_u32_e32 vcc, 0, v5
	v_cndmask_b32_e32 v1, v8, v1, vcc
	v_cndmask_b32_e32 v0, 0, v0, vcc
	s_branch .LBB49_592
.LBB49_591:
	s_mov_b64 s[10:11], -1
                                        ; implicit-def: $vgpr0_vgpr1
.LBB49_592:
	s_mov_b64 s[2:3], 0
.LBB49_593:
	s_and_b64 vcc, exec, s[2:3]
	s_cbranch_vccz .LBB49_597
; %bb.594:
	s_cmp_eq_u32 s8, 29
	s_cbranch_scc0 .LBB49_596
; %bb.595:
	global_load_dwordx2 v[0:1], v[3:4], off
	s_mov_b64 s[0:1], -1
	s_mov_b64 s[10:11], 0
	s_mov_b64 s[2:3], 0
	s_waitcnt vmcnt(0)
	v_cvt_f64_u32_e32 v[5:6], v1
	v_cvt_f64_u32_e32 v[0:1], v0
	v_ldexp_f64 v[5:6], v[5:6], 32
	v_add_f64 v[0:1], v[5:6], v[0:1]
	s_branch .LBB49_598
.LBB49_596:
	s_mov_b64 s[10:11], -1
                                        ; implicit-def: $vgpr0_vgpr1
.LBB49_597:
	s_mov_b64 s[2:3], 0
.LBB49_598:
	s_and_b64 vcc, exec, s[2:3]
	s_cbranch_vccz .LBB49_618
; %bb.599:
	s_cmp_lt_i32 s8, 27
	s_cbranch_scc1 .LBB49_602
; %bb.600:
	s_cmp_gt_i32 s8, 27
	s_cbranch_scc0 .LBB49_603
; %bb.601:
	global_load_dword v0, v[3:4], off
	s_mov_b64 s[0:1], 0
	s_waitcnt vmcnt(0)
	v_cvt_f64_u32_e32 v[0:1], v0
	s_branch .LBB49_604
.LBB49_602:
	s_mov_b64 s[0:1], -1
                                        ; implicit-def: $vgpr0_vgpr1
	s_branch .LBB49_607
.LBB49_603:
	s_mov_b64 s[0:1], -1
                                        ; implicit-def: $vgpr0_vgpr1
.LBB49_604:
	s_andn2_b64 vcc, exec, s[0:1]
	s_cbranch_vccnz .LBB49_606
; %bb.605:
	global_load_ushort v0, v[3:4], off
	s_waitcnt vmcnt(0)
	v_cvt_f64_u32_e32 v[0:1], v0
.LBB49_606:
	s_mov_b64 s[0:1], 0
.LBB49_607:
	s_andn2_b64 vcc, exec, s[0:1]
	s_cbranch_vccnz .LBB49_617
; %bb.608:
	global_load_ubyte v5, v[3:4], off
	s_movk_i32 s0, 0x7f
	s_waitcnt vmcnt(0)
	v_cmp_lt_i16_e32 vcc, s0, v5
	s_mov_b64 s[0:1], 0
	s_and_saveexec_b64 s[2:3], vcc
	s_xor_b64 s[2:3], exec, s[2:3]
	s_cbranch_execz .LBB49_612
; %bb.609:
	s_movk_i32 s0, 0x80
	v_cmp_eq_u16_e32 vcc, s0, v5
	s_mov_b64 s[0:1], -1
	s_and_saveexec_b64 s[6:7], vcc
; %bb.610:
	s_xor_b64 s[0:1], exec, -1
; %bb.611:
	s_or_b64 exec, exec, s[6:7]
	s_and_b64 s[0:1], s[0:1], exec
.LBB49_612:
	s_or_saveexec_b64 s[2:3], s[2:3]
	v_bfrev_b32_e32 v0, 4
	v_mov_b32_e32 v1, 0x7ff80000
	s_xor_b64 exec, exec, s[2:3]
; %bb.613:
	v_cmp_ne_u16_e32 vcc, 0, v5
	v_mov_b32_e32 v0, 0
	s_andn2_b64 s[0:1], s[0:1], exec
	s_and_b64 s[6:7], vcc, exec
	v_mov_b32_e32 v1, 0
	s_or_b64 s[0:1], s[0:1], s[6:7]
; %bb.614:
	s_or_b64 exec, exec, s[2:3]
	s_and_saveexec_b64 s[2:3], s[0:1]
	s_cbranch_execz .LBB49_616
; %bb.615:
	v_and_b32_e32 v1, 0xffff, v5
	v_lshlrev_b32_e32 v0, 24, v5
	v_and_b32_e32 v5, 7, v1
	v_ffbh_u32_e32 v7, v5
	v_min_u32_e32 v7, 32, v7
	v_subrev_u32_e32 v8, 28, v7
	v_bfe_u32 v6, v1, 3, 4
	v_lshlrev_b32_e32 v1, v8, v1
	v_sub_u32_e32 v7, 29, v7
	v_and_b32_e32 v1, 7, v1
	v_cmp_eq_u32_e32 vcc, 0, v6
	v_cndmask_b32_e32 v6, v6, v7, vcc
	v_cndmask_b32_e32 v1, v5, v1, vcc
	v_mov_b32_e32 v5, 0x3b800000
	v_lshlrev_b32_e32 v1, 20, v1
	v_and_b32_e32 v0, 0x80000000, v0
	v_lshl_add_u32 v5, v6, 23, v5
	v_or3_b32 v0, v0, v5, v1
	v_cvt_f64_f32_e32 v[0:1], v0
.LBB49_616:
	s_or_b64 exec, exec, s[2:3]
.LBB49_617:
	s_mov_b64 s[0:1], -1
.LBB49_618:
	s_mov_b64 s[2:3], 0
.LBB49_619:
	s_and_b64 vcc, exec, s[2:3]
	s_cbranch_vccz .LBB49_652
; %bb.620:
	s_cmp_gt_i32 s8, 22
	s_cbranch_scc0 .LBB49_632
; %bb.621:
	s_cmp_lt_i32 s8, 24
	s_cbranch_scc1 .LBB49_633
; %bb.622:
	s_cmp_gt_i32 s8, 24
	s_cbranch_scc0 .LBB49_634
; %bb.623:
	global_load_ubyte v5, v[3:4], off
	s_movk_i32 s0, 0x7f
	s_waitcnt vmcnt(0)
	v_cmp_lt_i16_e32 vcc, s0, v5
	s_mov_b64 s[0:1], 0
	s_and_saveexec_b64 s[2:3], vcc
	s_xor_b64 s[2:3], exec, s[2:3]
	s_cbranch_execz .LBB49_627
; %bb.624:
	s_movk_i32 s0, 0x80
	v_cmp_eq_u16_e32 vcc, s0, v5
	s_mov_b64 s[0:1], -1
	s_and_saveexec_b64 s[6:7], vcc
; %bb.625:
	s_xor_b64 s[0:1], exec, -1
; %bb.626:
	s_or_b64 exec, exec, s[6:7]
	s_and_b64 s[0:1], s[0:1], exec
.LBB49_627:
	s_or_saveexec_b64 s[2:3], s[2:3]
	v_bfrev_b32_e32 v0, 4
	v_mov_b32_e32 v1, 0x7ff80000
	s_xor_b64 exec, exec, s[2:3]
; %bb.628:
	v_cmp_ne_u16_e32 vcc, 0, v5
	v_mov_b32_e32 v0, 0
	s_andn2_b64 s[0:1], s[0:1], exec
	s_and_b64 s[6:7], vcc, exec
	v_mov_b32_e32 v1, 0
	s_or_b64 s[0:1], s[0:1], s[6:7]
; %bb.629:
	s_or_b64 exec, exec, s[2:3]
	s_and_saveexec_b64 s[2:3], s[0:1]
	s_cbranch_execz .LBB49_631
; %bb.630:
	v_and_b32_e32 v1, 0xffff, v5
	v_lshlrev_b32_e32 v0, 24, v5
	v_and_b32_e32 v5, 3, v1
	v_ffbh_u32_e32 v7, v5
	v_min_u32_e32 v7, 32, v7
	v_subrev_u32_e32 v8, 29, v7
	v_bfe_u32 v6, v1, 2, 5
	v_lshlrev_b32_e32 v1, v8, v1
	v_sub_u32_e32 v7, 30, v7
	v_and_b32_e32 v1, 3, v1
	v_cmp_eq_u32_e32 vcc, 0, v6
	v_cndmask_b32_e32 v6, v6, v7, vcc
	v_cndmask_b32_e32 v1, v5, v1, vcc
	v_mov_b32_e32 v5, 0x37800000
	v_lshlrev_b32_e32 v1, 21, v1
	v_and_b32_e32 v0, 0x80000000, v0
	v_lshl_add_u32 v5, v6, 23, v5
	v_or3_b32 v0, v0, v5, v1
	v_cvt_f64_f32_e32 v[0:1], v0
.LBB49_631:
	s_or_b64 exec, exec, s[2:3]
	s_mov_b64 s[0:1], 0
	s_branch .LBB49_635
.LBB49_632:
	s_mov_b64 s[2:3], -1
                                        ; implicit-def: $vgpr0_vgpr1
	s_branch .LBB49_641
.LBB49_633:
	s_mov_b64 s[0:1], -1
                                        ; implicit-def: $vgpr0_vgpr1
	s_branch .LBB49_638
.LBB49_634:
	s_mov_b64 s[0:1], -1
                                        ; implicit-def: $vgpr0_vgpr1
.LBB49_635:
	s_and_b64 vcc, exec, s[0:1]
	s_cbranch_vccz .LBB49_637
; %bb.636:
	global_load_ubyte v0, v[3:4], off
	s_mov_b32 s0, 0x7f800000
	s_waitcnt vmcnt(0)
	v_lshlrev_b32_e32 v0, 24, v0
	v_and_b32_e32 v1, 0x7f000000, v0
	v_ffbh_u32_e32 v5, v1
	v_min_u32_e32 v5, 32, v5
	v_sub_u32_e64 v5, v5, 4 clamp
	v_lshlrev_b32_e32 v7, v5, v1
	v_lshlrev_b32_e32 v5, 23, v5
	v_lshrrev_b32_e32 v7, 4, v7
	v_add_u32_e32 v6, 0x1000000, v1
	v_sub_u32_e32 v5, v7, v5
	v_ashrrev_i32_e32 v6, 8, v6
	v_add_u32_e32 v5, 0x3c000000, v5
	v_and_or_b32 v5, v6, s0, v5
	v_cmp_ne_u32_e32 vcc, 0, v1
	v_cndmask_b32_e32 v1, 0, v5, vcc
	s_brev_b32 s0, 1
	v_and_or_b32 v0, v0, s0, v1
	v_cvt_f64_f32_e32 v[0:1], v0
.LBB49_637:
	s_mov_b64 s[0:1], 0
.LBB49_638:
	s_andn2_b64 vcc, exec, s[0:1]
	s_cbranch_vccnz .LBB49_640
; %bb.639:
	global_load_ubyte v0, v[3:4], off
	s_movk_i32 s0, 0x7f00
	s_brev_b32 s1, 16
	s_waitcnt vmcnt(0)
	v_lshlrev_b16_e32 v1, 8, v0
	v_lshlrev_b32_e32 v0, 25, v0
	v_lshrrev_b32_e32 v5, 4, v0
	v_and_or_b32 v6, v1, s0, 0.5
	v_or_b32_e32 v5, 0x70000000, v5
	v_add_f32_e32 v6, -0.5, v6
	v_mul_f32_e32 v5, 0x7800000, v5
	v_cmp_gt_u32_e32 vcc, s1, v0
	v_bfe_i32 v1, v1, 0, 16
	v_cndmask_b32_e32 v0, v5, v6, vcc
	s_brev_b32 s0, 1
	v_and_or_b32 v0, v1, s0, v0
	v_cvt_f64_f32_e32 v[0:1], v0
.LBB49_640:
	s_mov_b64 s[2:3], 0
	s_mov_b64 s[0:1], -1
.LBB49_641:
	s_andn2_b64 vcc, exec, s[2:3]
	s_cbranch_vccnz .LBB49_652
; %bb.642:
	s_cmp_gt_i32 s8, 14
	s_cbranch_scc0 .LBB49_645
; %bb.643:
	s_cmp_eq_u32 s8, 15
	s_cbranch_scc0 .LBB49_646
; %bb.644:
	global_load_ushort v0, v[3:4], off
	s_mov_b64 s[0:1], -1
	s_mov_b64 s[10:11], 0
	s_waitcnt vmcnt(0)
	v_lshlrev_b32_e32 v0, 16, v0
	v_cvt_f64_f32_e32 v[0:1], v0
	s_branch .LBB49_647
.LBB49_645:
	s_mov_b64 s[2:3], -1
                                        ; implicit-def: $vgpr0_vgpr1
	s_branch .LBB49_648
.LBB49_646:
	s_mov_b64 s[10:11], -1
                                        ; implicit-def: $vgpr0_vgpr1
.LBB49_647:
	s_mov_b64 s[2:3], 0
.LBB49_648:
	s_and_b64 vcc, exec, s[2:3]
	s_cbranch_vccz .LBB49_652
; %bb.649:
	s_cmp_eq_u32 s8, 11
	s_cbranch_scc0 .LBB49_651
; %bb.650:
	global_load_ubyte v1, v[3:4], off
	v_mov_b32_e32 v5, 0x3ff00000
	v_mov_b32_e32 v0, 0
	s_mov_b64 s[0:1], -1
	s_mov_b64 s[10:11], 0
	s_waitcnt vmcnt(0)
	v_cmp_ne_u16_e32 vcc, 0, v1
	v_cndmask_b32_e32 v1, 0, v5, vcc
	s_branch .LBB49_652
.LBB49_651:
	s_mov_b64 s[10:11], -1
                                        ; implicit-def: $vgpr0_vgpr1
.LBB49_652:
	s_mov_b64 s[2:3], 0
.LBB49_653:
	s_and_b64 vcc, exec, s[2:3]
	s_cbranch_vccz .LBB49_702
; %bb.654:
	s_cmp_lt_i32 s8, 5
	s_cbranch_scc1 .LBB49_659
; %bb.655:
	s_cmp_lt_i32 s8, 8
	s_cbranch_scc1 .LBB49_660
	;; [unrolled: 3-line block ×3, first 2 shown]
; %bb.657:
	s_cmp_gt_i32 s8, 9
	s_cbranch_scc0 .LBB49_662
; %bb.658:
	global_load_dwordx2 v[0:1], v[3:4], off
	s_mov_b64 s[0:1], 0
	s_branch .LBB49_663
.LBB49_659:
	s_mov_b64 s[0:1], -1
                                        ; implicit-def: $vgpr0_vgpr1
	s_branch .LBB49_681
.LBB49_660:
	s_mov_b64 s[0:1], -1
                                        ; implicit-def: $vgpr0_vgpr1
	s_branch .LBB49_669
.LBB49_661:
	s_mov_b64 s[0:1], -1
                                        ; implicit-def: $vgpr0_vgpr1
	s_branch .LBB49_666
.LBB49_662:
	s_mov_b64 s[0:1], -1
                                        ; implicit-def: $vgpr0_vgpr1
.LBB49_663:
	s_andn2_b64 vcc, exec, s[0:1]
	s_cbranch_vccnz .LBB49_665
; %bb.664:
	global_load_dword v0, v[3:4], off
	s_waitcnt vmcnt(0)
	v_cvt_f64_f32_e32 v[0:1], v0
.LBB49_665:
	s_mov_b64 s[0:1], 0
.LBB49_666:
	s_andn2_b64 vcc, exec, s[0:1]
	s_cbranch_vccnz .LBB49_668
; %bb.667:
	global_load_dword v0, v[3:4], off
	s_waitcnt vmcnt(0)
	v_cvt_f32_f16_e32 v0, v0
	v_cvt_f64_f32_e32 v[0:1], v0
.LBB49_668:
	s_mov_b64 s[0:1], 0
.LBB49_669:
	s_andn2_b64 vcc, exec, s[0:1]
	s_cbranch_vccnz .LBB49_680
; %bb.670:
	s_cmp_lt_i32 s8, 6
	s_cbranch_scc1 .LBB49_673
; %bb.671:
	s_cmp_gt_i32 s8, 6
	s_cbranch_scc0 .LBB49_674
; %bb.672:
	global_load_dwordx2 v[0:1], v[3:4], off
	s_mov_b64 s[0:1], 0
	s_branch .LBB49_675
.LBB49_673:
	s_mov_b64 s[0:1], -1
                                        ; implicit-def: $vgpr0_vgpr1
	s_branch .LBB49_678
.LBB49_674:
	s_mov_b64 s[0:1], -1
                                        ; implicit-def: $vgpr0_vgpr1
.LBB49_675:
	s_andn2_b64 vcc, exec, s[0:1]
	s_cbranch_vccnz .LBB49_677
; %bb.676:
	global_load_dword v0, v[3:4], off
	s_waitcnt vmcnt(0)
	v_cvt_f64_f32_e32 v[0:1], v0
.LBB49_677:
	s_mov_b64 s[0:1], 0
.LBB49_678:
	s_andn2_b64 vcc, exec, s[0:1]
	s_cbranch_vccnz .LBB49_680
; %bb.679:
	global_load_ushort v0, v[3:4], off
	s_waitcnt vmcnt(0)
	v_cvt_f32_f16_e32 v0, v0
	v_cvt_f64_f32_e32 v[0:1], v0
.LBB49_680:
	s_mov_b64 s[0:1], 0
.LBB49_681:
	s_andn2_b64 vcc, exec, s[0:1]
	s_cbranch_vccnz .LBB49_701
; %bb.682:
	s_cmp_lt_i32 s8, 2
	s_cbranch_scc1 .LBB49_686
; %bb.683:
	s_cmp_lt_i32 s8, 3
	s_cbranch_scc1 .LBB49_687
; %bb.684:
	s_cmp_gt_i32 s8, 3
	s_cbranch_scc0 .LBB49_688
; %bb.685:
	global_load_dwordx2 v[0:1], v[3:4], off
	s_mov_b64 s[0:1], 0
	s_waitcnt vmcnt(0)
	v_cvt_f64_i32_e32 v[5:6], v1
	v_cvt_f64_u32_e32 v[0:1], v0
	v_ldexp_f64 v[5:6], v[5:6], 32
	v_add_f64 v[0:1], v[5:6], v[0:1]
	s_branch .LBB49_689
.LBB49_686:
	s_mov_b64 s[0:1], -1
                                        ; implicit-def: $vgpr0_vgpr1
	s_branch .LBB49_695
.LBB49_687:
	s_mov_b64 s[0:1], -1
                                        ; implicit-def: $vgpr0_vgpr1
	s_branch .LBB49_692
.LBB49_688:
	s_mov_b64 s[0:1], -1
                                        ; implicit-def: $vgpr0_vgpr1
.LBB49_689:
	s_andn2_b64 vcc, exec, s[0:1]
	s_cbranch_vccnz .LBB49_691
; %bb.690:
	global_load_dword v0, v[3:4], off
	s_waitcnt vmcnt(0)
	v_cvt_f64_i32_e32 v[0:1], v0
.LBB49_691:
	s_mov_b64 s[0:1], 0
.LBB49_692:
	s_andn2_b64 vcc, exec, s[0:1]
	s_cbranch_vccnz .LBB49_694
; %bb.693:
	global_load_sshort v0, v[3:4], off
	s_waitcnt vmcnt(0)
	v_cvt_f64_i32_e32 v[0:1], v0
.LBB49_694:
	s_mov_b64 s[0:1], 0
.LBB49_695:
	s_andn2_b64 vcc, exec, s[0:1]
	s_cbranch_vccnz .LBB49_701
; %bb.696:
	s_cmp_gt_i32 s8, 0
	s_cbranch_scc0 .LBB49_698
; %bb.697:
	global_load_sbyte v0, v[3:4], off
	s_mov_b64 s[0:1], 0
	s_waitcnt vmcnt(0)
	v_cvt_f64_i32_e32 v[0:1], v0
	s_branch .LBB49_699
.LBB49_698:
	s_mov_b64 s[0:1], -1
                                        ; implicit-def: $vgpr0_vgpr1
.LBB49_699:
	s_andn2_b64 vcc, exec, s[0:1]
	s_cbranch_vccnz .LBB49_701
; %bb.700:
	global_load_ubyte v0, v[3:4], off
	s_waitcnt vmcnt(0)
	v_cvt_f64_u32_e32 v[0:1], v0
.LBB49_701:
	s_mov_b64 s[0:1], -1
.LBB49_702:
	s_andn2_b64 vcc, exec, s[0:1]
	s_cbranch_vccnz .LBB49_716
; %bb.703:
	s_waitcnt vmcnt(0)
	v_cmp_gt_f64_e32 vcc, 0.5, v[0:1]
	v_mov_b32_e32 v5, 0
	v_mov_b32_e32 v3, 0
	;; [unrolled: 1-line block ×4, first 2 shown]
	s_and_saveexec_b64 s[2:3], vcc
	s_cbranch_execz .LBB49_709
; %bb.704:
	s_mov_b32 s7, 0x400921fb
	s_mov_b32 s6, 0x54442d18
	v_mul_f64 v[3:4], v[0:1], s[6:7]
	s_mov_b32 s0, 0
	s_mov_b32 s1, 0x41d00000
                                        ; implicit-def: $vgpr9
                                        ; implicit-def: $vgpr5_vgpr6
                                        ; implicit-def: $vgpr7_vgpr8
	v_cmp_nlt_f64_e64 s[0:1], |v[3:4]|, s[0:1]
	s_and_saveexec_b64 s[8:9], s[0:1]
	s_xor_b64 s[8:9], exec, s[8:9]
	s_cbranch_execz .LBB49_706
; %bb.705:
	v_trig_preop_f64 v[5:6], |v[3:4]|, 0
	s_mov_b32 s0, 0
	s_mov_b32 s1, 0x7b000000
	s_movk_i32 s7, 0xff80
	v_ldexp_f64 v[9:10], |v[3:4]|, s7
	v_cmp_ge_f64_e64 vcc, |v[3:4]|, s[0:1]
	v_trig_preop_f64 v[7:8], |v[3:4]|, 1
	v_and_b32_e32 v11, 0x7fffffff, v4
	v_trig_preop_f64 v[17:18], |v[3:4]|, 2
	s_mov_b32 s0, 0
	s_mov_b32 s1, 0x7ff00000
	v_mov_b32_e32 v29, 0x40100000
	v_mov_b32_e32 v28, 0
	v_cndmask_b32_e32 v10, v11, v10, vcc
	v_cndmask_b32_e32 v9, v3, v9, vcc
	s_mov_b32 s7, 0x3ff921fb
	v_mul_f64 v[11:12], v[5:6], v[9:10]
	v_mul_f64 v[13:14], v[7:8], v[9:10]
	;; [unrolled: 1-line block ×3, first 2 shown]
	v_fma_f64 v[5:6], v[5:6], v[9:10], -v[11:12]
	v_fma_f64 v[7:8], v[7:8], v[9:10], -v[13:14]
	;; [unrolled: 1-line block ×3, first 2 shown]
	v_add_f64 v[15:16], v[13:14], v[5:6]
	v_add_f64 v[20:21], v[15:16], -v[13:14]
	v_add_f64 v[26:27], v[11:12], v[15:16]
	v_add_f64 v[22:23], v[15:16], -v[20:21]
	v_add_f64 v[5:6], v[5:6], -v[20:21]
	v_add_f64 v[20:21], v[24:25], v[7:8]
	v_add_f64 v[11:12], v[26:27], -v[11:12]
	v_add_f64 v[13:14], v[13:14], -v[22:23]
	v_ldexp_f64 v[22:23], v[26:27], -2
	v_add_f64 v[30:31], v[20:21], -v[24:25]
	v_add_f64 v[11:12], v[15:16], -v[11:12]
	v_add_f64 v[5:6], v[5:6], v[13:14]
	v_fract_f64_e32 v[13:14], v[22:23]
	v_cmp_neq_f64_e64 vcc, |v[22:23]|, s[0:1]
	v_add_f64 v[7:8], v[7:8], -v[30:31]
	v_add_f64 v[15:16], v[20:21], v[5:6]
	v_ldexp_f64 v[13:14], v[13:14], 2
	v_add_f64 v[22:23], v[11:12], v[15:16]
	v_cndmask_b32_e32 v14, 0, v14, vcc
	v_cndmask_b32_e32 v13, 0, v13, vcc
	v_add_f64 v[32:33], v[15:16], -v[20:21]
	v_add_f64 v[26:27], v[22:23], v[13:14]
	v_add_f64 v[11:12], v[22:23], -v[11:12]
	v_add_f64 v[34:35], v[15:16], -v[32:33]
	;; [unrolled: 1-line block ×3, first 2 shown]
	v_cmp_gt_f64_e32 vcc, 0, v[26:27]
	v_add_f64 v[26:27], v[20:21], -v[30:31]
	v_add_f64 v[11:12], v[15:16], -v[11:12]
	;; [unrolled: 1-line block ×3, first 2 shown]
	v_cndmask_b32_e32 v29, 0, v29, vcc
	v_add_f64 v[13:14], v[13:14], v[28:29]
	v_add_f64 v[26:27], v[24:25], -v[26:27]
	v_add_f64 v[5:6], v[5:6], v[20:21]
	v_add_f64 v[36:37], v[22:23], v[13:14]
	;; [unrolled: 1-line block ×3, first 2 shown]
	v_cvt_i32_f64_e32 v31, v[36:37]
	v_add_f64 v[5:6], v[7:8], v[5:6]
	v_cvt_f64_i32_e32 v[29:30], v31
	v_add_f64 v[13:14], v[13:14], -v[29:30]
	v_add_f64 v[5:6], v[9:10], v[5:6]
	v_add_f64 v[7:8], v[22:23], v[13:14]
	;; [unrolled: 1-line block ×3, first 2 shown]
	v_mov_b32_e32 v12, 0x3ff00000
	v_add_f64 v[9:10], v[7:8], -v[13:14]
	v_cmp_le_f64_e32 vcc, 0.5, v[7:8]
	v_add_f64 v[10:11], v[22:23], -v[9:10]
	v_cndmask_b32_e32 v29, 0, v12, vcc
	v_add_f64 v[7:8], v[7:8], -v[28:29]
	v_addc_co_u32_e64 v9, s[0:1], 0, v31, vcc
	s_mov_b32 s0, 0x33145c07
	s_mov_b32 s1, 0x3c91a626
	v_add_f64 v[5:6], v[5:6], v[10:11]
	v_add_f64 v[10:11], v[7:8], v[5:6]
	v_mul_f64 v[12:13], v[10:11], s[6:7]
	v_add_f64 v[7:8], v[10:11], -v[7:8]
	v_fma_f64 v[14:15], v[10:11], s[6:7], -v[12:13]
	v_add_f64 v[5:6], v[5:6], -v[7:8]
	v_fma_f64 v[7:8], v[10:11], s[0:1], v[14:15]
	v_fma_f64 v[7:8], v[5:6], s[6:7], v[7:8]
	v_add_f64 v[5:6], v[12:13], v[7:8]
	v_add_f64 v[10:11], v[5:6], -v[12:13]
	v_add_f64 v[7:8], v[7:8], -v[10:11]
.LBB49_706:
	s_andn2_saveexec_b64 s[0:1], s[8:9]
	s_cbranch_execz .LBB49_708
; %bb.707:
	s_mov_b32 s6, 0x6dc9c883
	s_mov_b32 s7, 0x3fe45f30
	v_mul_f64 v[5:6], |v[3:4]|, s[6:7]
	s_mov_b32 s6, 0x54442d18
	s_mov_b32 s7, 0xbff921fb
	;; [unrolled: 1-line block ×4, first 2 shown]
	v_rndne_f64_e32 v[9:10], v[5:6]
	v_fma_f64 v[5:6], v[9:10], s[6:7], |v[3:4]|
	v_mul_f64 v[7:8], v[9:10], s[8:9]
	s_mov_b32 s6, 0x252049c0
	s_mov_b32 s7, 0xb97b839a
	v_fma_f64 v[15:16], v[9:10], s[8:9], v[5:6]
	v_add_f64 v[11:12], v[5:6], v[7:8]
	s_mov_b32 s9, 0x3c91a626
	v_add_f64 v[13:14], v[5:6], -v[11:12]
	v_add_f64 v[11:12], v[11:12], -v[15:16]
	v_add_f64 v[5:6], v[13:14], v[7:8]
	v_fma_f64 v[7:8], v[9:10], s[8:9], v[7:8]
	v_add_f64 v[5:6], v[11:12], v[5:6]
	v_add_f64 v[5:6], v[5:6], -v[7:8]
	v_fma_f64 v[7:8], v[9:10], s[6:7], v[5:6]
	v_cvt_i32_f64_e32 v9, v[9:10]
	v_add_f64 v[5:6], v[15:16], v[7:8]
	v_add_f64 v[11:12], v[5:6], -v[15:16]
	v_add_f64 v[7:8], v[7:8], -v[11:12]
.LBB49_708:
	s_or_b64 exec, exec, s[0:1]
	v_mul_f64 v[10:11], v[5:6], v[5:6]
	s_mov_b32 s0, 0xf9a43bb8
	v_mov_b32_e32 v13, 0xb42fdfa7
	v_mov_b32_e32 v14, 0xbe5ae600
	s_mov_b32 s1, 0x3de5e0b2
	s_mov_b32 s6, 0x796cde01
	v_mov_b32_e32 v12, 0x9037ab78
	s_mov_b32 s7, 0x3ec71de3
	v_fma_f64 v[14:15], v[10:11], s[0:1], v[13:14]
	s_mov_b32 s0, 0x46cc5e42
	v_mov_b32_e32 v13, 0x3e21eeb6
	s_mov_b32 s1, 0xbda907db
	v_fma_f64 v[12:13], v[10:11], s[0:1], v[12:13]
	v_mul_f64 v[16:17], v[10:11], 0.5
	s_mov_b32 s0, 0xa17f65f6
	s_mov_b32 s8, 0x19e83e5c
	v_fma_f64 v[14:15], v[10:11], v[14:15], s[6:7]
	s_mov_b32 s1, 0xbe927e4f
	s_mov_b32 s9, 0xbf2a01a0
	;; [unrolled: 1-line block ×3, first 2 shown]
	v_fma_f64 v[12:13], v[10:11], v[12:13], s[0:1]
	v_add_f64 v[20:21], -v[16:17], 1.0
	s_mov_b32 s0, 0x11110bb3
	s_mov_b32 s7, 0x3efa01a0
	v_fma_f64 v[14:15], v[10:11], v[14:15], s[8:9]
	s_mov_b32 s1, 0x3f811111
	v_mul_f64 v[22:23], v[7:8], 0.5
	v_mul_f64 v[24:25], v[5:6], -v[10:11]
	v_fma_f64 v[12:13], v[10:11], v[12:13], s[6:7]
	v_add_f64 v[26:27], -v[20:21], 1.0
	v_add_f64 v[0:1], -v[0:1], 1.0
	v_fma_f64 v[14:15], v[10:11], v[14:15], s[0:1]
	s_mov_b32 s0, 0x16c16967
	s_mov_b32 s1, 0xbf56c16c
	v_fma_f64 v[12:13], v[10:11], v[12:13], s[0:1]
	v_add_f64 v[16:17], v[26:27], -v[16:17]
	s_mov_b32 s1, 0x3fa55555
	s_mov_b32 s0, 0x55555555
	v_fma_f64 v[14:15], v[24:25], v[14:15], v[22:23]
	v_mul_f64 v[22:23], v[10:11], v[10:11]
	v_fma_f64 v[12:13], v[10:11], v[12:13], s[0:1]
	v_fma_f64 v[16:17], v[5:6], -v[7:8], v[16:17]
	s_mov_b32 s1, 0xbfc55555
	v_fma_f64 v[7:8], v[10:11], v[14:15], -v[7:8]
	v_fma_f64 v[10:11], v[22:23], v[12:13], v[16:17]
	v_fma_f64 v[7:8], v[24:25], s[0:1], v[7:8]
	s_movk_i32 s0, 0x1f8
	v_cmp_class_f64_e64 s[0:1], v[3:4], s0
	v_lshlrev_b32_e32 v3, 30, v9
	v_xor_b32_e32 v3, v3, v4
	v_add_f64 v[10:11], v[20:21], v[10:11]
	v_and_b32_e32 v3, 0x80000000, v3
	v_add_f64 v[5:6], v[5:6], -v[7:8]
	v_and_b32_e32 v7, 1, v9
	v_cmp_eq_u32_e32 vcc, 0, v7
	v_mov_b32_e32 v7, 0x7ff80000
	v_cndmask_b32_e32 v4, v11, v6, vcc
	v_cndmask_b32_e32 v5, v10, v5, vcc
	v_xor_b32_e32 v4, v4, v3
	v_cndmask_b32_e64 v3, 0, v5, s[0:1]
	v_cndmask_b32_e64 v4, v7, v4, s[0:1]
	v_mul_f64 v[3:4], v[3:4], v[3:4]
	s_mov_b32 s0, 0xc9be45de
	s_mov_b32 s1, 0xc023bd3c
	v_div_scale_f64 v[5:6], s[6:7], v[3:4], v[3:4], s[0:1]
	v_rcp_f64_e32 v[7:8], v[5:6]
	v_fma_f64 v[9:10], -v[5:6], v[7:8], 1.0
	v_fma_f64 v[7:8], v[7:8], v[9:10], v[7:8]
	v_div_scale_f64 v[9:10], vcc, s[0:1], v[3:4], s[0:1]
	v_fma_f64 v[11:12], -v[5:6], v[7:8], 1.0
	v_fma_f64 v[7:8], v[7:8], v[11:12], v[7:8]
	v_mul_f64 v[11:12], v[9:10], v[7:8]
	v_fma_f64 v[5:6], -v[5:6], v[11:12], v[9:10]
	v_div_fmas_f64 v[5:6], v[5:6], v[7:8], v[11:12]
	v_div_fixup_f64 v[3:4], v[5:6], v[3:4], s[0:1]
	v_add_f64 v[5:6], v[3:4], 0
	v_mov_b32_e32 v3, 0
	v_mov_b32_e32 v4, 0xbff00000
.LBB49_709:
	s_or_b64 exec, exec, s[2:3]
	v_add_f64 v[9:10], v[0:1], 1.0
	v_mul_f64 v[7:8], v[0:1], v[0:1]
	s_and_b32 s12, s73, 0xff
	s_cmp_lt_i32 s12, 11
	v_mul_f64 v[0:1], v[9:10], v[9:10]
	v_div_scale_f64 v[20:21], s[0:1], v[7:8], v[7:8], 1.0
	v_add_f64 v[11:12], v[9:10], 1.0
	v_div_scale_f64 v[36:37], vcc, 1.0, v[7:8], 1.0
	v_div_scale_f64 v[22:23], s[0:1], v[0:1], v[0:1], 1.0
	v_mul_f64 v[9:10], v[11:12], v[11:12]
	v_add_f64 v[13:14], v[11:12], 1.0
	v_rcp_f64_e32 v[15:16], v[20:21]
	v_div_scale_f64 v[24:25], s[0:1], v[9:10], v[9:10], 1.0
	v_mul_f64 v[11:12], v[13:14], v[13:14]
	v_add_f64 v[13:14], v[13:14], 1.0
	v_rcp_f64_e32 v[17:18], v[22:23]
	v_div_scale_f64 v[26:27], s[0:1], v[11:12], v[11:12], 1.0
	v_add_f64 v[32:33], v[13:14], 1.0
	v_mul_f64 v[13:14], v[13:14], v[13:14]
	v_fma_f64 v[28:29], -v[20:21], v[15:16], 1.0
	v_div_scale_f64 v[40:41], s[0:1], 1.0, v[0:1], 1.0
	v_rcp_f64_e32 v[30:31], v[24:25]
	v_div_scale_f64 v[44:45], s[2:3], v[13:14], v[13:14], 1.0
	v_fma_f64 v[34:35], -v[22:23], v[17:18], 1.0
	v_fma_f64 v[28:29], v[15:16], v[28:29], v[15:16]
	v_add_f64 v[15:16], v[32:33], 1.0
	v_rcp_f64_e32 v[38:39], v[26:27]
	v_fma_f64 v[34:35], v[17:18], v[34:35], v[17:18]
	v_mul_f64 v[17:18], v[32:33], v[32:33]
	v_fma_f64 v[32:33], -v[20:21], v[28:29], 1.0
	v_fma_f64 v[42:43], -v[24:25], v[30:31], 1.0
	v_mul_f64 v[48:49], v[15:16], v[15:16]
	v_add_f64 v[52:53], v[15:16], v[15:16]
	v_fma_f64 v[46:47], -v[22:23], v[34:35], 1.0
	v_div_scale_f64 v[50:51], s[2:3], v[17:18], v[17:18], 1.0
	v_fma_f64 v[28:29], v[28:29], v[32:33], v[28:29]
	v_fma_f64 v[30:31], v[30:31], v[42:43], v[30:31]
	v_fma_f64 v[32:33], -v[26:27], v[38:39], 1.0
	v_div_scale_f64 v[42:43], s[2:3], v[48:49], v[48:49], 1.0
	v_fma_f64 v[34:35], v[34:35], v[46:47], v[34:35]
	v_div_scale_f64 v[46:47], s[2:3], 1.0, v[9:10], 1.0
	v_mul_f64 v[54:55], v[36:37], v[28:29]
	v_fma_f64 v[56:57], -v[24:25], v[30:31], 1.0
	v_fma_f64 v[32:33], v[38:39], v[32:33], v[38:39]
	v_div_scale_f64 v[58:59], s[6:7], v[52:53], v[52:53], 1.0
	v_mul_f64 v[38:39], v[40:41], v[34:35]
	v_fma_f64 v[20:21], -v[20:21], v[54:55], v[36:37]
	v_rcp_f64_e32 v[36:37], v[44:45]
	v_fma_f64 v[30:31], v[30:31], v[56:57], v[30:31]
	v_rcp_f64_e32 v[56:57], v[50:51]
	v_fma_f64 v[22:23], -v[22:23], v[38:39], v[40:41]
	v_rcp_f64_e32 v[40:41], v[42:43]
	v_div_fmas_f64 v[20:21], v[20:21], v[28:29], v[54:55]
	s_mov_b64 vcc, s[0:1]
	v_fma_f64 v[28:29], -v[26:27], v[32:33], 1.0
	v_mul_f64 v[54:55], v[46:47], v[30:31]
	v_div_fmas_f64 v[22:23], v[22:23], v[34:35], v[38:39]
	v_rcp_f64_e32 v[34:35], v[58:59]
	v_div_scale_f64 v[38:39], s[0:1], 1.0, v[11:12], 1.0
	s_mov_b64 vcc, s[2:3]
	v_fma_f64 v[28:29], v[32:33], v[28:29], v[32:33]
	v_fma_f64 v[32:33], -v[44:45], v[36:37], 1.0
	v_fma_f64 v[24:25], -v[24:25], v[54:55], v[46:47]
	v_fma_f64 v[46:47], -v[50:51], v[56:57], 1.0
	v_div_fixup_f64 v[7:8], v[20:21], v[7:8], 1.0
	v_fma_f64 v[32:33], v[36:37], v[32:33], v[36:37]
	v_fma_f64 v[36:37], -v[42:43], v[40:41], 1.0
	v_fma_f64 v[46:47], v[56:57], v[46:47], v[56:57]
	v_fma_f64 v[56:57], -v[58:59], v[34:35], 1.0
	v_div_fmas_f64 v[24:25], v[24:25], v[30:31], v[54:55]
	v_mul_f64 v[30:31], v[38:39], v[28:29]
	s_mov_b64 vcc, s[0:1]
	v_add_f64 v[5:6], v[5:6], v[7:8]
	v_fma_f64 v[54:55], -v[44:45], v[32:33], 1.0
	v_fma_f64 v[36:37], v[40:41], v[36:37], v[40:41]
	v_fma_f64 v[40:41], -v[50:51], v[46:47], 1.0
	v_fma_f64 v[34:35], v[34:35], v[56:57], v[34:35]
	v_div_scale_f64 v[56:57], s[2:3], 1.0, v[13:14], 1.0
	v_fma_f64 v[26:27], -v[26:27], v[30:31], v[38:39]
	v_div_scale_f64 v[38:39], s[6:7], 1.0, v[17:18], 1.0
	v_fma_f64 v[32:33], v[32:33], v[54:55], v[32:33]
	v_fma_f64 v[40:41], v[46:47], v[40:41], v[46:47]
	v_fma_f64 v[46:47], -v[42:43], v[36:37], 1.0
	v_div_scale_f64 v[54:55], s[8:9], 1.0, v[48:49], 1.0
	v_div_fmas_f64 v[26:27], v[26:27], v[28:29], v[30:31]
	v_fma_f64 v[28:29], -v[58:59], v[34:35], 1.0
	v_div_scale_f64 v[30:31], s[0:1], 1.0, v[52:53], 1.0
	s_mov_b64 vcc, s[2:3]
	v_fma_f64 v[36:37], v[36:37], v[46:47], v[36:37]
	v_mul_f64 v[46:47], v[56:57], v[32:33]
	v_div_fixup_f64 v[0:1], v[22:23], v[0:1], 1.0
	v_fma_f64 v[28:29], v[34:35], v[28:29], v[34:35]
	v_mul_f64 v[34:35], v[38:39], v[40:41]
	v_fma_f64 v[44:45], -v[44:45], v[46:47], v[56:57]
	v_mul_f64 v[56:57], v[54:55], v[36:37]
	v_add_f64 v[0:1], v[5:6], v[0:1]
	v_div_fixup_f64 v[5:6], v[24:25], v[9:10], 1.0
	v_fma_f64 v[38:39], -v[50:51], v[34:35], v[38:39]
	v_mul_f64 v[50:51], v[30:31], v[28:29]
	v_div_fmas_f64 v[32:33], v[44:45], v[32:33], v[46:47]
	v_fma_f64 v[42:43], -v[42:43], v[56:57], v[54:55]
	s_mov_b64 vcc, s[6:7]
	v_add_f64 v[0:1], v[0:1], v[5:6]
	v_div_fmas_f64 v[34:35], v[38:39], v[40:41], v[34:35]
	s_mov_b64 vcc, s[8:9]
	v_fma_f64 v[30:31], -v[58:59], v[50:51], v[30:31]
	v_div_fixup_f64 v[5:6], v[26:27], v[11:12], 1.0
	v_div_fmas_f64 v[36:37], v[42:43], v[36:37], v[56:57]
	s_mov_b64 vcc, s[0:1]
	s_mov_b32 s0, 0x18618618
	s_mov_b32 s1, 0xbf986186
	v_div_fmas_f64 v[28:29], v[30:31], v[28:29], v[50:51]
	v_add_f64 v[0:1], v[0:1], v[5:6]
	v_div_fixup_f64 v[5:6], v[32:33], v[13:14], 1.0
	v_add_f64 v[0:1], v[0:1], v[5:6]
	v_div_fixup_f64 v[30:31], v[36:37], v[48:49], 1.0
	v_mov_b32_e32 v36, 0x11111111
	v_mov_b32_e32 v37, 0x3fa11111
	v_div_fixup_f64 v[5:6], v[34:35], v[17:18], 1.0
	v_div_fixup_f64 v[28:29], v[28:29], v[52:53], 1.0
	v_fma_f64 v[36:37], v[30:31], s[0:1], v[36:37]
	s_mov_b32 s0, 0x55555555
	s_mov_b32 s1, 0x3fc55555
	v_add_f64 v[0:1], v[0:1], v[5:6]
	v_add_f64 v[28:29], v[28:29], 1.0
	v_fma_f64 v[36:37], -v[30:31], v[36:37], s[0:1]
	v_fma_f64 v[28:29], v[30:31], v[36:37], v[28:29]
	v_div_scale_f64 v[30:31], s[0:1], v[15:16], v[15:16], v[28:29]
	v_rcp_f64_e32 v[36:37], v[30:31]
	v_fma_f64 v[38:39], -v[30:31], v[36:37], 1.0
	v_fma_f64 v[36:37], v[36:37], v[38:39], v[36:37]
	v_div_scale_f64 v[38:39], vcc, v[28:29], v[15:16], v[28:29]
	v_fma_f64 v[20:21], -v[30:31], v[36:37], 1.0
	v_fma_f64 v[7:8], v[36:37], v[20:21], v[36:37]
	v_mul_f64 v[9:10], v[38:39], v[7:8]
	v_fma_f64 v[11:12], -v[30:31], v[9:10], v[38:39]
	v_div_fmas_f64 v[7:8], v[11:12], v[7:8], v[9:10]
	v_div_fixup_f64 v[5:6], v[7:8], v[15:16], v[28:29]
	v_add_f64 v[0:1], v[0:1], v[5:6]
	v_mul_f64 v[0:1], v[3:4], v[0:1]
	v_mov_b32_e32 v3, s25
	v_add_co_u32_e32 v4, vcc, s24, v2
	v_addc_co_u32_e32 v5, vcc, 0, v3, vcc
	s_cbranch_scc1 .LBB49_717
; %bb.710:
	s_and_b32 s13, 0xffff, s12
	s_cmp_gt_i32 s13, 25
	s_cbranch_scc0 .LBB49_718
; %bb.711:
	s_cmp_gt_i32 s13, 28
	s_cbranch_scc0 .LBB49_719
; %bb.712:
	;; [unrolled: 3-line block ×4, first 2 shown]
	s_mov_b64 s[6:7], 0
	s_mov_b64 s[0:1], -1
	s_cmp_eq_u32 s13, 46
	s_mov_b64 s[2:3], 0
	s_cbranch_scc0 .LBB49_722
; %bb.715:
	v_cvt_f32_f64_e32 v2, v[0:1]
	s_movk_i32 s0, 0x7fff
	v_mov_b32_e32 v3, 0x7fc0
	s_mov_b64 s[2:3], -1
	v_bfe_u32 v6, v2, 16, 1
	v_cmp_o_f32_e32 vcc, v2, v2
	v_add3_u32 v2, v2, v6, s0
	v_cndmask_b32_sdwa v2, v3, v2, vcc dst_sel:DWORD dst_unused:UNUSED_PAD src0_sel:DWORD src1_sel:WORD_1
	global_store_dword v[4:5], v2, off
	s_mov_b64 s[0:1], 0
	s_branch .LBB49_722
.LBB49_716:
	s_mov_b64 s[2:3], 0
	s_mov_b64 s[0:1], s[62:63]
	s_branch .LBB49_833
.LBB49_717:
	s_mov_b64 s[6:7], -1
	s_mov_b64 s[2:3], 0
	s_mov_b64 s[0:1], s[62:63]
	s_branch .LBB49_791
.LBB49_718:
	s_mov_b64 s[6:7], -1
	s_mov_b64 s[2:3], 0
	s_mov_b64 s[0:1], s[62:63]
	s_branch .LBB49_749
.LBB49_719:
	s_mov_b64 s[6:7], -1
	s_mov_b64 s[2:3], 0
	s_mov_b64 s[0:1], s[62:63]
	s_branch .LBB49_732
.LBB49_720:
	s_mov_b64 s[6:7], -1
	s_mov_b64 s[2:3], 0
	s_mov_b64 s[0:1], s[62:63]
	s_branch .LBB49_728
.LBB49_721:
	s_mov_b64 s[6:7], -1
	s_mov_b64 s[2:3], 0
	s_mov_b64 s[0:1], s[62:63]
.LBB49_722:
	s_and_b64 vcc, exec, s[6:7]
	s_cbranch_vccz .LBB49_727
; %bb.723:
	s_cmp_eq_u32 s13, 44
	s_mov_b64 s[0:1], -1
	s_cbranch_scc0 .LBB49_727
; %bb.724:
	v_cvt_f32_f64_e32 v2, v[0:1]
	s_movk_i32 s0, 0xff
	v_mov_b32_e32 v6, 0xff
	v_bfe_u32 v3, v2, 23, 8
	v_cmp_ne_u32_e32 vcc, s0, v3
	s_and_saveexec_b64 s[2:3], vcc
; %bb.725:
	s_mov_b32 s0, 0x3fffff
	v_lshrrev_b32_e32 v6, 23, v2
	v_and_b32_e32 v7, 0x400000, v2
	v_and_or_b32 v2, v2, s0, v3
	v_cmp_ne_u32_e32 vcc, 0, v7
	v_cmp_ne_u32_e64 s[0:1], 0, v2
	s_and_b64 s[0:1], vcc, s[0:1]
	v_cndmask_b32_e64 v2, 0, 1, s[0:1]
	v_add_u32_e32 v6, v6, v2
; %bb.726:
	s_or_b64 exec, exec, s[2:3]
	s_mov_b64 s[2:3], -1
	s_mov_b64 s[0:1], 0
	global_store_byte v[4:5], v6, off
.LBB49_727:
	s_mov_b64 s[6:7], 0
.LBB49_728:
	s_and_b64 vcc, exec, s[6:7]
	s_cbranch_vccz .LBB49_731
; %bb.729:
	s_cmp_eq_u32 s13, 29
	s_mov_b64 s[0:1], -1
	s_cbranch_scc0 .LBB49_731
; %bb.730:
	v_trunc_f64_e32 v[2:3], v[0:1]
	s_movk_i32 s0, 0xffe0
	s_mov_b64 s[2:3], -1
	s_mov_b64 s[6:7], 0
	v_ldexp_f64 v[6:7], v[2:3], s0
	s_mov_b32 s0, 0
	s_mov_b32 s1, 0xc1f00000
	v_floor_f64_e32 v[6:7], v[6:7]
	v_fma_f64 v[2:3], v[6:7], s[0:1], v[2:3]
	v_cvt_u32_f64_e32 v7, v[6:7]
	s_mov_b64 s[0:1], 0
	v_cvt_u32_f64_e32 v6, v[2:3]
	global_store_dwordx2 v[4:5], v[6:7], off
	s_branch .LBB49_732
.LBB49_731:
	s_mov_b64 s[6:7], 0
.LBB49_732:
	s_and_b64 vcc, exec, s[6:7]
	s_cbranch_vccz .LBB49_748
; %bb.733:
	s_cmp_lt_i32 s13, 27
	s_mov_b64 s[2:3], -1
	s_cbranch_scc1 .LBB49_739
; %bb.734:
	v_cvt_u32_f64_e32 v2, v[0:1]
	s_cmp_gt_i32 s13, 27
	s_cbranch_scc0 .LBB49_736
; %bb.735:
	s_mov_b64 s[2:3], 0
	global_store_dword v[4:5], v2, off
.LBB49_736:
	s_andn2_b64 vcc, exec, s[2:3]
	s_cbranch_vccnz .LBB49_738
; %bb.737:
	global_store_short v[4:5], v2, off
.LBB49_738:
	s_mov_b64 s[2:3], 0
.LBB49_739:
	s_andn2_b64 vcc, exec, s[2:3]
	s_cbranch_vccnz .LBB49_747
; %bb.740:
	v_cvt_f32_f64_e32 v2, v[0:1]
	s_mov_b32 s2, 0x43800000
	v_mov_b32_e32 v6, 0x80
	v_and_b32_e32 v3, 0x7fffffff, v2
	v_cmp_gt_u32_e32 vcc, s2, v3
	s_and_saveexec_b64 s[2:3], vcc
	s_cbranch_execz .LBB49_746
; %bb.741:
	s_mov_b32 s6, 0x3bffffff
	v_cmp_lt_u32_e32 vcc, s6, v3
	s_mov_b64 s[6:7], 0
                                        ; implicit-def: $vgpr3
	s_and_saveexec_b64 s[8:9], vcc
	s_xor_b64 s[8:9], exec, s[8:9]
	s_cbranch_execz .LBB49_863
; %bb.742:
	v_bfe_u32 v3, v2, 20, 1
	s_mov_b32 s14, 0x487ffff
	v_add3_u32 v3, v2, v3, s14
	s_mov_b64 s[6:7], exec
	v_lshrrev_b32_e32 v3, 20, v3
	s_andn2_saveexec_b64 s[8:9], s[8:9]
	s_cbranch_execnz .LBB49_864
.LBB49_743:
	s_or_b64 exec, exec, s[8:9]
	v_mov_b32_e32 v6, 0
	s_and_saveexec_b64 s[8:9], s[6:7]
.LBB49_744:
	v_lshrrev_b32_e32 v2, 24, v2
	s_movk_i32 s6, 0x80
	v_and_or_b32 v6, v2, s6, v3
.LBB49_745:
	s_or_b64 exec, exec, s[8:9]
.LBB49_746:
	s_or_b64 exec, exec, s[2:3]
	global_store_byte v[4:5], v6, off
.LBB49_747:
	s_mov_b64 s[2:3], -1
.LBB49_748:
	s_mov_b64 s[6:7], 0
.LBB49_749:
	s_and_b64 vcc, exec, s[6:7]
	s_cbranch_vccz .LBB49_790
; %bb.750:
	s_cmp_gt_i32 s13, 22
	s_mov_b64 s[6:7], -1
	s_cbranch_scc0 .LBB49_782
; %bb.751:
	s_cmp_lt_i32 s13, 24
	s_mov_b64 s[2:3], -1
	s_cbranch_scc1 .LBB49_771
; %bb.752:
	s_cmp_gt_i32 s13, 24
	s_cbranch_scc0 .LBB49_760
; %bb.753:
	v_cvt_f32_f64_e32 v2, v[0:1]
	s_mov_b32 s2, 0x47800000
	v_mov_b32_e32 v6, 0x80
	v_and_b32_e32 v3, 0x7fffffff, v2
	v_cmp_gt_u32_e32 vcc, s2, v3
	s_and_saveexec_b64 s[2:3], vcc
	s_cbranch_execz .LBB49_759
; %bb.754:
	s_mov_b32 s6, 0x37ffffff
	v_cmp_lt_u32_e32 vcc, s6, v3
	s_mov_b64 s[6:7], 0
                                        ; implicit-def: $vgpr3
	s_and_saveexec_b64 s[8:9], vcc
	s_xor_b64 s[8:9], exec, s[8:9]
	s_cbranch_execz .LBB49_866
; %bb.755:
	v_bfe_u32 v3, v2, 21, 1
	s_mov_b32 s14, 0x88fffff
	v_add3_u32 v3, v2, v3, s14
	s_mov_b64 s[6:7], exec
	v_lshrrev_b32_e32 v3, 21, v3
	s_andn2_saveexec_b64 s[8:9], s[8:9]
	s_cbranch_execnz .LBB49_867
.LBB49_756:
	s_or_b64 exec, exec, s[8:9]
	v_mov_b32_e32 v6, 0
	s_and_saveexec_b64 s[8:9], s[6:7]
.LBB49_757:
	v_lshrrev_b32_e32 v2, 24, v2
	s_movk_i32 s6, 0x80
	v_and_or_b32 v6, v2, s6, v3
.LBB49_758:
	s_or_b64 exec, exec, s[8:9]
.LBB49_759:
	s_or_b64 exec, exec, s[2:3]
	s_mov_b64 s[2:3], 0
	global_store_byte v[4:5], v6, off
.LBB49_760:
	s_and_b64 vcc, exec, s[2:3]
	s_cbranch_vccz .LBB49_770
; %bb.761:
	v_cvt_f32_f64_e32 v2, v[0:1]
	s_mov_b32 s2, 0x43f00000
                                        ; implicit-def: $vgpr3
	v_and_b32_e32 v6, 0x7fffffff, v2
	v_cmp_gt_u32_e32 vcc, s2, v6
	s_and_saveexec_b64 s[2:3], vcc
	s_xor_b64 s[2:3], exec, s[2:3]
	s_cbranch_execz .LBB49_767
; %bb.762:
	s_mov_b32 s6, 0x3c7fffff
	v_cmp_lt_u32_e32 vcc, s6, v6
                                        ; implicit-def: $vgpr3
	s_and_saveexec_b64 s[6:7], vcc
	s_xor_b64 s[6:7], exec, s[6:7]
; %bb.763:
	v_bfe_u32 v3, v2, 20, 1
	s_mov_b32 s8, 0x407ffff
	v_add3_u32 v3, v2, v3, s8
	v_lshrrev_b32_e32 v6, 20, v3
	v_and_b32_e32 v3, 0xff00000, v3
	s_mov_b32 s8, 0x7f00000
	v_mov_b32_e32 v7, 0x7e
	v_cmp_ne_u32_e32 vcc, s8, v3
	v_cndmask_b32_e32 v3, v7, v6, vcc
; %bb.764:
	s_andn2_saveexec_b64 s[6:7], s[6:7]
; %bb.765:
	s_mov_b32 s8, 0x46800000
	v_add_f32_e64 v3, |v2|, s8
; %bb.766:
	s_or_b64 exec, exec, s[6:7]
                                        ; implicit-def: $vgpr6
.LBB49_767:
	s_andn2_saveexec_b64 s[2:3], s[2:3]
; %bb.768:
	s_mov_b32 s6, 0x7f800000
	v_mov_b32_e32 v3, 0x7e
	v_mov_b32_e32 v7, 0x7f
	v_cmp_lt_u32_e32 vcc, s6, v6
	v_cndmask_b32_e32 v3, v3, v7, vcc
; %bb.769:
	s_or_b64 exec, exec, s[2:3]
	v_lshrrev_b32_e32 v2, 24, v2
	s_movk_i32 s2, 0x80
	v_and_or_b32 v2, v2, s2, v3
	global_store_byte v[4:5], v2, off
.LBB49_770:
	s_mov_b64 s[2:3], 0
.LBB49_771:
	s_andn2_b64 vcc, exec, s[2:3]
	s_cbranch_vccnz .LBB49_781
; %bb.772:
	v_cvt_f32_f64_e32 v2, v[0:1]
	s_mov_b32 s2, 0x47800000
                                        ; implicit-def: $vgpr3
	v_and_b32_e32 v6, 0x7fffffff, v2
	v_cmp_gt_u32_e32 vcc, s2, v6
	s_and_saveexec_b64 s[2:3], vcc
	s_xor_b64 s[2:3], exec, s[2:3]
	s_cbranch_execz .LBB49_778
; %bb.773:
	s_mov_b32 s6, 0x387fffff
	v_cmp_lt_u32_e32 vcc, s6, v6
                                        ; implicit-def: $vgpr3
	s_and_saveexec_b64 s[6:7], vcc
	s_xor_b64 s[6:7], exec, s[6:7]
; %bb.774:
	v_bfe_u32 v3, v2, 21, 1
	s_mov_b32 s8, 0x80fffff
	v_add3_u32 v3, v2, v3, s8
	v_lshrrev_b32_e32 v3, 21, v3
; %bb.775:
	s_andn2_saveexec_b64 s[6:7], s[6:7]
; %bb.776:
	s_mov_b32 s8, 0x43000000
	v_add_f32_e64 v3, |v2|, s8
; %bb.777:
	s_or_b64 exec, exec, s[6:7]
                                        ; implicit-def: $vgpr6
.LBB49_778:
	s_andn2_saveexec_b64 s[2:3], s[2:3]
; %bb.779:
	s_mov_b32 s6, 0x7f800000
	v_mov_b32_e32 v3, 0x7c
	v_mov_b32_e32 v7, 0x7f
	v_cmp_lt_u32_e32 vcc, s6, v6
	v_cndmask_b32_e32 v3, v3, v7, vcc
; %bb.780:
	s_or_b64 exec, exec, s[2:3]
	v_lshrrev_b32_e32 v2, 24, v2
	s_movk_i32 s2, 0x80
	v_and_or_b32 v2, v2, s2, v3
	global_store_byte v[4:5], v2, off
.LBB49_781:
	s_mov_b64 s[6:7], 0
	s_mov_b64 s[2:3], -1
.LBB49_782:
	s_andn2_b64 vcc, exec, s[6:7]
	s_cbranch_vccnz .LBB49_790
; %bb.783:
	s_cmp_gt_i32 s13, 14
	s_mov_b64 s[6:7], -1
	s_cbranch_scc0 .LBB49_787
; %bb.784:
	s_cmp_eq_u32 s13, 15
	s_mov_b64 s[0:1], -1
	s_cbranch_scc0 .LBB49_786
; %bb.785:
	v_cvt_f32_f64_e32 v2, v[0:1]
	s_movk_i32 s0, 0x7fff
	v_mov_b32_e32 v3, 0x7fc0
	s_mov_b64 s[2:3], -1
	v_bfe_u32 v6, v2, 16, 1
	v_cmp_o_f32_e32 vcc, v2, v2
	v_add3_u32 v2, v2, v6, s0
	v_cndmask_b32_sdwa v2, v3, v2, vcc dst_sel:DWORD dst_unused:UNUSED_PAD src0_sel:DWORD src1_sel:WORD_1
	global_store_short v[4:5], v2, off
	s_mov_b64 s[0:1], 0
.LBB49_786:
	s_mov_b64 s[6:7], 0
.LBB49_787:
	s_and_b64 vcc, exec, s[6:7]
	s_cbranch_vccz .LBB49_790
; %bb.788:
	s_cmp_eq_u32 s13, 11
	s_mov_b64 s[0:1], -1
	s_cbranch_scc0 .LBB49_790
; %bb.789:
	v_cmp_neq_f64_e32 vcc, 0, v[0:1]
	s_mov_b64 s[0:1], 0
	s_mov_b64 s[2:3], -1
	v_cndmask_b32_e64 v2, 0, 1, vcc
	global_store_byte v[4:5], v2, off
.LBB49_790:
	s_mov_b64 s[6:7], 0
.LBB49_791:
	s_and_b64 vcc, exec, s[6:7]
	s_cbranch_vccz .LBB49_830
; %bb.792:
	s_and_b32 s6, 0xffff, s12
	s_cmp_lt_i32 s6, 5
	s_mov_b64 s[2:3], -1
	s_cbranch_scc1 .LBB49_813
; %bb.793:
	s_cmp_lt_i32 s6, 8
	s_cbranch_scc1 .LBB49_803
; %bb.794:
	s_cmp_lt_i32 s6, 9
	s_cbranch_scc1 .LBB49_800
; %bb.795:
	s_cmp_gt_i32 s6, 9
	s_cbranch_scc0 .LBB49_797
; %bb.796:
	v_mov_b32_e32 v2, 0
	v_mov_b32_e32 v3, v2
	s_mov_b64 s[2:3], 0
	global_store_dwordx4 v[4:5], v[0:3], off
.LBB49_797:
	s_andn2_b64 vcc, exec, s[2:3]
	s_cbranch_vccnz .LBB49_799
; %bb.798:
	v_cvt_f32_f64_e32 v2, v[0:1]
	v_mov_b32_e32 v3, 0
	global_store_dwordx2 v[4:5], v[2:3], off
.LBB49_799:
	s_mov_b64 s[2:3], 0
.LBB49_800:
	s_andn2_b64 vcc, exec, s[2:3]
	s_cbranch_vccnz .LBB49_802
; %bb.801:
	s_movk_i32 s2, 0x1ff
	v_and_or_b32 v2, v1, s2, v0
	v_cmp_ne_u32_e32 vcc, 0, v2
	v_cndmask_b32_e64 v2, 0, 1, vcc
	v_lshrrev_b32_e32 v3, 8, v1
	s_movk_i32 s2, 0xffe
	v_bfe_u32 v6, v1, 20, 11
	v_and_or_b32 v2, v3, s2, v2
	v_sub_u32_e32 v7, 0x3f1, v6
	v_or_b32_e32 v3, 0x1000, v2
	v_med3_i32 v7, v7, 0, 13
	v_lshrrev_b32_e32 v8, v7, v3
	v_lshlrev_b32_e32 v7, v7, v8
	v_cmp_ne_u32_e32 vcc, v7, v3
	v_cndmask_b32_e64 v3, 0, 1, vcc
	v_add_u32_e32 v6, 0xfffffc10, v6
	v_or_b32_e32 v3, v8, v3
	v_lshl_or_b32 v7, v6, 12, v2
	v_cmp_gt_i32_e32 vcc, 1, v6
	v_cndmask_b32_e32 v3, v7, v3, vcc
	v_and_b32_e32 v7, 7, v3
	v_cmp_lt_i32_e32 vcc, 5, v7
	v_cndmask_b32_e64 v8, 0, 1, vcc
	v_cmp_eq_u32_e32 vcc, 3, v7
	v_cndmask_b32_e64 v7, 0, 1, vcc
	v_or_b32_e32 v7, v7, v8
	v_lshrrev_b32_e32 v3, 2, v3
	v_add_u32_e32 v3, v3, v7
	v_mov_b32_e32 v7, 0x7c00
	v_cmp_gt_i32_e32 vcc, 31, v6
	v_cndmask_b32_e32 v3, v7, v3, vcc
	v_mov_b32_e32 v8, 0x7e00
	v_cmp_ne_u32_e32 vcc, 0, v2
	s_movk_i32 s2, 0x40f
	v_cndmask_b32_e32 v2, v7, v8, vcc
	v_cmp_eq_u32_e32 vcc, s2, v6
	v_cndmask_b32_e32 v2, v3, v2, vcc
	v_lshrrev_b32_e32 v3, 16, v1
	s_mov_b32 s2, 0x8000
	v_and_or_b32 v2, v3, s2, v2
	v_and_b32_e32 v2, 0xffff, v2
	global_store_dword v[4:5], v2, off
.LBB49_802:
	s_mov_b64 s[2:3], 0
.LBB49_803:
	s_andn2_b64 vcc, exec, s[2:3]
	s_cbranch_vccnz .LBB49_812
; %bb.804:
	s_cmp_lt_i32 s6, 6
	s_mov_b64 s[2:3], -1
	s_cbranch_scc1 .LBB49_810
; %bb.805:
	s_cmp_gt_i32 s6, 6
	s_cbranch_scc0 .LBB49_807
; %bb.806:
	s_mov_b64 s[2:3], 0
	global_store_dwordx2 v[4:5], v[0:1], off
.LBB49_807:
	s_andn2_b64 vcc, exec, s[2:3]
	s_cbranch_vccnz .LBB49_809
; %bb.808:
	v_cvt_f32_f64_e32 v2, v[0:1]
	global_store_dword v[4:5], v2, off
.LBB49_809:
	s_mov_b64 s[2:3], 0
.LBB49_810:
	s_andn2_b64 vcc, exec, s[2:3]
	s_cbranch_vccnz .LBB49_812
; %bb.811:
	s_movk_i32 s2, 0x1ff
	v_and_or_b32 v2, v1, s2, v0
	v_cmp_ne_u32_e32 vcc, 0, v2
	v_cndmask_b32_e64 v2, 0, 1, vcc
	v_lshrrev_b32_e32 v3, 8, v1
	s_movk_i32 s2, 0xffe
	v_bfe_u32 v6, v1, 20, 11
	v_and_or_b32 v2, v3, s2, v2
	v_sub_u32_e32 v7, 0x3f1, v6
	v_or_b32_e32 v3, 0x1000, v2
	v_med3_i32 v7, v7, 0, 13
	v_lshrrev_b32_e32 v8, v7, v3
	v_lshlrev_b32_e32 v7, v7, v8
	v_cmp_ne_u32_e32 vcc, v7, v3
	v_cndmask_b32_e64 v3, 0, 1, vcc
	v_add_u32_e32 v6, 0xfffffc10, v6
	v_or_b32_e32 v3, v8, v3
	v_lshl_or_b32 v7, v6, 12, v2
	v_cmp_gt_i32_e32 vcc, 1, v6
	v_cndmask_b32_e32 v3, v7, v3, vcc
	v_and_b32_e32 v7, 7, v3
	v_cmp_lt_i32_e32 vcc, 5, v7
	v_cndmask_b32_e64 v8, 0, 1, vcc
	v_cmp_eq_u32_e32 vcc, 3, v7
	v_cndmask_b32_e64 v7, 0, 1, vcc
	v_or_b32_e32 v7, v7, v8
	v_lshrrev_b32_e32 v3, 2, v3
	v_add_u32_e32 v3, v3, v7
	v_mov_b32_e32 v7, 0x7c00
	v_cmp_gt_i32_e32 vcc, 31, v6
	v_cndmask_b32_e32 v3, v7, v3, vcc
	v_mov_b32_e32 v8, 0x7e00
	v_cmp_ne_u32_e32 vcc, 0, v2
	s_movk_i32 s2, 0x40f
	v_cndmask_b32_e32 v2, v7, v8, vcc
	v_cmp_eq_u32_e32 vcc, s2, v6
	v_cndmask_b32_e32 v2, v3, v2, vcc
	v_lshrrev_b32_e32 v3, 16, v1
	s_mov_b32 s2, 0x8000
	v_and_or_b32 v2, v3, s2, v2
	global_store_short v[4:5], v2, off
.LBB49_812:
	s_mov_b64 s[2:3], 0
.LBB49_813:
	s_andn2_b64 vcc, exec, s[2:3]
	s_cbranch_vccnz .LBB49_829
; %bb.814:
	s_cmp_lt_i32 s6, 2
	s_mov_b64 s[2:3], -1
	s_cbranch_scc1 .LBB49_824
; %bb.815:
	s_cmp_lt_i32 s6, 3
	s_cbranch_scc1 .LBB49_821
; %bb.816:
	s_cmp_gt_i32 s6, 3
	s_cbranch_scc0 .LBB49_818
; %bb.817:
	v_trunc_f64_e32 v[2:3], v[0:1]
	s_movk_i32 s2, 0xffe0
	v_ldexp_f64 v[6:7], v[2:3], s2
	s_mov_b32 s2, 0
	s_mov_b32 s3, 0xc1f00000
	v_floor_f64_e32 v[6:7], v[6:7]
	v_fma_f64 v[2:3], v[6:7], s[2:3], v[2:3]
	v_cvt_i32_f64_e32 v7, v[6:7]
	s_mov_b64 s[2:3], 0
	v_cvt_u32_f64_e32 v6, v[2:3]
	global_store_dwordx2 v[4:5], v[6:7], off
.LBB49_818:
	s_andn2_b64 vcc, exec, s[2:3]
	s_cbranch_vccnz .LBB49_820
; %bb.819:
	v_cvt_i32_f64_e32 v2, v[0:1]
	global_store_dword v[4:5], v2, off
.LBB49_820:
	s_mov_b64 s[2:3], 0
.LBB49_821:
	s_andn2_b64 vcc, exec, s[2:3]
	s_cbranch_vccnz .LBB49_823
; %bb.822:
	v_cvt_i32_f64_e32 v2, v[0:1]
	global_store_short v[4:5], v2, off
.LBB49_823:
	s_mov_b64 s[2:3], 0
.LBB49_824:
	s_andn2_b64 vcc, exec, s[2:3]
	s_cbranch_vccnz .LBB49_829
; %bb.825:
	s_cmp_gt_i32 s6, 0
	s_mov_b64 s[2:3], -1
	s_cbranch_scc0 .LBB49_827
; %bb.826:
	v_cvt_i32_f64_e32 v2, v[0:1]
	s_mov_b64 s[2:3], 0
	global_store_byte v[4:5], v2, off
.LBB49_827:
	s_andn2_b64 vcc, exec, s[2:3]
	s_cbranch_vccnz .LBB49_829
; %bb.828:
	v_trunc_f64_e32 v[0:1], v[0:1]
	s_movk_i32 s2, 0xffe0
	v_ldexp_f64 v[2:3], v[0:1], s2
	s_mov_b32 s2, 0
	s_mov_b32 s3, 0xc1f00000
	v_floor_f64_e32 v[2:3], v[2:3]
	v_fma_f64 v[0:1], v[2:3], s[2:3], v[0:1]
	v_cvt_u32_f64_e32 v0, v[0:1]
	global_store_byte v[4:5], v0, off
.LBB49_829:
	s_mov_b64 s[2:3], -1
.LBB49_830:
	s_andn2_b64 vcc, exec, s[2:3]
	s_cbranch_vccnz .LBB49_832
; %bb.831:
	v_add_u32_e32 v19, 0x80, v19
	s_mov_b64 s[2:3], -1
	s_branch .LBB49_834
.LBB49_832:
	s_mov_b64 s[2:3], 0
.LBB49_833:
                                        ; implicit-def: $vgpr19
.LBB49_834:
	s_andn2_b64 s[6:7], s[62:63], exec
	s_and_b64 s[0:1], s[0:1], exec
	s_or_b64 s[68:69], s[6:7], s[0:1]
	s_andn2_b64 s[0:1], s[60:61], exec
	s_and_b64 s[6:7], s[10:11], exec
	s_or_b64 s[6:7], s[0:1], s[6:7]
	s_orn2_b64 s[2:3], s[2:3], exec
.LBB49_835:
	s_or_b64 exec, exec, s[66:67]
	s_mov_b64 s[0:1], 0
	s_mov_b64 s[8:9], 0
	s_mov_b64 s[10:11], 0
                                        ; implicit-def: $vgpr0_vgpr1
                                        ; implicit-def: $vgpr2
                                        ; implicit-def: $vgpr3_vgpr4
	s_and_saveexec_b64 s[66:67], s[2:3]
	s_cbranch_execz .LBB49_934
; %bb.836:
	v_cmp_gt_i32_e32 vcc, s70, v19
	s_mov_b64 s[2:3], 0
	s_mov_b64 s[12:13], s[6:7]
                                        ; implicit-def: $vgpr0_vgpr1
                                        ; implicit-def: $vgpr2
                                        ; implicit-def: $vgpr3_vgpr4
	s_and_saveexec_b64 s[70:71], vcc
	s_cbranch_execz .LBB49_933
; %bb.837:
	s_andn2_b64 vcc, exec, s[42:43]
	s_cbranch_vccnz .LBB49_842
; %bb.838:
	s_andn2_b64 vcc, exec, s[52:53]
	s_cbranch_vccnz .LBB49_843
; %bb.839:
	s_add_i32 s76, s75, 1
	s_cmp_eq_u32 s72, 2
	s_cbranch_scc1 .LBB49_844
; %bb.840:
	s_and_b32 s75, s76, 28
	s_waitcnt vmcnt(0)
	v_mov_b32_e32 v0, 0
	s_mov_b32 s77, 0
	s_mov_b64 s[52:53], s[34:35]
	v_mov_b32_e32 v2, 0
	v_mov_b32_e32 v1, v19
.LBB49_841:                             ; =>This Inner Loop Header: Depth=1
	s_load_dwordx8 s[16:23], s[52:53], 0x4
	s_load_dwordx4 s[0:3], s[52:53], 0x24
	s_load_dwordx8 s[8:15], s[50:51], 0x0
	s_add_u32 s52, s52, 48
	s_addc_u32 s53, s53, 0
	s_waitcnt lgkmcnt(0)
	v_mul_hi_u32 v3, s17, v1
	s_add_i32 s77, s77, 4
	s_add_u32 s50, s50, 32
	s_addc_u32 s51, s51, 0
	v_add_u32_e32 v3, v1, v3
	v_lshrrev_b32_e32 v3, s18, v3
	v_mul_lo_u32 v4, v3, s16
	v_mul_hi_u32 v5, s20, v3
	s_cmp_eq_u32 s75, s77
	v_sub_u32_e32 v1, v1, v4
	v_add_u32_e32 v4, v3, v5
	v_mul_lo_u32 v5, v1, s8
	v_mul_lo_u32 v6, v1, s9
	v_lshrrev_b32_e32 v1, s21, v4
	v_mul_lo_u32 v4, v1, s19
	v_mul_hi_u32 v7, s23, v1
	v_sub_u32_e32 v3, v3, v4
	v_add_u32_e32 v4, v1, v7
	v_lshrrev_b32_e32 v4, s0, v4
	v_mul_hi_u32 v8, s2, v4
	v_mul_lo_u32 v9, v4, s22
	v_mul_lo_u32 v7, v3, s10
	;; [unrolled: 1-line block ×3, first 2 shown]
	v_sub_u32_e32 v9, v1, v9
	v_add_u32_e32 v1, v4, v8
	v_lshrrev_b32_e32 v1, s3, v1
	v_mul_lo_u32 v8, v1, s1
	v_mul_lo_u32 v10, v9, s12
	;; [unrolled: 1-line block ×3, first 2 shown]
	v_add3_u32 v2, v5, v2, v7
	v_sub_u32_e32 v4, v4, v8
	v_mul_lo_u32 v8, v4, s14
	v_mul_lo_u32 v4, v4, s15
	v_add3_u32 v0, v6, v0, v3
	v_add3_u32 v2, v10, v2, v8
	;; [unrolled: 1-line block ×3, first 2 shown]
	s_cbranch_scc0 .LBB49_841
	s_branch .LBB49_845
.LBB49_842:
	s_mov_b64 s[0:1], -1
                                        ; implicit-def: $vgpr2
                                        ; implicit-def: $vgpr0
	s_branch .LBB49_849
.LBB49_843:
	v_mov_b32_e32 v2, 0
	s_waitcnt vmcnt(0)
	v_mov_b32_e32 v0, 0
	s_branch .LBB49_848
.LBB49_844:
	s_mov_b32 s75, 0
	v_mov_b32_e32 v2, 0
	s_waitcnt vmcnt(0)
	v_mov_b32_e32 v0, 0
	v_mov_b32_e32 v1, v19
.LBB49_845:
	s_and_b32 s8, s76, 3
	s_cmp_eq_u32 s8, 0
	s_cbranch_scc1 .LBB49_848
; %bb.846:
	s_lshl_b32 s0, s75, 3
	s_add_u32 s0, s34, s0
	s_addc_u32 s1, s35, 0
	s_add_u32 s0, s0, 0xc4
	s_addc_u32 s1, s1, 0
	s_mul_i32 s2, s75, 12
	s_add_u32 s2, s34, s2
	s_addc_u32 s3, s35, 0
.LBB49_847:                             ; =>This Inner Loop Header: Depth=1
	s_load_dwordx2 s[10:11], s[2:3], 0x4
	s_load_dword s9, s[2:3], 0xc
	s_load_dwordx2 s[12:13], s[0:1], 0x0
	s_add_u32 s2, s2, 12
	s_addc_u32 s3, s3, 0
	s_waitcnt lgkmcnt(0)
	v_mul_hi_u32 v3, s11, v1
	s_add_u32 s0, s0, 8
	s_addc_u32 s1, s1, 0
	s_add_i32 s8, s8, -1
	v_add_u32_e32 v3, v1, v3
	v_lshrrev_b32_e32 v4, s9, v3
	v_mul_lo_u32 v3, v4, s10
	s_cmp_lg_u32 s8, 0
	v_sub_u32_e32 v1, v1, v3
	v_mad_u64_u32 v[2:3], s[10:11], v1, s12, v[2:3]
	v_mad_u64_u32 v[0:1], s[10:11], v1, s13, v[0:1]
	v_mov_b32_e32 v1, v4
	s_cbranch_scc1 .LBB49_847
.LBB49_848:
	s_mov_b64 s[0:1], 0
.LBB49_849:
	s_andn2_b64 vcc, exec, s[0:1]
	s_cbranch_vccnz .LBB49_852
; %bb.850:
	s_waitcnt vmcnt(0) lgkmcnt(0)
	v_mul_hi_u32 v0, s37, v19
	s_andn2_b64 vcc, exec, s[48:49]
	v_add_u32_e32 v0, v19, v0
	v_lshrrev_b32_e32 v1, s38, v0
	v_mul_lo_u32 v0, v1, s36
	v_sub_u32_e32 v0, v19, v0
	v_mul_lo_u32 v2, v0, s28
	v_mul_lo_u32 v0, v0, s29
	s_cbranch_vccnz .LBB49_852
; %bb.851:
	v_mul_hi_u32 v3, s46, v1
	v_add_u32_e32 v3, v1, v3
	v_lshrrev_b32_e32 v3, s47, v3
	v_mul_lo_u32 v3, v3, s39
	v_sub_u32_e32 v1, v1, v3
	v_mad_u64_u32 v[2:3], s[0:1], v1, s30, v[2:3]
	v_mad_u64_u32 v[0:1], s[0:1], v1, s31, v[0:1]
.LBB49_852:
	s_waitcnt vmcnt(0) lgkmcnt(0)
	v_mov_b32_e32 v1, s27
	s_and_b32 s14, 0xffff, s74
	v_add_co_u32_e32 v0, vcc, s26, v0
	s_cmp_lt_i32 s14, 11
	v_addc_co_u32_e32 v1, vcc, 0, v1, vcc
	s_cbranch_scc1 .LBB49_859
; %bb.853:
	s_cmp_gt_i32 s14, 25
	s_mov_b64 s[2:3], 0
	s_cbranch_scc0 .LBB49_860
; %bb.854:
	s_cmp_gt_i32 s14, 28
	s_cbranch_scc0 .LBB49_861
; %bb.855:
	s_cmp_gt_i32 s14, 43
	;; [unrolled: 3-line block ×3, first 2 shown]
	s_cbranch_scc0 .LBB49_865
; %bb.857:
	s_cmp_eq_u32 s14, 46
	s_mov_b64 s[10:11], 0
	s_cbranch_scc0 .LBB49_868
; %bb.858:
	global_load_dword v3, v[0:1], off
	s_mov_b64 s[0:1], 0
	s_mov_b64 s[8:9], -1
	s_waitcnt vmcnt(0)
	v_lshlrev_b32_e32 v3, 16, v3
	v_cvt_f64_f32_e32 v[3:4], v3
	s_branch .LBB49_869
.LBB49_859:
	s_mov_b64 s[12:13], -1
	s_mov_b64 s[8:9], 0
	s_mov_b64 s[2:3], 0
	;; [unrolled: 1-line block ×3, first 2 shown]
                                        ; implicit-def: $vgpr3_vgpr4
	s_branch .LBB49_932
.LBB49_860:
	s_mov_b64 s[10:11], -1
	s_mov_b64 s[8:9], 0
	s_mov_b64 s[0:1], s[6:7]
                                        ; implicit-def: $vgpr3_vgpr4
	s_branch .LBB49_900
.LBB49_861:
	s_mov_b64 s[10:11], -1
	s_mov_b64 s[8:9], 0
	s_mov_b64 s[0:1], s[6:7]
                                        ; implicit-def: $vgpr3_vgpr4
	s_branch .LBB49_879
.LBB49_862:
	s_mov_b64 s[10:11], -1
	s_mov_b64 s[8:9], 0
	s_mov_b64 s[0:1], s[6:7]
                                        ; implicit-def: $vgpr3_vgpr4
	s_branch .LBB49_874
.LBB49_863:
	s_andn2_saveexec_b64 s[8:9], s[8:9]
	s_cbranch_execz .LBB49_743
.LBB49_864:
	s_mov_b32 s14, 0x46000000
	v_add_f32_e64 v3, |v2|, s14
	v_and_b32_e32 v3, 0xff, v3
	v_cmp_ne_u32_e32 vcc, 0, v3
	s_andn2_b64 s[6:7], s[6:7], exec
	s_and_b64 s[14:15], vcc, exec
	s_or_b64 s[6:7], s[6:7], s[14:15]
	s_or_b64 exec, exec, s[8:9]
	v_mov_b32_e32 v6, 0
	s_and_saveexec_b64 s[8:9], s[6:7]
	s_cbranch_execnz .LBB49_744
	s_branch .LBB49_745
.LBB49_865:
	s_mov_b64 s[10:11], -1
	s_mov_b64 s[8:9], 0
	s_mov_b64 s[0:1], s[6:7]
                                        ; implicit-def: $vgpr3_vgpr4
	s_branch .LBB49_869
.LBB49_866:
	s_andn2_saveexec_b64 s[8:9], s[8:9]
	s_cbranch_execz .LBB49_756
.LBB49_867:
	s_mov_b32 s14, 0x42800000
	v_add_f32_e64 v3, |v2|, s14
	v_and_b32_e32 v3, 0xff, v3
	v_cmp_ne_u32_e32 vcc, 0, v3
	s_andn2_b64 s[6:7], s[6:7], exec
	s_and_b64 s[14:15], vcc, exec
	s_or_b64 s[6:7], s[6:7], s[14:15]
	s_or_b64 exec, exec, s[8:9]
	v_mov_b32_e32 v6, 0
	s_and_saveexec_b64 s[8:9], s[6:7]
	s_cbranch_execnz .LBB49_757
	s_branch .LBB49_758
.LBB49_868:
	s_mov_b64 s[0:1], -1
                                        ; implicit-def: $vgpr3_vgpr4
	s_mov_b64 s[8:9], 0
.LBB49_869:
	s_and_b64 vcc, exec, s[10:11]
	s_cbranch_vccz .LBB49_873
; %bb.870:
	s_cmp_eq_u32 s14, 44
	s_cbranch_scc0 .LBB49_872
; %bb.871:
	global_load_ubyte v5, v[0:1], off
	s_movk_i32 s8, 0xff
	v_bfrev_b32_e32 v6, 4
	v_mov_b32_e32 v7, 0x7ff80000
	v_bfrev_b32_e32 v8, 28
	s_mov_b64 s[0:1], 0
	s_waitcnt vmcnt(0)
	v_lshlrev_b32_e32 v3, 23, v5
	v_cvt_f64_f32_e32 v[3:4], v3
	v_cmp_ne_u32_e32 vcc, s8, v5
	s_mov_b64 s[8:9], -1
	v_cndmask_b32_e32 v3, v6, v3, vcc
	v_cndmask_b32_e32 v4, v7, v4, vcc
	v_cmp_ne_u32_e32 vcc, 0, v5
	v_cndmask_b32_e32 v4, v8, v4, vcc
	v_cndmask_b32_e32 v3, 0, v3, vcc
	s_branch .LBB49_873
.LBB49_872:
	s_mov_b64 s[0:1], -1
                                        ; implicit-def: $vgpr3_vgpr4
.LBB49_873:
	s_mov_b64 s[10:11], 0
.LBB49_874:
	s_and_b64 vcc, exec, s[10:11]
	s_cbranch_vccz .LBB49_878
; %bb.875:
	s_cmp_eq_u32 s14, 29
	s_cbranch_scc0 .LBB49_877
; %bb.876:
	global_load_dwordx2 v[3:4], v[0:1], off
	s_mov_b64 s[0:1], 0
	s_mov_b64 s[8:9], -1
	s_mov_b64 s[10:11], 0
	s_waitcnt vmcnt(0)
	v_cvt_f64_u32_e32 v[4:5], v4
	v_cvt_f64_u32_e32 v[6:7], v3
	v_ldexp_f64 v[4:5], v[4:5], 32
	v_add_f64 v[3:4], v[4:5], v[6:7]
	s_branch .LBB49_879
.LBB49_877:
	s_mov_b64 s[0:1], -1
                                        ; implicit-def: $vgpr3_vgpr4
.LBB49_878:
	s_mov_b64 s[10:11], 0
.LBB49_879:
	s_and_b64 vcc, exec, s[10:11]
	s_cbranch_vccz .LBB49_899
; %bb.880:
	s_cmp_lt_i32 s14, 27
	s_cbranch_scc1 .LBB49_883
; %bb.881:
	s_cmp_gt_i32 s14, 27
	s_cbranch_scc0 .LBB49_884
; %bb.882:
	global_load_dword v3, v[0:1], off
	s_mov_b64 s[8:9], 0
	s_waitcnt vmcnt(0)
	v_cvt_f64_u32_e32 v[3:4], v3
	s_branch .LBB49_885
.LBB49_883:
	s_mov_b64 s[8:9], -1
                                        ; implicit-def: $vgpr3_vgpr4
	s_branch .LBB49_888
.LBB49_884:
	s_mov_b64 s[8:9], -1
                                        ; implicit-def: $vgpr3_vgpr4
.LBB49_885:
	s_andn2_b64 vcc, exec, s[8:9]
	s_cbranch_vccnz .LBB49_887
; %bb.886:
	global_load_ushort v3, v[0:1], off
	s_waitcnt vmcnt(0)
	v_cvt_f64_u32_e32 v[3:4], v3
.LBB49_887:
	s_mov_b64 s[8:9], 0
.LBB49_888:
	s_andn2_b64 vcc, exec, s[8:9]
	s_cbranch_vccnz .LBB49_898
; %bb.889:
	global_load_ubyte v5, v[0:1], off
	s_movk_i32 s8, 0x7f
	s_waitcnt vmcnt(0)
	v_cmp_lt_i16_e32 vcc, s8, v5
	s_mov_b64 s[8:9], 0
	s_and_saveexec_b64 s[10:11], vcc
	s_xor_b64 s[10:11], exec, s[10:11]
	s_cbranch_execz .LBB49_893
; %bb.890:
	s_movk_i32 s8, 0x80
	v_cmp_eq_u16_e32 vcc, s8, v5
	s_mov_b64 s[8:9], -1
	s_and_saveexec_b64 s[12:13], vcc
; %bb.891:
	s_xor_b64 s[8:9], exec, -1
; %bb.892:
	s_or_b64 exec, exec, s[12:13]
	s_and_b64 s[8:9], s[8:9], exec
.LBB49_893:
	s_or_saveexec_b64 s[10:11], s[10:11]
	v_bfrev_b32_e32 v3, 4
	v_mov_b32_e32 v4, 0x7ff80000
	s_xor_b64 exec, exec, s[10:11]
; %bb.894:
	v_cmp_ne_u16_e32 vcc, 0, v5
	v_mov_b32_e32 v3, 0
	s_andn2_b64 s[8:9], s[8:9], exec
	s_and_b64 s[12:13], vcc, exec
	v_mov_b32_e32 v4, 0
	s_or_b64 s[8:9], s[8:9], s[12:13]
; %bb.895:
	s_or_b64 exec, exec, s[10:11]
	s_and_saveexec_b64 s[10:11], s[8:9]
	s_cbranch_execz .LBB49_897
; %bb.896:
	v_and_b32_e32 v4, 0xffff, v5
	v_lshlrev_b32_e32 v3, 24, v5
	v_and_b32_e32 v5, 7, v4
	v_ffbh_u32_e32 v7, v5
	v_min_u32_e32 v7, 32, v7
	v_subrev_u32_e32 v8, 28, v7
	v_bfe_u32 v6, v4, 3, 4
	v_lshlrev_b32_e32 v4, v8, v4
	v_sub_u32_e32 v7, 29, v7
	v_and_b32_e32 v4, 7, v4
	v_cmp_eq_u32_e32 vcc, 0, v6
	v_cndmask_b32_e32 v6, v6, v7, vcc
	v_cndmask_b32_e32 v4, v5, v4, vcc
	v_mov_b32_e32 v5, 0x3b800000
	v_lshlrev_b32_e32 v4, 20, v4
	v_and_b32_e32 v3, 0x80000000, v3
	v_lshl_add_u32 v5, v6, 23, v5
	v_or3_b32 v3, v3, v5, v4
	v_cvt_f64_f32_e32 v[3:4], v3
.LBB49_897:
	s_or_b64 exec, exec, s[10:11]
.LBB49_898:
	s_mov_b64 s[8:9], -1
.LBB49_899:
	s_mov_b64 s[10:11], 0
.LBB49_900:
	s_and_b64 vcc, exec, s[10:11]
	s_cbranch_vccz .LBB49_931
; %bb.901:
	s_cmp_gt_i32 s14, 22
	s_cbranch_scc0 .LBB49_913
; %bb.902:
	s_cmp_lt_i32 s14, 24
	s_cbranch_scc1 .LBB49_914
; %bb.903:
	s_cmp_gt_i32 s14, 24
	s_cbranch_scc0 .LBB49_915
; %bb.904:
	global_load_ubyte v5, v[0:1], off
	s_movk_i32 s2, 0x7f
	s_waitcnt vmcnt(0)
	v_cmp_lt_i16_e32 vcc, s2, v5
	s_mov_b64 s[2:3], 0
	s_and_saveexec_b64 s[8:9], vcc
	s_xor_b64 s[8:9], exec, s[8:9]
	s_cbranch_execz .LBB49_908
; %bb.905:
	s_movk_i32 s2, 0x80
	v_cmp_eq_u16_e32 vcc, s2, v5
	s_mov_b64 s[2:3], -1
	s_and_saveexec_b64 s[10:11], vcc
; %bb.906:
	s_xor_b64 s[2:3], exec, -1
; %bb.907:
	s_or_b64 exec, exec, s[10:11]
	s_and_b64 s[2:3], s[2:3], exec
.LBB49_908:
	s_or_saveexec_b64 s[8:9], s[8:9]
	v_bfrev_b32_e32 v3, 4
	v_mov_b32_e32 v4, 0x7ff80000
	s_xor_b64 exec, exec, s[8:9]
; %bb.909:
	v_cmp_ne_u16_e32 vcc, 0, v5
	v_mov_b32_e32 v3, 0
	s_andn2_b64 s[2:3], s[2:3], exec
	s_and_b64 s[10:11], vcc, exec
	v_mov_b32_e32 v4, 0
	s_or_b64 s[2:3], s[2:3], s[10:11]
; %bb.910:
	s_or_b64 exec, exec, s[8:9]
	s_and_saveexec_b64 s[8:9], s[2:3]
	s_cbranch_execz .LBB49_912
; %bb.911:
	v_and_b32_e32 v4, 0xffff, v5
	v_lshlrev_b32_e32 v3, 24, v5
	v_and_b32_e32 v5, 3, v4
	v_ffbh_u32_e32 v7, v5
	v_min_u32_e32 v7, 32, v7
	v_subrev_u32_e32 v8, 29, v7
	v_bfe_u32 v6, v4, 2, 5
	v_lshlrev_b32_e32 v4, v8, v4
	v_sub_u32_e32 v7, 30, v7
	v_and_b32_e32 v4, 3, v4
	v_cmp_eq_u32_e32 vcc, 0, v6
	v_cndmask_b32_e32 v6, v6, v7, vcc
	v_cndmask_b32_e32 v4, v5, v4, vcc
	v_mov_b32_e32 v5, 0x37800000
	v_lshlrev_b32_e32 v4, 21, v4
	v_and_b32_e32 v3, 0x80000000, v3
	v_lshl_add_u32 v5, v6, 23, v5
	v_or3_b32 v3, v3, v5, v4
	v_cvt_f64_f32_e32 v[3:4], v3
.LBB49_912:
	s_or_b64 exec, exec, s[8:9]
	s_mov_b64 s[2:3], 0
	s_branch .LBB49_916
.LBB49_913:
	s_mov_b64 s[2:3], -1
                                        ; implicit-def: $vgpr3_vgpr4
	s_branch .LBB49_922
.LBB49_914:
	s_mov_b64 s[2:3], -1
                                        ; implicit-def: $vgpr3_vgpr4
	s_branch .LBB49_919
.LBB49_915:
	s_mov_b64 s[2:3], -1
                                        ; implicit-def: $vgpr3_vgpr4
.LBB49_916:
	s_and_b64 vcc, exec, s[2:3]
	s_cbranch_vccz .LBB49_918
; %bb.917:
	global_load_ubyte v3, v[0:1], off
	s_mov_b32 s2, 0x7f800000
	s_waitcnt vmcnt(0)
	v_lshlrev_b32_e32 v3, 24, v3
	v_and_b32_e32 v4, 0x7f000000, v3
	v_ffbh_u32_e32 v5, v4
	v_min_u32_e32 v5, 32, v5
	v_sub_u32_e64 v5, v5, 4 clamp
	v_lshlrev_b32_e32 v7, v5, v4
	v_lshlrev_b32_e32 v5, 23, v5
	v_lshrrev_b32_e32 v7, 4, v7
	v_add_u32_e32 v6, 0x1000000, v4
	v_sub_u32_e32 v5, v7, v5
	v_ashrrev_i32_e32 v6, 8, v6
	v_add_u32_e32 v5, 0x3c000000, v5
	v_and_or_b32 v5, v6, s2, v5
	v_cmp_ne_u32_e32 vcc, 0, v4
	v_cndmask_b32_e32 v4, 0, v5, vcc
	s_brev_b32 s2, 1
	v_and_or_b32 v3, v3, s2, v4
	v_cvt_f64_f32_e32 v[3:4], v3
.LBB49_918:
	s_mov_b64 s[2:3], 0
.LBB49_919:
	s_andn2_b64 vcc, exec, s[2:3]
	s_cbranch_vccnz .LBB49_921
; %bb.920:
	global_load_ubyte v3, v[0:1], off
	s_movk_i32 s2, 0x7f00
	s_brev_b32 s3, 16
	s_waitcnt vmcnt(0)
	v_lshlrev_b16_e32 v4, 8, v3
	v_lshlrev_b32_e32 v3, 25, v3
	v_lshrrev_b32_e32 v5, 4, v3
	v_and_or_b32 v6, v4, s2, 0.5
	v_or_b32_e32 v5, 0x70000000, v5
	v_add_f32_e32 v6, -0.5, v6
	v_mul_f32_e32 v5, 0x7800000, v5
	v_cmp_gt_u32_e32 vcc, s3, v3
	v_bfe_i32 v4, v4, 0, 16
	v_cndmask_b32_e32 v3, v5, v6, vcc
	s_brev_b32 s2, 1
	v_and_or_b32 v3, v4, s2, v3
	v_cvt_f64_f32_e32 v[3:4], v3
.LBB49_921:
	s_mov_b64 s[2:3], 0
	s_mov_b64 s[8:9], -1
.LBB49_922:
	s_andn2_b64 vcc, exec, s[2:3]
	s_mov_b64 s[2:3], 0
	s_cbranch_vccnz .LBB49_931
; %bb.923:
	s_cmp_gt_i32 s14, 14
	s_cbranch_scc0 .LBB49_926
; %bb.924:
	s_cmp_eq_u32 s14, 15
	s_cbranch_scc0 .LBB49_927
; %bb.925:
	global_load_ushort v3, v[0:1], off
	s_mov_b64 s[0:1], 0
	s_mov_b64 s[8:9], -1
	s_waitcnt vmcnt(0)
	v_lshlrev_b32_e32 v3, 16, v3
	v_cvt_f64_f32_e32 v[3:4], v3
	s_branch .LBB49_928
.LBB49_926:
	s_mov_b64 s[10:11], -1
                                        ; implicit-def: $vgpr3_vgpr4
	s_branch .LBB49_929
.LBB49_927:
	s_mov_b64 s[0:1], -1
                                        ; implicit-def: $vgpr3_vgpr4
.LBB49_928:
	s_mov_b64 s[10:11], 0
.LBB49_929:
	s_and_b64 vcc, exec, s[10:11]
	s_cbranch_vccz .LBB49_931
; %bb.930:
	s_cmp_lg_u32 s14, 11
	s_cselect_b64 s[10:11], -1, 0
	s_andn2_b64 s[0:1], s[0:1], exec
	s_and_b64 s[10:11], s[10:11], exec
	s_mov_b64 s[2:3], -1
	s_or_b64 s[0:1], s[0:1], s[10:11]
.LBB49_931:
	s_mov_b64 s[12:13], 0
.LBB49_932:
	s_and_b64 s[10:11], s[8:9], exec
	s_and_b64 s[8:9], s[12:13], exec
	s_andn2_b64 s[12:13], s[6:7], exec
	s_and_b64 s[0:1], s[0:1], exec
	s_and_b64 s[2:3], s[2:3], exec
	s_or_b64 s[12:13], s[12:13], s[0:1]
.LBB49_933:
	s_or_b64 exec, exec, s[70:71]
	s_and_b64 s[0:1], s[2:3], exec
	s_andn2_b64 s[2:3], s[6:7], exec
	s_and_b64 s[6:7], s[12:13], exec
	s_and_b64 s[10:11], s[10:11], exec
	;; [unrolled: 1-line block ×3, first 2 shown]
	s_or_b64 s[6:7], s[2:3], s[6:7]
.LBB49_934:
	s_or_b64 exec, exec, s[66:67]
	s_andn2_b64 s[2:3], s[62:63], exec
	s_and_b64 s[12:13], s[68:69], exec
	s_or_b64 s[62:63], s[2:3], s[12:13]
	s_and_b64 s[2:3], s[0:1], exec
	s_andn2_b64 s[0:1], s[60:61], exec
	s_and_b64 s[6:7], s[6:7], exec
	s_and_b64 s[10:11], s[10:11], exec
	;; [unrolled: 1-line block ×3, first 2 shown]
	s_or_b64 s[60:61], s[0:1], s[6:7]
.LBB49_935:
	s_or_b64 exec, exec, s[64:65]
	s_andn2_b64 s[0:1], s[54:55], exec
	s_and_b64 s[6:7], s[62:63], exec
	s_or_b64 s[54:55], s[0:1], s[6:7]
	s_and_b64 s[6:7], s[8:9], exec
	s_and_b64 s[62:63], s[2:3], exec
	s_andn2_b64 s[2:3], s[56:57], exec
	s_and_b64 s[8:9], s[60:61], exec
	s_and_b64 s[0:1], s[10:11], exec
	s_or_b64 s[56:57], s[2:3], s[8:9]
	s_or_b64 exec, exec, s[58:59]
	s_mov_b64 s[10:11], 0
	s_and_saveexec_b64 s[2:3], s[56:57]
	s_cbranch_execz .LBB49_280
.LBB49_936:
	s_mov_b64 s[10:11], exec
	s_andn2_b64 s[62:63], s[62:63], exec
	s_trap 2
	s_or_b64 exec, exec, s[2:3]
	s_and_saveexec_b64 s[2:3], s[62:63]
	s_xor_b64 s[2:3], exec, s[2:3]
	s_cbranch_execnz .LBB49_281
.LBB49_937:
	s_or_b64 exec, exec, s[2:3]
	s_and_saveexec_b64 s[2:3], s[6:7]
	s_cbranch_execz .LBB49_983
.LBB49_938:
	s_sext_i32_i16 s6, s74
	s_cmp_lt_i32 s6, 5
	s_cbranch_scc1 .LBB49_943
; %bb.939:
	s_cmp_lt_i32 s6, 8
	s_cbranch_scc1 .LBB49_944
; %bb.940:
	;; [unrolled: 3-line block ×3, first 2 shown]
	s_cmp_gt_i32 s6, 9
	s_cbranch_scc0 .LBB49_946
; %bb.942:
	s_waitcnt vmcnt(0)
	global_load_dwordx2 v[3:4], v[0:1], off
	s_mov_b64 s[6:7], 0
	s_branch .LBB49_947
.LBB49_943:
                                        ; implicit-def: $vgpr3_vgpr4
	s_branch .LBB49_964
.LBB49_944:
                                        ; implicit-def: $vgpr3_vgpr4
	s_branch .LBB49_953
.LBB49_945:
	s_mov_b64 s[6:7], -1
                                        ; implicit-def: $vgpr3_vgpr4
	s_branch .LBB49_950
.LBB49_946:
	s_mov_b64 s[6:7], -1
                                        ; implicit-def: $vgpr3_vgpr4
.LBB49_947:
	s_andn2_b64 vcc, exec, s[6:7]
	s_cbranch_vccnz .LBB49_949
; %bb.948:
	s_waitcnt vmcnt(0)
	global_load_dword v3, v[0:1], off
	s_waitcnt vmcnt(0)
	v_cvt_f64_f32_e32 v[3:4], v3
.LBB49_949:
	s_mov_b64 s[6:7], 0
.LBB49_950:
	s_andn2_b64 vcc, exec, s[6:7]
	s_cbranch_vccnz .LBB49_952
; %bb.951:
	s_waitcnt vmcnt(0)
	global_load_dword v3, v[0:1], off
	s_waitcnt vmcnt(0)
	v_cvt_f32_f16_e32 v3, v3
	v_cvt_f64_f32_e32 v[3:4], v3
.LBB49_952:
	s_cbranch_execnz .LBB49_963
.LBB49_953:
	s_sext_i32_i16 s6, s74
	s_cmp_lt_i32 s6, 6
	s_cbranch_scc1 .LBB49_956
; %bb.954:
	s_cmp_gt_i32 s6, 6
	s_cbranch_scc0 .LBB49_957
; %bb.955:
	s_waitcnt vmcnt(0)
	global_load_dwordx2 v[3:4], v[0:1], off
	s_mov_b64 s[6:7], 0
	s_branch .LBB49_958
.LBB49_956:
	s_mov_b64 s[6:7], -1
                                        ; implicit-def: $vgpr3_vgpr4
	s_branch .LBB49_961
.LBB49_957:
	s_mov_b64 s[6:7], -1
                                        ; implicit-def: $vgpr3_vgpr4
.LBB49_958:
	s_andn2_b64 vcc, exec, s[6:7]
	s_cbranch_vccnz .LBB49_960
; %bb.959:
	s_waitcnt vmcnt(0)
	global_load_dword v3, v[0:1], off
	s_waitcnt vmcnt(0)
	v_cvt_f64_f32_e32 v[3:4], v3
.LBB49_960:
	s_mov_b64 s[6:7], 0
.LBB49_961:
	s_andn2_b64 vcc, exec, s[6:7]
	s_cbranch_vccnz .LBB49_963
; %bb.962:
	s_waitcnt vmcnt(0)
	global_load_ushort v3, v[0:1], off
	s_waitcnt vmcnt(0)
	v_cvt_f32_f16_e32 v3, v3
	v_cvt_f64_f32_e32 v[3:4], v3
.LBB49_963:
	s_cbranch_execnz .LBB49_982
.LBB49_964:
	s_sext_i32_i16 s6, s74
	s_cmp_lt_i32 s6, 2
	s_cbranch_scc1 .LBB49_968
; %bb.965:
	s_cmp_lt_i32 s6, 3
	s_cbranch_scc1 .LBB49_969
; %bb.966:
	s_cmp_gt_i32 s6, 3
	s_cbranch_scc0 .LBB49_970
; %bb.967:
	s_waitcnt vmcnt(0)
	global_load_dwordx2 v[3:4], v[0:1], off
	s_mov_b64 s[6:7], 0
	s_waitcnt vmcnt(0)
	v_cvt_f64_i32_e32 v[4:5], v4
	v_cvt_f64_u32_e32 v[6:7], v3
	v_ldexp_f64 v[4:5], v[4:5], 32
	v_add_f64 v[3:4], v[4:5], v[6:7]
	s_branch .LBB49_971
.LBB49_968:
                                        ; implicit-def: $vgpr3_vgpr4
	s_branch .LBB49_977
.LBB49_969:
	s_mov_b64 s[6:7], -1
                                        ; implicit-def: $vgpr3_vgpr4
	s_branch .LBB49_974
.LBB49_970:
	s_mov_b64 s[6:7], -1
                                        ; implicit-def: $vgpr3_vgpr4
.LBB49_971:
	s_andn2_b64 vcc, exec, s[6:7]
	s_cbranch_vccnz .LBB49_973
; %bb.972:
	s_waitcnt vmcnt(0)
	global_load_dword v3, v[0:1], off
	s_waitcnt vmcnt(0)
	v_cvt_f64_i32_e32 v[3:4], v3
.LBB49_973:
	s_mov_b64 s[6:7], 0
.LBB49_974:
	s_andn2_b64 vcc, exec, s[6:7]
	s_cbranch_vccnz .LBB49_976
; %bb.975:
	s_waitcnt vmcnt(0)
	global_load_sshort v3, v[0:1], off
	s_waitcnt vmcnt(0)
	v_cvt_f64_i32_e32 v[3:4], v3
.LBB49_976:
	s_cbranch_execnz .LBB49_982
.LBB49_977:
	s_sext_i32_i16 s6, s74
	s_cmp_gt_i32 s6, 0
	s_cbranch_scc0 .LBB49_979
; %bb.978:
	s_waitcnt vmcnt(0)
	global_load_sbyte v3, v[0:1], off
	s_mov_b64 s[6:7], 0
	s_waitcnt vmcnt(0)
	v_cvt_f64_i32_e32 v[3:4], v3
	s_branch .LBB49_980
.LBB49_979:
	s_mov_b64 s[6:7], -1
                                        ; implicit-def: $vgpr3_vgpr4
.LBB49_980:
	s_andn2_b64 vcc, exec, s[6:7]
	s_cbranch_vccnz .LBB49_982
; %bb.981:
	s_waitcnt vmcnt(0)
	global_load_ubyte v0, v[0:1], off
	s_waitcnt vmcnt(0)
	v_cvt_f64_u32_e32 v[3:4], v0
.LBB49_982:
	s_or_b64 s[0:1], s[0:1], exec
.LBB49_983:
	s_or_b64 exec, exec, s[2:3]
	s_mov_b64 s[6:7], 0
	s_mov_b64 s[2:3], 0
                                        ; implicit-def: $sgpr16
                                        ; implicit-def: $vgpr5_vgpr6
                                        ; implicit-def: $vgpr0_vgpr1
	s_and_saveexec_b64 s[12:13], s[0:1]
	s_cbranch_execz .LBB49_997
; %bb.984:
	s_waitcnt vmcnt(0)
	v_cmp_gt_f64_e32 vcc, 0.5, v[3:4]
	v_mov_b32_e32 v5, 0
	v_mov_b32_e32 v0, 0
	;; [unrolled: 1-line block ×4, first 2 shown]
	s_and_saveexec_b64 s[2:3], vcc
	s_cbranch_execz .LBB49_990
; %bb.985:
	s_mov_b32 s7, 0x400921fb
	s_mov_b32 s6, 0x54442d18
	v_mul_f64 v[0:1], v[3:4], s[6:7]
	s_mov_b32 s0, 0
	s_mov_b32 s1, 0x41d00000
                                        ; implicit-def: $vgpr9
                                        ; implicit-def: $vgpr5_vgpr6
                                        ; implicit-def: $vgpr7_vgpr8
	v_cmp_nlt_f64_e64 s[0:1], |v[0:1]|, s[0:1]
	s_and_saveexec_b64 s[8:9], s[0:1]
	s_xor_b64 s[8:9], exec, s[8:9]
	s_cbranch_execz .LBB49_987
; %bb.986:
	v_trig_preop_f64 v[5:6], |v[0:1]|, 0
	s_mov_b32 s0, 0
	s_mov_b32 s1, 0x7b000000
	s_movk_i32 s7, 0xff80
	v_ldexp_f64 v[9:10], |v[0:1]|, s7
	v_cmp_ge_f64_e64 vcc, |v[0:1]|, s[0:1]
	v_trig_preop_f64 v[7:8], |v[0:1]|, 1
	v_and_b32_e32 v11, 0x7fffffff, v1
	v_trig_preop_f64 v[17:18], |v[0:1]|, 2
	s_mov_b32 s0, 0
	s_mov_b32 s1, 0x7ff00000
	v_mov_b32_e32 v28, 0x40100000
	v_mov_b32_e32 v27, 0
	v_cndmask_b32_e32 v10, v11, v10, vcc
	v_cndmask_b32_e32 v9, v0, v9, vcc
	s_mov_b32 s7, 0x3ff921fb
	v_mul_f64 v[11:12], v[5:6], v[9:10]
	v_mul_f64 v[13:14], v[7:8], v[9:10]
	;; [unrolled: 1-line block ×3, first 2 shown]
	v_fma_f64 v[5:6], v[5:6], v[9:10], -v[11:12]
	v_fma_f64 v[7:8], v[7:8], v[9:10], -v[13:14]
	;; [unrolled: 1-line block ×3, first 2 shown]
	v_add_f64 v[15:16], v[13:14], v[5:6]
	v_add_f64 v[19:20], v[15:16], -v[13:14]
	v_add_f64 v[25:26], v[11:12], v[15:16]
	v_add_f64 v[21:22], v[15:16], -v[19:20]
	v_add_f64 v[5:6], v[5:6], -v[19:20]
	v_add_f64 v[19:20], v[23:24], v[7:8]
	v_add_f64 v[11:12], v[25:26], -v[11:12]
	v_add_f64 v[13:14], v[13:14], -v[21:22]
	v_ldexp_f64 v[21:22], v[25:26], -2
	v_add_f64 v[29:30], v[19:20], -v[23:24]
	v_add_f64 v[11:12], v[15:16], -v[11:12]
	v_add_f64 v[5:6], v[5:6], v[13:14]
	v_fract_f64_e32 v[13:14], v[21:22]
	v_cmp_neq_f64_e64 vcc, |v[21:22]|, s[0:1]
	v_add_f64 v[7:8], v[7:8], -v[29:30]
	v_add_f64 v[15:16], v[19:20], v[5:6]
	v_ldexp_f64 v[13:14], v[13:14], 2
	v_add_f64 v[21:22], v[11:12], v[15:16]
	v_cndmask_b32_e32 v14, 0, v14, vcc
	v_cndmask_b32_e32 v13, 0, v13, vcc
	v_add_f64 v[31:32], v[15:16], -v[19:20]
	v_add_f64 v[25:26], v[21:22], v[13:14]
	v_add_f64 v[11:12], v[21:22], -v[11:12]
	v_add_f64 v[33:34], v[15:16], -v[31:32]
	;; [unrolled: 1-line block ×3, first 2 shown]
	v_cmp_gt_f64_e32 vcc, 0, v[25:26]
	v_add_f64 v[25:26], v[19:20], -v[29:30]
	v_add_f64 v[11:12], v[15:16], -v[11:12]
	;; [unrolled: 1-line block ×3, first 2 shown]
	v_cndmask_b32_e32 v28, 0, v28, vcc
	v_add_f64 v[13:14], v[13:14], v[27:28]
	v_add_f64 v[25:26], v[23:24], -v[25:26]
	v_add_f64 v[5:6], v[5:6], v[19:20]
	v_add_f64 v[35:36], v[21:22], v[13:14]
	;; [unrolled: 1-line block ×3, first 2 shown]
	v_cvt_i32_f64_e32 v30, v[35:36]
	v_add_f64 v[5:6], v[7:8], v[5:6]
	v_cvt_f64_i32_e32 v[28:29], v30
	v_add_f64 v[13:14], v[13:14], -v[28:29]
	v_add_f64 v[5:6], v[9:10], v[5:6]
	v_add_f64 v[7:8], v[21:22], v[13:14]
	;; [unrolled: 1-line block ×3, first 2 shown]
	v_mov_b32_e32 v12, 0x3ff00000
	v_add_f64 v[9:10], v[7:8], -v[13:14]
	v_cmp_le_f64_e32 vcc, 0.5, v[7:8]
	v_add_f64 v[10:11], v[21:22], -v[9:10]
	v_cndmask_b32_e32 v28, 0, v12, vcc
	v_add_f64 v[7:8], v[7:8], -v[27:28]
	v_addc_co_u32_e64 v9, s[0:1], 0, v30, vcc
	s_mov_b32 s0, 0x33145c07
	s_mov_b32 s1, 0x3c91a626
	v_add_f64 v[5:6], v[5:6], v[10:11]
	v_add_f64 v[10:11], v[7:8], v[5:6]
	v_mul_f64 v[12:13], v[10:11], s[6:7]
	v_add_f64 v[7:8], v[10:11], -v[7:8]
	v_fma_f64 v[14:15], v[10:11], s[6:7], -v[12:13]
	v_add_f64 v[5:6], v[5:6], -v[7:8]
	v_fma_f64 v[7:8], v[10:11], s[0:1], v[14:15]
	v_fma_f64 v[7:8], v[5:6], s[6:7], v[7:8]
	v_add_f64 v[5:6], v[12:13], v[7:8]
	v_add_f64 v[10:11], v[5:6], -v[12:13]
	v_add_f64 v[7:8], v[7:8], -v[10:11]
.LBB49_987:
	s_andn2_saveexec_b64 s[0:1], s[8:9]
	s_cbranch_execz .LBB49_989
; %bb.988:
	s_mov_b32 s6, 0x6dc9c883
	s_mov_b32 s7, 0x3fe45f30
	v_mul_f64 v[5:6], |v[0:1]|, s[6:7]
	s_mov_b32 s6, 0x54442d18
	s_mov_b32 s7, 0xbff921fb
	;; [unrolled: 1-line block ×4, first 2 shown]
	v_rndne_f64_e32 v[9:10], v[5:6]
	v_fma_f64 v[5:6], v[9:10], s[6:7], |v[0:1]|
	v_mul_f64 v[7:8], v[9:10], s[8:9]
	s_mov_b32 s6, 0x252049c0
	s_mov_b32 s7, 0xb97b839a
	v_fma_f64 v[15:16], v[9:10], s[8:9], v[5:6]
	v_add_f64 v[11:12], v[5:6], v[7:8]
	s_mov_b32 s9, 0x3c91a626
	v_add_f64 v[13:14], v[5:6], -v[11:12]
	v_add_f64 v[11:12], v[11:12], -v[15:16]
	v_add_f64 v[5:6], v[13:14], v[7:8]
	v_fma_f64 v[7:8], v[9:10], s[8:9], v[7:8]
	v_add_f64 v[5:6], v[11:12], v[5:6]
	v_add_f64 v[5:6], v[5:6], -v[7:8]
	v_fma_f64 v[7:8], v[9:10], s[6:7], v[5:6]
	v_cvt_i32_f64_e32 v9, v[9:10]
	v_add_f64 v[5:6], v[15:16], v[7:8]
	v_add_f64 v[11:12], v[5:6], -v[15:16]
	v_add_f64 v[7:8], v[7:8], -v[11:12]
.LBB49_989:
	s_or_b64 exec, exec, s[0:1]
	v_mul_f64 v[10:11], v[5:6], v[5:6]
	s_mov_b32 s0, 0xf9a43bb8
	v_mov_b32_e32 v13, 0xb42fdfa7
	v_mov_b32_e32 v14, 0xbe5ae600
	s_mov_b32 s1, 0x3de5e0b2
	s_mov_b32 s6, 0x796cde01
	v_mov_b32_e32 v12, 0x9037ab78
	s_mov_b32 s7, 0x3ec71de3
	v_fma_f64 v[14:15], v[10:11], s[0:1], v[13:14]
	s_mov_b32 s0, 0x46cc5e42
	v_mov_b32_e32 v13, 0x3e21eeb6
	s_mov_b32 s1, 0xbda907db
	v_fma_f64 v[12:13], v[10:11], s[0:1], v[12:13]
	v_mul_f64 v[16:17], v[10:11], 0.5
	s_mov_b32 s0, 0xa17f65f6
	s_mov_b32 s8, 0x19e83e5c
	v_fma_f64 v[14:15], v[10:11], v[14:15], s[6:7]
	s_mov_b32 s1, 0xbe927e4f
	s_mov_b32 s9, 0xbf2a01a0
	;; [unrolled: 1-line block ×3, first 2 shown]
	v_fma_f64 v[12:13], v[10:11], v[12:13], s[0:1]
	v_add_f64 v[18:19], -v[16:17], 1.0
	s_mov_b32 s0, 0x11110bb3
	s_mov_b32 s7, 0x3efa01a0
	v_fma_f64 v[14:15], v[10:11], v[14:15], s[8:9]
	s_mov_b32 s1, 0x3f811111
	v_mul_f64 v[20:21], v[7:8], 0.5
	v_mul_f64 v[22:23], v[5:6], -v[10:11]
	v_fma_f64 v[12:13], v[10:11], v[12:13], s[6:7]
	v_add_f64 v[24:25], -v[18:19], 1.0
	v_add_f64 v[3:4], -v[3:4], 1.0
	v_fma_f64 v[14:15], v[10:11], v[14:15], s[0:1]
	s_mov_b32 s0, 0x16c16967
	s_mov_b32 s1, 0xbf56c16c
	v_fma_f64 v[12:13], v[10:11], v[12:13], s[0:1]
	v_add_f64 v[16:17], v[24:25], -v[16:17]
	s_mov_b32 s1, 0x3fa55555
	s_mov_b32 s0, 0x55555555
	v_fma_f64 v[14:15], v[22:23], v[14:15], v[20:21]
	v_mul_f64 v[20:21], v[10:11], v[10:11]
	v_fma_f64 v[12:13], v[10:11], v[12:13], s[0:1]
	v_fma_f64 v[16:17], v[5:6], -v[7:8], v[16:17]
	s_mov_b32 s1, 0xbfc55555
	v_fma_f64 v[7:8], v[10:11], v[14:15], -v[7:8]
	v_fma_f64 v[10:11], v[20:21], v[12:13], v[16:17]
	v_fma_f64 v[7:8], v[22:23], s[0:1], v[7:8]
	s_movk_i32 s0, 0x1f8
	v_cmp_class_f64_e64 s[0:1], v[0:1], s0
	v_lshlrev_b32_e32 v0, 30, v9
	v_xor_b32_e32 v0, v0, v1
	v_add_f64 v[10:11], v[18:19], v[10:11]
	v_and_b32_e32 v0, 0x80000000, v0
	v_add_f64 v[5:6], v[5:6], -v[7:8]
	v_and_b32_e32 v7, 1, v9
	v_cmp_eq_u32_e32 vcc, 0, v7
	v_mov_b32_e32 v7, 0x7ff80000
	v_cndmask_b32_e32 v1, v11, v6, vcc
	v_cndmask_b32_e32 v5, v10, v5, vcc
	v_xor_b32_e32 v1, v1, v0
	v_cndmask_b32_e64 v0, 0, v5, s[0:1]
	v_cndmask_b32_e64 v1, v7, v1, s[0:1]
	v_mul_f64 v[0:1], v[0:1], v[0:1]
	s_mov_b32 s0, 0xc9be45de
	s_mov_b32 s1, 0xc023bd3c
	v_div_scale_f64 v[5:6], s[6:7], v[0:1], v[0:1], s[0:1]
	v_rcp_f64_e32 v[7:8], v[5:6]
	v_fma_f64 v[9:10], -v[5:6], v[7:8], 1.0
	v_fma_f64 v[7:8], v[7:8], v[9:10], v[7:8]
	v_div_scale_f64 v[9:10], vcc, s[0:1], v[0:1], s[0:1]
	v_fma_f64 v[11:12], -v[5:6], v[7:8], 1.0
	v_fma_f64 v[7:8], v[7:8], v[11:12], v[7:8]
	v_mul_f64 v[11:12], v[9:10], v[7:8]
	v_fma_f64 v[5:6], -v[5:6], v[11:12], v[9:10]
	v_div_fmas_f64 v[5:6], v[5:6], v[7:8], v[11:12]
	v_div_fixup_f64 v[0:1], v[5:6], v[0:1], s[0:1]
	v_add_f64 v[5:6], v[0:1], 0
	v_mov_b32_e32 v0, 0
	v_mov_b32_e32 v1, 0xbff00000
.LBB49_990:
	s_or_b64 exec, exec, s[2:3]
	v_add_f64 v[9:10], v[3:4], 1.0
	v_mul_f64 v[7:8], v[3:4], v[3:4]
	s_and_b32 s16, s73, 0xff
	s_cmp_lt_i32 s16, 11
	v_mul_f64 v[3:4], v[9:10], v[9:10]
	v_div_scale_f64 v[19:20], s[0:1], v[7:8], v[7:8], 1.0
	v_add_f64 v[11:12], v[9:10], 1.0
	v_div_scale_f64 v[35:36], vcc, 1.0, v[7:8], 1.0
	v_div_scale_f64 v[21:22], s[0:1], v[3:4], v[3:4], 1.0
	v_mul_f64 v[9:10], v[11:12], v[11:12]
	v_add_f64 v[13:14], v[11:12], 1.0
	v_rcp_f64_e32 v[15:16], v[19:20]
	v_div_scale_f64 v[23:24], s[0:1], v[9:10], v[9:10], 1.0
	v_mul_f64 v[11:12], v[13:14], v[13:14]
	v_add_f64 v[13:14], v[13:14], 1.0
	v_rcp_f64_e32 v[17:18], v[21:22]
	v_div_scale_f64 v[25:26], s[0:1], v[11:12], v[11:12], 1.0
	v_add_f64 v[31:32], v[13:14], 1.0
	v_mul_f64 v[13:14], v[13:14], v[13:14]
	v_fma_f64 v[27:28], -v[19:20], v[15:16], 1.0
	v_div_scale_f64 v[39:40], s[0:1], 1.0, v[3:4], 1.0
	v_rcp_f64_e32 v[29:30], v[23:24]
	v_div_scale_f64 v[43:44], s[2:3], v[13:14], v[13:14], 1.0
	v_fma_f64 v[33:34], -v[21:22], v[17:18], 1.0
	v_fma_f64 v[27:28], v[15:16], v[27:28], v[15:16]
	v_add_f64 v[15:16], v[31:32], 1.0
	v_rcp_f64_e32 v[37:38], v[25:26]
	v_fma_f64 v[33:34], v[17:18], v[33:34], v[17:18]
	v_mul_f64 v[17:18], v[31:32], v[31:32]
	v_fma_f64 v[31:32], -v[19:20], v[27:28], 1.0
	v_fma_f64 v[41:42], -v[23:24], v[29:30], 1.0
	v_mul_f64 v[47:48], v[15:16], v[15:16]
	v_add_f64 v[51:52], v[15:16], v[15:16]
	v_fma_f64 v[45:46], -v[21:22], v[33:34], 1.0
	v_div_scale_f64 v[49:50], s[2:3], v[17:18], v[17:18], 1.0
	v_fma_f64 v[27:28], v[27:28], v[31:32], v[27:28]
	v_fma_f64 v[29:30], v[29:30], v[41:42], v[29:30]
	v_fma_f64 v[31:32], -v[25:26], v[37:38], 1.0
	v_div_scale_f64 v[41:42], s[2:3], v[47:48], v[47:48], 1.0
	v_fma_f64 v[33:34], v[33:34], v[45:46], v[33:34]
	v_div_scale_f64 v[45:46], s[2:3], 1.0, v[9:10], 1.0
	v_mul_f64 v[53:54], v[35:36], v[27:28]
	v_fma_f64 v[55:56], -v[23:24], v[29:30], 1.0
	v_fma_f64 v[31:32], v[37:38], v[31:32], v[37:38]
	v_div_scale_f64 v[57:58], s[6:7], v[51:52], v[51:52], 1.0
	v_mul_f64 v[37:38], v[39:40], v[33:34]
	v_fma_f64 v[19:20], -v[19:20], v[53:54], v[35:36]
	v_rcp_f64_e32 v[35:36], v[43:44]
	v_fma_f64 v[29:30], v[29:30], v[55:56], v[29:30]
	v_rcp_f64_e32 v[55:56], v[49:50]
	v_fma_f64 v[21:22], -v[21:22], v[37:38], v[39:40]
	v_rcp_f64_e32 v[39:40], v[41:42]
	v_div_fmas_f64 v[19:20], v[19:20], v[27:28], v[53:54]
	s_mov_b64 vcc, s[0:1]
	v_fma_f64 v[27:28], -v[25:26], v[31:32], 1.0
	v_mul_f64 v[53:54], v[45:46], v[29:30]
	v_div_fmas_f64 v[21:22], v[21:22], v[33:34], v[37:38]
	v_rcp_f64_e32 v[33:34], v[57:58]
	v_div_scale_f64 v[37:38], s[0:1], 1.0, v[11:12], 1.0
	s_mov_b64 vcc, s[2:3]
	v_fma_f64 v[27:28], v[31:32], v[27:28], v[31:32]
	v_fma_f64 v[31:32], -v[43:44], v[35:36], 1.0
	v_fma_f64 v[23:24], -v[23:24], v[53:54], v[45:46]
	v_fma_f64 v[45:46], -v[49:50], v[55:56], 1.0
	v_div_fixup_f64 v[7:8], v[19:20], v[7:8], 1.0
	v_fma_f64 v[31:32], v[35:36], v[31:32], v[35:36]
	v_fma_f64 v[35:36], -v[41:42], v[39:40], 1.0
	v_fma_f64 v[45:46], v[55:56], v[45:46], v[55:56]
	v_fma_f64 v[55:56], -v[57:58], v[33:34], 1.0
	v_div_fmas_f64 v[23:24], v[23:24], v[29:30], v[53:54]
	v_mul_f64 v[29:30], v[37:38], v[27:28]
	s_mov_b64 vcc, s[0:1]
	v_add_f64 v[5:6], v[5:6], v[7:8]
	v_fma_f64 v[53:54], -v[43:44], v[31:32], 1.0
	v_fma_f64 v[35:36], v[39:40], v[35:36], v[39:40]
	v_fma_f64 v[39:40], -v[49:50], v[45:46], 1.0
	v_fma_f64 v[33:34], v[33:34], v[55:56], v[33:34]
	v_div_scale_f64 v[55:56], s[2:3], 1.0, v[13:14], 1.0
	v_fma_f64 v[25:26], -v[25:26], v[29:30], v[37:38]
	v_div_scale_f64 v[37:38], s[6:7], 1.0, v[17:18], 1.0
	v_fma_f64 v[31:32], v[31:32], v[53:54], v[31:32]
	v_fma_f64 v[39:40], v[45:46], v[39:40], v[45:46]
	v_fma_f64 v[45:46], -v[41:42], v[35:36], 1.0
	v_div_scale_f64 v[53:54], s[8:9], 1.0, v[47:48], 1.0
	v_div_fmas_f64 v[25:26], v[25:26], v[27:28], v[29:30]
	v_fma_f64 v[27:28], -v[57:58], v[33:34], 1.0
	v_div_scale_f64 v[29:30], s[0:1], 1.0, v[51:52], 1.0
	s_mov_b64 vcc, s[2:3]
	v_fma_f64 v[35:36], v[35:36], v[45:46], v[35:36]
	v_mul_f64 v[45:46], v[55:56], v[31:32]
	v_div_fixup_f64 v[3:4], v[21:22], v[3:4], 1.0
	v_fma_f64 v[27:28], v[33:34], v[27:28], v[33:34]
	v_mul_f64 v[33:34], v[37:38], v[39:40]
	v_fma_f64 v[43:44], -v[43:44], v[45:46], v[55:56]
	v_mul_f64 v[55:56], v[53:54], v[35:36]
	v_add_f64 v[3:4], v[5:6], v[3:4]
	v_div_fixup_f64 v[5:6], v[23:24], v[9:10], 1.0
	v_fma_f64 v[37:38], -v[49:50], v[33:34], v[37:38]
	v_mul_f64 v[49:50], v[29:30], v[27:28]
	v_div_fmas_f64 v[31:32], v[43:44], v[31:32], v[45:46]
	v_fma_f64 v[41:42], -v[41:42], v[55:56], v[53:54]
	s_mov_b64 vcc, s[6:7]
	v_add_f64 v[3:4], v[3:4], v[5:6]
	v_div_fmas_f64 v[33:34], v[37:38], v[39:40], v[33:34]
	s_mov_b64 vcc, s[8:9]
	v_fma_f64 v[29:30], -v[57:58], v[49:50], v[29:30]
	v_div_fixup_f64 v[5:6], v[25:26], v[11:12], 1.0
	v_div_fmas_f64 v[35:36], v[41:42], v[35:36], v[55:56]
	s_mov_b64 vcc, s[0:1]
	s_mov_b32 s0, 0x18618618
	s_mov_b32 s1, 0xbf986186
	v_div_fmas_f64 v[27:28], v[29:30], v[27:28], v[49:50]
	v_add_f64 v[3:4], v[3:4], v[5:6]
	v_div_fixup_f64 v[5:6], v[31:32], v[13:14], 1.0
	v_add_f64 v[3:4], v[3:4], v[5:6]
	v_div_fixup_f64 v[29:30], v[35:36], v[47:48], 1.0
	v_mov_b32_e32 v35, 0x11111111
	v_mov_b32_e32 v36, 0x3fa11111
	v_div_fixup_f64 v[5:6], v[33:34], v[17:18], 1.0
	v_div_fixup_f64 v[27:28], v[27:28], v[51:52], 1.0
	v_fma_f64 v[35:36], v[29:30], s[0:1], v[35:36]
	s_mov_b32 s0, 0x55555555
	s_mov_b32 s1, 0x3fc55555
	v_add_f64 v[3:4], v[3:4], v[5:6]
	v_add_f64 v[27:28], v[27:28], 1.0
	v_fma_f64 v[35:36], -v[29:30], v[35:36], s[0:1]
	v_fma_f64 v[27:28], v[29:30], v[35:36], v[27:28]
	v_div_scale_f64 v[29:30], s[0:1], v[15:16], v[15:16], v[27:28]
	v_rcp_f64_e32 v[35:36], v[29:30]
	v_fma_f64 v[37:38], -v[29:30], v[35:36], 1.0
	v_fma_f64 v[35:36], v[35:36], v[37:38], v[35:36]
	v_div_scale_f64 v[37:38], vcc, v[27:28], v[15:16], v[27:28]
	v_fma_f64 v[19:20], -v[29:30], v[35:36], 1.0
	v_fma_f64 v[7:8], v[35:36], v[19:20], v[35:36]
	v_mul_f64 v[9:10], v[37:38], v[7:8]
	v_fma_f64 v[11:12], -v[29:30], v[9:10], v[37:38]
	v_div_fmas_f64 v[7:8], v[11:12], v[7:8], v[9:10]
	v_div_fixup_f64 v[5:6], v[7:8], v[15:16], v[27:28]
	v_add_f64 v[3:4], v[3:4], v[5:6]
	s_waitcnt lgkmcnt(0)
	v_add_co_u32_e32 v5, vcc, s24, v2
	v_mul_f64 v[0:1], v[0:1], v[3:4]
	v_mov_b32_e32 v3, s25
	v_addc_co_u32_e32 v6, vcc, 0, v3, vcc
	s_cbranch_scc1 .LBB49_1000
; %bb.991:
	s_and_b32 s17, 0xffff, s16
	s_mov_b64 s[6:7], -1
	s_cmp_gt_i32 s17, 25
	s_mov_b64 s[0:1], s[54:55]
	s_cbranch_scc0 .LBB49_1028
; %bb.992:
	s_mov_b64 s[2:3], -1
	s_cmp_gt_i32 s17, 28
	s_mov_b64 s[0:1], s[54:55]
	s_cbranch_scc0 .LBB49_1012
; %bb.993:
	s_cmp_gt_i32 s17, 43
	s_mov_b64 s[0:1], s[54:55]
	s_cbranch_scc0 .LBB49_1008
; %bb.994:
	;; [unrolled: 4-line block ×3, first 2 shown]
	s_cmp_eq_u32 s17, 46
	s_mov_b64 s[0:1], -1
	s_cbranch_scc0 .LBB49_1001
; %bb.996:
	v_cvt_f32_f64_e32 v2, v[0:1]
	s_movk_i32 s0, 0x7fff
	v_mov_b32_e32 v3, 0x7fc0
	s_mov_b64 s[2:3], 0
	v_bfe_u32 v4, v2, 16, 1
	v_cmp_o_f32_e32 vcc, v2, v2
	v_add3_u32 v2, v2, v4, s0
	v_cndmask_b32_sdwa v2, v3, v2, vcc dst_sel:DWORD dst_unused:UNUSED_PAD src0_sel:DWORD src1_sel:WORD_1
	global_store_dword v[5:6], v2, off
	s_mov_b64 s[0:1], 0
	s_branch .LBB49_1002
.LBB49_997:
	s_or_b64 exec, exec, s[12:13]
	s_and_saveexec_b64 s[0:1], s[54:55]
	s_cbranch_execnz .LBB49_1070
.LBB49_998:
	s_or_b64 exec, exec, s[0:1]
	s_and_saveexec_b64 s[0:1], s[6:7]
	s_xor_b64 s[0:1], exec, s[0:1]
	s_cbranch_execz .LBB49_1071
.LBB49_999:
	s_waitcnt vmcnt(0)
	v_cmp_neq_f64_e32 vcc, 0, v[0:1]
	v_cndmask_b32_e64 v2, 0, 1, vcc
	global_store_byte v[5:6], v2, off
	s_or_b64 exec, exec, s[0:1]
	s_and_saveexec_b64 s[0:1], s[2:3]
	s_xor_b64 s[0:1], exec, s[0:1]
	s_cbranch_execz .LBB49_1109
	s_branch .LBB49_1072
.LBB49_1000:
	s_mov_b64 s[6:7], 0
	s_mov_b64 s[2:3], -1
	s_mov_b64 s[0:1], s[54:55]
	s_branch .LBB49_1069
.LBB49_1001:
	s_mov_b64 s[2:3], 0
.LBB49_1002:
	s_and_b64 vcc, exec, s[2:3]
	s_cbranch_vccz .LBB49_1007
; %bb.1003:
	s_cmp_eq_u32 s17, 44
	s_mov_b64 s[0:1], -1
	s_cbranch_scc0 .LBB49_1007
; %bb.1004:
	v_cvt_f32_f64_e32 v2, v[0:1]
	s_movk_i32 s0, 0xff
	v_mov_b32_e32 v4, 0xff
	v_bfe_u32 v3, v2, 23, 8
	v_cmp_ne_u32_e32 vcc, s0, v3
	s_and_saveexec_b64 s[2:3], vcc
; %bb.1005:
	s_mov_b32 s0, 0x3fffff
	v_lshrrev_b32_e32 v4, 23, v2
	v_and_b32_e32 v7, 0x400000, v2
	v_and_or_b32 v2, v2, s0, v3
	v_cmp_ne_u32_e32 vcc, 0, v7
	v_cmp_ne_u32_e64 s[0:1], 0, v2
	s_and_b64 s[0:1], vcc, s[0:1]
	v_cndmask_b32_e64 v2, 0, 1, s[0:1]
	v_add_u32_e32 v4, v4, v2
; %bb.1006:
	s_or_b64 exec, exec, s[2:3]
	s_mov_b64 s[0:1], 0
	global_store_byte v[5:6], v4, off
.LBB49_1007:
	s_mov_b64 s[2:3], 0
.LBB49_1008:
	s_and_b64 vcc, exec, s[2:3]
	s_cbranch_vccz .LBB49_1011
; %bb.1009:
	s_cmp_eq_u32 s17, 29
	s_mov_b64 s[0:1], -1
	s_cbranch_scc0 .LBB49_1011
; %bb.1010:
	v_trunc_f64_e32 v[2:3], v[0:1]
	s_movk_i32 s0, 0xffe0
	s_mov_b64 s[2:3], 0
	v_ldexp_f64 v[7:8], v[2:3], s0
	s_mov_b32 s0, 0
	s_mov_b32 s1, 0xc1f00000
	v_floor_f64_e32 v[7:8], v[7:8]
	v_fma_f64 v[2:3], v[7:8], s[0:1], v[2:3]
	v_cvt_u32_f64_e32 v4, v[7:8]
	s_mov_b64 s[0:1], 0
	v_cvt_u32_f64_e32 v3, v[2:3]
	global_store_dwordx2 v[5:6], v[3:4], off
	s_branch .LBB49_1012
.LBB49_1011:
	s_mov_b64 s[2:3], 0
.LBB49_1012:
	s_and_b64 vcc, exec, s[2:3]
	s_cbranch_vccz .LBB49_1027
; %bb.1013:
	s_cmp_lt_i32 s17, 27
	s_mov_b64 s[2:3], -1
	s_cbranch_scc1 .LBB49_1019
; %bb.1014:
	s_cmp_gt_i32 s17, 27
	s_cbranch_scc0 .LBB49_1016
; %bb.1015:
	v_cvt_u32_f64_e32 v2, v[0:1]
	s_mov_b64 s[2:3], 0
	global_store_dword v[5:6], v2, off
.LBB49_1016:
	s_andn2_b64 vcc, exec, s[2:3]
	s_cbranch_vccnz .LBB49_1018
; %bb.1017:
	v_cvt_u32_f64_e32 v2, v[0:1]
	global_store_short v[5:6], v2, off
.LBB49_1018:
	s_mov_b64 s[2:3], 0
.LBB49_1019:
	s_andn2_b64 vcc, exec, s[2:3]
	s_cbranch_vccnz .LBB49_1027
; %bb.1020:
	v_cvt_f32_f64_e32 v2, v[0:1]
	s_mov_b32 s2, 0x43800000
	v_mov_b32_e32 v4, 0x80
	v_and_b32_e32 v3, 0x7fffffff, v2
	v_cmp_gt_u32_e32 vcc, s2, v3
	s_and_saveexec_b64 s[2:3], vcc
	s_cbranch_execz .LBB49_1026
; %bb.1021:
	s_mov_b32 s6, 0x3bffffff
	v_cmp_lt_u32_e32 vcc, s6, v3
	s_mov_b64 s[6:7], 0
                                        ; implicit-def: $vgpr3
	s_and_saveexec_b64 s[8:9], vcc
	s_xor_b64 s[8:9], exec, s[8:9]
	s_cbranch_execz .LBB49_1180
; %bb.1022:
	v_bfe_u32 v3, v2, 20, 1
	s_mov_b32 s14, 0x487ffff
	v_add3_u32 v3, v2, v3, s14
	s_mov_b64 s[6:7], exec
	v_lshrrev_b32_e32 v3, 20, v3
	s_andn2_saveexec_b64 s[8:9], s[8:9]
	s_cbranch_execnz .LBB49_1181
.LBB49_1023:
	s_or_b64 exec, exec, s[8:9]
	v_mov_b32_e32 v4, 0
	s_and_saveexec_b64 s[8:9], s[6:7]
.LBB49_1024:
	v_lshrrev_b32_e32 v2, 24, v2
	s_movk_i32 s6, 0x80
	v_and_or_b32 v4, v2, s6, v3
.LBB49_1025:
	s_or_b64 exec, exec, s[8:9]
.LBB49_1026:
	s_or_b64 exec, exec, s[2:3]
	global_store_byte v[5:6], v4, off
.LBB49_1027:
	s_mov_b64 s[6:7], 0
.LBB49_1028:
	s_mov_b64 s[2:3], 0
	s_and_b64 vcc, exec, s[6:7]
	s_cbranch_vccz .LBB49_1068
; %bb.1029:
	s_cmp_gt_i32 s17, 22
	s_mov_b64 s[6:7], -1
	s_cbranch_scc0 .LBB49_1061
; %bb.1030:
	s_cmp_lt_i32 s17, 24
	s_cbranch_scc1 .LBB49_1050
; %bb.1031:
	s_cmp_gt_i32 s17, 24
	s_cbranch_scc0 .LBB49_1039
; %bb.1032:
	v_cvt_f32_f64_e32 v2, v[0:1]
	s_mov_b32 s6, 0x47800000
	v_mov_b32_e32 v4, 0x80
	v_and_b32_e32 v3, 0x7fffffff, v2
	v_cmp_gt_u32_e32 vcc, s6, v3
	s_and_saveexec_b64 s[6:7], vcc
	s_cbranch_execz .LBB49_1038
; %bb.1033:
	s_mov_b32 s8, 0x37ffffff
	v_cmp_lt_u32_e32 vcc, s8, v3
	s_mov_b64 s[8:9], 0
                                        ; implicit-def: $vgpr3
	s_and_saveexec_b64 s[14:15], vcc
	s_xor_b64 s[14:15], exec, s[14:15]
	s_cbranch_execz .LBB49_1311
; %bb.1034:
	v_bfe_u32 v3, v2, 21, 1
	s_mov_b32 s18, 0x88fffff
	v_add3_u32 v3, v2, v3, s18
	s_mov_b64 s[8:9], exec
	v_lshrrev_b32_e32 v3, 21, v3
	s_andn2_saveexec_b64 s[14:15], s[14:15]
	s_cbranch_execnz .LBB49_1312
.LBB49_1035:
	s_or_b64 exec, exec, s[14:15]
	v_mov_b32_e32 v4, 0
	s_and_saveexec_b64 s[14:15], s[8:9]
.LBB49_1036:
	v_lshrrev_b32_e32 v2, 24, v2
	s_movk_i32 s8, 0x80
	v_and_or_b32 v4, v2, s8, v3
.LBB49_1037:
	s_or_b64 exec, exec, s[14:15]
.LBB49_1038:
	s_or_b64 exec, exec, s[6:7]
	s_mov_b64 s[6:7], 0
	global_store_byte v[5:6], v4, off
.LBB49_1039:
	s_and_b64 vcc, exec, s[6:7]
	s_cbranch_vccz .LBB49_1049
; %bb.1040:
	v_cvt_f32_f64_e32 v2, v[0:1]
	s_mov_b32 s6, 0x43f00000
                                        ; implicit-def: $vgpr3
	v_and_b32_e32 v4, 0x7fffffff, v2
	v_cmp_gt_u32_e32 vcc, s6, v4
	s_and_saveexec_b64 s[6:7], vcc
	s_xor_b64 s[6:7], exec, s[6:7]
	s_cbranch_execz .LBB49_1046
; %bb.1041:
	s_mov_b32 s8, 0x3c7fffff
	v_cmp_lt_u32_e32 vcc, s8, v4
                                        ; implicit-def: $vgpr3
	s_and_saveexec_b64 s[8:9], vcc
	s_xor_b64 s[8:9], exec, s[8:9]
; %bb.1042:
	v_bfe_u32 v3, v2, 20, 1
	s_mov_b32 s14, 0x407ffff
	v_add3_u32 v3, v2, v3, s14
	v_lshrrev_b32_e32 v4, 20, v3
	v_and_b32_e32 v3, 0xff00000, v3
	s_mov_b32 s14, 0x7f00000
	v_mov_b32_e32 v7, 0x7e
	v_cmp_ne_u32_e32 vcc, s14, v3
	v_cndmask_b32_e32 v3, v7, v4, vcc
; %bb.1043:
	s_andn2_saveexec_b64 s[8:9], s[8:9]
; %bb.1044:
	s_mov_b32 s14, 0x46800000
	v_add_f32_e64 v3, |v2|, s14
; %bb.1045:
	s_or_b64 exec, exec, s[8:9]
                                        ; implicit-def: $vgpr4
.LBB49_1046:
	s_andn2_saveexec_b64 s[6:7], s[6:7]
; %bb.1047:
	s_mov_b32 s8, 0x7f800000
	v_mov_b32_e32 v3, 0x7e
	v_mov_b32_e32 v7, 0x7f
	v_cmp_lt_u32_e32 vcc, s8, v4
	v_cndmask_b32_e32 v3, v3, v7, vcc
; %bb.1048:
	s_or_b64 exec, exec, s[6:7]
	v_lshrrev_b32_e32 v2, 24, v2
	s_movk_i32 s6, 0x80
	v_and_or_b32 v2, v2, s6, v3
	global_store_byte v[5:6], v2, off
.LBB49_1049:
	s_mov_b64 s[6:7], 0
.LBB49_1050:
	s_andn2_b64 vcc, exec, s[6:7]
	s_cbranch_vccnz .LBB49_1060
; %bb.1051:
	v_cvt_f32_f64_e32 v2, v[0:1]
	s_mov_b32 s6, 0x47800000
                                        ; implicit-def: $vgpr3
	v_and_b32_e32 v4, 0x7fffffff, v2
	v_cmp_gt_u32_e32 vcc, s6, v4
	s_and_saveexec_b64 s[6:7], vcc
	s_xor_b64 s[6:7], exec, s[6:7]
	s_cbranch_execz .LBB49_1057
; %bb.1052:
	s_mov_b32 s8, 0x387fffff
	v_cmp_lt_u32_e32 vcc, s8, v4
                                        ; implicit-def: $vgpr3
	s_and_saveexec_b64 s[8:9], vcc
	s_xor_b64 s[8:9], exec, s[8:9]
; %bb.1053:
	v_bfe_u32 v3, v2, 21, 1
	s_mov_b32 s14, 0x80fffff
	v_add3_u32 v3, v2, v3, s14
	v_lshrrev_b32_e32 v3, 21, v3
; %bb.1054:
	s_andn2_saveexec_b64 s[8:9], s[8:9]
; %bb.1055:
	s_mov_b32 s14, 0x43000000
	v_add_f32_e64 v3, |v2|, s14
; %bb.1056:
	s_or_b64 exec, exec, s[8:9]
                                        ; implicit-def: $vgpr4
.LBB49_1057:
	s_andn2_saveexec_b64 s[6:7], s[6:7]
; %bb.1058:
	s_mov_b32 s8, 0x7f800000
	v_mov_b32_e32 v3, 0x7c
	v_mov_b32_e32 v7, 0x7f
	v_cmp_lt_u32_e32 vcc, s8, v4
	v_cndmask_b32_e32 v3, v3, v7, vcc
; %bb.1059:
	s_or_b64 exec, exec, s[6:7]
	v_lshrrev_b32_e32 v2, 24, v2
	s_movk_i32 s6, 0x80
	v_and_or_b32 v2, v2, s6, v3
	global_store_byte v[5:6], v2, off
.LBB49_1060:
	s_mov_b64 s[6:7], 0
.LBB49_1061:
	s_andn2_b64 vcc, exec, s[6:7]
	s_mov_b64 s[6:7], 0
	s_cbranch_vccnz .LBB49_1069
; %bb.1062:
	s_cmp_gt_i32 s17, 14
	s_mov_b64 s[8:9], -1
	s_cbranch_scc0 .LBB49_1066
; %bb.1063:
	s_cmp_eq_u32 s17, 15
	s_mov_b64 s[0:1], -1
	s_cbranch_scc0 .LBB49_1065
; %bb.1064:
	v_cvt_f32_f64_e32 v2, v[0:1]
	s_movk_i32 s0, 0x7fff
	v_mov_b32_e32 v3, 0x7fc0
	v_bfe_u32 v4, v2, 16, 1
	v_cmp_o_f32_e32 vcc, v2, v2
	v_add3_u32 v2, v2, v4, s0
	v_cndmask_b32_sdwa v2, v3, v2, vcc dst_sel:DWORD dst_unused:UNUSED_PAD src0_sel:DWORD src1_sel:WORD_1
	global_store_short v[5:6], v2, off
	s_mov_b64 s[0:1], 0
.LBB49_1065:
	s_mov_b64 s[8:9], 0
.LBB49_1066:
	s_and_b64 vcc, exec, s[8:9]
	s_cbranch_vccz .LBB49_1069
; %bb.1067:
	s_cmp_lg_u32 s17, 11
	s_cselect_b64 s[8:9], -1, 0
	s_andn2_b64 s[0:1], s[0:1], exec
	s_and_b64 s[8:9], s[8:9], exec
	s_mov_b64 s[6:7], -1
	s_or_b64 s[0:1], s[0:1], s[8:9]
	s_branch .LBB49_1069
.LBB49_1068:
	s_mov_b64 s[6:7], 0
.LBB49_1069:
	s_andn2_b64 s[8:9], s[54:55], exec
	s_and_b64 s[0:1], s[0:1], exec
	s_and_b64 s[2:3], s[2:3], exec
	s_and_b64 s[6:7], s[6:7], exec
	s_or_b64 s[54:55], s[8:9], s[0:1]
	s_or_b64 exec, exec, s[12:13]
	s_and_saveexec_b64 s[0:1], s[54:55]
	s_cbranch_execz .LBB49_998
.LBB49_1070:
	s_or_b64 s[10:11], s[10:11], exec
	s_andn2_b64 s[6:7], s[6:7], exec
	s_trap 2
	s_or_b64 exec, exec, s[0:1]
	s_and_saveexec_b64 s[0:1], s[6:7]
	s_xor_b64 s[0:1], exec, s[0:1]
	s_cbranch_execnz .LBB49_999
.LBB49_1071:
	s_or_b64 exec, exec, s[0:1]
	s_and_saveexec_b64 s[0:1], s[2:3]
	s_xor_b64 s[0:1], exec, s[0:1]
	s_cbranch_execz .LBB49_1109
.LBB49_1072:
	s_sext_i32_i16 s6, s16
	s_cmp_lt_i32 s6, 5
	s_mov_b64 s[2:3], -1
	s_cbranch_scc1 .LBB49_1093
; %bb.1073:
	s_cmp_lt_i32 s6, 8
	s_cbranch_scc1 .LBB49_1083
; %bb.1074:
	s_cmp_lt_i32 s6, 9
	s_cbranch_scc1 .LBB49_1080
; %bb.1075:
	s_cmp_gt_i32 s6, 9
	s_cbranch_scc0 .LBB49_1077
; %bb.1076:
	v_mov_b32_e32 v2, 0
	s_waitcnt vmcnt(0)
	v_mov_b32_e32 v3, v2
	s_mov_b64 s[2:3], 0
	global_store_dwordx4 v[5:6], v[0:3], off
.LBB49_1077:
	s_andn2_b64 vcc, exec, s[2:3]
	s_cbranch_vccnz .LBB49_1079
; %bb.1078:
	s_waitcnt vmcnt(0)
	v_cvt_f32_f64_e32 v2, v[0:1]
	v_mov_b32_e32 v3, 0
	global_store_dwordx2 v[5:6], v[2:3], off
.LBB49_1079:
	s_mov_b64 s[2:3], 0
.LBB49_1080:
	s_andn2_b64 vcc, exec, s[2:3]
	s_cbranch_vccnz .LBB49_1082
; %bb.1081:
	s_movk_i32 s2, 0x1ff
	s_waitcnt vmcnt(0)
	v_and_or_b32 v2, v1, s2, v0
	v_cmp_ne_u32_e32 vcc, 0, v2
	v_cndmask_b32_e64 v2, 0, 1, vcc
	v_lshrrev_b32_e32 v3, 8, v1
	s_movk_i32 s2, 0xffe
	v_bfe_u32 v4, v1, 20, 11
	v_and_or_b32 v2, v3, s2, v2
	v_sub_u32_e32 v7, 0x3f1, v4
	v_or_b32_e32 v3, 0x1000, v2
	v_med3_i32 v7, v7, 0, 13
	v_lshrrev_b32_e32 v8, v7, v3
	v_lshlrev_b32_e32 v7, v7, v8
	v_cmp_ne_u32_e32 vcc, v7, v3
	v_cndmask_b32_e64 v3, 0, 1, vcc
	v_add_u32_e32 v4, 0xfffffc10, v4
	v_or_b32_e32 v3, v8, v3
	v_lshl_or_b32 v7, v4, 12, v2
	v_cmp_gt_i32_e32 vcc, 1, v4
	v_cndmask_b32_e32 v3, v7, v3, vcc
	v_and_b32_e32 v7, 7, v3
	v_cmp_lt_i32_e32 vcc, 5, v7
	v_cndmask_b32_e64 v8, 0, 1, vcc
	v_cmp_eq_u32_e32 vcc, 3, v7
	v_cndmask_b32_e64 v7, 0, 1, vcc
	v_or_b32_e32 v7, v7, v8
	v_lshrrev_b32_e32 v3, 2, v3
	v_add_u32_e32 v3, v3, v7
	v_mov_b32_e32 v7, 0x7c00
	v_cmp_gt_i32_e32 vcc, 31, v4
	v_cndmask_b32_e32 v3, v7, v3, vcc
	v_mov_b32_e32 v8, 0x7e00
	v_cmp_ne_u32_e32 vcc, 0, v2
	s_movk_i32 s2, 0x40f
	v_cndmask_b32_e32 v2, v7, v8, vcc
	v_cmp_eq_u32_e32 vcc, s2, v4
	v_cndmask_b32_e32 v2, v3, v2, vcc
	v_lshrrev_b32_e32 v3, 16, v1
	s_mov_b32 s2, 0x8000
	v_and_or_b32 v2, v3, s2, v2
	v_and_b32_e32 v2, 0xffff, v2
	global_store_dword v[5:6], v2, off
.LBB49_1082:
	s_mov_b64 s[2:3], 0
.LBB49_1083:
	s_andn2_b64 vcc, exec, s[2:3]
	s_cbranch_vccnz .LBB49_1092
; %bb.1084:
	s_sext_i32_i16 s6, s16
	s_cmp_lt_i32 s6, 6
	s_mov_b64 s[2:3], -1
	s_cbranch_scc1 .LBB49_1090
; %bb.1085:
	s_cmp_gt_i32 s6, 6
	s_cbranch_scc0 .LBB49_1087
; %bb.1086:
	s_mov_b64 s[2:3], 0
	s_waitcnt vmcnt(0)
	global_store_dwordx2 v[5:6], v[0:1], off
.LBB49_1087:
	s_andn2_b64 vcc, exec, s[2:3]
	s_cbranch_vccnz .LBB49_1089
; %bb.1088:
	s_waitcnt vmcnt(0)
	v_cvt_f32_f64_e32 v2, v[0:1]
	global_store_dword v[5:6], v2, off
.LBB49_1089:
	s_mov_b64 s[2:3], 0
.LBB49_1090:
	s_andn2_b64 vcc, exec, s[2:3]
	s_cbranch_vccnz .LBB49_1092
; %bb.1091:
	s_movk_i32 s2, 0x1ff
	s_waitcnt vmcnt(0)
	v_and_or_b32 v2, v1, s2, v0
	v_cmp_ne_u32_e32 vcc, 0, v2
	v_cndmask_b32_e64 v2, 0, 1, vcc
	v_lshrrev_b32_e32 v3, 8, v1
	s_movk_i32 s2, 0xffe
	v_bfe_u32 v4, v1, 20, 11
	v_and_or_b32 v2, v3, s2, v2
	v_sub_u32_e32 v7, 0x3f1, v4
	v_or_b32_e32 v3, 0x1000, v2
	v_med3_i32 v7, v7, 0, 13
	v_lshrrev_b32_e32 v8, v7, v3
	v_lshlrev_b32_e32 v7, v7, v8
	v_cmp_ne_u32_e32 vcc, v7, v3
	v_cndmask_b32_e64 v3, 0, 1, vcc
	v_add_u32_e32 v4, 0xfffffc10, v4
	v_or_b32_e32 v3, v8, v3
	v_lshl_or_b32 v7, v4, 12, v2
	v_cmp_gt_i32_e32 vcc, 1, v4
	v_cndmask_b32_e32 v3, v7, v3, vcc
	v_and_b32_e32 v7, 7, v3
	v_cmp_lt_i32_e32 vcc, 5, v7
	v_cndmask_b32_e64 v8, 0, 1, vcc
	v_cmp_eq_u32_e32 vcc, 3, v7
	v_cndmask_b32_e64 v7, 0, 1, vcc
	v_or_b32_e32 v7, v7, v8
	v_lshrrev_b32_e32 v3, 2, v3
	v_add_u32_e32 v3, v3, v7
	v_mov_b32_e32 v7, 0x7c00
	v_cmp_gt_i32_e32 vcc, 31, v4
	v_cndmask_b32_e32 v3, v7, v3, vcc
	v_mov_b32_e32 v8, 0x7e00
	v_cmp_ne_u32_e32 vcc, 0, v2
	s_movk_i32 s2, 0x40f
	v_cndmask_b32_e32 v2, v7, v8, vcc
	v_cmp_eq_u32_e32 vcc, s2, v4
	v_cndmask_b32_e32 v2, v3, v2, vcc
	v_lshrrev_b32_e32 v3, 16, v1
	s_mov_b32 s2, 0x8000
	v_and_or_b32 v2, v3, s2, v2
	global_store_short v[5:6], v2, off
.LBB49_1092:
	s_mov_b64 s[2:3], 0
.LBB49_1093:
	s_andn2_b64 vcc, exec, s[2:3]
	s_cbranch_vccnz .LBB49_1109
; %bb.1094:
	s_sext_i32_i16 s6, s16
	s_cmp_lt_i32 s6, 2
	s_mov_b64 s[2:3], -1
	s_cbranch_scc1 .LBB49_1104
; %bb.1095:
	s_cmp_lt_i32 s6, 3
	s_cbranch_scc1 .LBB49_1101
; %bb.1096:
	s_cmp_gt_i32 s6, 3
	s_cbranch_scc0 .LBB49_1098
; %bb.1097:
	s_waitcnt vmcnt(0)
	v_trunc_f64_e32 v[2:3], v[0:1]
	s_movk_i32 s2, 0xffe0
	v_ldexp_f64 v[7:8], v[2:3], s2
	s_mov_b32 s2, 0
	s_mov_b32 s3, 0xc1f00000
	v_floor_f64_e32 v[7:8], v[7:8]
	v_fma_f64 v[2:3], v[7:8], s[2:3], v[2:3]
	v_cvt_i32_f64_e32 v4, v[7:8]
	s_mov_b64 s[2:3], 0
	v_cvt_u32_f64_e32 v3, v[2:3]
	global_store_dwordx2 v[5:6], v[3:4], off
.LBB49_1098:
	s_andn2_b64 vcc, exec, s[2:3]
	s_cbranch_vccnz .LBB49_1100
; %bb.1099:
	s_waitcnt vmcnt(0)
	v_cvt_i32_f64_e32 v2, v[0:1]
	global_store_dword v[5:6], v2, off
.LBB49_1100:
	s_mov_b64 s[2:3], 0
.LBB49_1101:
	s_andn2_b64 vcc, exec, s[2:3]
	s_cbranch_vccnz .LBB49_1103
; %bb.1102:
	s_waitcnt vmcnt(0)
	v_cvt_i32_f64_e32 v2, v[0:1]
	global_store_short v[5:6], v2, off
.LBB49_1103:
	s_mov_b64 s[2:3], 0
.LBB49_1104:
	s_andn2_b64 vcc, exec, s[2:3]
	s_cbranch_vccnz .LBB49_1109
; %bb.1105:
	s_sext_i32_i16 s2, s16
	s_cmp_gt_i32 s2, 0
	s_mov_b64 s[2:3], -1
	s_cbranch_scc0 .LBB49_1107
; %bb.1106:
	s_waitcnt vmcnt(0)
	v_cvt_i32_f64_e32 v2, v[0:1]
	s_mov_b64 s[2:3], 0
	global_store_byte v[5:6], v2, off
.LBB49_1107:
	s_andn2_b64 vcc, exec, s[2:3]
	s_cbranch_vccnz .LBB49_1109
; %bb.1108:
	s_waitcnt vmcnt(0)
	v_trunc_f64_e32 v[0:1], v[0:1]
	s_movk_i32 s2, 0xffe0
	v_ldexp_f64 v[2:3], v[0:1], s2
	s_mov_b32 s2, 0
	s_mov_b32 s3, 0xc1f00000
	v_floor_f64_e32 v[2:3], v[2:3]
	v_fma_f64 v[0:1], v[2:3], s[2:3], v[0:1]
	v_cvt_u32_f64_e32 v0, v[0:1]
	global_store_byte v[5:6], v0, off
.LBB49_1109:
	s_or_b64 exec, exec, s[0:1]
	s_waitcnt lgkmcnt(0)
	s_and_b64 s[28:29], s[10:11], exec
                                        ; implicit-def: $vgpr13
                                        ; implicit-def: $vgpr19
.LBB49_1110:
	s_or_saveexec_b64 s[30:31], s[44:45]
	s_mov_b64 s[0:1], 0
                                        ; implicit-def: $vgpr4_vgpr5
                                        ; implicit-def: $sgpr14
                                        ; implicit-def: $vgpr0_vgpr1
	s_xor_b64 exec, exec, s[30:31]
	s_cbranch_execz .LBB49_2138
; %bb.1111:
	s_waitcnt vmcnt(0)
	v_cndmask_b32_e64 v0, 0, 1, s[42:43]
	v_cmp_ne_u32_e64 s[0:1], 1, v0
	s_andn2_b64 vcc, exec, s[42:43]
	s_cbranch_vccnz .LBB49_1117
; %bb.1112:
	s_cmp_lg_u32 s33, 0
	s_mov_b32 s36, 0
	s_cbranch_scc0 .LBB49_1118
; %bb.1113:
	s_min_u32 s37, s72, 15
	s_add_i32 s37, s37, 1
	s_cmp_eq_u32 s72, 2
	s_cbranch_scc1 .LBB49_1119
; %bb.1114:
	s_and_b32 s36, s37, 28
	s_add_u32 s2, s34, 0xc4
	s_addc_u32 s3, s35, 0
	v_mov_b32_e32 v0, 0
	s_mov_b32 s38, 0
	s_mov_b64 s[6:7], s[34:35]
	v_mov_b32_e32 v2, 0
	v_mov_b32_e32 v1, v19
.LBB49_1115:                            ; =>This Inner Loop Header: Depth=1
	s_load_dwordx8 s[16:23], s[6:7], 0x4
	s_load_dwordx4 s[24:27], s[6:7], 0x24
	s_load_dwordx8 s[8:15], s[2:3], 0x0
	s_add_u32 s6, s6, 48
	s_addc_u32 s7, s7, 0
	s_waitcnt lgkmcnt(0)
	v_mul_hi_u32 v3, s17, v1
	s_add_i32 s38, s38, 4
	s_add_u32 s2, s2, 32
	s_addc_u32 s3, s3, 0
	v_add_u32_e32 v3, v1, v3
	v_lshrrev_b32_e32 v3, s18, v3
	v_mul_lo_u32 v4, v3, s16
	v_mul_hi_u32 v5, s20, v3
	s_cmp_lg_u32 s36, s38
	v_sub_u32_e32 v1, v1, v4
	v_add_u32_e32 v4, v3, v5
	v_mul_lo_u32 v5, v1, s8
	v_mul_lo_u32 v6, v1, s9
	v_lshrrev_b32_e32 v1, s21, v4
	v_mul_lo_u32 v4, v1, s19
	v_mul_hi_u32 v7, s23, v1
	v_sub_u32_e32 v3, v3, v4
	v_add_u32_e32 v4, v1, v7
	v_lshrrev_b32_e32 v4, s24, v4
	v_mul_hi_u32 v8, s26, v4
	v_mul_lo_u32 v9, v4, s22
	v_mul_lo_u32 v7, v3, s10
	v_mul_lo_u32 v3, v3, s11
	v_sub_u32_e32 v9, v1, v9
	v_add_u32_e32 v1, v4, v8
	v_lshrrev_b32_e32 v1, s27, v1
	v_mul_lo_u32 v8, v1, s25
	v_mul_lo_u32 v10, v9, s12
	;; [unrolled: 1-line block ×3, first 2 shown]
	v_add3_u32 v2, v5, v2, v7
	v_sub_u32_e32 v4, v4, v8
	v_mul_lo_u32 v8, v4, s14
	v_mul_lo_u32 v4, v4, s15
	v_add3_u32 v0, v6, v0, v3
	v_add3_u32 v2, v10, v2, v8
	;; [unrolled: 1-line block ×3, first 2 shown]
	s_cbranch_scc1 .LBB49_1115
; %bb.1116:
	s_and_b32 s8, s37, 3
	s_cmp_eq_u32 s8, 0
	s_cbranch_scc0 .LBB49_1120
	s_branch .LBB49_1122
.LBB49_1117:
                                        ; implicit-def: $vgpr2
                                        ; implicit-def: $vgpr0
	s_branch .LBB49_1123
.LBB49_1118:
	v_mov_b32_e32 v2, 0
	v_mov_b32_e32 v0, 0
	s_branch .LBB49_1122
.LBB49_1119:
	v_mov_b32_e32 v2, 0
	v_mov_b32_e32 v0, 0
	;; [unrolled: 1-line block ×3, first 2 shown]
	s_and_b32 s8, s37, 3
	s_cmp_eq_u32 s8, 0
	s_cbranch_scc1 .LBB49_1122
.LBB49_1120:
	s_lshl_b32 s2, s36, 3
	s_add_u32 s2, s34, s2
	s_addc_u32 s3, s35, 0
	s_add_u32 s2, s2, 0xc4
	s_addc_u32 s3, s3, 0
	s_mul_i32 s6, s36, 12
	s_add_u32 s6, s34, s6
	s_addc_u32 s7, s35, 0
.LBB49_1121:                            ; =>This Inner Loop Header: Depth=1
	s_load_dwordx2 s[10:11], s[6:7], 0x4
	s_load_dword s9, s[6:7], 0xc
	s_load_dwordx2 s[12:13], s[2:3], 0x0
	s_add_u32 s6, s6, 12
	s_addc_u32 s7, s7, 0
	s_waitcnt lgkmcnt(0)
	v_mul_hi_u32 v3, s11, v1
	s_add_u32 s2, s2, 8
	s_addc_u32 s3, s3, 0
	s_add_i32 s8, s8, -1
	v_add_u32_e32 v3, v1, v3
	v_lshrrev_b32_e32 v4, s9, v3
	v_mul_lo_u32 v3, v4, s10
	s_cmp_lg_u32 s8, 0
	v_sub_u32_e32 v1, v1, v3
	v_mad_u64_u32 v[2:3], s[10:11], v1, s12, v[2:3]
	v_mad_u64_u32 v[0:1], s[10:11], v1, s13, v[0:1]
	v_mov_b32_e32 v1, v4
	s_cbranch_scc1 .LBB49_1121
.LBB49_1122:
	s_cbranch_execnz .LBB49_1125
.LBB49_1123:
	s_load_dwordx4 s[8:11], s[34:35], 0x4
	s_load_dwordx2 s[2:3], s[34:35], 0xc4
	s_cmp_lt_u32 s33, 2
	s_waitcnt lgkmcnt(0)
	v_mul_hi_u32 v0, s9, v19
	v_add_u32_e32 v0, v19, v0
	v_lshrrev_b32_e32 v1, s10, v0
	v_mul_lo_u32 v0, v1, s8
	v_sub_u32_e32 v0, v19, v0
	v_mul_lo_u32 v2, v0, s2
	v_mul_lo_u32 v0, v0, s3
	s_cbranch_scc1 .LBB49_1125
; %bb.1124:
	s_load_dwordx4 s[8:11], s[34:35], 0x10
	s_load_dwordx2 s[2:3], s[34:35], 0xcc
	s_waitcnt lgkmcnt(0)
	v_mul_hi_u32 v3, s9, v1
	v_add_u32_e32 v3, v1, v3
	v_lshrrev_b32_e32 v3, s10, v3
	v_mul_lo_u32 v3, v3, s8
	v_sub_u32_e32 v1, v1, v3
	v_mad_u64_u32 v[2:3], s[6:7], v1, s2, v[2:3]
	v_mad_u64_u32 v[0:1], s[2:3], v1, s3, v[0:1]
.LBB49_1125:
	s_and_b64 vcc, exec, s[0:1]
	v_add_u32_e32 v1, 0x80, v19
	s_cbranch_vccnz .LBB49_1131
; %bb.1126:
	s_cmp_lg_u32 s33, 0
	s_mov_b32 s36, 0
	s_cbranch_scc0 .LBB49_1132
; %bb.1127:
	s_min_u32 s37, s72, 15
	s_add_i32 s37, s37, 1
	s_cmp_eq_u32 s72, 2
	s_cbranch_scc1 .LBB49_1133
; %bb.1128:
	s_and_b32 s36, s37, 28
	s_add_u32 s2, s34, 0xc4
	s_addc_u32 s3, s35, 0
	v_mov_b32_e32 v11, 0
	s_mov_b32 s38, 0
	s_mov_b64 s[6:7], s[34:35]
	v_mov_b32_e32 v8, 0
	v_mov_b32_e32 v3, v1
.LBB49_1129:                            ; =>This Inner Loop Header: Depth=1
	s_load_dwordx8 s[16:23], s[6:7], 0x4
	s_load_dwordx4 s[24:27], s[6:7], 0x24
	s_load_dwordx8 s[8:15], s[2:3], 0x0
	s_add_u32 s6, s6, 48
	s_addc_u32 s7, s7, 0
	s_waitcnt lgkmcnt(0)
	v_mul_hi_u32 v4, s17, v3
	s_add_i32 s38, s38, 4
	s_add_u32 s2, s2, 32
	s_addc_u32 s3, s3, 0
	v_add_u32_e32 v4, v3, v4
	v_lshrrev_b32_e32 v4, s18, v4
	v_mul_lo_u32 v5, v4, s16
	v_mul_hi_u32 v6, s20, v4
	s_cmp_lg_u32 s36, s38
	v_sub_u32_e32 v3, v3, v5
	v_add_u32_e32 v5, v4, v6
	v_mul_lo_u32 v6, v3, s8
	v_mul_lo_u32 v7, v3, s9
	v_lshrrev_b32_e32 v3, s21, v5
	v_mul_lo_u32 v5, v3, s19
	v_mul_hi_u32 v9, s23, v3
	v_sub_u32_e32 v4, v4, v5
	v_add_u32_e32 v5, v3, v9
	v_lshrrev_b32_e32 v5, s24, v5
	v_mul_hi_u32 v10, s26, v5
	v_mul_lo_u32 v12, v5, s22
	v_mul_lo_u32 v9, v4, s10
	;; [unrolled: 1-line block ×3, first 2 shown]
	v_sub_u32_e32 v12, v3, v12
	v_add_u32_e32 v3, v5, v10
	v_lshrrev_b32_e32 v3, s27, v3
	v_mul_lo_u32 v10, v3, s25
	v_mul_lo_u32 v14, v12, s12
	;; [unrolled: 1-line block ×3, first 2 shown]
	v_add3_u32 v6, v6, v8, v9
	v_sub_u32_e32 v5, v5, v10
	v_mul_lo_u32 v10, v5, s14
	v_mul_lo_u32 v5, v5, s15
	v_add3_u32 v4, v7, v11, v4
	v_add3_u32 v8, v14, v6, v10
	;; [unrolled: 1-line block ×3, first 2 shown]
	s_cbranch_scc1 .LBB49_1129
; %bb.1130:
	s_and_b32 s8, s37, 3
	s_cmp_eq_u32 s8, 0
	s_cbranch_scc0 .LBB49_1134
	s_branch .LBB49_1136
.LBB49_1131:
                                        ; implicit-def: $vgpr8
                                        ; implicit-def: $vgpr11
	s_branch .LBB49_1137
.LBB49_1132:
	v_mov_b32_e32 v8, 0
	v_mov_b32_e32 v11, 0
	s_branch .LBB49_1136
.LBB49_1133:
	v_mov_b32_e32 v8, 0
	v_mov_b32_e32 v11, 0
	;; [unrolled: 1-line block ×3, first 2 shown]
	s_and_b32 s8, s37, 3
	s_cmp_eq_u32 s8, 0
	s_cbranch_scc1 .LBB49_1136
.LBB49_1134:
	s_lshl_b32 s2, s36, 3
	s_add_u32 s2, s34, s2
	s_addc_u32 s3, s35, 0
	s_add_u32 s2, s2, 0xc4
	s_addc_u32 s3, s3, 0
	s_mul_i32 s6, s36, 12
	s_add_u32 s6, s34, s6
	s_addc_u32 s7, s35, 0
.LBB49_1135:                            ; =>This Inner Loop Header: Depth=1
	s_load_dwordx2 s[10:11], s[6:7], 0x4
	s_load_dword s9, s[6:7], 0xc
	s_load_dwordx2 s[12:13], s[2:3], 0x0
	s_add_u32 s6, s6, 12
	s_addc_u32 s7, s7, 0
	s_waitcnt lgkmcnt(0)
	v_mul_hi_u32 v4, s11, v3
	s_add_u32 s2, s2, 8
	s_addc_u32 s3, s3, 0
	s_add_i32 s8, s8, -1
	v_add_u32_e32 v4, v3, v4
	v_lshrrev_b32_e32 v4, s9, v4
	v_mul_lo_u32 v5, v4, s10
	s_cmp_lg_u32 s8, 0
	v_sub_u32_e32 v3, v3, v5
	v_mad_u64_u32 v[8:9], s[10:11], v3, s12, v[8:9]
	v_mad_u64_u32 v[11:12], s[10:11], v3, s13, v[11:12]
	v_mov_b32_e32 v3, v4
	s_cbranch_scc1 .LBB49_1135
.LBB49_1136:
	s_cbranch_execnz .LBB49_1139
.LBB49_1137:
	s_load_dwordx4 s[8:11], s[34:35], 0x4
	s_load_dwordx2 s[2:3], s[34:35], 0xc4
	s_cmp_lt_u32 s33, 2
	s_waitcnt lgkmcnt(0)
	v_mul_hi_u32 v3, s9, v1
	v_add_u32_e32 v3, v1, v3
	v_lshrrev_b32_e32 v3, s10, v3
	v_mul_lo_u32 v4, v3, s8
	v_sub_u32_e32 v1, v1, v4
	v_mul_lo_u32 v8, v1, s2
	v_mul_lo_u32 v11, v1, s3
	s_cbranch_scc1 .LBB49_1139
; %bb.1138:
	s_load_dwordx4 s[8:11], s[34:35], 0x10
	s_load_dwordx2 s[2:3], s[34:35], 0xcc
	s_waitcnt lgkmcnt(0)
	v_mul_hi_u32 v1, s9, v3
	v_add_u32_e32 v1, v3, v1
	v_lshrrev_b32_e32 v1, s10, v1
	v_mul_lo_u32 v1, v1, s8
	v_sub_u32_e32 v1, v3, v1
	v_mad_u64_u32 v[8:9], s[6:7], v1, s2, v[8:9]
	v_mad_u64_u32 v[11:12], s[2:3], v1, s3, v[11:12]
.LBB49_1139:
	s_and_b64 vcc, exec, s[0:1]
	v_add_u32_e32 v1, 0x100, v19
	s_cbranch_vccnz .LBB49_1145
; %bb.1140:
	s_cmp_lg_u32 s33, 0
	s_mov_b32 s36, 0
	s_cbranch_scc0 .LBB49_1146
; %bb.1141:
	s_min_u32 s37, s72, 15
	s_add_i32 s37, s37, 1
	s_cmp_eq_u32 s72, 2
	s_cbranch_scc1 .LBB49_1147
; %bb.1142:
	s_and_b32 s36, s37, 28
	s_add_u32 s2, s34, 0xc4
	s_addc_u32 s3, s35, 0
	v_mov_b32_e32 v3, 0
	s_mov_b32 s38, 0
	s_mov_b64 s[6:7], s[34:35]
	v_mov_b32_e32 v6, 0
	v_mov_b32_e32 v4, v1
.LBB49_1143:                            ; =>This Inner Loop Header: Depth=1
	s_load_dwordx8 s[16:23], s[6:7], 0x4
	s_load_dwordx4 s[24:27], s[6:7], 0x24
	s_load_dwordx8 s[8:15], s[2:3], 0x0
	s_add_u32 s6, s6, 48
	s_addc_u32 s7, s7, 0
	s_waitcnt lgkmcnt(0)
	v_mul_hi_u32 v5, s17, v4
	s_add_i32 s38, s38, 4
	s_add_u32 s2, s2, 32
	s_addc_u32 s3, s3, 0
	v_add_u32_e32 v5, v4, v5
	v_lshrrev_b32_e32 v5, s18, v5
	v_mul_lo_u32 v7, v5, s16
	v_mul_hi_u32 v9, s20, v5
	s_cmp_lg_u32 s36, s38
	v_sub_u32_e32 v4, v4, v7
	v_add_u32_e32 v7, v5, v9
	v_mul_lo_u32 v9, v4, s8
	v_mul_lo_u32 v10, v4, s9
	v_lshrrev_b32_e32 v4, s21, v7
	v_mul_lo_u32 v7, v4, s19
	v_mul_hi_u32 v12, s23, v4
	v_sub_u32_e32 v5, v5, v7
	v_add_u32_e32 v7, v4, v12
	v_lshrrev_b32_e32 v7, s24, v7
	v_mul_hi_u32 v14, s26, v7
	v_mul_lo_u32 v15, v7, s22
	v_mul_lo_u32 v12, v5, s10
	;; [unrolled: 1-line block ×3, first 2 shown]
	v_sub_u32_e32 v15, v4, v15
	v_add_u32_e32 v4, v7, v14
	v_lshrrev_b32_e32 v4, s27, v4
	v_mul_lo_u32 v14, v4, s25
	v_mul_lo_u32 v16, v15, s12
	;; [unrolled: 1-line block ×3, first 2 shown]
	v_add3_u32 v6, v9, v6, v12
	v_sub_u32_e32 v7, v7, v14
	v_mul_lo_u32 v14, v7, s14
	v_mul_lo_u32 v7, v7, s15
	v_add3_u32 v3, v10, v3, v5
	v_add3_u32 v6, v16, v6, v14
	;; [unrolled: 1-line block ×3, first 2 shown]
	s_cbranch_scc1 .LBB49_1143
; %bb.1144:
	s_and_b32 s8, s37, 3
	s_cmp_eq_u32 s8, 0
	s_cbranch_scc0 .LBB49_1148
	s_branch .LBB49_1150
.LBB49_1145:
                                        ; implicit-def: $vgpr6
                                        ; implicit-def: $vgpr3
	s_branch .LBB49_1151
.LBB49_1146:
	v_mov_b32_e32 v6, 0
	v_mov_b32_e32 v3, 0
	s_branch .LBB49_1150
.LBB49_1147:
	v_mov_b32_e32 v6, 0
	v_mov_b32_e32 v3, 0
	;; [unrolled: 1-line block ×3, first 2 shown]
	s_and_b32 s8, s37, 3
	s_cmp_eq_u32 s8, 0
	s_cbranch_scc1 .LBB49_1150
.LBB49_1148:
	s_lshl_b32 s2, s36, 3
	s_add_u32 s2, s34, s2
	s_addc_u32 s3, s35, 0
	s_add_u32 s2, s2, 0xc4
	s_addc_u32 s3, s3, 0
	s_mul_i32 s6, s36, 12
	s_add_u32 s6, s34, s6
	s_addc_u32 s7, s35, 0
.LBB49_1149:                            ; =>This Inner Loop Header: Depth=1
	s_load_dwordx2 s[10:11], s[6:7], 0x4
	s_load_dword s9, s[6:7], 0xc
	s_load_dwordx2 s[12:13], s[2:3], 0x0
	s_add_u32 s6, s6, 12
	s_addc_u32 s7, s7, 0
	s_waitcnt lgkmcnt(0)
	v_mul_hi_u32 v5, s11, v4
	s_add_u32 s2, s2, 8
	s_addc_u32 s3, s3, 0
	s_add_i32 s8, s8, -1
	v_add_u32_e32 v5, v4, v5
	v_lshrrev_b32_e32 v5, s9, v5
	v_mul_lo_u32 v7, v5, s10
	s_cmp_lg_u32 s8, 0
	v_sub_u32_e32 v4, v4, v7
	v_mad_u64_u32 v[6:7], s[10:11], v4, s12, v[6:7]
	v_mad_u64_u32 v[3:4], s[10:11], v4, s13, v[3:4]
	v_mov_b32_e32 v4, v5
	s_cbranch_scc1 .LBB49_1149
.LBB49_1150:
	s_cbranch_execnz .LBB49_1153
.LBB49_1151:
	s_load_dwordx4 s[8:11], s[34:35], 0x4
	s_load_dwordx2 s[2:3], s[34:35], 0xc4
	s_cmp_lt_u32 s33, 2
	s_waitcnt lgkmcnt(0)
	v_mul_hi_u32 v3, s9, v1
	v_add_u32_e32 v3, v1, v3
	v_lshrrev_b32_e32 v4, s10, v3
	v_mul_lo_u32 v3, v4, s8
	v_sub_u32_e32 v1, v1, v3
	v_mul_lo_u32 v6, v1, s2
	v_mul_lo_u32 v3, v1, s3
	s_cbranch_scc1 .LBB49_1153
; %bb.1152:
	s_load_dwordx4 s[8:11], s[34:35], 0x10
	s_load_dwordx2 s[2:3], s[34:35], 0xcc
	s_waitcnt lgkmcnt(0)
	v_mul_hi_u32 v1, s9, v4
	v_add_u32_e32 v1, v4, v1
	v_lshrrev_b32_e32 v1, s10, v1
	v_mul_lo_u32 v1, v1, s8
	v_sub_u32_e32 v1, v4, v1
	v_mad_u64_u32 v[6:7], s[6:7], v1, s2, v[6:7]
	v_mad_u64_u32 v[3:4], s[2:3], v1, s3, v[3:4]
.LBB49_1153:
	s_and_b64 vcc, exec, s[0:1]
	s_cbranch_vccnz .LBB49_1159
; %bb.1154:
	s_cmp_lg_u32 s33, 0
	s_mov_b32 s26, 0
	s_cbranch_scc0 .LBB49_1160
; %bb.1155:
	s_min_u32 s27, s72, 15
	s_add_i32 s27, s27, 1
	s_cmp_eq_u32 s72, 2
	s_cbranch_scc1 .LBB49_1161
; %bb.1156:
	s_and_b32 s26, s27, 28
	s_add_u32 s6, s34, 0xc4
	s_addc_u32 s7, s35, 0
	v_mov_b32_e32 v9, 0
	s_mov_b32 s36, 0
	s_mov_b64 s[24:25], s[34:35]
	v_mov_b32_e32 v4, 0
	v_mov_b32_e32 v1, v13
.LBB49_1157:                            ; =>This Inner Loop Header: Depth=1
	s_load_dwordx8 s[16:23], s[24:25], 0x4
	s_load_dwordx4 s[0:3], s[24:25], 0x24
	s_load_dwordx8 s[8:15], s[6:7], 0x0
	s_add_u32 s24, s24, 48
	s_addc_u32 s25, s25, 0
	s_waitcnt lgkmcnt(0)
	v_mul_hi_u32 v5, s17, v1
	s_add_i32 s36, s36, 4
	s_add_u32 s6, s6, 32
	s_addc_u32 s7, s7, 0
	v_add_u32_e32 v5, v1, v5
	v_lshrrev_b32_e32 v5, s18, v5
	v_mul_lo_u32 v7, v5, s16
	v_mul_hi_u32 v10, s20, v5
	s_cmp_lg_u32 s26, s36
	v_sub_u32_e32 v1, v1, v7
	v_add_u32_e32 v7, v5, v10
	v_mul_lo_u32 v10, v1, s8
	v_mul_lo_u32 v12, v1, s9
	v_lshrrev_b32_e32 v1, s21, v7
	v_mul_lo_u32 v7, v1, s19
	v_mul_hi_u32 v14, s23, v1
	v_sub_u32_e32 v5, v5, v7
	v_add_u32_e32 v7, v1, v14
	v_lshrrev_b32_e32 v7, s0, v7
	v_mul_hi_u32 v15, s2, v7
	v_mul_lo_u32 v16, v7, s22
	v_mul_lo_u32 v14, v5, s10
	;; [unrolled: 1-line block ×3, first 2 shown]
	v_sub_u32_e32 v16, v1, v16
	v_add_u32_e32 v1, v7, v15
	v_lshrrev_b32_e32 v1, s3, v1
	v_mul_lo_u32 v15, v1, s1
	v_mul_lo_u32 v17, v16, s12
	;; [unrolled: 1-line block ×3, first 2 shown]
	v_add3_u32 v4, v10, v4, v14
	v_sub_u32_e32 v7, v7, v15
	v_mul_lo_u32 v15, v7, s14
	v_mul_lo_u32 v7, v7, s15
	v_add3_u32 v5, v12, v9, v5
	v_add3_u32 v4, v17, v4, v15
	;; [unrolled: 1-line block ×3, first 2 shown]
	s_cbranch_scc1 .LBB49_1157
; %bb.1158:
	s_and_b32 s6, s27, 3
	s_cmp_eq_u32 s6, 0
	s_cbranch_scc0 .LBB49_1162
	s_branch .LBB49_1164
.LBB49_1159:
                                        ; implicit-def: $vgpr4
                                        ; implicit-def: $vgpr9
	s_branch .LBB49_1165
.LBB49_1160:
	v_mov_b32_e32 v4, 0
	v_mov_b32_e32 v9, 0
	s_branch .LBB49_1164
.LBB49_1161:
	v_mov_b32_e32 v4, 0
	v_mov_b32_e32 v9, 0
	;; [unrolled: 1-line block ×3, first 2 shown]
	s_and_b32 s6, s27, 3
	s_cmp_eq_u32 s6, 0
	s_cbranch_scc1 .LBB49_1164
.LBB49_1162:
	s_lshl_b32 s0, s26, 3
	s_add_u32 s0, s34, s0
	s_addc_u32 s1, s35, 0
	s_add_u32 s0, s0, 0xc4
	s_addc_u32 s1, s1, 0
	s_mul_i32 s2, s26, 12
	s_add_u32 s2, s34, s2
	s_addc_u32 s3, s35, 0
.LBB49_1163:                            ; =>This Inner Loop Header: Depth=1
	s_load_dwordx2 s[8:9], s[2:3], 0x4
	s_load_dword s7, s[2:3], 0xc
	s_load_dwordx2 s[10:11], s[0:1], 0x0
	s_add_u32 s2, s2, 12
	s_addc_u32 s3, s3, 0
	s_waitcnt lgkmcnt(0)
	v_mul_hi_u32 v5, s9, v1
	s_add_u32 s0, s0, 8
	s_addc_u32 s1, s1, 0
	s_add_i32 s6, s6, -1
	v_add_u32_e32 v5, v1, v5
	v_lshrrev_b32_e32 v7, s7, v5
	v_mul_lo_u32 v5, v7, s8
	s_cmp_lg_u32 s6, 0
	v_sub_u32_e32 v1, v1, v5
	v_mad_u64_u32 v[4:5], s[8:9], v1, s10, v[4:5]
	v_mad_u64_u32 v[9:10], s[8:9], v1, s11, v[9:10]
	v_mov_b32_e32 v1, v7
	s_cbranch_scc1 .LBB49_1163
.LBB49_1164:
	s_cbranch_execnz .LBB49_1167
.LBB49_1165:
	s_load_dwordx4 s[0:3], s[34:35], 0x4
	s_load_dwordx2 s[6:7], s[34:35], 0xc4
	s_cmp_lt_u32 s33, 2
	s_waitcnt lgkmcnt(0)
	v_mul_hi_u32 v1, s1, v13
	v_add_u32_e32 v1, v13, v1
	v_lshrrev_b32_e32 v1, s2, v1
	v_mul_lo_u32 v4, v1, s0
	v_sub_u32_e32 v5, v13, v4
	v_mul_lo_u32 v4, v5, s6
	v_mul_lo_u32 v9, v5, s7
	s_cbranch_scc1 .LBB49_1167
; %bb.1166:
	s_load_dwordx4 s[0:3], s[34:35], 0x10
	s_load_dwordx2 s[6:7], s[34:35], 0xcc
	s_waitcnt lgkmcnt(0)
	v_mul_hi_u32 v5, s1, v1
	v_add_u32_e32 v5, v1, v5
	v_lshrrev_b32_e32 v5, s2, v5
	v_mul_lo_u32 v5, v5, s0
	v_sub_u32_e32 v1, v1, v5
	v_mad_u64_u32 v[4:5], s[0:1], v1, s6, v[4:5]
	v_mad_u64_u32 v[9:10], s[0:1], v1, s7, v[9:10]
.LBB49_1167:
	s_load_dwordx4 s[8:11], s[34:35], 0x148
	s_load_dword s16, s[4:5], 0x160
	s_waitcnt lgkmcnt(0)
	v_mov_b32_e32 v1, s11
	s_bfe_u32 s14, s16, 0x80010
	v_add_co_u32_e32 v12, vcc, s10, v0
	s_cmp_lt_i32 s14, 11
	v_addc_co_u32_e32 v13, vcc, 0, v1, vcc
	s_cbranch_scc1 .LBB49_1174
; %bb.1168:
	s_and_b32 s15, 0xffff, s14
	s_cmp_gt_i32 s15, 25
	s_mov_b64 s[2:3], 0
	s_cbranch_scc0 .LBB49_1176
; %bb.1169:
	s_cmp_gt_i32 s15, 28
	s_cbranch_scc0 .LBB49_1177
; %bb.1170:
	s_cmp_gt_i32 s15, 43
	;; [unrolled: 3-line block ×3, first 2 shown]
	s_cbranch_scc0 .LBB49_1179
; %bb.1172:
	s_cmp_eq_u32 s15, 46
	s_mov_b64 s[6:7], 0
	s_cbranch_scc0 .LBB49_1182
; %bb.1173:
	global_load_dword v0, v[12:13], off
	s_mov_b64 s[0:1], 0
	s_mov_b64 s[4:5], -1
	s_waitcnt vmcnt(0)
	v_lshlrev_b32_e32 v0, 16, v0
	v_cvt_f64_f32_e32 v[0:1], v0
	s_branch .LBB49_1183
.LBB49_1174:
	s_mov_b64 s[4:5], 0
                                        ; implicit-def: $vgpr0_vgpr1
	s_mov_b64 s[12:13], s[28:29]
	s_cbranch_execnz .LBB49_1246
.LBB49_1175:
	s_andn2_b64 vcc, exec, s[4:5]
	s_cbranch_vccz .LBB49_1291
	s_branch .LBB49_2136
.LBB49_1176:
	s_mov_b64 s[4:5], 0
	s_mov_b64 s[0:1], 0
                                        ; implicit-def: $vgpr0_vgpr1
	s_cbranch_execnz .LBB49_1213
	s_branch .LBB49_1242
.LBB49_1177:
	s_mov_b64 s[6:7], -1
	s_mov_b64 s[4:5], 0
	s_mov_b64 s[0:1], 0
                                        ; implicit-def: $vgpr0_vgpr1
	s_branch .LBB49_1192
.LBB49_1178:
	s_mov_b64 s[4:5], 0
	s_mov_b64 s[0:1], 0
                                        ; implicit-def: $vgpr0_vgpr1
	s_cbranch_execnz .LBB49_1188
	s_branch .LBB49_1191
.LBB49_1179:
	s_mov_b64 s[6:7], -1
	s_mov_b64 s[4:5], 0
	s_mov_b64 s[0:1], 0
                                        ; implicit-def: $vgpr0_vgpr1
	s_branch .LBB49_1183
.LBB49_1180:
	s_andn2_saveexec_b64 s[8:9], s[8:9]
	s_cbranch_execz .LBB49_1023
.LBB49_1181:
	s_mov_b32 s14, 0x46000000
	v_add_f32_e64 v3, |v2|, s14
	v_and_b32_e32 v3, 0xff, v3
	v_cmp_ne_u32_e32 vcc, 0, v3
	s_andn2_b64 s[6:7], s[6:7], exec
	s_and_b64 s[14:15], vcc, exec
	s_or_b64 s[6:7], s[6:7], s[14:15]
	s_or_b64 exec, exec, s[8:9]
	v_mov_b32_e32 v4, 0
	s_and_saveexec_b64 s[8:9], s[6:7]
	s_cbranch_execnz .LBB49_1024
	s_branch .LBB49_1025
.LBB49_1182:
	s_mov_b64 s[0:1], -1
                                        ; implicit-def: $vgpr0_vgpr1
	s_mov_b64 s[4:5], 0
.LBB49_1183:
	s_and_b64 vcc, exec, s[6:7]
	s_cbranch_vccz .LBB49_1186
; %bb.1184:
	s_cmp_eq_u32 s15, 44
	s_cbranch_scc0 .LBB49_1187
; %bb.1185:
	global_load_ubyte v5, v[12:13], off
	s_movk_i32 s4, 0xff
	v_bfrev_b32_e32 v7, 4
	v_mov_b32_e32 v10, 0x7ff80000
	v_bfrev_b32_e32 v14, 28
	s_mov_b64 s[0:1], 0
	s_waitcnt vmcnt(0)
	v_lshlrev_b32_e32 v0, 23, v5
	v_cvt_f64_f32_e32 v[0:1], v0
	v_cmp_ne_u32_e32 vcc, s4, v5
	s_mov_b64 s[4:5], -1
	v_cndmask_b32_e32 v0, v7, v0, vcc
	v_cndmask_b32_e32 v1, v10, v1, vcc
	v_cmp_ne_u32_e32 vcc, 0, v5
	v_cndmask_b32_e32 v1, v14, v1, vcc
	v_cndmask_b32_e32 v0, 0, v0, vcc
.LBB49_1186:
	s_branch .LBB49_1191
.LBB49_1187:
	s_mov_b64 s[0:1], -1
                                        ; implicit-def: $vgpr0_vgpr1
	s_branch .LBB49_1191
.LBB49_1188:
	s_cmp_eq_u32 s15, 29
	s_cbranch_scc0 .LBB49_1190
; %bb.1189:
	global_load_dwordx2 v[0:1], v[12:13], off
	s_mov_b64 s[0:1], 0
	s_mov_b64 s[4:5], -1
	s_mov_b64 s[6:7], 0
	s_waitcnt vmcnt(0)
	v_cvt_f64_u32_e32 v[14:15], v1
	v_cvt_f64_u32_e32 v[0:1], v0
	v_ldexp_f64 v[14:15], v[14:15], 32
	v_add_f64 v[0:1], v[14:15], v[0:1]
	s_branch .LBB49_1192
.LBB49_1190:
	s_mov_b64 s[0:1], -1
                                        ; implicit-def: $vgpr0_vgpr1
.LBB49_1191:
	s_mov_b64 s[6:7], 0
.LBB49_1192:
	s_and_b64 vcc, exec, s[6:7]
	s_cbranch_vccz .LBB49_1212
; %bb.1193:
	s_cmp_lt_i32 s15, 27
	s_cbranch_scc1 .LBB49_1196
; %bb.1194:
	s_cmp_gt_i32 s15, 27
	s_cbranch_scc0 .LBB49_1197
; %bb.1195:
	global_load_dword v0, v[12:13], off
	s_mov_b64 s[4:5], 0
	s_waitcnt vmcnt(0)
	v_cvt_f64_u32_e32 v[0:1], v0
	s_branch .LBB49_1198
.LBB49_1196:
	s_mov_b64 s[4:5], -1
                                        ; implicit-def: $vgpr0_vgpr1
	s_branch .LBB49_1201
.LBB49_1197:
	s_mov_b64 s[4:5], -1
                                        ; implicit-def: $vgpr0_vgpr1
.LBB49_1198:
	s_andn2_b64 vcc, exec, s[4:5]
	s_cbranch_vccnz .LBB49_1200
; %bb.1199:
	global_load_ushort v0, v[12:13], off
	s_waitcnt vmcnt(0)
	v_cvt_f64_u32_e32 v[0:1], v0
.LBB49_1200:
	s_mov_b64 s[4:5], 0
.LBB49_1201:
	s_andn2_b64 vcc, exec, s[4:5]
	s_cbranch_vccnz .LBB49_1211
; %bb.1202:
	global_load_ubyte v5, v[12:13], off
	s_movk_i32 s4, 0x7f
	s_waitcnt vmcnt(0)
	v_cmp_lt_i16_e32 vcc, s4, v5
	s_mov_b64 s[4:5], 0
	s_and_saveexec_b64 s[6:7], vcc
	s_xor_b64 s[6:7], exec, s[6:7]
	s_cbranch_execz .LBB49_1206
; %bb.1203:
	s_movk_i32 s4, 0x80
	v_cmp_eq_u16_e32 vcc, s4, v5
	s_mov_b64 s[4:5], -1
	s_and_saveexec_b64 s[12:13], vcc
; %bb.1204:
	s_xor_b64 s[4:5], exec, -1
; %bb.1205:
	s_or_b64 exec, exec, s[12:13]
	s_and_b64 s[4:5], s[4:5], exec
.LBB49_1206:
	s_or_saveexec_b64 s[6:7], s[6:7]
	v_bfrev_b32_e32 v0, 4
	v_mov_b32_e32 v1, 0x7ff80000
	s_xor_b64 exec, exec, s[6:7]
; %bb.1207:
	v_cmp_ne_u16_e32 vcc, 0, v5
	v_mov_b32_e32 v0, 0
	s_andn2_b64 s[4:5], s[4:5], exec
	s_and_b64 s[12:13], vcc, exec
	v_mov_b32_e32 v1, 0
	s_or_b64 s[4:5], s[4:5], s[12:13]
; %bb.1208:
	s_or_b64 exec, exec, s[6:7]
	s_and_saveexec_b64 s[6:7], s[4:5]
	s_cbranch_execz .LBB49_1210
; %bb.1209:
	v_and_b32_e32 v1, 0xffff, v5
	v_lshlrev_b32_e32 v0, 24, v5
	v_and_b32_e32 v5, 7, v1
	v_ffbh_u32_e32 v10, v5
	v_min_u32_e32 v10, 32, v10
	v_subrev_u32_e32 v14, 28, v10
	v_bfe_u32 v7, v1, 3, 4
	v_lshlrev_b32_e32 v1, v14, v1
	v_sub_u32_e32 v10, 29, v10
	v_and_b32_e32 v1, 7, v1
	v_cmp_eq_u32_e32 vcc, 0, v7
	v_cndmask_b32_e32 v7, v7, v10, vcc
	v_cndmask_b32_e32 v1, v5, v1, vcc
	v_mov_b32_e32 v5, 0x3b800000
	v_lshlrev_b32_e32 v1, 20, v1
	v_and_b32_e32 v0, 0x80000000, v0
	v_lshl_add_u32 v5, v7, 23, v5
	v_or3_b32 v0, v0, v5, v1
	v_cvt_f64_f32_e32 v[0:1], v0
.LBB49_1210:
	s_or_b64 exec, exec, s[6:7]
.LBB49_1211:
	s_mov_b64 s[4:5], -1
.LBB49_1212:
	s_branch .LBB49_1242
.LBB49_1213:
	s_cmp_gt_i32 s15, 22
	s_cbranch_scc0 .LBB49_1225
; %bb.1214:
	s_cmp_lt_i32 s15, 24
	s_cbranch_scc1 .LBB49_1226
; %bb.1215:
	s_cmp_gt_i32 s15, 24
	s_cbranch_scc0 .LBB49_1227
; %bb.1216:
	global_load_ubyte v5, v[12:13], off
	s_movk_i32 s2, 0x7f
	s_waitcnt vmcnt(0)
	v_cmp_lt_i16_e32 vcc, s2, v5
	s_mov_b64 s[2:3], 0
	s_and_saveexec_b64 s[4:5], vcc
	s_xor_b64 s[4:5], exec, s[4:5]
	s_cbranch_execz .LBB49_1220
; %bb.1217:
	s_movk_i32 s2, 0x80
	v_cmp_eq_u16_e32 vcc, s2, v5
	s_mov_b64 s[2:3], -1
	s_and_saveexec_b64 s[6:7], vcc
; %bb.1218:
	s_xor_b64 s[2:3], exec, -1
; %bb.1219:
	s_or_b64 exec, exec, s[6:7]
	s_and_b64 s[2:3], s[2:3], exec
.LBB49_1220:
	s_or_saveexec_b64 s[4:5], s[4:5]
	v_bfrev_b32_e32 v0, 4
	v_mov_b32_e32 v1, 0x7ff80000
	s_xor_b64 exec, exec, s[4:5]
; %bb.1221:
	v_cmp_ne_u16_e32 vcc, 0, v5
	v_mov_b32_e32 v0, 0
	s_andn2_b64 s[2:3], s[2:3], exec
	s_and_b64 s[6:7], vcc, exec
	v_mov_b32_e32 v1, 0
	s_or_b64 s[2:3], s[2:3], s[6:7]
; %bb.1222:
	s_or_b64 exec, exec, s[4:5]
	s_and_saveexec_b64 s[4:5], s[2:3]
	s_cbranch_execz .LBB49_1224
; %bb.1223:
	v_and_b32_e32 v1, 0xffff, v5
	v_lshlrev_b32_e32 v0, 24, v5
	v_and_b32_e32 v5, 3, v1
	v_ffbh_u32_e32 v10, v5
	v_min_u32_e32 v10, 32, v10
	v_subrev_u32_e32 v14, 29, v10
	v_bfe_u32 v7, v1, 2, 5
	v_lshlrev_b32_e32 v1, v14, v1
	v_sub_u32_e32 v10, 30, v10
	v_and_b32_e32 v1, 3, v1
	v_cmp_eq_u32_e32 vcc, 0, v7
	v_cndmask_b32_e32 v7, v7, v10, vcc
	v_cndmask_b32_e32 v1, v5, v1, vcc
	v_mov_b32_e32 v5, 0x37800000
	v_lshlrev_b32_e32 v1, 21, v1
	v_and_b32_e32 v0, 0x80000000, v0
	v_lshl_add_u32 v5, v7, 23, v5
	v_or3_b32 v0, v0, v5, v1
	v_cvt_f64_f32_e32 v[0:1], v0
.LBB49_1224:
	s_or_b64 exec, exec, s[4:5]
	s_mov_b64 s[2:3], 0
	s_branch .LBB49_1228
.LBB49_1225:
                                        ; implicit-def: $vgpr0_vgpr1
	s_mov_b64 s[2:3], 0
	s_branch .LBB49_1234
.LBB49_1226:
	s_mov_b64 s[2:3], -1
                                        ; implicit-def: $vgpr0_vgpr1
	s_branch .LBB49_1231
.LBB49_1227:
	s_mov_b64 s[2:3], -1
                                        ; implicit-def: $vgpr0_vgpr1
.LBB49_1228:
	s_and_b64 vcc, exec, s[2:3]
	s_cbranch_vccz .LBB49_1230
; %bb.1229:
	global_load_ubyte v0, v[12:13], off
	s_mov_b32 s2, 0x7f800000
	s_waitcnt vmcnt(0)
	v_lshlrev_b32_e32 v0, 24, v0
	v_and_b32_e32 v1, 0x7f000000, v0
	v_ffbh_u32_e32 v5, v1
	v_min_u32_e32 v5, 32, v5
	v_sub_u32_e64 v5, v5, 4 clamp
	v_lshlrev_b32_e32 v10, v5, v1
	v_lshlrev_b32_e32 v5, 23, v5
	v_lshrrev_b32_e32 v10, 4, v10
	v_add_u32_e32 v7, 0x1000000, v1
	v_sub_u32_e32 v5, v10, v5
	v_ashrrev_i32_e32 v7, 8, v7
	v_add_u32_e32 v5, 0x3c000000, v5
	v_and_or_b32 v5, v7, s2, v5
	v_cmp_ne_u32_e32 vcc, 0, v1
	v_cndmask_b32_e32 v1, 0, v5, vcc
	s_brev_b32 s2, 1
	v_and_or_b32 v0, v0, s2, v1
	v_cvt_f64_f32_e32 v[0:1], v0
.LBB49_1230:
	s_mov_b64 s[2:3], 0
.LBB49_1231:
	s_andn2_b64 vcc, exec, s[2:3]
	s_cbranch_vccnz .LBB49_1233
; %bb.1232:
	global_load_ubyte v0, v[12:13], off
	s_movk_i32 s2, 0x7f00
	s_brev_b32 s3, 16
	s_waitcnt vmcnt(0)
	v_lshlrev_b16_e32 v1, 8, v0
	v_lshlrev_b32_e32 v0, 25, v0
	v_lshrrev_b32_e32 v5, 4, v0
	v_and_or_b32 v7, v1, s2, 0.5
	v_or_b32_e32 v5, 0x70000000, v5
	v_add_f32_e32 v7, -0.5, v7
	v_mul_f32_e32 v5, 0x7800000, v5
	v_cmp_gt_u32_e32 vcc, s3, v0
	v_bfe_i32 v1, v1, 0, 16
	v_cndmask_b32_e32 v0, v5, v7, vcc
	s_brev_b32 s2, 1
	v_and_or_b32 v0, v1, s2, v0
	v_cvt_f64_f32_e32 v[0:1], v0
.LBB49_1233:
	s_mov_b64 s[4:5], -1
	s_mov_b64 s[2:3], 0
	s_cbranch_execnz .LBB49_1242
.LBB49_1234:
	s_cmp_gt_i32 s15, 14
	s_cbranch_scc0 .LBB49_1237
; %bb.1235:
	s_cmp_eq_u32 s15, 15
	s_cbranch_scc0 .LBB49_1238
; %bb.1236:
	global_load_ushort v0, v[12:13], off
	s_mov_b64 s[0:1], 0
	s_mov_b64 s[4:5], -1
	s_waitcnt vmcnt(0)
	v_lshlrev_b32_e32 v0, 16, v0
	v_cvt_f64_f32_e32 v[0:1], v0
	s_branch .LBB49_1239
.LBB49_1237:
	s_mov_b64 s[6:7], -1
                                        ; implicit-def: $vgpr0_vgpr1
	s_branch .LBB49_1240
.LBB49_1238:
	s_mov_b64 s[0:1], -1
                                        ; implicit-def: $vgpr0_vgpr1
.LBB49_1239:
	s_mov_b64 s[6:7], 0
.LBB49_1240:
	s_and_b64 vcc, exec, s[6:7]
	s_cbranch_vccz .LBB49_1242
; %bb.1241:
	s_cmp_lg_u32 s15, 11
	s_mov_b64 s[2:3], -1
	s_cselect_b64 s[0:1], -1, 0
.LBB49_1242:
	s_and_b64 vcc, exec, s[0:1]
	s_mov_b64 s[12:13], s[28:29]
	s_cbranch_vccnz .LBB49_1309
; %bb.1243:
	s_andn2_b64 vcc, exec, s[2:3]
	s_cbranch_vccnz .LBB49_1245
.LBB49_1244:
	global_load_ubyte v1, v[12:13], off
	v_mov_b32_e32 v5, 0x3ff00000
	v_mov_b32_e32 v0, 0
	s_mov_b64 s[4:5], -1
	s_waitcnt vmcnt(0)
	v_cmp_ne_u16_e32 vcc, 0, v1
	v_cndmask_b32_e32 v1, 0, v5, vcc
.LBB49_1245:
	s_branch .LBB49_1175
.LBB49_1246:
	s_and_b32 s2, 0xffff, s14
	s_cmp_lt_i32 s2, 5
	s_cbranch_scc1 .LBB49_1251
; %bb.1247:
	s_cmp_lt_i32 s2, 8
	s_cbranch_scc1 .LBB49_1252
; %bb.1248:
	;; [unrolled: 3-line block ×3, first 2 shown]
	s_cmp_gt_i32 s2, 9
	s_cbranch_scc0 .LBB49_1254
; %bb.1250:
	global_load_dwordx2 v[0:1], v[12:13], off
	s_mov_b64 s[0:1], 0
	s_branch .LBB49_1255
.LBB49_1251:
                                        ; implicit-def: $vgpr0_vgpr1
	s_branch .LBB49_1272
.LBB49_1252:
                                        ; implicit-def: $vgpr0_vgpr1
	s_branch .LBB49_1261
.LBB49_1253:
	s_mov_b64 s[0:1], -1
                                        ; implicit-def: $vgpr0_vgpr1
	s_branch .LBB49_1258
.LBB49_1254:
	s_mov_b64 s[0:1], -1
                                        ; implicit-def: $vgpr0_vgpr1
.LBB49_1255:
	s_andn2_b64 vcc, exec, s[0:1]
	s_cbranch_vccnz .LBB49_1257
; %bb.1256:
	global_load_dword v0, v[12:13], off
	s_waitcnt vmcnt(0)
	v_cvt_f64_f32_e32 v[0:1], v0
.LBB49_1257:
	s_mov_b64 s[0:1], 0
.LBB49_1258:
	s_andn2_b64 vcc, exec, s[0:1]
	s_cbranch_vccnz .LBB49_1260
; %bb.1259:
	global_load_dword v0, v[12:13], off
	s_waitcnt vmcnt(0)
	v_cvt_f32_f16_e32 v0, v0
	v_cvt_f64_f32_e32 v[0:1], v0
.LBB49_1260:
	s_cbranch_execnz .LBB49_1271
.LBB49_1261:
	s_cmp_lt_i32 s2, 6
	s_cbranch_scc1 .LBB49_1264
; %bb.1262:
	s_cmp_gt_i32 s2, 6
	s_cbranch_scc0 .LBB49_1265
; %bb.1263:
	global_load_dwordx2 v[0:1], v[12:13], off
	s_mov_b64 s[0:1], 0
	s_branch .LBB49_1266
.LBB49_1264:
	s_mov_b64 s[0:1], -1
                                        ; implicit-def: $vgpr0_vgpr1
	s_branch .LBB49_1269
.LBB49_1265:
	s_mov_b64 s[0:1], -1
                                        ; implicit-def: $vgpr0_vgpr1
.LBB49_1266:
	s_andn2_b64 vcc, exec, s[0:1]
	s_cbranch_vccnz .LBB49_1268
; %bb.1267:
	global_load_dword v0, v[12:13], off
	s_waitcnt vmcnt(0)
	v_cvt_f64_f32_e32 v[0:1], v0
.LBB49_1268:
	s_mov_b64 s[0:1], 0
.LBB49_1269:
	s_andn2_b64 vcc, exec, s[0:1]
	s_cbranch_vccnz .LBB49_1271
; %bb.1270:
	global_load_ushort v0, v[12:13], off
	s_waitcnt vmcnt(0)
	v_cvt_f32_f16_e32 v0, v0
	v_cvt_f64_f32_e32 v[0:1], v0
.LBB49_1271:
	s_cbranch_execnz .LBB49_1290
.LBB49_1272:
	s_cmp_lt_i32 s2, 2
	s_cbranch_scc1 .LBB49_1276
; %bb.1273:
	s_cmp_lt_i32 s2, 3
	s_cbranch_scc1 .LBB49_1277
; %bb.1274:
	s_cmp_gt_i32 s2, 3
	s_cbranch_scc0 .LBB49_1278
; %bb.1275:
	global_load_dwordx2 v[0:1], v[12:13], off
	s_mov_b64 s[0:1], 0
	s_waitcnt vmcnt(0)
	v_cvt_f64_i32_e32 v[14:15], v1
	v_cvt_f64_u32_e32 v[0:1], v0
	v_ldexp_f64 v[14:15], v[14:15], 32
	v_add_f64 v[0:1], v[14:15], v[0:1]
	s_branch .LBB49_1279
.LBB49_1276:
                                        ; implicit-def: $vgpr0_vgpr1
	s_branch .LBB49_1285
.LBB49_1277:
	s_mov_b64 s[0:1], -1
                                        ; implicit-def: $vgpr0_vgpr1
	s_branch .LBB49_1282
.LBB49_1278:
	s_mov_b64 s[0:1], -1
                                        ; implicit-def: $vgpr0_vgpr1
.LBB49_1279:
	s_andn2_b64 vcc, exec, s[0:1]
	s_cbranch_vccnz .LBB49_1281
; %bb.1280:
	global_load_dword v0, v[12:13], off
	s_waitcnt vmcnt(0)
	v_cvt_f64_i32_e32 v[0:1], v0
.LBB49_1281:
	s_mov_b64 s[0:1], 0
.LBB49_1282:
	s_andn2_b64 vcc, exec, s[0:1]
	s_cbranch_vccnz .LBB49_1284
; %bb.1283:
	global_load_sshort v0, v[12:13], off
	s_waitcnt vmcnt(0)
	v_cvt_f64_i32_e32 v[0:1], v0
.LBB49_1284:
	s_cbranch_execnz .LBB49_1290
.LBB49_1285:
	s_cmp_gt_i32 s2, 0
	s_cbranch_scc0 .LBB49_1287
; %bb.1286:
	global_load_sbyte v0, v[12:13], off
	s_mov_b64 s[0:1], 0
	s_waitcnt vmcnt(0)
	v_cvt_f64_i32_e32 v[0:1], v0
	s_branch .LBB49_1288
.LBB49_1287:
	s_mov_b64 s[0:1], -1
                                        ; implicit-def: $vgpr0_vgpr1
.LBB49_1288:
	s_andn2_b64 vcc, exec, s[0:1]
	s_cbranch_vccnz .LBB49_1290
; %bb.1289:
	global_load_ubyte v0, v[12:13], off
	s_waitcnt vmcnt(0)
	v_cvt_f64_u32_e32 v[0:1], v0
.LBB49_1290:
.LBB49_1291:
	s_waitcnt vmcnt(0)
	v_cmp_gt_f64_e32 vcc, 0.5, v[0:1]
	v_mov_b32_e32 v29, 0
	v_mov_b32_e32 v25, 0
	;; [unrolled: 1-line block ×4, first 2 shown]
	s_and_saveexec_b64 s[2:3], vcc
	s_cbranch_execz .LBB49_1297
; %bb.1292:
	s_mov_b32 s5, 0x400921fb
	s_mov_b32 s4, 0x54442d18
	v_mul_f64 v[12:13], v[0:1], s[4:5]
	s_mov_b32 s0, 0
	s_mov_b32 s1, 0x41d00000
                                        ; implicit-def: $vgpr5
                                        ; implicit-def: $vgpr14_vgpr15
                                        ; implicit-def: $vgpr16_vgpr17
	v_cmp_nlt_f64_e64 s[0:1], |v[12:13]|, s[0:1]
	s_and_saveexec_b64 s[6:7], s[0:1]
	s_xor_b64 s[6:7], exec, s[6:7]
	s_cbranch_execz .LBB49_1294
; %bb.1293:
	v_trig_preop_f64 v[14:15], |v[12:13]|, 0
	s_mov_b32 s0, 0
	s_mov_b32 s1, 0x7b000000
	s_movk_i32 s5, 0xff80
	v_ldexp_f64 v[18:19], |v[12:13]|, s5
	v_cmp_ge_f64_e64 vcc, |v[12:13]|, s[0:1]
	v_trig_preop_f64 v[16:17], |v[12:13]|, 1
	v_and_b32_e32 v5, 0x7fffffff, v13
	v_trig_preop_f64 v[26:27], |v[12:13]|, 2
	s_mov_b32 s0, 0
	s_mov_b32 s1, 0x7ff00000
	v_mov_b32_e32 v36, 0
	v_mov_b32_e32 v7, 0x3ff00000
	v_cndmask_b32_e32 v19, v5, v19, vcc
	v_cndmask_b32_e32 v18, v12, v18, vcc
	v_mov_b32_e32 v5, 0x40100000
	v_mul_f64 v[20:21], v[14:15], v[18:19]
	s_mov_b32 s5, 0x3ff921fb
	v_mul_f64 v[22:23], v[16:17], v[18:19]
	v_mul_f64 v[32:33], v[26:27], v[18:19]
	v_fma_f64 v[14:15], v[14:15], v[18:19], -v[20:21]
	v_fma_f64 v[16:17], v[16:17], v[18:19], -v[22:23]
	;; [unrolled: 1-line block ×3, first 2 shown]
	v_add_f64 v[24:25], v[22:23], v[14:15]
	v_add_f64 v[28:29], v[24:25], -v[22:23]
	v_add_f64 v[34:35], v[20:21], v[24:25]
	v_add_f64 v[30:31], v[24:25], -v[28:29]
	v_add_f64 v[14:15], v[14:15], -v[28:29]
	v_add_f64 v[28:29], v[32:33], v[16:17]
	v_add_f64 v[20:21], v[34:35], -v[20:21]
	v_add_f64 v[22:23], v[22:23], -v[30:31]
	v_ldexp_f64 v[30:31], v[34:35], -2
	v_add_f64 v[38:39], v[28:29], -v[32:33]
	v_add_f64 v[20:21], v[24:25], -v[20:21]
	v_add_f64 v[14:15], v[14:15], v[22:23]
	v_fract_f64_e32 v[22:23], v[30:31]
	v_cmp_neq_f64_e64 vcc, |v[30:31]|, s[0:1]
	v_add_f64 v[16:17], v[16:17], -v[38:39]
	v_add_f64 v[24:25], v[28:29], v[14:15]
	v_ldexp_f64 v[22:23], v[22:23], 2
	v_add_f64 v[30:31], v[20:21], v[24:25]
	v_cndmask_b32_e32 v23, 0, v23, vcc
	v_cndmask_b32_e32 v22, 0, v22, vcc
	v_add_f64 v[40:41], v[24:25], -v[28:29]
	v_add_f64 v[34:35], v[30:31], v[22:23]
	v_add_f64 v[20:21], v[30:31], -v[20:21]
	v_add_f64 v[42:43], v[24:25], -v[40:41]
	;; [unrolled: 1-line block ×3, first 2 shown]
	v_cmp_gt_f64_e32 vcc, 0, v[34:35]
	v_add_f64 v[34:35], v[28:29], -v[38:39]
	v_add_f64 v[20:21], v[24:25], -v[20:21]
	;; [unrolled: 1-line block ×3, first 2 shown]
	v_cndmask_b32_e32 v37, 0, v5, vcc
	v_add_f64 v[22:23], v[22:23], v[36:37]
	v_add_f64 v[34:35], v[32:33], -v[34:35]
	v_add_f64 v[14:15], v[14:15], v[28:29]
	v_add_f64 v[44:45], v[30:31], v[22:23]
	;; [unrolled: 1-line block ×3, first 2 shown]
	v_cvt_i32_f64_e32 v5, v[44:45]
	v_add_f64 v[14:15], v[16:17], v[14:15]
	v_cvt_f64_i32_e32 v[37:38], v5
	v_add_f64 v[22:23], v[22:23], -v[37:38]
	v_add_f64 v[14:15], v[18:19], v[14:15]
	v_add_f64 v[16:17], v[30:31], v[22:23]
	;; [unrolled: 1-line block ×3, first 2 shown]
	v_add_f64 v[18:19], v[16:17], -v[22:23]
	v_cmp_le_f64_e32 vcc, 0.5, v[16:17]
	v_add_f64 v[18:19], v[30:31], -v[18:19]
	v_cndmask_b32_e32 v37, 0, v7, vcc
	v_add_f64 v[16:17], v[16:17], -v[36:37]
	v_addc_co_u32_e64 v5, s[0:1], 0, v5, vcc
	s_mov_b32 s0, 0x33145c07
	s_mov_b32 s1, 0x3c91a626
	v_add_f64 v[14:15], v[14:15], v[18:19]
	v_add_f64 v[18:19], v[16:17], v[14:15]
	v_mul_f64 v[20:21], v[18:19], s[4:5]
	v_add_f64 v[16:17], v[18:19], -v[16:17]
	v_fma_f64 v[22:23], v[18:19], s[4:5], -v[20:21]
	v_add_f64 v[14:15], v[14:15], -v[16:17]
	v_fma_f64 v[16:17], v[18:19], s[0:1], v[22:23]
	v_fma_f64 v[16:17], v[14:15], s[4:5], v[16:17]
	v_add_f64 v[14:15], v[20:21], v[16:17]
	v_add_f64 v[18:19], v[14:15], -v[20:21]
	v_add_f64 v[16:17], v[16:17], -v[18:19]
.LBB49_1294:
	s_andn2_saveexec_b64 s[0:1], s[6:7]
	s_cbranch_execz .LBB49_1296
; %bb.1295:
	s_mov_b32 s4, 0x6dc9c883
	s_mov_b32 s5, 0x3fe45f30
	v_mul_f64 v[14:15], |v[12:13]|, s[4:5]
	s_mov_b32 s4, 0x54442d18
	s_mov_b32 s5, 0xbff921fb
	;; [unrolled: 1-line block ×4, first 2 shown]
	v_rndne_f64_e32 v[18:19], v[14:15]
	v_fma_f64 v[14:15], v[18:19], s[4:5], |v[12:13]|
	v_mul_f64 v[16:17], v[18:19], s[6:7]
	s_mov_b32 s4, 0x252049c0
	s_mov_b32 s5, 0xb97b839a
	v_cvt_i32_f64_e32 v5, v[18:19]
	v_fma_f64 v[24:25], v[18:19], s[6:7], v[14:15]
	v_add_f64 v[20:21], v[14:15], v[16:17]
	s_mov_b32 s7, 0x3c91a626
	v_add_f64 v[22:23], v[14:15], -v[20:21]
	v_add_f64 v[20:21], v[20:21], -v[24:25]
	v_add_f64 v[14:15], v[22:23], v[16:17]
	v_fma_f64 v[16:17], v[18:19], s[6:7], v[16:17]
	v_add_f64 v[14:15], v[20:21], v[14:15]
	v_add_f64 v[14:15], v[14:15], -v[16:17]
	v_fma_f64 v[16:17], v[18:19], s[4:5], v[14:15]
	v_add_f64 v[14:15], v[24:25], v[16:17]
	v_add_f64 v[20:21], v[14:15], -v[24:25]
	v_add_f64 v[16:17], v[16:17], -v[20:21]
.LBB49_1296:
	s_or_b64 exec, exec, s[0:1]
	v_mul_f64 v[18:19], v[14:15], v[14:15]
	s_mov_b32 s0, 0xf9a43bb8
	v_mov_b32_e32 v21, 0xb42fdfa7
	v_mov_b32_e32 v22, 0xbe5ae600
	s_mov_b32 s1, 0x3de5e0b2
	s_mov_b32 s4, 0x796cde01
	v_mov_b32_e32 v20, 0x9037ab78
	s_mov_b32 s5, 0x3ec71de3
	v_fma_f64 v[22:23], v[18:19], s[0:1], v[21:22]
	s_mov_b32 s0, 0x46cc5e42
	v_mov_b32_e32 v21, 0x3e21eeb6
	s_mov_b32 s1, 0xbda907db
	v_fma_f64 v[20:21], v[18:19], s[0:1], v[20:21]
	v_mul_f64 v[24:25], v[18:19], 0.5
	s_mov_b32 s0, 0xa17f65f6
	s_mov_b32 s6, 0x19e83e5c
	v_fma_f64 v[22:23], v[18:19], v[22:23], s[4:5]
	s_mov_b32 s1, 0xbe927e4f
	s_mov_b32 s7, 0xbf2a01a0
	;; [unrolled: 1-line block ×3, first 2 shown]
	v_fma_f64 v[20:21], v[18:19], v[20:21], s[0:1]
	v_add_f64 v[26:27], -v[24:25], 1.0
	s_mov_b32 s0, 0x11110bb3
	s_mov_b32 s5, 0x3efa01a0
	v_fma_f64 v[22:23], v[18:19], v[22:23], s[6:7]
	s_mov_b32 s1, 0x3f811111
	v_mul_f64 v[28:29], v[16:17], 0.5
	v_mul_f64 v[30:31], v[14:15], -v[18:19]
	v_fma_f64 v[20:21], v[18:19], v[20:21], s[4:5]
	v_add_f64 v[32:33], -v[26:27], 1.0
	v_and_b32_e32 v7, 1, v5
	v_lshlrev_b32_e32 v5, 30, v5
	v_fma_f64 v[22:23], v[18:19], v[22:23], s[0:1]
	s_mov_b32 s0, 0x16c16967
	s_mov_b32 s1, 0xbf56c16c
	v_cmp_eq_u32_e32 vcc, 0, v7
	v_fma_f64 v[20:21], v[18:19], v[20:21], s[0:1]
	v_add_f64 v[24:25], v[32:33], -v[24:25]
	s_mov_b32 s1, 0x3fa55555
	s_mov_b32 s0, 0x55555555
	v_fma_f64 v[22:23], v[30:31], v[22:23], v[28:29]
	v_mul_f64 v[28:29], v[18:19], v[18:19]
	v_xor_b32_e32 v5, v5, v13
	v_and_b32_e32 v5, 0x80000000, v5
	v_fma_f64 v[20:21], v[18:19], v[20:21], s[0:1]
	v_fma_f64 v[24:25], v[14:15], -v[16:17], v[24:25]
	s_mov_b32 s1, 0xbfc55555
	v_mov_b32_e32 v10, 0x7ff80000
	v_fma_f64 v[16:17], v[18:19], v[22:23], -v[16:17]
	v_add_f64 v[0:1], -v[0:1], 1.0
	v_fma_f64 v[18:19], v[28:29], v[20:21], v[24:25]
	v_fma_f64 v[16:17], v[30:31], s[0:1], v[16:17]
	s_movk_i32 s0, 0x1f8
	v_cmp_class_f64_e64 s[0:1], v[12:13], s0
	v_add_f64 v[18:19], v[26:27], v[18:19]
	v_mov_b32_e32 v25, 0
	v_mov_b32_e32 v26, 0xbff00000
	v_add_f64 v[14:15], v[14:15], -v[16:17]
	v_cndmask_b32_e32 v12, v19, v15, vcc
	v_cndmask_b32_e32 v7, v18, v14, vcc
	v_xor_b32_e32 v5, v12, v5
	v_cndmask_b32_e64 v12, 0, v7, s[0:1]
	v_cndmask_b32_e64 v13, v10, v5, s[0:1]
	v_mul_f64 v[12:13], v[12:13], v[12:13]
	s_mov_b32 s0, 0xc9be45de
	s_mov_b32 s1, 0xc023bd3c
	v_div_scale_f64 v[14:15], s[4:5], v[12:13], v[12:13], s[0:1]
	v_rcp_f64_e32 v[16:17], v[14:15]
	v_fma_f64 v[18:19], -v[14:15], v[16:17], 1.0
	v_fma_f64 v[16:17], v[16:17], v[18:19], v[16:17]
	v_div_scale_f64 v[18:19], vcc, s[0:1], v[12:13], s[0:1]
	v_fma_f64 v[20:21], -v[14:15], v[16:17], 1.0
	v_fma_f64 v[16:17], v[16:17], v[20:21], v[16:17]
	v_mul_f64 v[20:21], v[18:19], v[16:17]
	v_fma_f64 v[14:15], -v[14:15], v[20:21], v[18:19]
	v_div_fmas_f64 v[14:15], v[14:15], v[16:17], v[20:21]
	v_div_fixup_f64 v[12:13], v[14:15], v[12:13], s[0:1]
	v_add_f64 v[29:30], v[12:13], 0
.LBB49_1297:
	s_or_b64 exec, exec, s[2:3]
	s_lshr_b32 s0, s16, 16
	v_mov_b32_e32 v5, s11
	s_and_b32 s17, s0, 0xff
	v_add_co_u32_e32 v10, vcc, s10, v11
	s_cmp_lt_i32 s17, 11
	v_addc_co_u32_e32 v11, vcc, 0, v5, vcc
	s_cbranch_scc1 .LBB49_1304
; %bb.1298:
	s_and_b32 s18, 0xffff, s17
	s_cmp_gt_i32 s18, 25
	s_mov_b64 s[2:3], 0
	s_cbranch_scc0 .LBB49_1306
; %bb.1299:
	s_cmp_gt_i32 s18, 28
	s_cbranch_scc0 .LBB49_1307
; %bb.1300:
	s_cmp_gt_i32 s18, 43
	;; [unrolled: 3-line block ×3, first 2 shown]
	s_cbranch_scc0 .LBB49_1310
; %bb.1302:
	s_cmp_eq_u32 s18, 46
	s_mov_b64 s[6:7], 0
	s_cbranch_scc0 .LBB49_1313
; %bb.1303:
	global_load_dword v5, v[10:11], off
	s_mov_b64 s[0:1], 0
	s_mov_b64 s[4:5], -1
	s_waitcnt vmcnt(0)
	v_lshlrev_b32_e32 v5, 16, v5
	v_cvt_f64_f32_e32 v[15:16], v5
	s_branch .LBB49_1314
.LBB49_1304:
	s_mov_b64 s[4:5], 0
                                        ; implicit-def: $vgpr15_vgpr16
	s_cbranch_execnz .LBB49_1379
.LBB49_1305:
	s_andn2_b64 vcc, exec, s[4:5]
	s_cbranch_vccnz .LBB49_2136
	s_branch .LBB49_1426
.LBB49_1306:
	s_mov_b64 s[4:5], 0
	s_mov_b64 s[0:1], 0
                                        ; implicit-def: $vgpr15_vgpr16
	s_cbranch_execnz .LBB49_1345
	s_branch .LBB49_1375
.LBB49_1307:
	s_mov_b64 s[6:7], -1
	s_mov_b64 s[4:5], 0
	s_mov_b64 s[0:1], 0
                                        ; implicit-def: $vgpr15_vgpr16
	s_branch .LBB49_1324
.LBB49_1308:
	s_mov_b64 s[6:7], -1
	s_mov_b64 s[4:5], 0
	s_mov_b64 s[0:1], 0
                                        ; implicit-def: $vgpr15_vgpr16
	s_branch .LBB49_1319
.LBB49_1309:
	s_or_b64 s[12:13], s[28:29], exec
	s_trap 2
	s_cbranch_execz .LBB49_1244
	s_branch .LBB49_1245
.LBB49_1310:
	s_mov_b64 s[6:7], -1
	s_mov_b64 s[4:5], 0
	s_mov_b64 s[0:1], 0
                                        ; implicit-def: $vgpr15_vgpr16
	s_branch .LBB49_1314
.LBB49_1311:
	s_andn2_saveexec_b64 s[14:15], s[14:15]
	s_cbranch_execz .LBB49_1035
.LBB49_1312:
	s_mov_b32 s18, 0x42800000
	v_add_f32_e64 v3, |v2|, s18
	v_and_b32_e32 v3, 0xff, v3
	v_cmp_ne_u32_e32 vcc, 0, v3
	s_andn2_b64 s[8:9], s[8:9], exec
	s_and_b64 s[18:19], vcc, exec
	s_or_b64 s[8:9], s[8:9], s[18:19]
	s_or_b64 exec, exec, s[14:15]
	v_mov_b32_e32 v4, 0
	s_and_saveexec_b64 s[14:15], s[8:9]
	s_cbranch_execnz .LBB49_1036
	s_branch .LBB49_1037
.LBB49_1313:
	s_mov_b64 s[0:1], -1
                                        ; implicit-def: $vgpr15_vgpr16
	s_mov_b64 s[4:5], 0
.LBB49_1314:
	s_and_b64 vcc, exec, s[6:7]
	s_cbranch_vccz .LBB49_1318
; %bb.1315:
	s_cmp_eq_u32 s18, 44
	s_cbranch_scc0 .LBB49_1317
; %bb.1316:
	global_load_ubyte v5, v[10:11], off
	s_movk_i32 s4, 0xff
	v_bfrev_b32_e32 v7, 4
	v_mov_b32_e32 v14, 0x7ff80000
	v_bfrev_b32_e32 v15, 28
	s_mov_b64 s[0:1], 0
	s_waitcnt vmcnt(0)
	v_lshlrev_b32_e32 v12, 23, v5
	v_cvt_f64_f32_e32 v[12:13], v12
	v_cmp_ne_u32_e32 vcc, s4, v5
	s_mov_b64 s[4:5], -1
	v_cndmask_b32_e32 v7, v7, v12, vcc
	v_cndmask_b32_e32 v12, v14, v13, vcc
	v_cmp_ne_u32_e32 vcc, 0, v5
	v_cndmask_b32_e32 v16, v15, v12, vcc
	v_cndmask_b32_e32 v15, 0, v7, vcc
	s_branch .LBB49_1318
.LBB49_1317:
	s_mov_b64 s[0:1], -1
                                        ; implicit-def: $vgpr15_vgpr16
.LBB49_1318:
	s_mov_b64 s[6:7], 0
.LBB49_1319:
	s_and_b64 vcc, exec, s[6:7]
	s_cbranch_vccz .LBB49_1323
; %bb.1320:
	s_cmp_eq_u32 s18, 29
	s_cbranch_scc0 .LBB49_1322
; %bb.1321:
	global_load_dwordx2 v[12:13], v[10:11], off
	s_mov_b64 s[0:1], 0
	s_mov_b64 s[4:5], -1
	s_mov_b64 s[6:7], 0
	s_waitcnt vmcnt(0)
	v_cvt_f64_u32_e32 v[13:14], v13
	v_cvt_f64_u32_e32 v[15:16], v12
	v_ldexp_f64 v[13:14], v[13:14], 32
	v_add_f64 v[15:16], v[13:14], v[15:16]
	s_branch .LBB49_1324
.LBB49_1322:
	s_mov_b64 s[0:1], -1
                                        ; implicit-def: $vgpr15_vgpr16
.LBB49_1323:
	s_mov_b64 s[6:7], 0
.LBB49_1324:
	s_and_b64 vcc, exec, s[6:7]
	s_cbranch_vccz .LBB49_1344
; %bb.1325:
	s_cmp_lt_i32 s18, 27
	s_cbranch_scc1 .LBB49_1328
; %bb.1326:
	s_cmp_gt_i32 s18, 27
	s_cbranch_scc0 .LBB49_1329
; %bb.1327:
	global_load_dword v5, v[10:11], off
	s_mov_b64 s[4:5], 0
	s_waitcnt vmcnt(0)
	v_cvt_f64_u32_e32 v[15:16], v5
	s_branch .LBB49_1330
.LBB49_1328:
	s_mov_b64 s[4:5], -1
                                        ; implicit-def: $vgpr15_vgpr16
	s_branch .LBB49_1333
.LBB49_1329:
	s_mov_b64 s[4:5], -1
                                        ; implicit-def: $vgpr15_vgpr16
.LBB49_1330:
	s_andn2_b64 vcc, exec, s[4:5]
	s_cbranch_vccnz .LBB49_1332
; %bb.1331:
	global_load_ushort v5, v[10:11], off
	s_waitcnt vmcnt(0)
	v_cvt_f64_u32_e32 v[15:16], v5
.LBB49_1332:
	s_mov_b64 s[4:5], 0
.LBB49_1333:
	s_andn2_b64 vcc, exec, s[4:5]
	s_cbranch_vccnz .LBB49_1343
; %bb.1334:
	global_load_ubyte v5, v[10:11], off
	s_movk_i32 s4, 0x7f
	s_waitcnt vmcnt(0)
	v_cmp_lt_i16_e32 vcc, s4, v5
	s_mov_b64 s[4:5], 0
	s_and_saveexec_b64 s[6:7], vcc
	s_xor_b64 s[6:7], exec, s[6:7]
	s_cbranch_execz .LBB49_1338
; %bb.1335:
	s_movk_i32 s4, 0x80
	v_cmp_eq_u16_e32 vcc, s4, v5
	s_mov_b64 s[4:5], -1
	s_and_saveexec_b64 s[14:15], vcc
; %bb.1336:
	s_xor_b64 s[4:5], exec, -1
; %bb.1337:
	s_or_b64 exec, exec, s[14:15]
	s_and_b64 s[4:5], s[4:5], exec
.LBB49_1338:
	s_or_saveexec_b64 s[6:7], s[6:7]
	v_bfrev_b32_e32 v15, 4
	v_mov_b32_e32 v16, 0x7ff80000
	s_xor_b64 exec, exec, s[6:7]
; %bb.1339:
	v_cmp_ne_u16_e32 vcc, 0, v5
	v_mov_b32_e32 v15, 0
	s_andn2_b64 s[4:5], s[4:5], exec
	s_and_b64 s[14:15], vcc, exec
	v_mov_b32_e32 v16, 0
	s_or_b64 s[4:5], s[4:5], s[14:15]
; %bb.1340:
	s_or_b64 exec, exec, s[6:7]
	s_and_saveexec_b64 s[6:7], s[4:5]
	s_cbranch_execz .LBB49_1342
; %bb.1341:
	v_lshlrev_b32_e32 v7, 24, v5
	v_and_b32_e32 v5, 0xffff, v5
	v_and_b32_e32 v12, 7, v5
	v_ffbh_u32_e32 v14, v12
	v_min_u32_e32 v14, 32, v14
	v_subrev_u32_e32 v15, 28, v14
	v_bfe_u32 v13, v5, 3, 4
	v_lshlrev_b32_e32 v5, v15, v5
	v_sub_u32_e32 v14, 29, v14
	v_and_b32_e32 v5, 7, v5
	v_cmp_eq_u32_e32 vcc, 0, v13
	v_cndmask_b32_e32 v13, v13, v14, vcc
	v_cndmask_b32_e32 v5, v12, v5, vcc
	v_mov_b32_e32 v12, 0x3b800000
	v_lshlrev_b32_e32 v5, 20, v5
	v_and_b32_e32 v7, 0x80000000, v7
	v_lshl_add_u32 v12, v13, 23, v12
	v_or3_b32 v5, v7, v12, v5
	v_cvt_f64_f32_e32 v[15:16], v5
.LBB49_1342:
	s_or_b64 exec, exec, s[6:7]
.LBB49_1343:
	s_mov_b64 s[4:5], -1
.LBB49_1344:
	s_branch .LBB49_1375
.LBB49_1345:
	s_cmp_gt_i32 s18, 22
	s_cbranch_scc0 .LBB49_1357
; %bb.1346:
	s_cmp_lt_i32 s18, 24
	s_cbranch_scc1 .LBB49_1358
; %bb.1347:
	s_cmp_gt_i32 s18, 24
	s_cbranch_scc0 .LBB49_1359
; %bb.1348:
	global_load_ubyte v5, v[10:11], off
	s_movk_i32 s2, 0x7f
	s_waitcnt vmcnt(0)
	v_cmp_lt_i16_e32 vcc, s2, v5
	s_mov_b64 s[2:3], 0
	s_and_saveexec_b64 s[4:5], vcc
	s_xor_b64 s[4:5], exec, s[4:5]
	s_cbranch_execz .LBB49_1352
; %bb.1349:
	s_movk_i32 s2, 0x80
	v_cmp_eq_u16_e32 vcc, s2, v5
	s_mov_b64 s[2:3], -1
	s_and_saveexec_b64 s[6:7], vcc
; %bb.1350:
	s_xor_b64 s[2:3], exec, -1
; %bb.1351:
	s_or_b64 exec, exec, s[6:7]
	s_and_b64 s[2:3], s[2:3], exec
.LBB49_1352:
	s_or_saveexec_b64 s[4:5], s[4:5]
	v_bfrev_b32_e32 v15, 4
	v_mov_b32_e32 v16, 0x7ff80000
	s_xor_b64 exec, exec, s[4:5]
; %bb.1353:
	v_cmp_ne_u16_e32 vcc, 0, v5
	v_mov_b32_e32 v15, 0
	s_andn2_b64 s[2:3], s[2:3], exec
	s_and_b64 s[6:7], vcc, exec
	v_mov_b32_e32 v16, 0
	s_or_b64 s[2:3], s[2:3], s[6:7]
; %bb.1354:
	s_or_b64 exec, exec, s[4:5]
	s_and_saveexec_b64 s[4:5], s[2:3]
	s_cbranch_execz .LBB49_1356
; %bb.1355:
	v_lshlrev_b32_e32 v7, 24, v5
	v_and_b32_e32 v5, 0xffff, v5
	v_and_b32_e32 v12, 3, v5
	v_ffbh_u32_e32 v14, v12
	v_min_u32_e32 v14, 32, v14
	v_subrev_u32_e32 v15, 29, v14
	v_bfe_u32 v13, v5, 2, 5
	v_lshlrev_b32_e32 v5, v15, v5
	v_sub_u32_e32 v14, 30, v14
	v_and_b32_e32 v5, 3, v5
	v_cmp_eq_u32_e32 vcc, 0, v13
	v_cndmask_b32_e32 v13, v13, v14, vcc
	v_cndmask_b32_e32 v5, v12, v5, vcc
	v_mov_b32_e32 v12, 0x37800000
	v_lshlrev_b32_e32 v5, 21, v5
	v_and_b32_e32 v7, 0x80000000, v7
	v_lshl_add_u32 v12, v13, 23, v12
	v_or3_b32 v5, v7, v12, v5
	v_cvt_f64_f32_e32 v[15:16], v5
.LBB49_1356:
	s_or_b64 exec, exec, s[4:5]
	s_mov_b64 s[2:3], 0
	s_branch .LBB49_1360
.LBB49_1357:
	s_mov_b64 s[2:3], -1
                                        ; implicit-def: $vgpr15_vgpr16
	s_branch .LBB49_1366
.LBB49_1358:
	s_mov_b64 s[2:3], -1
                                        ; implicit-def: $vgpr15_vgpr16
	s_branch .LBB49_1363
.LBB49_1359:
	s_mov_b64 s[2:3], -1
                                        ; implicit-def: $vgpr15_vgpr16
.LBB49_1360:
	s_and_b64 vcc, exec, s[2:3]
	s_cbranch_vccz .LBB49_1362
; %bb.1361:
	global_load_ubyte v5, v[10:11], off
	s_mov_b32 s2, 0x7f800000
	s_waitcnt vmcnt(0)
	v_lshlrev_b32_e32 v5, 24, v5
	v_and_b32_e32 v7, 0x7f000000, v5
	v_ffbh_u32_e32 v12, v7
	v_min_u32_e32 v12, 32, v12
	v_sub_u32_e64 v12, v12, 4 clamp
	v_lshlrev_b32_e32 v14, v12, v7
	v_lshlrev_b32_e32 v12, 23, v12
	v_lshrrev_b32_e32 v14, 4, v14
	v_add_u32_e32 v13, 0x1000000, v7
	v_sub_u32_e32 v12, v14, v12
	v_ashrrev_i32_e32 v13, 8, v13
	v_add_u32_e32 v12, 0x3c000000, v12
	v_and_or_b32 v12, v13, s2, v12
	v_cmp_ne_u32_e32 vcc, 0, v7
	v_cndmask_b32_e32 v7, 0, v12, vcc
	s_brev_b32 s2, 1
	v_and_or_b32 v5, v5, s2, v7
	v_cvt_f64_f32_e32 v[15:16], v5
.LBB49_1362:
	s_mov_b64 s[2:3], 0
.LBB49_1363:
	s_andn2_b64 vcc, exec, s[2:3]
	s_cbranch_vccnz .LBB49_1365
; %bb.1364:
	global_load_ubyte v5, v[10:11], off
	s_movk_i32 s2, 0x7f00
	s_brev_b32 s3, 16
	s_waitcnt vmcnt(0)
	v_lshlrev_b16_e32 v7, 8, v5
	v_lshlrev_b32_e32 v5, 25, v5
	v_lshrrev_b32_e32 v12, 4, v5
	v_and_or_b32 v13, v7, s2, 0.5
	v_or_b32_e32 v12, 0x70000000, v12
	v_add_f32_e32 v13, -0.5, v13
	v_mul_f32_e32 v12, 0x7800000, v12
	v_cmp_gt_u32_e32 vcc, s3, v5
	v_bfe_i32 v7, v7, 0, 16
	v_cndmask_b32_e32 v5, v12, v13, vcc
	s_brev_b32 s2, 1
	v_and_or_b32 v5, v7, s2, v5
	v_cvt_f64_f32_e32 v[15:16], v5
.LBB49_1365:
	s_mov_b64 s[2:3], 0
	s_mov_b64 s[4:5], -1
.LBB49_1366:
	s_andn2_b64 vcc, exec, s[2:3]
	s_mov_b64 s[2:3], 0
	s_cbranch_vccnz .LBB49_1375
; %bb.1367:
	s_cmp_gt_i32 s18, 14
	s_cbranch_scc0 .LBB49_1370
; %bb.1368:
	s_cmp_eq_u32 s18, 15
	s_cbranch_scc0 .LBB49_1371
; %bb.1369:
	global_load_ushort v5, v[10:11], off
	s_mov_b64 s[0:1], 0
	s_mov_b64 s[4:5], -1
	s_waitcnt vmcnt(0)
	v_lshlrev_b32_e32 v5, 16, v5
	v_cvt_f64_f32_e32 v[15:16], v5
	s_branch .LBB49_1372
.LBB49_1370:
	s_mov_b64 s[6:7], -1
                                        ; implicit-def: $vgpr15_vgpr16
	s_branch .LBB49_1373
.LBB49_1371:
	s_mov_b64 s[0:1], -1
                                        ; implicit-def: $vgpr15_vgpr16
.LBB49_1372:
	s_mov_b64 s[6:7], 0
.LBB49_1373:
	s_and_b64 vcc, exec, s[6:7]
	s_cbranch_vccz .LBB49_1375
; %bb.1374:
	s_cmp_lg_u32 s18, 11
	s_mov_b64 s[2:3], -1
	s_cselect_b64 s[0:1], -1, 0
.LBB49_1375:
	s_and_b64 vcc, exec, s[0:1]
	s_cbranch_vccnz .LBB49_1444
; %bb.1376:
	s_andn2_b64 vcc, exec, s[2:3]
	s_cbranch_vccnz .LBB49_1378
.LBB49_1377:
	global_load_ubyte v5, v[10:11], off
	v_mov_b32_e32 v7, 0x3ff00000
	v_mov_b32_e32 v15, 0
	s_mov_b64 s[4:5], -1
	s_waitcnt vmcnt(0)
	v_cmp_ne_u16_e32 vcc, 0, v5
	v_cndmask_b32_e32 v16, 0, v7, vcc
.LBB49_1378:
	s_branch .LBB49_1305
.LBB49_1379:
	s_and_b32 s2, 0xffff, s17
	s_cmp_lt_i32 s2, 5
	s_cbranch_scc1 .LBB49_1384
; %bb.1380:
	s_cmp_lt_i32 s2, 8
	s_cbranch_scc1 .LBB49_1385
; %bb.1381:
	;; [unrolled: 3-line block ×3, first 2 shown]
	s_cmp_gt_i32 s2, 9
	s_cbranch_scc0 .LBB49_1387
; %bb.1383:
	global_load_dwordx2 v[15:16], v[10:11], off
	s_mov_b64 s[0:1], 0
	s_branch .LBB49_1388
.LBB49_1384:
                                        ; implicit-def: $vgpr15_vgpr16
	s_branch .LBB49_1406
.LBB49_1385:
	s_mov_b64 s[0:1], -1
                                        ; implicit-def: $vgpr15_vgpr16
	s_branch .LBB49_1394
.LBB49_1386:
	s_mov_b64 s[0:1], -1
                                        ; implicit-def: $vgpr15_vgpr16
	s_branch .LBB49_1391
.LBB49_1387:
	s_mov_b64 s[0:1], -1
                                        ; implicit-def: $vgpr15_vgpr16
.LBB49_1388:
	s_andn2_b64 vcc, exec, s[0:1]
	s_cbranch_vccnz .LBB49_1390
; %bb.1389:
	global_load_dword v5, v[10:11], off
	s_waitcnt vmcnt(0)
	v_cvt_f64_f32_e32 v[15:16], v5
.LBB49_1390:
	s_mov_b64 s[0:1], 0
.LBB49_1391:
	s_andn2_b64 vcc, exec, s[0:1]
	s_cbranch_vccnz .LBB49_1393
; %bb.1392:
	global_load_dword v5, v[10:11], off
	s_waitcnt vmcnt(0)
	v_cvt_f32_f16_e32 v5, v5
	v_cvt_f64_f32_e32 v[15:16], v5
.LBB49_1393:
	s_mov_b64 s[0:1], 0
.LBB49_1394:
	s_andn2_b64 vcc, exec, s[0:1]
	s_cbranch_vccnz .LBB49_1405
; %bb.1395:
	s_cmp_lt_i32 s2, 6
	s_cbranch_scc1 .LBB49_1398
; %bb.1396:
	s_cmp_gt_i32 s2, 6
	s_cbranch_scc0 .LBB49_1399
; %bb.1397:
	global_load_dwordx2 v[15:16], v[10:11], off
	s_mov_b64 s[0:1], 0
	s_branch .LBB49_1400
.LBB49_1398:
	s_mov_b64 s[0:1], -1
                                        ; implicit-def: $vgpr15_vgpr16
	s_branch .LBB49_1403
.LBB49_1399:
	s_mov_b64 s[0:1], -1
                                        ; implicit-def: $vgpr15_vgpr16
.LBB49_1400:
	s_andn2_b64 vcc, exec, s[0:1]
	s_cbranch_vccnz .LBB49_1402
; %bb.1401:
	global_load_dword v5, v[10:11], off
	s_waitcnt vmcnt(0)
	v_cvt_f64_f32_e32 v[15:16], v5
.LBB49_1402:
	s_mov_b64 s[0:1], 0
.LBB49_1403:
	s_andn2_b64 vcc, exec, s[0:1]
	s_cbranch_vccnz .LBB49_1405
; %bb.1404:
	global_load_ushort v5, v[10:11], off
	s_waitcnt vmcnt(0)
	v_cvt_f32_f16_e32 v5, v5
	v_cvt_f64_f32_e32 v[15:16], v5
.LBB49_1405:
	s_cbranch_execnz .LBB49_1425
.LBB49_1406:
	s_cmp_lt_i32 s2, 2
	s_cbranch_scc1 .LBB49_1410
; %bb.1407:
	s_cmp_lt_i32 s2, 3
	s_cbranch_scc1 .LBB49_1411
; %bb.1408:
	s_cmp_gt_i32 s2, 3
	s_cbranch_scc0 .LBB49_1412
; %bb.1409:
	global_load_dwordx2 v[12:13], v[10:11], off
	s_mov_b64 s[0:1], 0
	s_waitcnt vmcnt(0)
	v_cvt_f64_i32_e32 v[13:14], v13
	v_cvt_f64_u32_e32 v[15:16], v12
	v_ldexp_f64 v[13:14], v[13:14], 32
	v_add_f64 v[15:16], v[13:14], v[15:16]
	s_branch .LBB49_1413
.LBB49_1410:
	s_mov_b64 s[0:1], -1
                                        ; implicit-def: $vgpr15_vgpr16
	s_branch .LBB49_1419
.LBB49_1411:
	s_mov_b64 s[0:1], -1
                                        ; implicit-def: $vgpr15_vgpr16
	s_branch .LBB49_1416
.LBB49_1412:
	s_mov_b64 s[0:1], -1
                                        ; implicit-def: $vgpr15_vgpr16
.LBB49_1413:
	s_andn2_b64 vcc, exec, s[0:1]
	s_cbranch_vccnz .LBB49_1415
; %bb.1414:
	global_load_dword v5, v[10:11], off
	s_waitcnt vmcnt(0)
	v_cvt_f64_i32_e32 v[15:16], v5
.LBB49_1415:
	s_mov_b64 s[0:1], 0
.LBB49_1416:
	s_andn2_b64 vcc, exec, s[0:1]
	s_cbranch_vccnz .LBB49_1418
; %bb.1417:
	global_load_sshort v5, v[10:11], off
	s_waitcnt vmcnt(0)
	v_cvt_f64_i32_e32 v[15:16], v5
.LBB49_1418:
	s_mov_b64 s[0:1], 0
.LBB49_1419:
	s_andn2_b64 vcc, exec, s[0:1]
	s_cbranch_vccnz .LBB49_1425
; %bb.1420:
	s_cmp_gt_i32 s2, 0
	s_cbranch_scc0 .LBB49_1422
; %bb.1421:
	global_load_sbyte v5, v[10:11], off
	s_mov_b64 s[0:1], 0
	s_waitcnt vmcnt(0)
	v_cvt_f64_i32_e32 v[15:16], v5
	s_branch .LBB49_1423
.LBB49_1422:
	s_mov_b64 s[0:1], -1
                                        ; implicit-def: $vgpr15_vgpr16
.LBB49_1423:
	s_andn2_b64 vcc, exec, s[0:1]
	s_cbranch_vccnz .LBB49_1425
; %bb.1424:
	global_load_ubyte v5, v[10:11], off
	s_waitcnt vmcnt(0)
	v_cvt_f64_u32_e32 v[15:16], v5
.LBB49_1425:
.LBB49_1426:
	s_waitcnt vmcnt(0)
	v_cmp_gt_f64_e32 vcc, 0.5, v[15:16]
	v_mov_b32_e32 v27, 0
	v_mov_b32_e32 v21, 0
	;; [unrolled: 1-line block ×4, first 2 shown]
	s_and_saveexec_b64 s[2:3], vcc
	s_cbranch_execz .LBB49_1432
; %bb.1427:
	s_mov_b32 s5, 0x400921fb
	s_mov_b32 s4, 0x54442d18
	v_mul_f64 v[10:11], v[15:16], s[4:5]
	s_mov_b32 s0, 0
	s_mov_b32 s1, 0x41d00000
                                        ; implicit-def: $vgpr5
                                        ; implicit-def: $vgpr12_vgpr13
                                        ; implicit-def: $vgpr17_vgpr18
	v_cmp_nlt_f64_e64 s[0:1], |v[10:11]|, s[0:1]
	s_and_saveexec_b64 s[6:7], s[0:1]
	s_xor_b64 s[6:7], exec, s[6:7]
	s_cbranch_execz .LBB49_1429
; %bb.1428:
	v_trig_preop_f64 v[12:13], |v[10:11]|, 0
	s_mov_b32 s0, 0
	s_mov_b32 s1, 0x7b000000
	s_movk_i32 s5, 0xff80
	v_ldexp_f64 v[19:20], |v[10:11]|, s5
	v_cmp_ge_f64_e64 vcc, |v[10:11]|, s[0:1]
	v_trig_preop_f64 v[17:18], |v[10:11]|, 1
	v_and_b32_e32 v5, 0x7fffffff, v11
	v_trig_preop_f64 v[31:32], |v[10:11]|, 2
	s_mov_b32 s0, 0
	s_mov_b32 s1, 0x7ff00000
	v_mov_b32_e32 v41, 0
	v_mov_b32_e32 v7, 0x3ff00000
	v_cndmask_b32_e32 v20, v5, v20, vcc
	v_cndmask_b32_e32 v19, v10, v19, vcc
	v_mov_b32_e32 v5, 0x40100000
	v_mul_f64 v[21:22], v[12:13], v[19:20]
	s_mov_b32 s5, 0x3ff921fb
	v_mul_f64 v[23:24], v[17:18], v[19:20]
	v_mul_f64 v[37:38], v[31:32], v[19:20]
	v_fma_f64 v[12:13], v[12:13], v[19:20], -v[21:22]
	v_fma_f64 v[17:18], v[17:18], v[19:20], -v[23:24]
	;; [unrolled: 1-line block ×3, first 2 shown]
	v_add_f64 v[27:28], v[23:24], v[12:13]
	v_add_f64 v[33:34], v[27:28], -v[23:24]
	v_add_f64 v[39:40], v[21:22], v[27:28]
	v_add_f64 v[35:36], v[27:28], -v[33:34]
	v_add_f64 v[12:13], v[12:13], -v[33:34]
	v_add_f64 v[33:34], v[37:38], v[17:18]
	v_add_f64 v[21:22], v[39:40], -v[21:22]
	v_add_f64 v[23:24], v[23:24], -v[35:36]
	v_ldexp_f64 v[35:36], v[39:40], -2
	v_add_f64 v[43:44], v[33:34], -v[37:38]
	v_add_f64 v[21:22], v[27:28], -v[21:22]
	v_add_f64 v[12:13], v[12:13], v[23:24]
	v_fract_f64_e32 v[23:24], v[35:36]
	v_cmp_neq_f64_e64 vcc, |v[35:36]|, s[0:1]
	v_add_f64 v[17:18], v[17:18], -v[43:44]
	v_add_f64 v[27:28], v[33:34], v[12:13]
	v_ldexp_f64 v[23:24], v[23:24], 2
	v_add_f64 v[35:36], v[21:22], v[27:28]
	v_cndmask_b32_e32 v24, 0, v24, vcc
	v_cndmask_b32_e32 v23, 0, v23, vcc
	v_add_f64 v[45:46], v[27:28], -v[33:34]
	v_add_f64 v[39:40], v[35:36], v[23:24]
	v_add_f64 v[21:22], v[35:36], -v[21:22]
	v_add_f64 v[47:48], v[27:28], -v[45:46]
	;; [unrolled: 1-line block ×3, first 2 shown]
	v_cmp_gt_f64_e32 vcc, 0, v[39:40]
	v_add_f64 v[39:40], v[33:34], -v[43:44]
	v_add_f64 v[21:22], v[27:28], -v[21:22]
	;; [unrolled: 1-line block ×3, first 2 shown]
	v_cndmask_b32_e32 v42, 0, v5, vcc
	v_add_f64 v[23:24], v[23:24], v[41:42]
	v_add_f64 v[39:40], v[37:38], -v[39:40]
	v_add_f64 v[12:13], v[12:13], v[33:34]
	v_add_f64 v[49:50], v[35:36], v[23:24]
	;; [unrolled: 1-line block ×3, first 2 shown]
	v_cvt_i32_f64_e32 v5, v[49:50]
	v_add_f64 v[12:13], v[17:18], v[12:13]
	v_cvt_f64_i32_e32 v[42:43], v5
	v_add_f64 v[23:24], v[23:24], -v[42:43]
	v_add_f64 v[12:13], v[19:20], v[12:13]
	v_add_f64 v[17:18], v[35:36], v[23:24]
	;; [unrolled: 1-line block ×3, first 2 shown]
	v_add_f64 v[19:20], v[17:18], -v[23:24]
	v_cmp_le_f64_e32 vcc, 0.5, v[17:18]
	v_add_f64 v[19:20], v[35:36], -v[19:20]
	v_cndmask_b32_e32 v42, 0, v7, vcc
	v_add_f64 v[17:18], v[17:18], -v[41:42]
	v_addc_co_u32_e64 v5, s[0:1], 0, v5, vcc
	s_mov_b32 s0, 0x33145c07
	s_mov_b32 s1, 0x3c91a626
	v_add_f64 v[12:13], v[12:13], v[19:20]
	v_add_f64 v[19:20], v[17:18], v[12:13]
	v_mul_f64 v[21:22], v[19:20], s[4:5]
	v_add_f64 v[17:18], v[19:20], -v[17:18]
	v_fma_f64 v[23:24], v[19:20], s[4:5], -v[21:22]
	v_add_f64 v[12:13], v[12:13], -v[17:18]
	v_fma_f64 v[17:18], v[19:20], s[0:1], v[23:24]
	v_fma_f64 v[17:18], v[12:13], s[4:5], v[17:18]
	v_add_f64 v[12:13], v[21:22], v[17:18]
	v_add_f64 v[19:20], v[12:13], -v[21:22]
	v_add_f64 v[17:18], v[17:18], -v[19:20]
.LBB49_1429:
	s_andn2_saveexec_b64 s[0:1], s[6:7]
	s_cbranch_execz .LBB49_1431
; %bb.1430:
	s_mov_b32 s4, 0x6dc9c883
	s_mov_b32 s5, 0x3fe45f30
	v_mul_f64 v[12:13], |v[10:11]|, s[4:5]
	s_mov_b32 s4, 0x54442d18
	s_mov_b32 s5, 0xbff921fb
	;; [unrolled: 1-line block ×4, first 2 shown]
	v_rndne_f64_e32 v[19:20], v[12:13]
	v_fma_f64 v[12:13], v[19:20], s[4:5], |v[10:11]|
	v_mul_f64 v[17:18], v[19:20], s[6:7]
	s_mov_b32 s4, 0x252049c0
	s_mov_b32 s5, 0xb97b839a
	v_cvt_i32_f64_e32 v5, v[19:20]
	v_fma_f64 v[27:28], v[19:20], s[6:7], v[12:13]
	v_add_f64 v[21:22], v[12:13], v[17:18]
	s_mov_b32 s7, 0x3c91a626
	v_add_f64 v[23:24], v[12:13], -v[21:22]
	v_add_f64 v[21:22], v[21:22], -v[27:28]
	v_add_f64 v[12:13], v[23:24], v[17:18]
	v_fma_f64 v[17:18], v[19:20], s[6:7], v[17:18]
	v_add_f64 v[12:13], v[21:22], v[12:13]
	v_add_f64 v[12:13], v[12:13], -v[17:18]
	v_fma_f64 v[17:18], v[19:20], s[4:5], v[12:13]
	v_add_f64 v[12:13], v[27:28], v[17:18]
	v_add_f64 v[21:22], v[12:13], -v[27:28]
	v_add_f64 v[17:18], v[17:18], -v[21:22]
.LBB49_1431:
	s_or_b64 exec, exec, s[0:1]
	v_mul_f64 v[19:20], v[12:13], v[12:13]
	s_mov_b32 s0, 0xf9a43bb8
	v_mov_b32_e32 v22, 0xb42fdfa7
	v_mov_b32_e32 v23, 0xbe5ae600
	s_mov_b32 s1, 0x3de5e0b2
	s_mov_b32 s4, 0x796cde01
	v_mov_b32_e32 v21, 0x9037ab78
	s_mov_b32 s5, 0x3ec71de3
	v_fma_f64 v[23:24], v[19:20], s[0:1], v[22:23]
	s_mov_b32 s0, 0x46cc5e42
	v_mov_b32_e32 v22, 0x3e21eeb6
	s_mov_b32 s1, 0xbda907db
	v_fma_f64 v[21:22], v[19:20], s[0:1], v[21:22]
	v_mul_f64 v[27:28], v[19:20], 0.5
	s_mov_b32 s0, 0xa17f65f6
	s_mov_b32 s6, 0x19e83e5c
	v_fma_f64 v[23:24], v[19:20], v[23:24], s[4:5]
	s_mov_b32 s1, 0xbe927e4f
	s_mov_b32 s7, 0xbf2a01a0
	;; [unrolled: 1-line block ×3, first 2 shown]
	v_fma_f64 v[21:22], v[19:20], v[21:22], s[0:1]
	v_add_f64 v[31:32], -v[27:28], 1.0
	s_mov_b32 s0, 0x11110bb3
	s_mov_b32 s5, 0x3efa01a0
	v_fma_f64 v[23:24], v[19:20], v[23:24], s[6:7]
	s_mov_b32 s1, 0x3f811111
	v_mul_f64 v[33:34], v[17:18], 0.5
	v_mul_f64 v[35:36], v[12:13], -v[19:20]
	v_fma_f64 v[21:22], v[19:20], v[21:22], s[4:5]
	v_add_f64 v[37:38], -v[31:32], 1.0
	v_and_b32_e32 v7, 1, v5
	v_lshlrev_b32_e32 v5, 30, v5
	v_fma_f64 v[23:24], v[19:20], v[23:24], s[0:1]
	s_mov_b32 s0, 0x16c16967
	s_mov_b32 s1, 0xbf56c16c
	v_cmp_eq_u32_e32 vcc, 0, v7
	v_fma_f64 v[21:22], v[19:20], v[21:22], s[0:1]
	v_add_f64 v[27:28], v[37:38], -v[27:28]
	s_mov_b32 s1, 0x3fa55555
	s_mov_b32 s0, 0x55555555
	v_fma_f64 v[23:24], v[35:36], v[23:24], v[33:34]
	v_mul_f64 v[33:34], v[19:20], v[19:20]
	v_xor_b32_e32 v5, v5, v11
	v_and_b32_e32 v5, 0x80000000, v5
	v_fma_f64 v[21:22], v[19:20], v[21:22], s[0:1]
	v_fma_f64 v[27:28], v[12:13], -v[17:18], v[27:28]
	s_mov_b32 s1, 0xbfc55555
	v_add_f64 v[15:16], -v[15:16], 1.0
	v_fma_f64 v[17:18], v[19:20], v[23:24], -v[17:18]
	v_fma_f64 v[19:20], v[33:34], v[21:22], v[27:28]
	v_fma_f64 v[17:18], v[35:36], s[0:1], v[17:18]
	s_movk_i32 s0, 0x1f8
	v_cmp_class_f64_e64 s[0:1], v[10:11], s0
	v_add_f64 v[19:20], v[31:32], v[19:20]
	v_add_f64 v[12:13], v[12:13], -v[17:18]
	v_cndmask_b32_e32 v10, v20, v13, vcc
	v_cndmask_b32_e32 v7, v19, v12, vcc
	v_mov_b32_e32 v12, 0x7ff80000
	v_xor_b32_e32 v5, v10, v5
	v_cndmask_b32_e64 v10, 0, v7, s[0:1]
	v_cndmask_b32_e64 v11, v12, v5, s[0:1]
	v_mul_f64 v[10:11], v[10:11], v[10:11]
	s_mov_b32 s0, 0xc9be45de
	s_mov_b32 s1, 0xc023bd3c
	v_div_scale_f64 v[12:13], s[4:5], v[10:11], v[10:11], s[0:1]
	v_rcp_f64_e32 v[17:18], v[12:13]
	v_fma_f64 v[19:20], -v[12:13], v[17:18], 1.0
	v_fma_f64 v[17:18], v[17:18], v[19:20], v[17:18]
	v_div_scale_f64 v[19:20], vcc, s[0:1], v[10:11], s[0:1]
	v_fma_f64 v[21:22], -v[12:13], v[17:18], 1.0
	v_fma_f64 v[17:18], v[17:18], v[21:22], v[17:18]
	v_mul_f64 v[21:22], v[19:20], v[17:18]
	v_fma_f64 v[12:13], -v[12:13], v[21:22], v[19:20]
	v_div_fmas_f64 v[12:13], v[12:13], v[17:18], v[21:22]
	v_mov_b32_e32 v21, 0
	v_mov_b32_e32 v22, 0xbff00000
	v_div_fixup_f64 v[10:11], v[12:13], v[10:11], s[0:1]
	v_add_f64 v[27:28], v[10:11], 0
.LBB49_1432:
	s_or_b64 exec, exec, s[2:3]
	v_mov_b32_e32 v5, s11
	v_add_co_u32_e32 v13, vcc, s10, v3
	s_cmp_lt_i32 s17, 11
	v_addc_co_u32_e32 v14, vcc, 0, v5, vcc
	s_cbranch_scc1 .LBB49_1439
; %bb.1433:
	s_and_b32 s18, 0xffff, s17
	s_cmp_gt_i32 s18, 25
	s_mov_b64 s[2:3], 0
	s_cbranch_scc0 .LBB49_1441
; %bb.1434:
	s_cmp_gt_i32 s18, 28
	s_cbranch_scc0 .LBB49_1442
; %bb.1435:
	s_cmp_gt_i32 s18, 43
	;; [unrolled: 3-line block ×3, first 2 shown]
	s_cbranch_scc0 .LBB49_1445
; %bb.1437:
	s_cmp_eq_u32 s18, 46
	s_mov_b64 s[6:7], 0
	s_cbranch_scc0 .LBB49_1446
; %bb.1438:
	global_load_dword v3, v[13:14], off
	s_mov_b64 s[0:1], 0
	s_mov_b64 s[4:5], -1
	s_waitcnt vmcnt(0)
	v_lshlrev_b32_e32 v3, 16, v3
	v_cvt_f64_f32_e32 v[11:12], v3
	s_branch .LBB49_1447
.LBB49_1439:
	s_mov_b64 s[4:5], 0
                                        ; implicit-def: $vgpr11_vgpr12
	s_cbranch_execnz .LBB49_1513
.LBB49_1440:
	s_andn2_b64 vcc, exec, s[4:5]
	s_cbranch_vccnz .LBB49_2136
	s_branch .LBB49_1561
.LBB49_1441:
	s_mov_b64 s[6:7], -1
	s_mov_b64 s[4:5], 0
	s_mov_b64 s[0:1], 0
                                        ; implicit-def: $vgpr11_vgpr12
	s_branch .LBB49_1478
.LBB49_1442:
	s_mov_b64 s[6:7], -1
	s_mov_b64 s[4:5], 0
	s_mov_b64 s[0:1], 0
                                        ; implicit-def: $vgpr11_vgpr12
	s_branch .LBB49_1457
.LBB49_1443:
	s_mov_b64 s[6:7], -1
	s_mov_b64 s[4:5], 0
	s_mov_b64 s[0:1], 0
                                        ; implicit-def: $vgpr11_vgpr12
	s_branch .LBB49_1452
.LBB49_1444:
	s_trap 2
	s_or_b64 s[12:13], s[12:13], exec
	s_cbranch_execz .LBB49_1377
	s_branch .LBB49_1378
.LBB49_1445:
	s_mov_b64 s[6:7], -1
	s_mov_b64 s[4:5], 0
	s_mov_b64 s[0:1], 0
                                        ; implicit-def: $vgpr11_vgpr12
	s_branch .LBB49_1447
.LBB49_1446:
	s_mov_b64 s[0:1], -1
                                        ; implicit-def: $vgpr11_vgpr12
	s_mov_b64 s[4:5], 0
.LBB49_1447:
	s_and_b64 vcc, exec, s[6:7]
	s_cbranch_vccz .LBB49_1451
; %bb.1448:
	s_cmp_eq_u32 s18, 44
	s_cbranch_scc0 .LBB49_1450
; %bb.1449:
	global_load_ubyte v3, v[13:14], off
	s_movk_i32 s4, 0xff
	v_bfrev_b32_e32 v5, 4
	v_mov_b32_e32 v7, 0x7ff80000
	v_bfrev_b32_e32 v12, 28
	s_mov_b64 s[0:1], 0
	s_waitcnt vmcnt(0)
	v_lshlrev_b32_e32 v10, 23, v3
	v_cvt_f64_f32_e32 v[10:11], v10
	v_cmp_ne_u32_e32 vcc, s4, v3
	s_mov_b64 s[4:5], -1
	v_cndmask_b32_e32 v5, v5, v10, vcc
	v_cndmask_b32_e32 v7, v7, v11, vcc
	v_cmp_ne_u32_e32 vcc, 0, v3
	v_cndmask_b32_e32 v12, v12, v7, vcc
	v_cndmask_b32_e32 v11, 0, v5, vcc
	s_branch .LBB49_1451
.LBB49_1450:
	s_mov_b64 s[0:1], -1
                                        ; implicit-def: $vgpr11_vgpr12
.LBB49_1451:
	s_mov_b64 s[6:7], 0
.LBB49_1452:
	s_and_b64 vcc, exec, s[6:7]
	s_cbranch_vccz .LBB49_1456
; %bb.1453:
	s_cmp_eq_u32 s18, 29
	s_cbranch_scc0 .LBB49_1455
; %bb.1454:
	global_load_dwordx2 v[10:11], v[13:14], off
	s_mov_b64 s[0:1], 0
	s_mov_b64 s[4:5], -1
	s_mov_b64 s[6:7], 0
	s_waitcnt vmcnt(0)
	v_cvt_f64_u32_e32 v[11:12], v11
	v_cvt_f64_u32_e32 v[17:18], v10
	v_ldexp_f64 v[11:12], v[11:12], 32
	v_add_f64 v[11:12], v[11:12], v[17:18]
	s_branch .LBB49_1457
.LBB49_1455:
	s_mov_b64 s[0:1], -1
                                        ; implicit-def: $vgpr11_vgpr12
.LBB49_1456:
	s_mov_b64 s[6:7], 0
.LBB49_1457:
	s_and_b64 vcc, exec, s[6:7]
	s_cbranch_vccz .LBB49_1477
; %bb.1458:
	s_cmp_lt_i32 s18, 27
	s_cbranch_scc1 .LBB49_1461
; %bb.1459:
	s_cmp_gt_i32 s18, 27
	s_cbranch_scc0 .LBB49_1462
; %bb.1460:
	global_load_dword v3, v[13:14], off
	s_mov_b64 s[4:5], 0
	s_waitcnt vmcnt(0)
	v_cvt_f64_u32_e32 v[11:12], v3
	s_branch .LBB49_1463
.LBB49_1461:
	s_mov_b64 s[4:5], -1
                                        ; implicit-def: $vgpr11_vgpr12
	s_branch .LBB49_1466
.LBB49_1462:
	s_mov_b64 s[4:5], -1
                                        ; implicit-def: $vgpr11_vgpr12
.LBB49_1463:
	s_andn2_b64 vcc, exec, s[4:5]
	s_cbranch_vccnz .LBB49_1465
; %bb.1464:
	global_load_ushort v3, v[13:14], off
	s_waitcnt vmcnt(0)
	v_cvt_f64_u32_e32 v[11:12], v3
.LBB49_1465:
	s_mov_b64 s[4:5], 0
.LBB49_1466:
	s_andn2_b64 vcc, exec, s[4:5]
	s_cbranch_vccnz .LBB49_1476
; %bb.1467:
	global_load_ubyte v3, v[13:14], off
	s_movk_i32 s4, 0x7f
	s_waitcnt vmcnt(0)
	v_cmp_lt_i16_e32 vcc, s4, v3
	s_mov_b64 s[4:5], 0
	s_and_saveexec_b64 s[6:7], vcc
	s_xor_b64 s[6:7], exec, s[6:7]
	s_cbranch_execz .LBB49_1471
; %bb.1468:
	s_movk_i32 s4, 0x80
	v_cmp_eq_u16_e32 vcc, s4, v3
	s_mov_b64 s[4:5], -1
	s_and_saveexec_b64 s[14:15], vcc
; %bb.1469:
	s_xor_b64 s[4:5], exec, -1
; %bb.1470:
	s_or_b64 exec, exec, s[14:15]
	s_and_b64 s[4:5], s[4:5], exec
.LBB49_1471:
	s_or_saveexec_b64 s[6:7], s[6:7]
	v_bfrev_b32_e32 v11, 4
	v_mov_b32_e32 v12, 0x7ff80000
	s_xor_b64 exec, exec, s[6:7]
; %bb.1472:
	v_cmp_ne_u16_e32 vcc, 0, v3
	v_mov_b32_e32 v11, 0
	s_andn2_b64 s[4:5], s[4:5], exec
	s_and_b64 s[14:15], vcc, exec
	v_mov_b32_e32 v12, 0
	s_or_b64 s[4:5], s[4:5], s[14:15]
; %bb.1473:
	s_or_b64 exec, exec, s[6:7]
	s_and_saveexec_b64 s[6:7], s[4:5]
	s_cbranch_execz .LBB49_1475
; %bb.1474:
	v_lshlrev_b32_e32 v5, 24, v3
	v_and_b32_e32 v3, 0xffff, v3
	v_and_b32_e32 v7, 7, v3
	v_ffbh_u32_e32 v11, v7
	v_min_u32_e32 v11, 32, v11
	v_subrev_u32_e32 v12, 28, v11
	v_bfe_u32 v10, v3, 3, 4
	v_lshlrev_b32_e32 v3, v12, v3
	v_sub_u32_e32 v11, 29, v11
	v_and_b32_e32 v3, 7, v3
	v_cmp_eq_u32_e32 vcc, 0, v10
	v_cndmask_b32_e32 v10, v10, v11, vcc
	v_cndmask_b32_e32 v3, v7, v3, vcc
	v_mov_b32_e32 v7, 0x3b800000
	v_lshlrev_b32_e32 v3, 20, v3
	v_and_b32_e32 v5, 0x80000000, v5
	v_lshl_add_u32 v7, v10, 23, v7
	v_or3_b32 v3, v5, v7, v3
	v_cvt_f64_f32_e32 v[11:12], v3
.LBB49_1475:
	s_or_b64 exec, exec, s[6:7]
.LBB49_1476:
	s_mov_b64 s[4:5], -1
.LBB49_1477:
	s_mov_b64 s[6:7], 0
.LBB49_1478:
	s_and_b64 vcc, exec, s[6:7]
	s_cbranch_vccz .LBB49_1509
; %bb.1479:
	s_cmp_gt_i32 s18, 22
	s_cbranch_scc0 .LBB49_1491
; %bb.1480:
	s_cmp_lt_i32 s18, 24
	s_cbranch_scc1 .LBB49_1492
; %bb.1481:
	s_cmp_gt_i32 s18, 24
	s_cbranch_scc0 .LBB49_1493
; %bb.1482:
	global_load_ubyte v3, v[13:14], off
	s_movk_i32 s2, 0x7f
	s_waitcnt vmcnt(0)
	v_cmp_lt_i16_e32 vcc, s2, v3
	s_mov_b64 s[2:3], 0
	s_and_saveexec_b64 s[4:5], vcc
	s_xor_b64 s[4:5], exec, s[4:5]
	s_cbranch_execz .LBB49_1486
; %bb.1483:
	s_movk_i32 s2, 0x80
	v_cmp_eq_u16_e32 vcc, s2, v3
	s_mov_b64 s[2:3], -1
	s_and_saveexec_b64 s[6:7], vcc
; %bb.1484:
	s_xor_b64 s[2:3], exec, -1
; %bb.1485:
	s_or_b64 exec, exec, s[6:7]
	s_and_b64 s[2:3], s[2:3], exec
.LBB49_1486:
	s_or_saveexec_b64 s[4:5], s[4:5]
	v_bfrev_b32_e32 v11, 4
	v_mov_b32_e32 v12, 0x7ff80000
	s_xor_b64 exec, exec, s[4:5]
; %bb.1487:
	v_cmp_ne_u16_e32 vcc, 0, v3
	v_mov_b32_e32 v11, 0
	s_andn2_b64 s[2:3], s[2:3], exec
	s_and_b64 s[6:7], vcc, exec
	v_mov_b32_e32 v12, 0
	s_or_b64 s[2:3], s[2:3], s[6:7]
; %bb.1488:
	s_or_b64 exec, exec, s[4:5]
	s_and_saveexec_b64 s[4:5], s[2:3]
	s_cbranch_execz .LBB49_1490
; %bb.1489:
	v_lshlrev_b32_e32 v5, 24, v3
	v_and_b32_e32 v3, 0xffff, v3
	v_and_b32_e32 v7, 3, v3
	v_ffbh_u32_e32 v11, v7
	v_min_u32_e32 v11, 32, v11
	v_subrev_u32_e32 v12, 29, v11
	v_bfe_u32 v10, v3, 2, 5
	v_lshlrev_b32_e32 v3, v12, v3
	v_sub_u32_e32 v11, 30, v11
	v_and_b32_e32 v3, 3, v3
	v_cmp_eq_u32_e32 vcc, 0, v10
	v_cndmask_b32_e32 v10, v10, v11, vcc
	v_cndmask_b32_e32 v3, v7, v3, vcc
	v_mov_b32_e32 v7, 0x37800000
	v_lshlrev_b32_e32 v3, 21, v3
	v_and_b32_e32 v5, 0x80000000, v5
	v_lshl_add_u32 v7, v10, 23, v7
	v_or3_b32 v3, v5, v7, v3
	v_cvt_f64_f32_e32 v[11:12], v3
.LBB49_1490:
	s_or_b64 exec, exec, s[4:5]
	s_mov_b64 s[2:3], 0
	s_branch .LBB49_1494
.LBB49_1491:
	s_mov_b64 s[2:3], -1
                                        ; implicit-def: $vgpr11_vgpr12
	s_branch .LBB49_1500
.LBB49_1492:
	s_mov_b64 s[2:3], -1
                                        ; implicit-def: $vgpr11_vgpr12
	s_branch .LBB49_1497
.LBB49_1493:
	s_mov_b64 s[2:3], -1
                                        ; implicit-def: $vgpr11_vgpr12
.LBB49_1494:
	s_and_b64 vcc, exec, s[2:3]
	s_cbranch_vccz .LBB49_1496
; %bb.1495:
	global_load_ubyte v3, v[13:14], off
	s_mov_b32 s2, 0x7f800000
	s_waitcnt vmcnt(0)
	v_lshlrev_b32_e32 v3, 24, v3
	v_and_b32_e32 v5, 0x7f000000, v3
	v_ffbh_u32_e32 v7, v5
	v_min_u32_e32 v7, 32, v7
	v_sub_u32_e64 v7, v7, 4 clamp
	v_lshlrev_b32_e32 v11, v7, v5
	v_lshlrev_b32_e32 v7, 23, v7
	v_lshrrev_b32_e32 v11, 4, v11
	v_add_u32_e32 v10, 0x1000000, v5
	v_sub_u32_e32 v7, v11, v7
	v_ashrrev_i32_e32 v10, 8, v10
	v_add_u32_e32 v7, 0x3c000000, v7
	v_and_or_b32 v7, v10, s2, v7
	v_cmp_ne_u32_e32 vcc, 0, v5
	v_cndmask_b32_e32 v5, 0, v7, vcc
	s_brev_b32 s2, 1
	v_and_or_b32 v3, v3, s2, v5
	v_cvt_f64_f32_e32 v[11:12], v3
.LBB49_1496:
	s_mov_b64 s[2:3], 0
.LBB49_1497:
	s_andn2_b64 vcc, exec, s[2:3]
	s_cbranch_vccnz .LBB49_1499
; %bb.1498:
	global_load_ubyte v3, v[13:14], off
	s_movk_i32 s2, 0x7f00
	s_brev_b32 s3, 16
	s_waitcnt vmcnt(0)
	v_lshlrev_b16_e32 v5, 8, v3
	v_lshlrev_b32_e32 v3, 25, v3
	v_lshrrev_b32_e32 v7, 4, v3
	v_and_or_b32 v10, v5, s2, 0.5
	v_or_b32_e32 v7, 0x70000000, v7
	v_add_f32_e32 v10, -0.5, v10
	v_mul_f32_e32 v7, 0x7800000, v7
	v_cmp_gt_u32_e32 vcc, s3, v3
	v_bfe_i32 v5, v5, 0, 16
	v_cndmask_b32_e32 v3, v7, v10, vcc
	s_brev_b32 s2, 1
	v_and_or_b32 v3, v5, s2, v3
	v_cvt_f64_f32_e32 v[11:12], v3
.LBB49_1499:
	s_mov_b64 s[2:3], 0
	s_mov_b64 s[4:5], -1
.LBB49_1500:
	s_andn2_b64 vcc, exec, s[2:3]
	s_mov_b64 s[2:3], 0
	s_cbranch_vccnz .LBB49_1509
; %bb.1501:
	s_cmp_gt_i32 s18, 14
	s_cbranch_scc0 .LBB49_1504
; %bb.1502:
	s_cmp_eq_u32 s18, 15
	s_cbranch_scc0 .LBB49_1505
; %bb.1503:
	global_load_ushort v3, v[13:14], off
	s_mov_b64 s[0:1], 0
	s_mov_b64 s[4:5], -1
	s_waitcnt vmcnt(0)
	v_lshlrev_b32_e32 v3, 16, v3
	v_cvt_f64_f32_e32 v[11:12], v3
	s_branch .LBB49_1506
.LBB49_1504:
	s_mov_b64 s[6:7], -1
                                        ; implicit-def: $vgpr11_vgpr12
	s_branch .LBB49_1507
.LBB49_1505:
	s_mov_b64 s[0:1], -1
                                        ; implicit-def: $vgpr11_vgpr12
.LBB49_1506:
	s_mov_b64 s[6:7], 0
.LBB49_1507:
	s_and_b64 vcc, exec, s[6:7]
	s_cbranch_vccz .LBB49_1509
; %bb.1508:
	s_cmp_lg_u32 s18, 11
	s_mov_b64 s[2:3], -1
	s_cselect_b64 s[0:1], -1, 0
.LBB49_1509:
	s_and_b64 vcc, exec, s[0:1]
	s_cbranch_vccnz .LBB49_1578
; %bb.1510:
	s_andn2_b64 vcc, exec, s[2:3]
	s_cbranch_vccnz .LBB49_1512
.LBB49_1511:
	global_load_ubyte v3, v[13:14], off
	v_mov_b32_e32 v5, 0x3ff00000
	v_mov_b32_e32 v11, 0
	s_mov_b64 s[4:5], -1
	s_waitcnt vmcnt(0)
	v_cmp_ne_u16_e32 vcc, 0, v3
	v_cndmask_b32_e32 v12, 0, v5, vcc
.LBB49_1512:
	s_branch .LBB49_1440
.LBB49_1513:
	s_and_b32 s2, 0xffff, s17
	s_cmp_lt_i32 s2, 5
	s_cbranch_scc1 .LBB49_1518
; %bb.1514:
	s_cmp_lt_i32 s2, 8
	s_cbranch_scc1 .LBB49_1519
; %bb.1515:
	;; [unrolled: 3-line block ×3, first 2 shown]
	s_cmp_gt_i32 s2, 9
	s_cbranch_scc0 .LBB49_1521
; %bb.1517:
	global_load_dwordx2 v[11:12], v[13:14], off
	s_mov_b64 s[0:1], 0
	s_branch .LBB49_1522
.LBB49_1518:
	s_mov_b64 s[0:1], -1
                                        ; implicit-def: $vgpr11_vgpr12
	s_branch .LBB49_1540
.LBB49_1519:
	s_mov_b64 s[0:1], -1
                                        ; implicit-def: $vgpr11_vgpr12
	s_branch .LBB49_1528
.LBB49_1520:
	s_mov_b64 s[0:1], -1
                                        ; implicit-def: $vgpr11_vgpr12
	s_branch .LBB49_1525
.LBB49_1521:
	s_mov_b64 s[0:1], -1
                                        ; implicit-def: $vgpr11_vgpr12
.LBB49_1522:
	s_andn2_b64 vcc, exec, s[0:1]
	s_cbranch_vccnz .LBB49_1524
; %bb.1523:
	global_load_dword v3, v[13:14], off
	s_waitcnt vmcnt(0)
	v_cvt_f64_f32_e32 v[11:12], v3
.LBB49_1524:
	s_mov_b64 s[0:1], 0
.LBB49_1525:
	s_andn2_b64 vcc, exec, s[0:1]
	s_cbranch_vccnz .LBB49_1527
; %bb.1526:
	global_load_dword v3, v[13:14], off
	s_waitcnt vmcnt(0)
	v_cvt_f32_f16_e32 v3, v3
	v_cvt_f64_f32_e32 v[11:12], v3
.LBB49_1527:
	s_mov_b64 s[0:1], 0
.LBB49_1528:
	s_andn2_b64 vcc, exec, s[0:1]
	s_cbranch_vccnz .LBB49_1539
; %bb.1529:
	s_cmp_lt_i32 s2, 6
	s_cbranch_scc1 .LBB49_1532
; %bb.1530:
	s_cmp_gt_i32 s2, 6
	s_cbranch_scc0 .LBB49_1533
; %bb.1531:
	global_load_dwordx2 v[11:12], v[13:14], off
	s_mov_b64 s[0:1], 0
	s_branch .LBB49_1534
.LBB49_1532:
	s_mov_b64 s[0:1], -1
                                        ; implicit-def: $vgpr11_vgpr12
	s_branch .LBB49_1537
.LBB49_1533:
	s_mov_b64 s[0:1], -1
                                        ; implicit-def: $vgpr11_vgpr12
.LBB49_1534:
	s_andn2_b64 vcc, exec, s[0:1]
	s_cbranch_vccnz .LBB49_1536
; %bb.1535:
	global_load_dword v3, v[13:14], off
	s_waitcnt vmcnt(0)
	v_cvt_f64_f32_e32 v[11:12], v3
.LBB49_1536:
	s_mov_b64 s[0:1], 0
.LBB49_1537:
	s_andn2_b64 vcc, exec, s[0:1]
	s_cbranch_vccnz .LBB49_1539
; %bb.1538:
	global_load_ushort v3, v[13:14], off
	s_waitcnt vmcnt(0)
	v_cvt_f32_f16_e32 v3, v3
	v_cvt_f64_f32_e32 v[11:12], v3
.LBB49_1539:
	s_mov_b64 s[0:1], 0
.LBB49_1540:
	s_andn2_b64 vcc, exec, s[0:1]
	s_cbranch_vccnz .LBB49_1560
; %bb.1541:
	s_cmp_lt_i32 s2, 2
	s_cbranch_scc1 .LBB49_1545
; %bb.1542:
	s_cmp_lt_i32 s2, 3
	s_cbranch_scc1 .LBB49_1546
; %bb.1543:
	s_cmp_gt_i32 s2, 3
	s_cbranch_scc0 .LBB49_1547
; %bb.1544:
	global_load_dwordx2 v[10:11], v[13:14], off
	s_mov_b64 s[0:1], 0
	s_waitcnt vmcnt(0)
	v_cvt_f64_i32_e32 v[11:12], v11
	v_cvt_f64_u32_e32 v[17:18], v10
	v_ldexp_f64 v[11:12], v[11:12], 32
	v_add_f64 v[11:12], v[11:12], v[17:18]
	s_branch .LBB49_1548
.LBB49_1545:
	s_mov_b64 s[0:1], -1
                                        ; implicit-def: $vgpr11_vgpr12
	s_branch .LBB49_1554
.LBB49_1546:
	s_mov_b64 s[0:1], -1
                                        ; implicit-def: $vgpr11_vgpr12
	s_branch .LBB49_1551
.LBB49_1547:
	s_mov_b64 s[0:1], -1
                                        ; implicit-def: $vgpr11_vgpr12
.LBB49_1548:
	s_andn2_b64 vcc, exec, s[0:1]
	s_cbranch_vccnz .LBB49_1550
; %bb.1549:
	global_load_dword v3, v[13:14], off
	s_waitcnt vmcnt(0)
	v_cvt_f64_i32_e32 v[11:12], v3
.LBB49_1550:
	s_mov_b64 s[0:1], 0
.LBB49_1551:
	s_andn2_b64 vcc, exec, s[0:1]
	s_cbranch_vccnz .LBB49_1553
; %bb.1552:
	global_load_sshort v3, v[13:14], off
	s_waitcnt vmcnt(0)
	v_cvt_f64_i32_e32 v[11:12], v3
.LBB49_1553:
	s_mov_b64 s[0:1], 0
.LBB49_1554:
	s_andn2_b64 vcc, exec, s[0:1]
	s_cbranch_vccnz .LBB49_1560
; %bb.1555:
	s_cmp_gt_i32 s2, 0
	s_cbranch_scc0 .LBB49_1557
; %bb.1556:
	global_load_sbyte v3, v[13:14], off
	s_mov_b64 s[0:1], 0
	s_waitcnt vmcnt(0)
	v_cvt_f64_i32_e32 v[11:12], v3
	s_branch .LBB49_1558
.LBB49_1557:
	s_mov_b64 s[0:1], -1
                                        ; implicit-def: $vgpr11_vgpr12
.LBB49_1558:
	s_andn2_b64 vcc, exec, s[0:1]
	s_cbranch_vccnz .LBB49_1560
; %bb.1559:
	global_load_ubyte v3, v[13:14], off
	s_waitcnt vmcnt(0)
	v_cvt_f64_u32_e32 v[11:12], v3
.LBB49_1560:
.LBB49_1561:
	s_waitcnt vmcnt(0)
	v_cmp_gt_f64_e32 vcc, 0.5, v[11:12]
	v_mov_b32_e32 v23, 0
	v_mov_b32_e32 v13, 0
	;; [unrolled: 1-line block ×4, first 2 shown]
	s_and_saveexec_b64 s[2:3], vcc
	s_cbranch_execz .LBB49_1567
; %bb.1562:
	s_mov_b32 s1, 0x400921fb
	s_mov_b32 s0, 0x54442d18
	v_mul_f64 v[13:14], v[11:12], s[0:1]
	s_mov_b32 s4, 0
	s_mov_b32 s5, 0x41d00000
                                        ; implicit-def: $vgpr3
                                        ; implicit-def: $vgpr17_vgpr18
                                        ; implicit-def: $vgpr19_vgpr20
	v_cmp_nlt_f64_e64 s[4:5], |v[13:14]|, s[4:5]
	s_and_saveexec_b64 s[6:7], s[4:5]
	s_xor_b64 s[4:5], exec, s[6:7]
	s_cbranch_execz .LBB49_1564
; %bb.1563:
	v_trig_preop_f64 v[17:18], |v[13:14]|, 0
	s_mov_b32 s6, 0
	s_mov_b32 s7, 0x7b000000
	s_movk_i32 s1, 0xff80
	v_ldexp_f64 v[19:20], |v[13:14]|, s1
	v_cmp_ge_f64_e64 vcc, |v[13:14]|, s[6:7]
	v_trig_preop_f64 v[23:24], |v[13:14]|, 1
	v_and_b32_e32 v3, 0x7fffffff, v14
	v_trig_preop_f64 v[37:38], |v[13:14]|, 2
	s_mov_b32 s6, 0
	s_mov_b32 s7, 0x7ff00000
	v_mov_b32_e32 v47, 0
	v_mov_b32_e32 v5, 0x3ff00000
	v_cndmask_b32_e32 v20, v3, v20, vcc
	v_cndmask_b32_e32 v19, v13, v19, vcc
	v_mov_b32_e32 v3, 0x40100000
	v_mul_f64 v[31:32], v[17:18], v[19:20]
	s_mov_b32 s1, 0x3ff921fb
	v_mul_f64 v[33:34], v[23:24], v[19:20]
	v_mul_f64 v[43:44], v[37:38], v[19:20]
	v_fma_f64 v[17:18], v[17:18], v[19:20], -v[31:32]
	v_fma_f64 v[23:24], v[23:24], v[19:20], -v[33:34]
	;; [unrolled: 1-line block ×3, first 2 shown]
	v_add_f64 v[35:36], v[33:34], v[17:18]
	v_add_f64 v[39:40], v[35:36], -v[33:34]
	v_add_f64 v[45:46], v[31:32], v[35:36]
	v_add_f64 v[41:42], v[35:36], -v[39:40]
	v_add_f64 v[17:18], v[17:18], -v[39:40]
	v_add_f64 v[39:40], v[43:44], v[23:24]
	v_add_f64 v[31:32], v[45:46], -v[31:32]
	v_add_f64 v[33:34], v[33:34], -v[41:42]
	v_ldexp_f64 v[41:42], v[45:46], -2
	v_add_f64 v[31:32], v[35:36], -v[31:32]
	v_add_f64 v[17:18], v[17:18], v[33:34]
	v_fract_f64_e32 v[33:34], v[41:42]
	v_cmp_neq_f64_e64 vcc, |v[41:42]|, s[6:7]
	s_mov_b32 s6, 0x33145c07
	s_mov_b32 s7, 0x3c91a626
	v_add_f64 v[35:36], v[39:40], v[17:18]
	v_ldexp_f64 v[33:34], v[33:34], 2
	v_add_f64 v[41:42], v[31:32], v[35:36]
	v_cndmask_b32_e32 v34, 0, v34, vcc
	v_cndmask_b32_e32 v33, 0, v33, vcc
	v_add_f64 v[49:50], v[35:36], -v[39:40]
	v_add_f64 v[45:46], v[41:42], v[33:34]
	v_add_f64 v[31:32], v[41:42], -v[31:32]
	v_add_f64 v[53:54], v[35:36], -v[49:50]
	v_add_f64 v[17:18], v[17:18], -v[49:50]
	v_cmp_gt_f64_e32 vcc, 0, v[45:46]
	v_add_f64 v[45:46], v[39:40], -v[43:44]
	v_add_f64 v[31:32], v[35:36], -v[31:32]
	v_cndmask_b32_e32 v48, 0, v3, vcc
	v_add_f64 v[33:34], v[33:34], v[47:48]
	v_add_f64 v[51:52], v[39:40], -v[45:46]
	v_add_f64 v[23:24], v[23:24], -v[45:46]
	;; [unrolled: 1-line block ×3, first 2 shown]
	v_add_f64 v[55:56], v[41:42], v[33:34]
	v_add_f64 v[45:46], v[43:44], -v[51:52]
	v_add_f64 v[17:18], v[17:18], v[39:40]
	v_cvt_i32_f64_e32 v3, v[55:56]
	v_add_f64 v[23:24], v[23:24], v[45:46]
	v_cvt_f64_i32_e32 v[48:49], v3
	v_add_f64 v[33:34], v[33:34], -v[48:49]
	v_add_f64 v[17:18], v[23:24], v[17:18]
	v_add_f64 v[23:24], v[41:42], v[33:34]
	;; [unrolled: 1-line block ×3, first 2 shown]
	v_add_f64 v[19:20], v[23:24], -v[33:34]
	v_cmp_le_f64_e32 vcc, 0.5, v[23:24]
	v_add_f64 v[17:18], v[31:32], v[17:18]
	v_add_f64 v[19:20], v[41:42], -v[19:20]
	v_cndmask_b32_e32 v48, 0, v5, vcc
	v_addc_co_u32_e32 v3, vcc, 0, v3, vcc
	v_add_f64 v[17:18], v[17:18], v[19:20]
	v_add_f64 v[19:20], v[23:24], -v[47:48]
	v_add_f64 v[23:24], v[19:20], v[17:18]
	v_mul_f64 v[31:32], v[23:24], s[0:1]
	v_add_f64 v[19:20], v[23:24], -v[19:20]
	v_fma_f64 v[33:34], v[23:24], s[0:1], -v[31:32]
	v_add_f64 v[17:18], v[17:18], -v[19:20]
	v_fma_f64 v[19:20], v[23:24], s[6:7], v[33:34]
	v_fma_f64 v[19:20], v[17:18], s[0:1], v[19:20]
	v_add_f64 v[17:18], v[31:32], v[19:20]
	v_add_f64 v[23:24], v[17:18], -v[31:32]
	v_add_f64 v[19:20], v[19:20], -v[23:24]
.LBB49_1564:
	s_andn2_saveexec_b64 s[0:1], s[4:5]
	s_cbranch_execz .LBB49_1566
; %bb.1565:
	s_mov_b32 s4, 0x6dc9c883
	s_mov_b32 s5, 0x3fe45f30
	v_mul_f64 v[17:18], |v[13:14]|, s[4:5]
	s_mov_b32 s4, 0x54442d18
	s_mov_b32 s5, 0xbff921fb
	;; [unrolled: 1-line block ×4, first 2 shown]
	v_rndne_f64_e32 v[23:24], v[17:18]
	v_fma_f64 v[17:18], v[23:24], s[4:5], |v[13:14]|
	v_mul_f64 v[19:20], v[23:24], s[6:7]
	s_mov_b32 s4, 0x252049c0
	s_mov_b32 s5, 0xb97b839a
	v_cvt_i32_f64_e32 v3, v[23:24]
	v_fma_f64 v[35:36], v[23:24], s[6:7], v[17:18]
	v_add_f64 v[31:32], v[17:18], v[19:20]
	s_mov_b32 s7, 0x3c91a626
	v_add_f64 v[33:34], v[17:18], -v[31:32]
	v_add_f64 v[31:32], v[31:32], -v[35:36]
	v_add_f64 v[17:18], v[33:34], v[19:20]
	v_fma_f64 v[19:20], v[23:24], s[6:7], v[19:20]
	v_add_f64 v[17:18], v[31:32], v[17:18]
	v_add_f64 v[17:18], v[17:18], -v[19:20]
	v_fma_f64 v[19:20], v[23:24], s[4:5], v[17:18]
	v_add_f64 v[17:18], v[35:36], v[19:20]
	v_add_f64 v[31:32], v[17:18], -v[35:36]
	v_add_f64 v[19:20], v[19:20], -v[31:32]
.LBB49_1566:
	s_or_b64 exec, exec, s[0:1]
	v_mul_f64 v[23:24], v[17:18], v[17:18]
	s_mov_b32 s0, 0xf9a43bb8
	v_mov_b32_e32 v32, 0xb42fdfa7
	v_mov_b32_e32 v33, 0xbe5ae600
	s_mov_b32 s1, 0x3de5e0b2
	s_mov_b32 s4, 0x796cde01
	v_mov_b32_e32 v31, 0x9037ab78
	s_mov_b32 s5, 0x3ec71de3
	v_fma_f64 v[33:34], v[23:24], s[0:1], v[32:33]
	s_mov_b32 s0, 0x46cc5e42
	v_mov_b32_e32 v32, 0x3e21eeb6
	s_mov_b32 s1, 0xbda907db
	v_fma_f64 v[31:32], v[23:24], s[0:1], v[31:32]
	v_mul_f64 v[35:36], v[23:24], 0.5
	s_mov_b32 s0, 0xa17f65f6
	s_mov_b32 s6, 0x19e83e5c
	v_fma_f64 v[33:34], v[23:24], v[33:34], s[4:5]
	s_mov_b32 s1, 0xbe927e4f
	s_mov_b32 s7, 0xbf2a01a0
	;; [unrolled: 1-line block ×3, first 2 shown]
	v_fma_f64 v[31:32], v[23:24], v[31:32], s[0:1]
	v_add_f64 v[37:38], -v[35:36], 1.0
	s_mov_b32 s0, 0x11110bb3
	s_mov_b32 s5, 0x3efa01a0
	v_fma_f64 v[33:34], v[23:24], v[33:34], s[6:7]
	s_mov_b32 s1, 0x3f811111
	v_mul_f64 v[39:40], v[19:20], 0.5
	v_mul_f64 v[41:42], v[17:18], -v[23:24]
	v_fma_f64 v[31:32], v[23:24], v[31:32], s[4:5]
	v_add_f64 v[43:44], -v[37:38], 1.0
	v_and_b32_e32 v5, 1, v3
	v_lshlrev_b32_e32 v3, 30, v3
	v_fma_f64 v[33:34], v[23:24], v[33:34], s[0:1]
	s_mov_b32 s0, 0x16c16967
	s_mov_b32 s1, 0xbf56c16c
	v_cmp_eq_u32_e32 vcc, 0, v5
	v_fma_f64 v[31:32], v[23:24], v[31:32], s[0:1]
	v_add_f64 v[35:36], v[43:44], -v[35:36]
	s_mov_b32 s1, 0x3fa55555
	s_mov_b32 s0, 0x55555555
	v_fma_f64 v[33:34], v[41:42], v[33:34], v[39:40]
	v_mul_f64 v[39:40], v[23:24], v[23:24]
	v_xor_b32_e32 v3, v3, v14
	v_and_b32_e32 v3, 0x80000000, v3
	v_fma_f64 v[31:32], v[23:24], v[31:32], s[0:1]
	v_fma_f64 v[35:36], v[17:18], -v[19:20], v[35:36]
	s_mov_b32 s1, 0xbfc55555
	v_mov_b32_e32 v7, 0x7ff80000
	v_fma_f64 v[19:20], v[23:24], v[33:34], -v[19:20]
	v_add_f64 v[11:12], -v[11:12], 1.0
	v_fma_f64 v[23:24], v[39:40], v[31:32], v[35:36]
	v_fma_f64 v[19:20], v[41:42], s[0:1], v[19:20]
	s_movk_i32 s0, 0x1f8
	v_cmp_class_f64_e64 s[0:1], v[13:14], s0
	v_add_f64 v[23:24], v[37:38], v[23:24]
	v_add_f64 v[17:18], v[17:18], -v[19:20]
	v_cndmask_b32_e32 v10, v24, v18, vcc
	v_cndmask_b32_e32 v5, v23, v17, vcc
	v_xor_b32_e32 v3, v10, v3
	v_cndmask_b32_e64 v13, 0, v5, s[0:1]
	v_cndmask_b32_e64 v14, v7, v3, s[0:1]
	v_mul_f64 v[13:14], v[13:14], v[13:14]
	s_mov_b32 s0, 0xc9be45de
	s_mov_b32 s1, 0xc023bd3c
	v_div_scale_f64 v[17:18], s[4:5], v[13:14], v[13:14], s[0:1]
	v_rcp_f64_e32 v[19:20], v[17:18]
	v_fma_f64 v[23:24], -v[17:18], v[19:20], 1.0
	v_fma_f64 v[19:20], v[19:20], v[23:24], v[19:20]
	v_div_scale_f64 v[23:24], vcc, s[0:1], v[13:14], s[0:1]
	v_fma_f64 v[31:32], -v[17:18], v[19:20], 1.0
	v_fma_f64 v[19:20], v[19:20], v[31:32], v[19:20]
	v_mul_f64 v[31:32], v[23:24], v[19:20]
	v_fma_f64 v[17:18], -v[17:18], v[31:32], v[23:24]
	v_div_fmas_f64 v[17:18], v[17:18], v[19:20], v[31:32]
	v_div_fixup_f64 v[13:14], v[17:18], v[13:14], s[0:1]
	v_add_f64 v[23:24], v[13:14], 0
	v_mov_b32_e32 v13, 0
	v_mov_b32_e32 v14, 0xbff00000
.LBB49_1567:
	s_or_b64 exec, exec, s[2:3]
	v_mov_b32_e32 v3, s11
	v_add_co_u32_e32 v17, vcc, s10, v9
	s_cmp_lt_i32 s17, 11
	v_addc_co_u32_e32 v18, vcc, 0, v3, vcc
	s_cbranch_scc1 .LBB49_1574
; %bb.1568:
	s_and_b32 s14, 0xffff, s17
	s_cmp_gt_i32 s14, 25
	s_mov_b64 s[2:3], 0
	s_cbranch_scc0 .LBB49_1575
; %bb.1569:
	s_cmp_gt_i32 s14, 28
	s_cbranch_scc0 .LBB49_1576
; %bb.1570:
	s_cmp_gt_i32 s14, 43
	;; [unrolled: 3-line block ×3, first 2 shown]
	s_cbranch_scc0 .LBB49_1579
; %bb.1572:
	s_cmp_eq_u32 s14, 46
	s_mov_b64 s[6:7], 0
	s_cbranch_scc0 .LBB49_1580
; %bb.1573:
	global_load_dword v3, v[17:18], off
	s_mov_b64 s[0:1], 0
	s_mov_b64 s[4:5], -1
	s_waitcnt vmcnt(0)
	v_lshlrev_b32_e32 v3, 16, v3
	v_cvt_f64_f32_e32 v[9:10], v3
	s_branch .LBB49_1581
.LBB49_1574:
	s_mov_b64 s[0:1], -1
	s_mov_b64 s[4:5], 0
                                        ; implicit-def: $vgpr9_vgpr10
	s_branch .LBB49_1647
.LBB49_1575:
	s_mov_b64 s[6:7], -1
	s_mov_b64 s[4:5], 0
	s_mov_b64 s[0:1], 0
                                        ; implicit-def: $vgpr9_vgpr10
	s_branch .LBB49_1612
.LBB49_1576:
	s_mov_b64 s[6:7], -1
	s_mov_b64 s[4:5], 0
	s_mov_b64 s[0:1], 0
                                        ; implicit-def: $vgpr9_vgpr10
	s_branch .LBB49_1591
.LBB49_1577:
	s_mov_b64 s[6:7], -1
	s_mov_b64 s[4:5], 0
	s_mov_b64 s[0:1], 0
                                        ; implicit-def: $vgpr9_vgpr10
	s_branch .LBB49_1586
.LBB49_1578:
	s_trap 2
	s_or_b64 s[12:13], s[12:13], exec
	s_cbranch_execz .LBB49_1511
	s_branch .LBB49_1512
.LBB49_1579:
	s_mov_b64 s[6:7], -1
	s_mov_b64 s[4:5], 0
	s_mov_b64 s[0:1], 0
                                        ; implicit-def: $vgpr9_vgpr10
	s_branch .LBB49_1581
.LBB49_1580:
	s_mov_b64 s[0:1], -1
                                        ; implicit-def: $vgpr9_vgpr10
	s_mov_b64 s[4:5], 0
.LBB49_1581:
	s_and_b64 vcc, exec, s[6:7]
	s_cbranch_vccz .LBB49_1585
; %bb.1582:
	s_cmp_eq_u32 s14, 44
	s_cbranch_scc0 .LBB49_1584
; %bb.1583:
	global_load_ubyte v3, v[17:18], off
	s_movk_i32 s4, 0xff
	v_bfrev_b32_e32 v5, 4
	v_mov_b32_e32 v7, 0x7ff80000
	v_bfrev_b32_e32 v19, 28
	s_mov_b64 s[0:1], 0
	s_waitcnt vmcnt(0)
	v_lshlrev_b32_e32 v9, 23, v3
	v_cvt_f64_f32_e32 v[9:10], v9
	v_cmp_ne_u32_e32 vcc, s4, v3
	s_mov_b64 s[4:5], -1
	v_cndmask_b32_e32 v5, v5, v9, vcc
	v_cndmask_b32_e32 v7, v7, v10, vcc
	v_cmp_ne_u32_e32 vcc, 0, v3
	v_cndmask_b32_e32 v10, v19, v7, vcc
	v_cndmask_b32_e32 v9, 0, v5, vcc
	s_branch .LBB49_1585
.LBB49_1584:
	s_mov_b64 s[0:1], -1
                                        ; implicit-def: $vgpr9_vgpr10
.LBB49_1585:
	s_mov_b64 s[6:7], 0
.LBB49_1586:
	s_and_b64 vcc, exec, s[6:7]
	s_cbranch_vccz .LBB49_1590
; %bb.1587:
	s_cmp_eq_u32 s14, 29
	s_cbranch_scc0 .LBB49_1589
; %bb.1588:
	global_load_dwordx2 v[9:10], v[17:18], off
	s_mov_b64 s[0:1], 0
	s_mov_b64 s[4:5], -1
	s_mov_b64 s[6:7], 0
	s_waitcnt vmcnt(0)
	v_cvt_f64_u32_e32 v[19:20], v10
	v_cvt_f64_u32_e32 v[9:10], v9
	v_ldexp_f64 v[19:20], v[19:20], 32
	v_add_f64 v[9:10], v[19:20], v[9:10]
	s_branch .LBB49_1591
.LBB49_1589:
	s_mov_b64 s[0:1], -1
                                        ; implicit-def: $vgpr9_vgpr10
.LBB49_1590:
	s_mov_b64 s[6:7], 0
.LBB49_1591:
	s_and_b64 vcc, exec, s[6:7]
	s_cbranch_vccz .LBB49_1611
; %bb.1592:
	s_cmp_lt_i32 s14, 27
	s_cbranch_scc1 .LBB49_1595
; %bb.1593:
	s_cmp_gt_i32 s14, 27
	s_cbranch_scc0 .LBB49_1596
; %bb.1594:
	global_load_dword v3, v[17:18], off
	s_mov_b64 s[4:5], 0
	s_waitcnt vmcnt(0)
	v_cvt_f64_u32_e32 v[9:10], v3
	s_branch .LBB49_1597
.LBB49_1595:
	s_mov_b64 s[4:5], -1
                                        ; implicit-def: $vgpr9_vgpr10
	s_branch .LBB49_1600
.LBB49_1596:
	s_mov_b64 s[4:5], -1
                                        ; implicit-def: $vgpr9_vgpr10
.LBB49_1597:
	s_andn2_b64 vcc, exec, s[4:5]
	s_cbranch_vccnz .LBB49_1599
; %bb.1598:
	global_load_ushort v3, v[17:18], off
	s_waitcnt vmcnt(0)
	v_cvt_f64_u32_e32 v[9:10], v3
.LBB49_1599:
	s_mov_b64 s[4:5], 0
.LBB49_1600:
	s_andn2_b64 vcc, exec, s[4:5]
	s_cbranch_vccnz .LBB49_1610
; %bb.1601:
	global_load_ubyte v3, v[17:18], off
	s_movk_i32 s4, 0x7f
	s_waitcnt vmcnt(0)
	v_cmp_lt_i16_e32 vcc, s4, v3
	s_mov_b64 s[4:5], 0
	s_and_saveexec_b64 s[6:7], vcc
	s_xor_b64 s[6:7], exec, s[6:7]
	s_cbranch_execz .LBB49_1605
; %bb.1602:
	s_movk_i32 s4, 0x80
	v_cmp_eq_u16_e32 vcc, s4, v3
	s_mov_b64 s[4:5], -1
	s_and_saveexec_b64 s[10:11], vcc
; %bb.1603:
	s_xor_b64 s[4:5], exec, -1
; %bb.1604:
	s_or_b64 exec, exec, s[10:11]
	s_and_b64 s[4:5], s[4:5], exec
.LBB49_1605:
	s_or_saveexec_b64 s[6:7], s[6:7]
	v_bfrev_b32_e32 v9, 4
	v_mov_b32_e32 v10, 0x7ff80000
	s_xor_b64 exec, exec, s[6:7]
; %bb.1606:
	v_cmp_ne_u16_e32 vcc, 0, v3
	v_mov_b32_e32 v9, 0
	s_andn2_b64 s[4:5], s[4:5], exec
	s_and_b64 s[10:11], vcc, exec
	v_mov_b32_e32 v10, 0
	s_or_b64 s[4:5], s[4:5], s[10:11]
; %bb.1607:
	s_or_b64 exec, exec, s[6:7]
	s_and_saveexec_b64 s[6:7], s[4:5]
	s_cbranch_execz .LBB49_1609
; %bb.1608:
	v_lshlrev_b32_e32 v5, 24, v3
	v_and_b32_e32 v3, 0xffff, v3
	v_and_b32_e32 v7, 7, v3
	v_ffbh_u32_e32 v10, v7
	v_min_u32_e32 v10, 32, v10
	v_subrev_u32_e32 v19, 28, v10
	v_bfe_u32 v9, v3, 3, 4
	v_lshlrev_b32_e32 v3, v19, v3
	v_sub_u32_e32 v10, 29, v10
	v_and_b32_e32 v3, 7, v3
	v_cmp_eq_u32_e32 vcc, 0, v9
	v_cndmask_b32_e32 v9, v9, v10, vcc
	v_cndmask_b32_e32 v3, v7, v3, vcc
	v_mov_b32_e32 v7, 0x3b800000
	v_lshlrev_b32_e32 v3, 20, v3
	v_and_b32_e32 v5, 0x80000000, v5
	v_lshl_add_u32 v7, v9, 23, v7
	v_or3_b32 v3, v5, v7, v3
	v_cvt_f64_f32_e32 v[9:10], v3
.LBB49_1609:
	s_or_b64 exec, exec, s[6:7]
.LBB49_1610:
	s_mov_b64 s[4:5], -1
.LBB49_1611:
	s_mov_b64 s[6:7], 0
.LBB49_1612:
	s_and_b64 vcc, exec, s[6:7]
	s_cbranch_vccz .LBB49_1643
; %bb.1613:
	s_cmp_gt_i32 s14, 22
	s_cbranch_scc0 .LBB49_1625
; %bb.1614:
	s_cmp_lt_i32 s14, 24
	s_cbranch_scc1 .LBB49_1626
; %bb.1615:
	s_cmp_gt_i32 s14, 24
	s_cbranch_scc0 .LBB49_1627
; %bb.1616:
	global_load_ubyte v3, v[17:18], off
	s_movk_i32 s2, 0x7f
	s_waitcnt vmcnt(0)
	v_cmp_lt_i16_e32 vcc, s2, v3
	s_mov_b64 s[2:3], 0
	s_and_saveexec_b64 s[4:5], vcc
	s_xor_b64 s[4:5], exec, s[4:5]
	s_cbranch_execz .LBB49_1620
; %bb.1617:
	s_movk_i32 s2, 0x80
	v_cmp_eq_u16_e32 vcc, s2, v3
	s_mov_b64 s[2:3], -1
	s_and_saveexec_b64 s[6:7], vcc
; %bb.1618:
	s_xor_b64 s[2:3], exec, -1
; %bb.1619:
	s_or_b64 exec, exec, s[6:7]
	s_and_b64 s[2:3], s[2:3], exec
.LBB49_1620:
	s_or_saveexec_b64 s[4:5], s[4:5]
	v_bfrev_b32_e32 v9, 4
	v_mov_b32_e32 v10, 0x7ff80000
	s_xor_b64 exec, exec, s[4:5]
; %bb.1621:
	v_cmp_ne_u16_e32 vcc, 0, v3
	v_mov_b32_e32 v9, 0
	s_andn2_b64 s[2:3], s[2:3], exec
	s_and_b64 s[6:7], vcc, exec
	v_mov_b32_e32 v10, 0
	s_or_b64 s[2:3], s[2:3], s[6:7]
; %bb.1622:
	s_or_b64 exec, exec, s[4:5]
	s_and_saveexec_b64 s[4:5], s[2:3]
	s_cbranch_execz .LBB49_1624
; %bb.1623:
	v_lshlrev_b32_e32 v5, 24, v3
	v_and_b32_e32 v3, 0xffff, v3
	v_and_b32_e32 v7, 3, v3
	v_ffbh_u32_e32 v10, v7
	v_min_u32_e32 v10, 32, v10
	v_subrev_u32_e32 v19, 29, v10
	v_bfe_u32 v9, v3, 2, 5
	v_lshlrev_b32_e32 v3, v19, v3
	v_sub_u32_e32 v10, 30, v10
	v_and_b32_e32 v3, 3, v3
	v_cmp_eq_u32_e32 vcc, 0, v9
	v_cndmask_b32_e32 v9, v9, v10, vcc
	v_cndmask_b32_e32 v3, v7, v3, vcc
	v_mov_b32_e32 v7, 0x37800000
	v_lshlrev_b32_e32 v3, 21, v3
	v_and_b32_e32 v5, 0x80000000, v5
	v_lshl_add_u32 v7, v9, 23, v7
	v_or3_b32 v3, v5, v7, v3
	v_cvt_f64_f32_e32 v[9:10], v3
.LBB49_1624:
	s_or_b64 exec, exec, s[4:5]
	s_mov_b64 s[2:3], 0
	s_branch .LBB49_1628
.LBB49_1625:
	s_mov_b64 s[2:3], -1
                                        ; implicit-def: $vgpr9_vgpr10
	s_branch .LBB49_1634
.LBB49_1626:
	s_mov_b64 s[2:3], -1
                                        ; implicit-def: $vgpr9_vgpr10
	s_branch .LBB49_1631
.LBB49_1627:
	s_mov_b64 s[2:3], -1
                                        ; implicit-def: $vgpr9_vgpr10
.LBB49_1628:
	s_and_b64 vcc, exec, s[2:3]
	s_cbranch_vccz .LBB49_1630
; %bb.1629:
	global_load_ubyte v3, v[17:18], off
	s_mov_b32 s2, 0x7f800000
	s_waitcnt vmcnt(0)
	v_lshlrev_b32_e32 v3, 24, v3
	v_and_b32_e32 v5, 0x7f000000, v3
	v_ffbh_u32_e32 v7, v5
	v_min_u32_e32 v7, 32, v7
	v_sub_u32_e64 v7, v7, 4 clamp
	v_lshlrev_b32_e32 v10, v7, v5
	v_lshlrev_b32_e32 v7, 23, v7
	v_lshrrev_b32_e32 v10, 4, v10
	v_add_u32_e32 v9, 0x1000000, v5
	v_sub_u32_e32 v7, v10, v7
	v_ashrrev_i32_e32 v9, 8, v9
	v_add_u32_e32 v7, 0x3c000000, v7
	v_and_or_b32 v7, v9, s2, v7
	v_cmp_ne_u32_e32 vcc, 0, v5
	v_cndmask_b32_e32 v5, 0, v7, vcc
	s_brev_b32 s2, 1
	v_and_or_b32 v3, v3, s2, v5
	v_cvt_f64_f32_e32 v[9:10], v3
.LBB49_1630:
	s_mov_b64 s[2:3], 0
.LBB49_1631:
	s_andn2_b64 vcc, exec, s[2:3]
	s_cbranch_vccnz .LBB49_1633
; %bb.1632:
	global_load_ubyte v3, v[17:18], off
	s_movk_i32 s2, 0x7f00
	s_brev_b32 s3, 16
	s_waitcnt vmcnt(0)
	v_lshlrev_b16_e32 v5, 8, v3
	v_lshlrev_b32_e32 v3, 25, v3
	v_lshrrev_b32_e32 v7, 4, v3
	v_and_or_b32 v9, v5, s2, 0.5
	v_or_b32_e32 v7, 0x70000000, v7
	v_add_f32_e32 v9, -0.5, v9
	v_mul_f32_e32 v7, 0x7800000, v7
	v_cmp_gt_u32_e32 vcc, s3, v3
	v_bfe_i32 v5, v5, 0, 16
	v_cndmask_b32_e32 v3, v7, v9, vcc
	s_brev_b32 s2, 1
	v_and_or_b32 v3, v5, s2, v3
	v_cvt_f64_f32_e32 v[9:10], v3
.LBB49_1633:
	s_mov_b64 s[2:3], 0
	s_mov_b64 s[4:5], -1
.LBB49_1634:
	s_andn2_b64 vcc, exec, s[2:3]
	s_mov_b64 s[2:3], 0
	s_cbranch_vccnz .LBB49_1643
; %bb.1635:
	s_cmp_gt_i32 s14, 14
	s_cbranch_scc0 .LBB49_1638
; %bb.1636:
	s_cmp_eq_u32 s14, 15
	s_cbranch_scc0 .LBB49_1639
; %bb.1637:
	global_load_ushort v3, v[17:18], off
	s_mov_b64 s[0:1], 0
	s_mov_b64 s[4:5], -1
	s_waitcnt vmcnt(0)
	v_lshlrev_b32_e32 v3, 16, v3
	v_cvt_f64_f32_e32 v[9:10], v3
	s_branch .LBB49_1640
.LBB49_1638:
	s_mov_b64 s[6:7], -1
                                        ; implicit-def: $vgpr9_vgpr10
	s_branch .LBB49_1641
.LBB49_1639:
	s_mov_b64 s[0:1], -1
                                        ; implicit-def: $vgpr9_vgpr10
.LBB49_1640:
	s_mov_b64 s[6:7], 0
.LBB49_1641:
	s_and_b64 vcc, exec, s[6:7]
	s_cbranch_vccz .LBB49_1643
; %bb.1642:
	s_cmp_lg_u32 s14, 11
	s_mov_b64 s[2:3], -1
	s_cselect_b64 s[0:1], -1, 0
.LBB49_1643:
	s_and_b64 vcc, exec, s[0:1]
	s_cbranch_vccnz .LBB49_2182
; %bb.1644:
	s_andn2_b64 vcc, exec, s[2:3]
	s_cbranch_vccnz .LBB49_1646
.LBB49_1645:
	global_load_ubyte v3, v[17:18], off
	v_mov_b32_e32 v5, 0x3ff00000
	v_mov_b32_e32 v9, 0
	s_mov_b64 s[4:5], -1
	s_waitcnt vmcnt(0)
	v_cmp_ne_u16_e32 vcc, 0, v3
	v_cndmask_b32_e32 v10, 0, v5, vcc
.LBB49_1646:
	s_mov_b64 s[0:1], 0
.LBB49_1647:
	s_and_b64 vcc, exec, s[0:1]
	s_cbranch_vccz .LBB49_1696
; %bb.1648:
	s_and_b32 s2, 0xffff, s17
	s_cmp_lt_i32 s2, 5
	s_cbranch_scc1 .LBB49_1653
; %bb.1649:
	s_cmp_lt_i32 s2, 8
	s_cbranch_scc1 .LBB49_1654
; %bb.1650:
	;; [unrolled: 3-line block ×3, first 2 shown]
	s_cmp_gt_i32 s2, 9
	s_cbranch_scc0 .LBB49_1656
; %bb.1652:
	global_load_dwordx2 v[9:10], v[17:18], off
	s_mov_b64 s[0:1], 0
	s_branch .LBB49_1657
.LBB49_1653:
	s_mov_b64 s[0:1], -1
                                        ; implicit-def: $vgpr9_vgpr10
	s_branch .LBB49_1675
.LBB49_1654:
	s_mov_b64 s[0:1], -1
                                        ; implicit-def: $vgpr9_vgpr10
	s_branch .LBB49_1663
.LBB49_1655:
	s_mov_b64 s[0:1], -1
                                        ; implicit-def: $vgpr9_vgpr10
	s_branch .LBB49_1660
.LBB49_1656:
	s_mov_b64 s[0:1], -1
                                        ; implicit-def: $vgpr9_vgpr10
.LBB49_1657:
	s_andn2_b64 vcc, exec, s[0:1]
	s_cbranch_vccnz .LBB49_1659
; %bb.1658:
	global_load_dword v3, v[17:18], off
	s_waitcnt vmcnt(0)
	v_cvt_f64_f32_e32 v[9:10], v3
.LBB49_1659:
	s_mov_b64 s[0:1], 0
.LBB49_1660:
	s_andn2_b64 vcc, exec, s[0:1]
	s_cbranch_vccnz .LBB49_1662
; %bb.1661:
	global_load_dword v3, v[17:18], off
	s_waitcnt vmcnt(0)
	v_cvt_f32_f16_e32 v3, v3
	v_cvt_f64_f32_e32 v[9:10], v3
.LBB49_1662:
	s_mov_b64 s[0:1], 0
.LBB49_1663:
	s_andn2_b64 vcc, exec, s[0:1]
	s_cbranch_vccnz .LBB49_1674
; %bb.1664:
	s_cmp_lt_i32 s2, 6
	s_cbranch_scc1 .LBB49_1667
; %bb.1665:
	s_cmp_gt_i32 s2, 6
	s_cbranch_scc0 .LBB49_1668
; %bb.1666:
	global_load_dwordx2 v[9:10], v[17:18], off
	s_mov_b64 s[0:1], 0
	s_branch .LBB49_1669
.LBB49_1667:
	s_mov_b64 s[0:1], -1
                                        ; implicit-def: $vgpr9_vgpr10
	s_branch .LBB49_1672
.LBB49_1668:
	s_mov_b64 s[0:1], -1
                                        ; implicit-def: $vgpr9_vgpr10
.LBB49_1669:
	s_andn2_b64 vcc, exec, s[0:1]
	s_cbranch_vccnz .LBB49_1671
; %bb.1670:
	global_load_dword v3, v[17:18], off
	s_waitcnt vmcnt(0)
	v_cvt_f64_f32_e32 v[9:10], v3
.LBB49_1671:
	s_mov_b64 s[0:1], 0
.LBB49_1672:
	s_andn2_b64 vcc, exec, s[0:1]
	s_cbranch_vccnz .LBB49_1674
; %bb.1673:
	global_load_ushort v3, v[17:18], off
	s_waitcnt vmcnt(0)
	v_cvt_f32_f16_e32 v3, v3
	v_cvt_f64_f32_e32 v[9:10], v3
.LBB49_1674:
	s_mov_b64 s[0:1], 0
.LBB49_1675:
	s_andn2_b64 vcc, exec, s[0:1]
	s_cbranch_vccnz .LBB49_1695
; %bb.1676:
	s_cmp_lt_i32 s2, 2
	s_cbranch_scc1 .LBB49_1680
; %bb.1677:
	s_cmp_lt_i32 s2, 3
	s_cbranch_scc1 .LBB49_1681
; %bb.1678:
	s_cmp_gt_i32 s2, 3
	s_cbranch_scc0 .LBB49_1682
; %bb.1679:
	global_load_dwordx2 v[9:10], v[17:18], off
	s_mov_b64 s[0:1], 0
	s_waitcnt vmcnt(0)
	v_cvt_f64_i32_e32 v[19:20], v10
	v_cvt_f64_u32_e32 v[9:10], v9
	v_ldexp_f64 v[19:20], v[19:20], 32
	v_add_f64 v[9:10], v[19:20], v[9:10]
	s_branch .LBB49_1683
.LBB49_1680:
	s_mov_b64 s[0:1], -1
                                        ; implicit-def: $vgpr9_vgpr10
	s_branch .LBB49_1689
.LBB49_1681:
	s_mov_b64 s[0:1], -1
                                        ; implicit-def: $vgpr9_vgpr10
	s_branch .LBB49_1686
.LBB49_1682:
	s_mov_b64 s[0:1], -1
                                        ; implicit-def: $vgpr9_vgpr10
.LBB49_1683:
	s_andn2_b64 vcc, exec, s[0:1]
	s_cbranch_vccnz .LBB49_1685
; %bb.1684:
	global_load_dword v3, v[17:18], off
	s_waitcnt vmcnt(0)
	v_cvt_f64_i32_e32 v[9:10], v3
.LBB49_1685:
	s_mov_b64 s[0:1], 0
.LBB49_1686:
	s_andn2_b64 vcc, exec, s[0:1]
	s_cbranch_vccnz .LBB49_1688
; %bb.1687:
	global_load_sshort v3, v[17:18], off
	s_waitcnt vmcnt(0)
	v_cvt_f64_i32_e32 v[9:10], v3
.LBB49_1688:
	s_mov_b64 s[0:1], 0
.LBB49_1689:
	s_andn2_b64 vcc, exec, s[0:1]
	s_cbranch_vccnz .LBB49_1695
; %bb.1690:
	s_cmp_gt_i32 s2, 0
	s_cbranch_scc0 .LBB49_1692
; %bb.1691:
	global_load_sbyte v3, v[17:18], off
	s_mov_b64 s[0:1], 0
	s_waitcnt vmcnt(0)
	v_cvt_f64_i32_e32 v[9:10], v3
	s_branch .LBB49_1693
.LBB49_1692:
	s_mov_b64 s[0:1], -1
                                        ; implicit-def: $vgpr9_vgpr10
.LBB49_1693:
	s_andn2_b64 vcc, exec, s[0:1]
	s_cbranch_vccnz .LBB49_1695
; %bb.1694:
	global_load_ubyte v3, v[17:18], off
	s_waitcnt vmcnt(0)
	v_cvt_f64_u32_e32 v[9:10], v3
.LBB49_1695:
	s_mov_b64 s[4:5], -1
.LBB49_1696:
	s_andn2_b64 vcc, exec, s[4:5]
	s_cbranch_vccnz .LBB49_2136
; %bb.1697:
	s_waitcnt vmcnt(0)
	v_cmp_gt_f64_e32 vcc, 0.5, v[9:10]
	v_mov_b32_e32 v19, 0
	v_mov_b32_e32 v17, 0
	;; [unrolled: 1-line block ×4, first 2 shown]
	s_and_saveexec_b64 s[2:3], vcc
	s_cbranch_execz .LBB49_1703
; %bb.1698:
	s_mov_b32 s5, 0x400921fb
	s_mov_b32 s4, 0x54442d18
	v_mul_f64 v[17:18], v[9:10], s[4:5]
	s_mov_b32 s0, 0
	s_mov_b32 s1, 0x41d00000
                                        ; implicit-def: $vgpr3
                                        ; implicit-def: $vgpr19_vgpr20
                                        ; implicit-def: $vgpr31_vgpr32
	v_cmp_nlt_f64_e64 s[0:1], |v[17:18]|, s[0:1]
	s_and_saveexec_b64 s[6:7], s[0:1]
	s_xor_b64 s[6:7], exec, s[6:7]
	s_cbranch_execz .LBB49_1700
; %bb.1699:
	v_trig_preop_f64 v[19:20], |v[17:18]|, 0
	s_mov_b32 s0, 0
	s_mov_b32 s1, 0x7b000000
	s_movk_i32 s5, 0xff80
	v_ldexp_f64 v[33:34], |v[17:18]|, s5
	v_cmp_ge_f64_e64 vcc, |v[17:18]|, s[0:1]
	v_trig_preop_f64 v[31:32], |v[17:18]|, 1
	v_and_b32_e32 v3, 0x7fffffff, v18
	v_trig_preop_f64 v[41:42], |v[17:18]|, 2
	s_mov_b32 s0, 0
	s_mov_b32 s1, 0x7ff00000
	v_mov_b32_e32 v51, 0
	v_mov_b32_e32 v5, 0x3ff00000
	v_cndmask_b32_e32 v34, v3, v34, vcc
	v_cndmask_b32_e32 v33, v17, v33, vcc
	v_mov_b32_e32 v3, 0x40100000
	v_mul_f64 v[35:36], v[19:20], v[33:34]
	s_mov_b32 s5, 0x3ff921fb
	v_mul_f64 v[37:38], v[31:32], v[33:34]
	v_mul_f64 v[47:48], v[41:42], v[33:34]
	v_fma_f64 v[19:20], v[19:20], v[33:34], -v[35:36]
	v_fma_f64 v[31:32], v[31:32], v[33:34], -v[37:38]
	;; [unrolled: 1-line block ×3, first 2 shown]
	v_add_f64 v[39:40], v[37:38], v[19:20]
	v_add_f64 v[43:44], v[39:40], -v[37:38]
	v_add_f64 v[49:50], v[35:36], v[39:40]
	v_add_f64 v[45:46], v[39:40], -v[43:44]
	v_add_f64 v[19:20], v[19:20], -v[43:44]
	v_add_f64 v[43:44], v[47:48], v[31:32]
	v_add_f64 v[35:36], v[49:50], -v[35:36]
	v_add_f64 v[37:38], v[37:38], -v[45:46]
	v_ldexp_f64 v[45:46], v[49:50], -2
	v_add_f64 v[53:54], v[43:44], -v[47:48]
	v_add_f64 v[35:36], v[39:40], -v[35:36]
	v_add_f64 v[19:20], v[19:20], v[37:38]
	v_fract_f64_e32 v[37:38], v[45:46]
	v_cmp_neq_f64_e64 vcc, |v[45:46]|, s[0:1]
	v_add_f64 v[31:32], v[31:32], -v[53:54]
	v_add_f64 v[39:40], v[43:44], v[19:20]
	v_ldexp_f64 v[37:38], v[37:38], 2
	v_add_f64 v[45:46], v[35:36], v[39:40]
	v_cndmask_b32_e32 v38, 0, v38, vcc
	v_cndmask_b32_e32 v37, 0, v37, vcc
	v_add_f64 v[55:56], v[39:40], -v[43:44]
	v_add_f64 v[49:50], v[45:46], v[37:38]
	v_add_f64 v[35:36], v[45:46], -v[35:36]
	v_add_f64 v[57:58], v[39:40], -v[55:56]
	;; [unrolled: 1-line block ×3, first 2 shown]
	v_cmp_gt_f64_e32 vcc, 0, v[49:50]
	v_add_f64 v[49:50], v[43:44], -v[53:54]
	v_add_f64 v[35:36], v[39:40], -v[35:36]
	v_add_f64 v[43:44], v[43:44], -v[57:58]
	v_cndmask_b32_e32 v52, 0, v3, vcc
	v_add_f64 v[37:38], v[37:38], v[51:52]
	v_add_f64 v[49:50], v[47:48], -v[49:50]
	v_add_f64 v[19:20], v[19:20], v[43:44]
	v_add_f64 v[59:60], v[45:46], v[37:38]
	;; [unrolled: 1-line block ×3, first 2 shown]
	v_cvt_i32_f64_e32 v3, v[59:60]
	v_add_f64 v[19:20], v[31:32], v[19:20]
	v_cvt_f64_i32_e32 v[52:53], v3
	v_add_f64 v[37:38], v[37:38], -v[52:53]
	v_add_f64 v[19:20], v[33:34], v[19:20]
	v_add_f64 v[31:32], v[45:46], v[37:38]
	;; [unrolled: 1-line block ×3, first 2 shown]
	v_add_f64 v[33:34], v[31:32], -v[37:38]
	v_cmp_le_f64_e32 vcc, 0.5, v[31:32]
	v_add_f64 v[33:34], v[45:46], -v[33:34]
	v_cndmask_b32_e32 v52, 0, v5, vcc
	v_add_f64 v[31:32], v[31:32], -v[51:52]
	v_addc_co_u32_e64 v3, s[0:1], 0, v3, vcc
	s_mov_b32 s0, 0x33145c07
	s_mov_b32 s1, 0x3c91a626
	v_add_f64 v[19:20], v[19:20], v[33:34]
	v_add_f64 v[33:34], v[31:32], v[19:20]
	v_mul_f64 v[35:36], v[33:34], s[4:5]
	v_add_f64 v[31:32], v[33:34], -v[31:32]
	v_fma_f64 v[37:38], v[33:34], s[4:5], -v[35:36]
	v_add_f64 v[19:20], v[19:20], -v[31:32]
	v_fma_f64 v[31:32], v[33:34], s[0:1], v[37:38]
	v_fma_f64 v[31:32], v[19:20], s[4:5], v[31:32]
	v_add_f64 v[19:20], v[35:36], v[31:32]
	v_add_f64 v[33:34], v[19:20], -v[35:36]
	v_add_f64 v[31:32], v[31:32], -v[33:34]
.LBB49_1700:
	s_andn2_saveexec_b64 s[0:1], s[6:7]
	s_cbranch_execz .LBB49_1702
; %bb.1701:
	s_mov_b32 s4, 0x6dc9c883
	s_mov_b32 s5, 0x3fe45f30
	v_mul_f64 v[19:20], |v[17:18]|, s[4:5]
	s_mov_b32 s4, 0x54442d18
	s_mov_b32 s5, 0xbff921fb
	;; [unrolled: 1-line block ×4, first 2 shown]
	v_rndne_f64_e32 v[33:34], v[19:20]
	v_fma_f64 v[19:20], v[33:34], s[4:5], |v[17:18]|
	v_mul_f64 v[31:32], v[33:34], s[6:7]
	s_mov_b32 s4, 0x252049c0
	s_mov_b32 s5, 0xb97b839a
	v_cvt_i32_f64_e32 v3, v[33:34]
	v_fma_f64 v[39:40], v[33:34], s[6:7], v[19:20]
	v_add_f64 v[35:36], v[19:20], v[31:32]
	s_mov_b32 s7, 0x3c91a626
	v_add_f64 v[37:38], v[19:20], -v[35:36]
	v_add_f64 v[35:36], v[35:36], -v[39:40]
	v_add_f64 v[19:20], v[37:38], v[31:32]
	v_fma_f64 v[31:32], v[33:34], s[6:7], v[31:32]
	v_add_f64 v[19:20], v[35:36], v[19:20]
	v_add_f64 v[19:20], v[19:20], -v[31:32]
	v_fma_f64 v[31:32], v[33:34], s[4:5], v[19:20]
	v_add_f64 v[19:20], v[39:40], v[31:32]
	v_add_f64 v[35:36], v[19:20], -v[39:40]
	v_add_f64 v[31:32], v[31:32], -v[35:36]
.LBB49_1702:
	s_or_b64 exec, exec, s[0:1]
	v_mul_f64 v[33:34], v[19:20], v[19:20]
	s_mov_b32 s0, 0xf9a43bb8
	v_mov_b32_e32 v36, 0xb42fdfa7
	v_mov_b32_e32 v37, 0xbe5ae600
	s_mov_b32 s1, 0x3de5e0b2
	s_mov_b32 s4, 0x796cde01
	v_mov_b32_e32 v35, 0x9037ab78
	s_mov_b32 s5, 0x3ec71de3
	v_fma_f64 v[37:38], v[33:34], s[0:1], v[36:37]
	s_mov_b32 s0, 0x46cc5e42
	v_mov_b32_e32 v36, 0x3e21eeb6
	s_mov_b32 s1, 0xbda907db
	v_fma_f64 v[35:36], v[33:34], s[0:1], v[35:36]
	v_mul_f64 v[39:40], v[33:34], 0.5
	s_mov_b32 s0, 0xa17f65f6
	s_mov_b32 s6, 0x19e83e5c
	v_fma_f64 v[37:38], v[33:34], v[37:38], s[4:5]
	s_mov_b32 s1, 0xbe927e4f
	s_mov_b32 s7, 0xbf2a01a0
	;; [unrolled: 1-line block ×3, first 2 shown]
	v_fma_f64 v[35:36], v[33:34], v[35:36], s[0:1]
	v_add_f64 v[41:42], -v[39:40], 1.0
	s_mov_b32 s0, 0x11110bb3
	s_mov_b32 s5, 0x3efa01a0
	v_fma_f64 v[37:38], v[33:34], v[37:38], s[6:7]
	s_mov_b32 s1, 0x3f811111
	v_mul_f64 v[43:44], v[31:32], 0.5
	v_mul_f64 v[45:46], v[19:20], -v[33:34]
	v_fma_f64 v[35:36], v[33:34], v[35:36], s[4:5]
	v_add_f64 v[47:48], -v[41:42], 1.0
	v_and_b32_e32 v5, 1, v3
	v_lshlrev_b32_e32 v3, 30, v3
	v_fma_f64 v[37:38], v[33:34], v[37:38], s[0:1]
	s_mov_b32 s0, 0x16c16967
	s_mov_b32 s1, 0xbf56c16c
	v_cmp_eq_u32_e32 vcc, 0, v5
	v_fma_f64 v[35:36], v[33:34], v[35:36], s[0:1]
	v_add_f64 v[39:40], v[47:48], -v[39:40]
	s_mov_b32 s1, 0x3fa55555
	s_mov_b32 s0, 0x55555555
	v_fma_f64 v[37:38], v[45:46], v[37:38], v[43:44]
	v_mul_f64 v[43:44], v[33:34], v[33:34]
	v_xor_b32_e32 v3, v3, v18
	v_and_b32_e32 v3, 0x80000000, v3
	v_fma_f64 v[35:36], v[33:34], v[35:36], s[0:1]
	v_fma_f64 v[39:40], v[19:20], -v[31:32], v[39:40]
	s_mov_b32 s1, 0xbfc55555
	v_mov_b32_e32 v7, 0x7ff80000
	v_fma_f64 v[31:32], v[33:34], v[37:38], -v[31:32]
	v_add_f64 v[9:10], -v[9:10], 1.0
	v_fma_f64 v[33:34], v[43:44], v[35:36], v[39:40]
	v_fma_f64 v[31:32], v[45:46], s[0:1], v[31:32]
	s_movk_i32 s0, 0x1f8
	v_cmp_class_f64_e64 s[0:1], v[17:18], s0
	v_add_f64 v[33:34], v[41:42], v[33:34]
	v_add_f64 v[19:20], v[19:20], -v[31:32]
	v_cndmask_b32_e32 v17, v34, v20, vcc
	v_cndmask_b32_e32 v5, v33, v19, vcc
	v_xor_b32_e32 v3, v17, v3
	v_cndmask_b32_e64 v17, 0, v5, s[0:1]
	v_cndmask_b32_e64 v18, v7, v3, s[0:1]
	v_mul_f64 v[17:18], v[17:18], v[17:18]
	s_mov_b32 s0, 0xc9be45de
	s_mov_b32 s1, 0xc023bd3c
	v_div_scale_f64 v[19:20], s[4:5], v[17:18], v[17:18], s[0:1]
	v_rcp_f64_e32 v[31:32], v[19:20]
	v_fma_f64 v[33:34], -v[19:20], v[31:32], 1.0
	v_fma_f64 v[31:32], v[31:32], v[33:34], v[31:32]
	v_div_scale_f64 v[33:34], vcc, s[0:1], v[17:18], s[0:1]
	v_fma_f64 v[35:36], -v[19:20], v[31:32], 1.0
	v_fma_f64 v[31:32], v[31:32], v[35:36], v[31:32]
	v_mul_f64 v[35:36], v[33:34], v[31:32]
	v_fma_f64 v[19:20], -v[19:20], v[35:36], v[33:34]
	v_div_fmas_f64 v[19:20], v[19:20], v[31:32], v[35:36]
	v_div_fixup_f64 v[17:18], v[19:20], v[17:18], s[0:1]
	v_add_f64 v[19:20], v[17:18], 0
	v_mov_b32_e32 v17, 0
	v_mov_b32_e32 v18, 0xbff00000
.LBB49_1703:
	s_or_b64 exec, exec, s[2:3]
	v_mul_f64 v[31:32], v[0:1], v[0:1]
	v_add_f64 v[0:1], v[0:1], 1.0
	s_bfe_u32 s14, s16, 0x80008
	s_cmp_lt_i32 s14, 11
	v_div_scale_f64 v[33:34], s[0:1], v[31:32], v[31:32], 1.0
	v_rcp_f64_e32 v[35:36], v[33:34]
	v_fma_f64 v[37:38], -v[33:34], v[35:36], 1.0
	v_fma_f64 v[35:36], v[35:36], v[37:38], v[35:36]
	v_fma_f64 v[37:38], -v[33:34], v[35:36], 1.0
	v_fma_f64 v[35:36], v[35:36], v[37:38], v[35:36]
	v_div_scale_f64 v[37:38], vcc, 1.0, v[31:32], 1.0
	v_mul_f64 v[39:40], v[37:38], v[35:36]
	v_fma_f64 v[33:34], -v[33:34], v[39:40], v[37:38]
	s_nop 1
	v_div_fmas_f64 v[33:34], v[33:34], v[35:36], v[39:40]
	v_div_fixup_f64 v[31:32], v[33:34], v[31:32], 1.0
	v_add_f64 v[29:30], v[29:30], v[31:32]
	v_mul_f64 v[31:32], v[0:1], v[0:1]
	v_add_f64 v[0:1], v[0:1], 1.0
	v_div_scale_f64 v[33:34], s[0:1], v[31:32], v[31:32], 1.0
	v_rcp_f64_e32 v[35:36], v[33:34]
	v_fma_f64 v[37:38], -v[33:34], v[35:36], 1.0
	v_fma_f64 v[35:36], v[35:36], v[37:38], v[35:36]
	v_fma_f64 v[37:38], -v[33:34], v[35:36], 1.0
	v_fma_f64 v[35:36], v[35:36], v[37:38], v[35:36]
	v_div_scale_f64 v[37:38], vcc, 1.0, v[31:32], 1.0
	v_mul_f64 v[39:40], v[37:38], v[35:36]
	v_fma_f64 v[33:34], -v[33:34], v[39:40], v[37:38]
	s_nop 1
	v_div_fmas_f64 v[33:34], v[33:34], v[35:36], v[39:40]
	v_div_fixup_f64 v[31:32], v[33:34], v[31:32], 1.0
	v_add_f64 v[29:30], v[29:30], v[31:32]
	v_mul_f64 v[31:32], v[0:1], v[0:1]
	v_add_f64 v[0:1], v[0:1], 1.0
	;; [unrolled: 15-line block ×3, first 2 shown]
	v_div_scale_f64 v[33:34], s[0:1], v[31:32], v[31:32], 1.0
	v_rcp_f64_e32 v[35:36], v[33:34]
	v_fma_f64 v[37:38], -v[33:34], v[35:36], 1.0
	v_fma_f64 v[35:36], v[35:36], v[37:38], v[35:36]
	v_fma_f64 v[37:38], -v[33:34], v[35:36], 1.0
	v_fma_f64 v[35:36], v[35:36], v[37:38], v[35:36]
	v_div_scale_f64 v[37:38], vcc, 1.0, v[31:32], 1.0
	v_mul_f64 v[39:40], v[37:38], v[35:36]
	v_fma_f64 v[33:34], -v[33:34], v[39:40], v[37:38]
	s_nop 1
	v_div_fmas_f64 v[33:34], v[33:34], v[35:36], v[39:40]
	v_div_fixup_f64 v[31:32], v[33:34], v[31:32], 1.0
	v_add_f64 v[29:30], v[29:30], v[31:32]
	v_mul_f64 v[31:32], v[0:1], v[0:1]
	v_div_scale_f64 v[33:34], s[0:1], v[31:32], v[31:32], 1.0
	v_rcp_f64_e32 v[35:36], v[33:34]
	v_fma_f64 v[37:38], -v[33:34], v[35:36], 1.0
	v_fma_f64 v[35:36], v[35:36], v[37:38], v[35:36]
	v_fma_f64 v[37:38], -v[33:34], v[35:36], 1.0
	v_fma_f64 v[35:36], v[35:36], v[37:38], v[35:36]
	v_div_scale_f64 v[37:38], vcc, 1.0, v[31:32], 1.0
	v_mul_f64 v[39:40], v[37:38], v[35:36]
	v_fma_f64 v[33:34], -v[33:34], v[39:40], v[37:38]
	s_nop 1
	v_div_fmas_f64 v[33:34], v[33:34], v[35:36], v[39:40]
	v_div_fixup_f64 v[31:32], v[33:34], v[31:32], 1.0
	v_add_f64 v[29:30], v[29:30], v[31:32]
	v_add_f64 v[31:32], v[0:1], 1.0
	v_mul_f64 v[0:1], v[31:32], v[31:32]
	v_div_scale_f64 v[33:34], s[0:1], v[0:1], v[0:1], 1.0
	v_rcp_f64_e32 v[35:36], v[33:34]
	v_fma_f64 v[37:38], -v[33:34], v[35:36], 1.0
	v_fma_f64 v[35:36], v[35:36], v[37:38], v[35:36]
	v_fma_f64 v[37:38], -v[33:34], v[35:36], 1.0
	v_fma_f64 v[35:36], v[35:36], v[37:38], v[35:36]
	v_div_scale_f64 v[37:38], vcc, 1.0, v[0:1], 1.0
	v_mul_f64 v[39:40], v[37:38], v[35:36]
	v_fma_f64 v[33:34], -v[33:34], v[39:40], v[37:38]
	s_nop 1
	v_div_fmas_f64 v[33:34], v[33:34], v[35:36], v[39:40]
	v_div_fixup_f64 v[0:1], v[33:34], v[0:1], 1.0
	v_add_f64 v[0:1], v[29:30], v[0:1]
	v_add_f64 v[29:30], v[31:32], 1.0
	v_mul_f64 v[31:32], v[29:30], v[29:30]
	v_div_scale_f64 v[33:34], s[0:1], v[31:32], v[31:32], 1.0
	v_rcp_f64_e32 v[35:36], v[33:34]
	v_fma_f64 v[37:38], -v[33:34], v[35:36], 1.0
	v_fma_f64 v[35:36], v[35:36], v[37:38], v[35:36]
	v_fma_f64 v[37:38], -v[33:34], v[35:36], 1.0
	v_fma_f64 v[35:36], v[35:36], v[37:38], v[35:36]
	v_div_scale_f64 v[37:38], vcc, 1.0, v[31:32], 1.0
	v_mul_f64 v[39:40], v[37:38], v[35:36]
	v_fma_f64 v[33:34], -v[33:34], v[39:40], v[37:38]
	s_nop 1
	v_div_fmas_f64 v[33:34], v[33:34], v[35:36], v[39:40]
	v_div_fixup_f64 v[31:32], v[33:34], v[31:32], 1.0
	v_add_f64 v[33:34], v[29:30], v[29:30]
	v_div_scale_f64 v[35:36], s[0:1], v[33:34], v[33:34], 1.0
	s_mov_b32 s0, 0x18618618
	s_mov_b32 s1, 0xbf986186
	v_rcp_f64_e32 v[37:38], v[35:36]
	v_fma_f64 v[39:40], -v[35:36], v[37:38], 1.0
	v_fma_f64 v[37:38], v[37:38], v[39:40], v[37:38]
	v_fma_f64 v[39:40], -v[35:36], v[37:38], 1.0
	v_fma_f64 v[37:38], v[37:38], v[39:40], v[37:38]
	v_div_scale_f64 v[39:40], vcc, 1.0, v[33:34], 1.0
	v_mul_f64 v[41:42], v[39:40], v[37:38]
	v_fma_f64 v[35:36], -v[35:36], v[41:42], v[39:40]
	s_nop 1
	v_div_fmas_f64 v[35:36], v[35:36], v[37:38], v[41:42]
	v_div_fixup_f64 v[33:34], v[35:36], v[33:34], 1.0
	v_mov_b32_e32 v35, 0x11111111
	v_mov_b32_e32 v36, 0x3fa11111
	v_fma_f64 v[35:36], v[31:32], s[0:1], v[35:36]
	s_mov_b32 s0, 0x55555555
	s_mov_b32 s1, 0x3fc55555
	v_add_f64 v[33:34], v[33:34], 1.0
	v_fma_f64 v[35:36], -v[31:32], v[35:36], s[0:1]
	v_fma_f64 v[31:32], v[31:32], v[35:36], v[33:34]
	v_div_scale_f64 v[33:34], s[0:1], v[29:30], v[29:30], v[31:32]
	v_rcp_f64_e32 v[35:36], v[33:34]
	v_fma_f64 v[37:38], -v[33:34], v[35:36], 1.0
	v_fma_f64 v[35:36], v[35:36], v[37:38], v[35:36]
	v_fma_f64 v[37:38], -v[33:34], v[35:36], 1.0
	v_fma_f64 v[35:36], v[35:36], v[37:38], v[35:36]
	v_div_scale_f64 v[37:38], vcc, v[31:32], v[29:30], v[31:32]
	v_mul_f64 v[39:40], v[37:38], v[35:36]
	v_fma_f64 v[33:34], -v[33:34], v[39:40], v[37:38]
	s_nop 1
	v_div_fmas_f64 v[33:34], v[33:34], v[35:36], v[39:40]
	v_div_fixup_f64 v[29:30], v[33:34], v[29:30], v[31:32]
	v_add_f64 v[0:1], v[0:1], v[29:30]
	v_mul_f64 v[0:1], v[25:26], v[0:1]
	v_add_co_u32_e32 v25, vcc, s8, v2
	v_mov_b32_e32 v2, s9
	v_addc_co_u32_e32 v26, vcc, 0, v2, vcc
	s_cbranch_scc1 .LBB49_1781
; %bb.1704:
	s_and_b32 s15, 0xffff, s14
	s_mov_b64 s[6:7], -1
	s_mov_b64 s[2:3], 0
	s_cmp_gt_i32 s15, 25
	s_mov_b64 s[4:5], 0
	s_mov_b64 s[0:1], 0
	s_cbranch_scc0 .LBB49_1737
; %bb.1705:
	s_cmp_gt_i32 s15, 28
	s_cbranch_scc0 .LBB49_1720
; %bb.1706:
	s_cmp_gt_i32 s15, 43
	;; [unrolled: 3-line block ×3, first 2 shown]
	s_cbranch_scc0 .LBB49_1710
; %bb.1708:
	s_mov_b64 s[0:1], -1
	s_mov_b64 s[6:7], 0
	s_cmp_eq_u32 s15, 46
	s_cbranch_scc0 .LBB49_1710
; %bb.1709:
	v_cvt_f32_f64_e32 v2, v[0:1]
	s_movk_i32 s0, 0x7fff
	v_mov_b32_e32 v3, 0x7fc0
	s_mov_b64 s[4:5], -1
	v_bfe_u32 v5, v2, 16, 1
	v_cmp_o_f32_e32 vcc, v2, v2
	v_add3_u32 v2, v2, v5, s0
	v_cndmask_b32_sdwa v2, v3, v2, vcc dst_sel:DWORD dst_unused:UNUSED_PAD src0_sel:DWORD src1_sel:WORD_1
	global_store_dword v[25:26], v2, off
	s_mov_b64 s[0:1], 0
.LBB49_1710:
	s_and_b64 vcc, exec, s[6:7]
	s_cbranch_vccz .LBB49_1715
; %bb.1711:
	s_cmp_eq_u32 s15, 44
	s_mov_b64 s[0:1], -1
	s_cbranch_scc0 .LBB49_1715
; %bb.1712:
	v_cvt_f32_f64_e32 v2, v[0:1]
	s_movk_i32 s0, 0xff
	v_mov_b32_e32 v5, 0xff
	v_bfe_u32 v3, v2, 23, 8
	v_cmp_ne_u32_e32 vcc, s0, v3
	s_and_saveexec_b64 s[4:5], vcc
; %bb.1713:
	s_mov_b32 s0, 0x3fffff
	v_lshrrev_b32_e32 v5, 23, v2
	v_and_b32_e32 v7, 0x400000, v2
	v_and_or_b32 v2, v2, s0, v3
	v_cmp_ne_u32_e32 vcc, 0, v7
	v_cmp_ne_u32_e64 s[0:1], 0, v2
	s_and_b64 s[0:1], vcc, s[0:1]
	v_cndmask_b32_e64 v2, 0, 1, s[0:1]
	v_add_u32_e32 v5, v5, v2
; %bb.1714:
	s_or_b64 exec, exec, s[4:5]
	s_mov_b64 s[0:1], 0
	s_mov_b64 s[4:5], -1
	global_store_byte v[25:26], v5, off
.LBB49_1715:
	s_mov_b64 s[6:7], 0
.LBB49_1716:
	s_and_b64 vcc, exec, s[6:7]
	s_cbranch_vccz .LBB49_1719
; %bb.1717:
	s_cmp_eq_u32 s15, 29
	s_mov_b64 s[0:1], -1
	s_cbranch_scc0 .LBB49_1719
; %bb.1718:
	v_trunc_f64_e32 v[2:3], v[0:1]
	s_movk_i32 s0, 0xffe0
	s_mov_b64 s[4:5], -1
	v_ldexp_f64 v[29:30], v[2:3], s0
	s_mov_b32 s0, 0
	s_mov_b32 s1, 0xc1f00000
	v_floor_f64_e32 v[29:30], v[29:30]
	v_fma_f64 v[2:3], v[29:30], s[0:1], v[2:3]
	v_cvt_u32_f64_e32 v30, v[29:30]
	s_mov_b64 s[0:1], 0
	v_cvt_u32_f64_e32 v29, v[2:3]
	global_store_dwordx2 v[25:26], v[29:30], off
.LBB49_1719:
	s_mov_b64 s[6:7], 0
.LBB49_1720:
	s_and_b64 vcc, exec, s[6:7]
	s_cbranch_vccz .LBB49_1736
; %bb.1721:
	s_cmp_lt_i32 s15, 27
	s_mov_b64 s[4:5], -1
	s_cbranch_scc1 .LBB49_1727
; %bb.1722:
	v_cvt_u32_f64_e32 v2, v[0:1]
	s_cmp_gt_i32 s15, 27
	s_cbranch_scc0 .LBB49_1724
; %bb.1723:
	s_mov_b64 s[4:5], 0
	global_store_dword v[25:26], v2, off
.LBB49_1724:
	s_andn2_b64 vcc, exec, s[4:5]
	s_cbranch_vccnz .LBB49_1726
; %bb.1725:
	global_store_short v[25:26], v2, off
.LBB49_1726:
	s_mov_b64 s[4:5], 0
.LBB49_1727:
	s_andn2_b64 vcc, exec, s[4:5]
	s_cbranch_vccnz .LBB49_1735
; %bb.1728:
	v_cvt_f32_f64_e32 v2, v[0:1]
	s_mov_b32 s4, 0x43800000
	v_mov_b32_e32 v5, 0x80
	v_and_b32_e32 v3, 0x7fffffff, v2
	v_cmp_gt_u32_e32 vcc, s4, v3
	s_and_saveexec_b64 s[4:5], vcc
	s_cbranch_execz .LBB49_1734
; %bb.1729:
	s_mov_b32 s6, 0x3bffffff
	v_cmp_lt_u32_e32 vcc, s6, v3
	s_mov_b64 s[6:7], 0
                                        ; implicit-def: $vgpr3
	s_and_saveexec_b64 s[10:11], vcc
	s_xor_b64 s[10:11], exec, s[10:11]
	s_cbranch_execz .LBB49_2183
; %bb.1730:
	v_bfe_u32 v3, v2, 20, 1
	s_mov_b32 s17, 0x487ffff
	v_add3_u32 v3, v2, v3, s17
	s_mov_b64 s[6:7], exec
	v_lshrrev_b32_e32 v3, 20, v3
	s_andn2_saveexec_b64 s[10:11], s[10:11]
	s_cbranch_execnz .LBB49_2184
.LBB49_1731:
	s_or_b64 exec, exec, s[10:11]
	v_mov_b32_e32 v5, 0
	s_and_saveexec_b64 s[10:11], s[6:7]
.LBB49_1732:
	v_lshrrev_b32_e32 v2, 24, v2
	s_movk_i32 s6, 0x80
	v_and_or_b32 v5, v2, s6, v3
.LBB49_1733:
	s_or_b64 exec, exec, s[10:11]
.LBB49_1734:
	s_or_b64 exec, exec, s[4:5]
	global_store_byte v[25:26], v5, off
.LBB49_1735:
	s_mov_b64 s[4:5], -1
.LBB49_1736:
	s_mov_b64 s[6:7], 0
.LBB49_1737:
	s_and_b64 vcc, exec, s[6:7]
	s_cbranch_vccz .LBB49_1777
; %bb.1738:
	s_cmp_gt_i32 s15, 22
	s_mov_b64 s[2:3], -1
	s_cbranch_scc0 .LBB49_1770
; %bb.1739:
	s_cmp_lt_i32 s15, 24
	s_cbranch_scc1 .LBB49_1759
; %bb.1740:
	s_cmp_gt_i32 s15, 24
	s_cbranch_scc0 .LBB49_1748
; %bb.1741:
	v_cvt_f32_f64_e32 v2, v[0:1]
	s_mov_b32 s2, 0x47800000
	v_mov_b32_e32 v5, 0x80
	v_and_b32_e32 v3, 0x7fffffff, v2
	v_cmp_gt_u32_e32 vcc, s2, v3
	s_and_saveexec_b64 s[2:3], vcc
	s_cbranch_execz .LBB49_1747
; %bb.1742:
	s_mov_b32 s4, 0x37ffffff
	v_cmp_lt_u32_e32 vcc, s4, v3
	s_mov_b64 s[4:5], 0
                                        ; implicit-def: $vgpr3
	s_and_saveexec_b64 s[6:7], vcc
	s_xor_b64 s[6:7], exec, s[6:7]
	s_cbranch_execz .LBB49_2186
; %bb.1743:
	v_bfe_u32 v3, v2, 21, 1
	s_mov_b32 s10, 0x88fffff
	v_add3_u32 v3, v2, v3, s10
	s_mov_b64 s[4:5], exec
	v_lshrrev_b32_e32 v3, 21, v3
	s_andn2_saveexec_b64 s[6:7], s[6:7]
	s_cbranch_execnz .LBB49_2187
.LBB49_1744:
	s_or_b64 exec, exec, s[6:7]
	v_mov_b32_e32 v5, 0
	s_and_saveexec_b64 s[6:7], s[4:5]
.LBB49_1745:
	v_lshrrev_b32_e32 v2, 24, v2
	s_movk_i32 s4, 0x80
	v_and_or_b32 v5, v2, s4, v3
.LBB49_1746:
	s_or_b64 exec, exec, s[6:7]
.LBB49_1747:
	s_or_b64 exec, exec, s[2:3]
	s_mov_b64 s[2:3], 0
	global_store_byte v[25:26], v5, off
.LBB49_1748:
	s_and_b64 vcc, exec, s[2:3]
	s_cbranch_vccz .LBB49_1758
; %bb.1749:
	v_cvt_f32_f64_e32 v2, v[0:1]
	s_mov_b32 s2, 0x43f00000
                                        ; implicit-def: $vgpr3
	v_and_b32_e32 v5, 0x7fffffff, v2
	v_cmp_gt_u32_e32 vcc, s2, v5
	s_and_saveexec_b64 s[2:3], vcc
	s_xor_b64 s[2:3], exec, s[2:3]
	s_cbranch_execz .LBB49_1755
; %bb.1750:
	s_mov_b32 s4, 0x3c7fffff
	v_cmp_lt_u32_e32 vcc, s4, v5
                                        ; implicit-def: $vgpr3
	s_and_saveexec_b64 s[4:5], vcc
	s_xor_b64 s[4:5], exec, s[4:5]
; %bb.1751:
	v_bfe_u32 v3, v2, 20, 1
	s_mov_b32 s6, 0x407ffff
	v_add3_u32 v3, v2, v3, s6
	v_lshrrev_b32_e32 v5, 20, v3
	v_and_b32_e32 v3, 0xff00000, v3
	s_mov_b32 s6, 0x7f00000
	v_mov_b32_e32 v7, 0x7e
	v_cmp_ne_u32_e32 vcc, s6, v3
	v_cndmask_b32_e32 v3, v7, v5, vcc
; %bb.1752:
	s_andn2_saveexec_b64 s[4:5], s[4:5]
; %bb.1753:
	s_mov_b32 s6, 0x46800000
	v_add_f32_e64 v3, |v2|, s6
; %bb.1754:
	s_or_b64 exec, exec, s[4:5]
                                        ; implicit-def: $vgpr5
.LBB49_1755:
	s_andn2_saveexec_b64 s[2:3], s[2:3]
; %bb.1756:
	s_mov_b32 s4, 0x7f800000
	v_mov_b32_e32 v3, 0x7e
	v_mov_b32_e32 v7, 0x7f
	v_cmp_lt_u32_e32 vcc, s4, v5
	v_cndmask_b32_e32 v3, v3, v7, vcc
; %bb.1757:
	s_or_b64 exec, exec, s[2:3]
	v_lshrrev_b32_e32 v2, 24, v2
	s_movk_i32 s2, 0x80
	v_and_or_b32 v2, v2, s2, v3
	global_store_byte v[25:26], v2, off
.LBB49_1758:
	s_mov_b64 s[2:3], 0
.LBB49_1759:
	s_andn2_b64 vcc, exec, s[2:3]
	s_cbranch_vccnz .LBB49_1769
; %bb.1760:
	v_cvt_f32_f64_e32 v2, v[0:1]
	s_mov_b32 s2, 0x47800000
                                        ; implicit-def: $vgpr3
	v_and_b32_e32 v5, 0x7fffffff, v2
	v_cmp_gt_u32_e32 vcc, s2, v5
	s_and_saveexec_b64 s[2:3], vcc
	s_xor_b64 s[2:3], exec, s[2:3]
	s_cbranch_execz .LBB49_1766
; %bb.1761:
	s_mov_b32 s4, 0x387fffff
	v_cmp_lt_u32_e32 vcc, s4, v5
                                        ; implicit-def: $vgpr3
	s_and_saveexec_b64 s[4:5], vcc
	s_xor_b64 s[4:5], exec, s[4:5]
; %bb.1762:
	v_bfe_u32 v3, v2, 21, 1
	s_mov_b32 s6, 0x80fffff
	v_add3_u32 v3, v2, v3, s6
	v_lshrrev_b32_e32 v3, 21, v3
; %bb.1763:
	s_andn2_saveexec_b64 s[4:5], s[4:5]
; %bb.1764:
	s_mov_b32 s6, 0x43000000
	v_add_f32_e64 v3, |v2|, s6
; %bb.1765:
	s_or_b64 exec, exec, s[4:5]
                                        ; implicit-def: $vgpr5
.LBB49_1766:
	s_andn2_saveexec_b64 s[2:3], s[2:3]
; %bb.1767:
	s_mov_b32 s4, 0x7f800000
	v_mov_b32_e32 v3, 0x7c
	v_mov_b32_e32 v7, 0x7f
	v_cmp_lt_u32_e32 vcc, s4, v5
	v_cndmask_b32_e32 v3, v3, v7, vcc
; %bb.1768:
	s_or_b64 exec, exec, s[2:3]
	v_lshrrev_b32_e32 v2, 24, v2
	s_movk_i32 s2, 0x80
	v_and_or_b32 v2, v2, s2, v3
	global_store_byte v[25:26], v2, off
.LBB49_1769:
	s_mov_b64 s[2:3], 0
	s_mov_b64 s[4:5], -1
.LBB49_1770:
	s_andn2_b64 vcc, exec, s[2:3]
	s_mov_b64 s[2:3], 0
	s_cbranch_vccnz .LBB49_1777
; %bb.1771:
	s_cmp_gt_i32 s15, 14
	s_mov_b64 s[6:7], -1
	s_cbranch_scc0 .LBB49_1775
; %bb.1772:
	s_cmp_eq_u32 s15, 15
	s_mov_b64 s[0:1], -1
	s_cbranch_scc0 .LBB49_1774
; %bb.1773:
	v_cvt_f32_f64_e32 v2, v[0:1]
	s_movk_i32 s0, 0x7fff
	v_mov_b32_e32 v3, 0x7fc0
	s_mov_b64 s[4:5], -1
	v_bfe_u32 v5, v2, 16, 1
	v_cmp_o_f32_e32 vcc, v2, v2
	v_add3_u32 v2, v2, v5, s0
	v_cndmask_b32_sdwa v2, v3, v2, vcc dst_sel:DWORD dst_unused:UNUSED_PAD src0_sel:DWORD src1_sel:WORD_1
	global_store_short v[25:26], v2, off
	s_mov_b64 s[0:1], 0
.LBB49_1774:
	s_mov_b64 s[6:7], 0
.LBB49_1775:
	s_and_b64 vcc, exec, s[6:7]
	s_cbranch_vccz .LBB49_1777
; %bb.1776:
	s_cmp_lg_u32 s15, 11
	s_mov_b64 s[2:3], -1
	s_cselect_b64 s[0:1], -1, 0
.LBB49_1777:
	s_and_b64 vcc, exec, s[0:1]
	s_cbranch_vccnz .LBB49_2185
; %bb.1778:
	s_andn2_b64 vcc, exec, s[2:3]
	s_cbranch_vccnz .LBB49_1780
.LBB49_1779:
	v_cmp_neq_f64_e32 vcc, 0, v[0:1]
	s_mov_b64 s[4:5], -1
	v_cndmask_b32_e64 v2, 0, 1, vcc
	global_store_byte v[25:26], v2, off
.LBB49_1780:
	s_mov_b64 s[0:1], 0
	s_branch .LBB49_1782
.LBB49_1781:
	s_mov_b64 s[0:1], -1
	s_mov_b64 s[4:5], 0
.LBB49_1782:
	s_and_b64 vcc, exec, s[0:1]
	s_cbranch_vccz .LBB49_1821
; %bb.1783:
	s_and_b32 s2, 0xffff, s14
	s_cmp_lt_i32 s2, 5
	s_mov_b64 s[0:1], -1
	s_cbranch_scc1 .LBB49_1804
; %bb.1784:
	s_cmp_lt_i32 s2, 8
	s_cbranch_scc1 .LBB49_1794
; %bb.1785:
	s_cmp_lt_i32 s2, 9
	s_cbranch_scc1 .LBB49_1791
; %bb.1786:
	s_cmp_gt_i32 s2, 9
	s_cbranch_scc0 .LBB49_1788
; %bb.1787:
	v_mov_b32_e32 v2, 0
	v_mov_b32_e32 v3, v2
	global_store_dwordx4 v[25:26], v[0:3], off
	s_mov_b64 s[0:1], 0
.LBB49_1788:
	s_andn2_b64 vcc, exec, s[0:1]
	s_cbranch_vccnz .LBB49_1790
; %bb.1789:
	v_cvt_f32_f64_e32 v2, v[0:1]
	v_mov_b32_e32 v3, 0
	global_store_dwordx2 v[25:26], v[2:3], off
.LBB49_1790:
	s_mov_b64 s[0:1], 0
.LBB49_1791:
	s_andn2_b64 vcc, exec, s[0:1]
	s_cbranch_vccnz .LBB49_1793
; %bb.1792:
	s_movk_i32 s0, 0x1ff
	v_and_or_b32 v2, v1, s0, v0
	v_cmp_ne_u32_e32 vcc, 0, v2
	v_cndmask_b32_e64 v2, 0, 1, vcc
	v_lshrrev_b32_e32 v3, 8, v1
	s_movk_i32 s0, 0xffe
	v_bfe_u32 v5, v1, 20, 11
	v_and_or_b32 v2, v3, s0, v2
	v_sub_u32_e32 v7, 0x3f1, v5
	v_or_b32_e32 v3, 0x1000, v2
	v_med3_i32 v7, v7, 0, 13
	v_lshrrev_b32_e32 v29, v7, v3
	v_lshlrev_b32_e32 v7, v7, v29
	v_cmp_ne_u32_e32 vcc, v7, v3
	v_cndmask_b32_e64 v3, 0, 1, vcc
	v_add_u32_e32 v5, 0xfffffc10, v5
	v_or_b32_e32 v3, v29, v3
	v_lshl_or_b32 v7, v5, 12, v2
	v_cmp_gt_i32_e32 vcc, 1, v5
	v_cndmask_b32_e32 v3, v7, v3, vcc
	v_and_b32_e32 v7, 7, v3
	v_cmp_lt_i32_e32 vcc, 5, v7
	v_cndmask_b32_e64 v29, 0, 1, vcc
	v_cmp_eq_u32_e32 vcc, 3, v7
	v_cndmask_b32_e64 v7, 0, 1, vcc
	v_or_b32_e32 v7, v7, v29
	v_lshrrev_b32_e32 v3, 2, v3
	v_add_u32_e32 v3, v3, v7
	v_mov_b32_e32 v7, 0x7c00
	v_cmp_gt_i32_e32 vcc, 31, v5
	v_cndmask_b32_e32 v3, v7, v3, vcc
	v_mov_b32_e32 v29, 0x7e00
	v_cmp_ne_u32_e32 vcc, 0, v2
	s_movk_i32 s0, 0x40f
	v_cndmask_b32_e32 v2, v7, v29, vcc
	v_cmp_eq_u32_e32 vcc, s0, v5
	v_cndmask_b32_e32 v2, v3, v2, vcc
	v_lshrrev_b32_e32 v3, 16, v1
	s_mov_b32 s0, 0x8000
	v_and_or_b32 v2, v3, s0, v2
	v_and_b32_e32 v2, 0xffff, v2
	global_store_dword v[25:26], v2, off
.LBB49_1793:
	s_mov_b64 s[0:1], 0
.LBB49_1794:
	s_andn2_b64 vcc, exec, s[0:1]
	s_cbranch_vccnz .LBB49_1803
; %bb.1795:
	s_cmp_lt_i32 s2, 6
	s_mov_b64 s[0:1], -1
	s_cbranch_scc1 .LBB49_1801
; %bb.1796:
	s_cmp_gt_i32 s2, 6
	s_cbranch_scc0 .LBB49_1798
; %bb.1797:
	global_store_dwordx2 v[25:26], v[0:1], off
	s_mov_b64 s[0:1], 0
.LBB49_1798:
	s_andn2_b64 vcc, exec, s[0:1]
	s_cbranch_vccnz .LBB49_1800
; %bb.1799:
	v_cvt_f32_f64_e32 v2, v[0:1]
	global_store_dword v[25:26], v2, off
.LBB49_1800:
	s_mov_b64 s[0:1], 0
.LBB49_1801:
	s_andn2_b64 vcc, exec, s[0:1]
	s_cbranch_vccnz .LBB49_1803
; %bb.1802:
	s_movk_i32 s0, 0x1ff
	v_and_or_b32 v2, v1, s0, v0
	v_cmp_ne_u32_e32 vcc, 0, v2
	v_cndmask_b32_e64 v2, 0, 1, vcc
	v_lshrrev_b32_e32 v3, 8, v1
	s_movk_i32 s0, 0xffe
	v_bfe_u32 v5, v1, 20, 11
	v_and_or_b32 v2, v3, s0, v2
	v_sub_u32_e32 v7, 0x3f1, v5
	v_or_b32_e32 v3, 0x1000, v2
	v_med3_i32 v7, v7, 0, 13
	v_lshrrev_b32_e32 v29, v7, v3
	v_lshlrev_b32_e32 v7, v7, v29
	v_cmp_ne_u32_e32 vcc, v7, v3
	v_cndmask_b32_e64 v3, 0, 1, vcc
	v_add_u32_e32 v5, 0xfffffc10, v5
	v_or_b32_e32 v3, v29, v3
	v_lshl_or_b32 v7, v5, 12, v2
	v_cmp_gt_i32_e32 vcc, 1, v5
	v_cndmask_b32_e32 v3, v7, v3, vcc
	v_and_b32_e32 v7, 7, v3
	v_cmp_lt_i32_e32 vcc, 5, v7
	v_cndmask_b32_e64 v29, 0, 1, vcc
	v_cmp_eq_u32_e32 vcc, 3, v7
	v_cndmask_b32_e64 v7, 0, 1, vcc
	v_or_b32_e32 v7, v7, v29
	v_lshrrev_b32_e32 v3, 2, v3
	v_add_u32_e32 v3, v3, v7
	v_mov_b32_e32 v7, 0x7c00
	v_cmp_gt_i32_e32 vcc, 31, v5
	v_cndmask_b32_e32 v3, v7, v3, vcc
	v_mov_b32_e32 v29, 0x7e00
	v_cmp_ne_u32_e32 vcc, 0, v2
	s_movk_i32 s0, 0x40f
	v_cndmask_b32_e32 v2, v7, v29, vcc
	v_cmp_eq_u32_e32 vcc, s0, v5
	v_cndmask_b32_e32 v2, v3, v2, vcc
	v_lshrrev_b32_e32 v3, 16, v1
	s_mov_b32 s0, 0x8000
	v_and_or_b32 v2, v3, s0, v2
	global_store_short v[25:26], v2, off
.LBB49_1803:
	s_mov_b64 s[0:1], 0
.LBB49_1804:
	s_andn2_b64 vcc, exec, s[0:1]
	s_cbranch_vccnz .LBB49_1820
; %bb.1805:
	s_cmp_lt_i32 s2, 2
	s_mov_b64 s[0:1], -1
	s_cbranch_scc1 .LBB49_1815
; %bb.1806:
	s_cmp_lt_i32 s2, 3
	s_cbranch_scc1 .LBB49_1812
; %bb.1807:
	s_cmp_gt_i32 s2, 3
	s_cbranch_scc0 .LBB49_1809
; %bb.1808:
	v_trunc_f64_e32 v[2:3], v[0:1]
	s_movk_i32 s0, 0xffe0
	v_ldexp_f64 v[29:30], v[2:3], s0
	s_mov_b32 s0, 0
	s_mov_b32 s1, 0xc1f00000
	v_floor_f64_e32 v[29:30], v[29:30]
	v_fma_f64 v[2:3], v[29:30], s[0:1], v[2:3]
	v_cvt_i32_f64_e32 v30, v[29:30]
	s_mov_b64 s[0:1], 0
	v_cvt_u32_f64_e32 v29, v[2:3]
	global_store_dwordx2 v[25:26], v[29:30], off
.LBB49_1809:
	s_andn2_b64 vcc, exec, s[0:1]
	s_cbranch_vccnz .LBB49_1811
; %bb.1810:
	v_cvt_i32_f64_e32 v2, v[0:1]
	global_store_dword v[25:26], v2, off
.LBB49_1811:
	s_mov_b64 s[0:1], 0
.LBB49_1812:
	s_andn2_b64 vcc, exec, s[0:1]
	s_cbranch_vccnz .LBB49_1814
; %bb.1813:
	v_cvt_i32_f64_e32 v2, v[0:1]
	global_store_short v[25:26], v2, off
.LBB49_1814:
	s_mov_b64 s[0:1], 0
.LBB49_1815:
	s_andn2_b64 vcc, exec, s[0:1]
	s_cbranch_vccnz .LBB49_1820
; %bb.1816:
	s_cmp_gt_i32 s2, 0
	s_mov_b64 s[0:1], -1
	s_cbranch_scc0 .LBB49_1818
; %bb.1817:
	v_cvt_i32_f64_e32 v2, v[0:1]
	s_mov_b64 s[0:1], 0
	global_store_byte v[25:26], v2, off
.LBB49_1818:
	s_andn2_b64 vcc, exec, s[0:1]
	s_cbranch_vccnz .LBB49_1820
; %bb.1819:
	v_trunc_f64_e32 v[0:1], v[0:1]
	s_movk_i32 s0, 0xffe0
	v_ldexp_f64 v[2:3], v[0:1], s0
	s_mov_b32 s0, 0
	s_mov_b32 s1, 0xc1f00000
	v_floor_f64_e32 v[2:3], v[2:3]
	v_fma_f64 v[0:1], v[2:3], s[0:1], v[0:1]
	v_cvt_u32_f64_e32 v0, v[0:1]
	global_store_byte v[25:26], v0, off
.LBB49_1820:
	s_mov_b64 s[4:5], -1
.LBB49_1821:
	s_andn2_b64 vcc, exec, s[4:5]
	s_cbranch_vccnz .LBB49_2136
; %bb.1822:
	v_mul_f64 v[0:1], v[15:16], v[15:16]
	s_lshr_b32 s0, s16, 8
	s_and_b32 s14, s0, 0xff
	s_cmp_lt_i32 s14, 11
	v_div_scale_f64 v[2:3], s[0:1], v[0:1], v[0:1], 1.0
	v_rcp_f64_e32 v[25:26], v[2:3]
	v_fma_f64 v[29:30], -v[2:3], v[25:26], 1.0
	v_fma_f64 v[25:26], v[25:26], v[29:30], v[25:26]
	v_fma_f64 v[29:30], -v[2:3], v[25:26], 1.0
	v_fma_f64 v[25:26], v[25:26], v[29:30], v[25:26]
	v_div_scale_f64 v[29:30], vcc, 1.0, v[0:1], 1.0
	v_mul_f64 v[31:32], v[29:30], v[25:26]
	v_fma_f64 v[2:3], -v[2:3], v[31:32], v[29:30]
	s_nop 1
	v_div_fmas_f64 v[2:3], v[2:3], v[25:26], v[31:32]
	v_div_fixup_f64 v[0:1], v[2:3], v[0:1], 1.0
	v_add_f64 v[2:3], v[15:16], 1.0
	v_add_f64 v[0:1], v[27:28], v[0:1]
	v_mul_f64 v[15:16], v[2:3], v[2:3]
	v_add_f64 v[2:3], v[2:3], 1.0
	v_div_scale_f64 v[25:26], s[0:1], v[15:16], v[15:16], 1.0
	v_rcp_f64_e32 v[27:28], v[25:26]
	v_fma_f64 v[29:30], -v[25:26], v[27:28], 1.0
	v_fma_f64 v[27:28], v[27:28], v[29:30], v[27:28]
	v_fma_f64 v[29:30], -v[25:26], v[27:28], 1.0
	v_fma_f64 v[27:28], v[27:28], v[29:30], v[27:28]
	v_div_scale_f64 v[29:30], vcc, 1.0, v[15:16], 1.0
	v_mul_f64 v[31:32], v[29:30], v[27:28]
	v_fma_f64 v[25:26], -v[25:26], v[31:32], v[29:30]
	s_nop 1
	v_div_fmas_f64 v[25:26], v[25:26], v[27:28], v[31:32]
	v_div_fixup_f64 v[15:16], v[25:26], v[15:16], 1.0
	v_add_f64 v[0:1], v[0:1], v[15:16]
	v_mul_f64 v[15:16], v[2:3], v[2:3]
	v_add_f64 v[2:3], v[2:3], 1.0
	v_div_scale_f64 v[25:26], s[0:1], v[15:16], v[15:16], 1.0
	v_rcp_f64_e32 v[27:28], v[25:26]
	v_fma_f64 v[29:30], -v[25:26], v[27:28], 1.0
	v_fma_f64 v[27:28], v[27:28], v[29:30], v[27:28]
	v_fma_f64 v[29:30], -v[25:26], v[27:28], 1.0
	v_fma_f64 v[27:28], v[27:28], v[29:30], v[27:28]
	v_div_scale_f64 v[29:30], vcc, 1.0, v[15:16], 1.0
	v_mul_f64 v[31:32], v[29:30], v[27:28]
	v_fma_f64 v[25:26], -v[25:26], v[31:32], v[29:30]
	s_nop 1
	v_div_fmas_f64 v[25:26], v[25:26], v[27:28], v[31:32]
	v_div_fixup_f64 v[15:16], v[25:26], v[15:16], 1.0
	;; [unrolled: 15-line block ×5, first 2 shown]
	v_add_f64 v[0:1], v[0:1], v[15:16]
	v_mul_f64 v[15:16], v[2:3], v[2:3]
	v_div_scale_f64 v[25:26], s[0:1], v[15:16], v[15:16], 1.0
	v_rcp_f64_e32 v[27:28], v[25:26]
	v_fma_f64 v[29:30], -v[25:26], v[27:28], 1.0
	v_fma_f64 v[27:28], v[27:28], v[29:30], v[27:28]
	v_fma_f64 v[29:30], -v[25:26], v[27:28], 1.0
	v_fma_f64 v[27:28], v[27:28], v[29:30], v[27:28]
	v_div_scale_f64 v[29:30], vcc, 1.0, v[15:16], 1.0
	v_mul_f64 v[31:32], v[29:30], v[27:28]
	v_fma_f64 v[25:26], -v[25:26], v[31:32], v[29:30]
	s_nop 1
	v_div_fmas_f64 v[25:26], v[25:26], v[27:28], v[31:32]
	v_div_fixup_f64 v[15:16], v[25:26], v[15:16], 1.0
	v_add_f64 v[25:26], v[2:3], v[2:3]
	v_div_scale_f64 v[27:28], s[0:1], v[25:26], v[25:26], 1.0
	s_mov_b32 s0, 0x18618618
	s_mov_b32 s1, 0xbf986186
	v_rcp_f64_e32 v[29:30], v[27:28]
	v_fma_f64 v[31:32], -v[27:28], v[29:30], 1.0
	v_fma_f64 v[29:30], v[29:30], v[31:32], v[29:30]
	v_fma_f64 v[31:32], -v[27:28], v[29:30], 1.0
	v_fma_f64 v[29:30], v[29:30], v[31:32], v[29:30]
	v_div_scale_f64 v[31:32], vcc, 1.0, v[25:26], 1.0
	v_mul_f64 v[33:34], v[31:32], v[29:30]
	v_fma_f64 v[27:28], -v[27:28], v[33:34], v[31:32]
	s_nop 1
	v_div_fmas_f64 v[27:28], v[27:28], v[29:30], v[33:34]
	v_div_fixup_f64 v[25:26], v[27:28], v[25:26], 1.0
	v_mov_b32_e32 v27, 0x11111111
	v_mov_b32_e32 v28, 0x3fa11111
	v_fma_f64 v[27:28], v[15:16], s[0:1], v[27:28]
	s_mov_b32 s0, 0x55555555
	s_mov_b32 s1, 0x3fc55555
	v_add_f64 v[25:26], v[25:26], 1.0
	v_fma_f64 v[27:28], -v[15:16], v[27:28], s[0:1]
	v_fma_f64 v[15:16], v[15:16], v[27:28], v[25:26]
	v_div_scale_f64 v[25:26], s[0:1], v[2:3], v[2:3], v[15:16]
	v_rcp_f64_e32 v[27:28], v[25:26]
	v_fma_f64 v[29:30], -v[25:26], v[27:28], 1.0
	v_fma_f64 v[27:28], v[27:28], v[29:30], v[27:28]
	v_fma_f64 v[29:30], -v[25:26], v[27:28], 1.0
	v_fma_f64 v[27:28], v[27:28], v[29:30], v[27:28]
	v_div_scale_f64 v[29:30], vcc, v[15:16], v[2:3], v[15:16]
	v_mul_f64 v[31:32], v[29:30], v[27:28]
	v_fma_f64 v[25:26], -v[25:26], v[31:32], v[29:30]
	s_nop 1
	v_div_fmas_f64 v[25:26], v[25:26], v[27:28], v[31:32]
	v_add_co_u32_e32 v7, vcc, s8, v8
	v_div_fixup_f64 v[2:3], v[25:26], v[2:3], v[15:16]
	v_add_f64 v[0:1], v[0:1], v[2:3]
	v_mov_b32_e32 v2, s9
	v_addc_co_u32_e32 v8, vcc, 0, v2, vcc
	v_mul_f64 v[0:1], v[21:22], v[0:1]
	s_cbranch_scc1 .LBB49_1900
; %bb.1823:
	s_and_b32 s15, 0xffff, s14
	s_mov_b64 s[6:7], -1
	s_mov_b64 s[2:3], 0
	s_cmp_gt_i32 s15, 25
	s_mov_b64 s[4:5], 0
	s_mov_b64 s[0:1], 0
	s_cbranch_scc0 .LBB49_1856
; %bb.1824:
	s_cmp_gt_i32 s15, 28
	s_cbranch_scc0 .LBB49_1839
; %bb.1825:
	s_cmp_gt_i32 s15, 43
	;; [unrolled: 3-line block ×3, first 2 shown]
	s_cbranch_scc0 .LBB49_1829
; %bb.1827:
	s_mov_b64 s[0:1], -1
	s_mov_b64 s[6:7], 0
	s_cmp_eq_u32 s15, 46
	s_cbranch_scc0 .LBB49_1829
; %bb.1828:
	v_cvt_f32_f64_e32 v2, v[0:1]
	s_movk_i32 s0, 0x7fff
	v_mov_b32_e32 v3, 0x7fc0
	s_mov_b64 s[4:5], -1
	v_bfe_u32 v5, v2, 16, 1
	v_cmp_o_f32_e32 vcc, v2, v2
	v_add3_u32 v2, v2, v5, s0
	v_cndmask_b32_sdwa v2, v3, v2, vcc dst_sel:DWORD dst_unused:UNUSED_PAD src0_sel:DWORD src1_sel:WORD_1
	global_store_dword v[7:8], v2, off
	s_mov_b64 s[0:1], 0
.LBB49_1829:
	s_and_b64 vcc, exec, s[6:7]
	s_cbranch_vccz .LBB49_1834
; %bb.1830:
	s_cmp_eq_u32 s15, 44
	s_mov_b64 s[0:1], -1
	s_cbranch_scc0 .LBB49_1834
; %bb.1831:
	v_cvt_f32_f64_e32 v2, v[0:1]
	s_movk_i32 s0, 0xff
	v_mov_b32_e32 v5, 0xff
	v_bfe_u32 v3, v2, 23, 8
	v_cmp_ne_u32_e32 vcc, s0, v3
	s_and_saveexec_b64 s[4:5], vcc
; %bb.1832:
	s_mov_b32 s0, 0x3fffff
	v_lshrrev_b32_e32 v5, 23, v2
	v_and_b32_e32 v15, 0x400000, v2
	v_and_or_b32 v2, v2, s0, v3
	v_cmp_ne_u32_e32 vcc, 0, v15
	v_cmp_ne_u32_e64 s[0:1], 0, v2
	s_and_b64 s[0:1], vcc, s[0:1]
	v_cndmask_b32_e64 v2, 0, 1, s[0:1]
	v_add_u32_e32 v5, v5, v2
; %bb.1833:
	s_or_b64 exec, exec, s[4:5]
	s_mov_b64 s[0:1], 0
	s_mov_b64 s[4:5], -1
	global_store_byte v[7:8], v5, off
.LBB49_1834:
	s_mov_b64 s[6:7], 0
.LBB49_1835:
	s_and_b64 vcc, exec, s[6:7]
	s_cbranch_vccz .LBB49_1838
; %bb.1836:
	s_cmp_eq_u32 s15, 29
	s_mov_b64 s[0:1], -1
	s_cbranch_scc0 .LBB49_1838
; %bb.1837:
	v_trunc_f64_e32 v[2:3], v[0:1]
	s_movk_i32 s0, 0xffe0
	s_mov_b64 s[4:5], -1
	v_ldexp_f64 v[15:16], v[2:3], s0
	s_mov_b32 s0, 0
	s_mov_b32 s1, 0xc1f00000
	v_floor_f64_e32 v[15:16], v[15:16]
	v_fma_f64 v[2:3], v[15:16], s[0:1], v[2:3]
	v_cvt_u32_f64_e32 v16, v[15:16]
	s_mov_b64 s[0:1], 0
	v_cvt_u32_f64_e32 v15, v[2:3]
	global_store_dwordx2 v[7:8], v[15:16], off
.LBB49_1838:
	s_mov_b64 s[6:7], 0
.LBB49_1839:
	s_and_b64 vcc, exec, s[6:7]
	s_cbranch_vccz .LBB49_1855
; %bb.1840:
	s_cmp_lt_i32 s15, 27
	s_mov_b64 s[4:5], -1
	s_cbranch_scc1 .LBB49_1846
; %bb.1841:
	s_cmp_gt_i32 s15, 27
	s_cbranch_scc0 .LBB49_1843
; %bb.1842:
	v_cvt_u32_f64_e32 v2, v[0:1]
	s_mov_b64 s[4:5], 0
	global_store_dword v[7:8], v2, off
.LBB49_1843:
	s_andn2_b64 vcc, exec, s[4:5]
	s_cbranch_vccnz .LBB49_1845
; %bb.1844:
	v_cvt_u32_f64_e32 v2, v[0:1]
	global_store_short v[7:8], v2, off
.LBB49_1845:
	s_mov_b64 s[4:5], 0
.LBB49_1846:
	s_andn2_b64 vcc, exec, s[4:5]
	s_cbranch_vccnz .LBB49_1854
; %bb.1847:
	v_cvt_f32_f64_e32 v2, v[0:1]
	s_mov_b32 s4, 0x43800000
	v_mov_b32_e32 v5, 0x80
	v_and_b32_e32 v3, 0x7fffffff, v2
	v_cmp_gt_u32_e32 vcc, s4, v3
	s_and_saveexec_b64 s[4:5], vcc
	s_cbranch_execz .LBB49_1853
; %bb.1848:
	s_mov_b32 s6, 0x3bffffff
	v_cmp_lt_u32_e32 vcc, s6, v3
	s_mov_b64 s[6:7], 0
                                        ; implicit-def: $vgpr3
	s_and_saveexec_b64 s[10:11], vcc
	s_xor_b64 s[10:11], exec, s[10:11]
	s_cbranch_execz .LBB49_2188
; %bb.1849:
	v_bfe_u32 v3, v2, 20, 1
	s_mov_b32 s16, 0x487ffff
	v_add3_u32 v3, v2, v3, s16
	s_mov_b64 s[6:7], exec
	v_lshrrev_b32_e32 v3, 20, v3
	s_andn2_saveexec_b64 s[10:11], s[10:11]
	s_cbranch_execnz .LBB49_2189
.LBB49_1850:
	s_or_b64 exec, exec, s[10:11]
	v_mov_b32_e32 v5, 0
	s_and_saveexec_b64 s[10:11], s[6:7]
.LBB49_1851:
	v_lshrrev_b32_e32 v2, 24, v2
	s_movk_i32 s6, 0x80
	v_and_or_b32 v5, v2, s6, v3
.LBB49_1852:
	s_or_b64 exec, exec, s[10:11]
.LBB49_1853:
	s_or_b64 exec, exec, s[4:5]
	global_store_byte v[7:8], v5, off
.LBB49_1854:
	s_mov_b64 s[4:5], -1
.LBB49_1855:
	s_mov_b64 s[6:7], 0
.LBB49_1856:
	s_and_b64 vcc, exec, s[6:7]
	s_cbranch_vccz .LBB49_1896
; %bb.1857:
	s_cmp_gt_i32 s15, 22
	s_mov_b64 s[2:3], -1
	s_cbranch_scc0 .LBB49_1889
; %bb.1858:
	s_cmp_lt_i32 s15, 24
	s_cbranch_scc1 .LBB49_1878
; %bb.1859:
	s_cmp_gt_i32 s15, 24
	s_cbranch_scc0 .LBB49_1867
; %bb.1860:
	v_cvt_f32_f64_e32 v2, v[0:1]
	s_mov_b32 s2, 0x47800000
	v_mov_b32_e32 v5, 0x80
	v_and_b32_e32 v3, 0x7fffffff, v2
	v_cmp_gt_u32_e32 vcc, s2, v3
	s_and_saveexec_b64 s[2:3], vcc
	s_cbranch_execz .LBB49_1866
; %bb.1861:
	s_mov_b32 s4, 0x37ffffff
	v_cmp_lt_u32_e32 vcc, s4, v3
	s_mov_b64 s[4:5], 0
                                        ; implicit-def: $vgpr3
	s_and_saveexec_b64 s[6:7], vcc
	s_xor_b64 s[6:7], exec, s[6:7]
	s_cbranch_execz .LBB49_2191
; %bb.1862:
	v_bfe_u32 v3, v2, 21, 1
	s_mov_b32 s10, 0x88fffff
	v_add3_u32 v3, v2, v3, s10
	s_mov_b64 s[4:5], exec
	v_lshrrev_b32_e32 v3, 21, v3
	s_andn2_saveexec_b64 s[6:7], s[6:7]
	s_cbranch_execnz .LBB49_2192
.LBB49_1863:
	s_or_b64 exec, exec, s[6:7]
	v_mov_b32_e32 v5, 0
	s_and_saveexec_b64 s[6:7], s[4:5]
.LBB49_1864:
	v_lshrrev_b32_e32 v2, 24, v2
	s_movk_i32 s4, 0x80
	v_and_or_b32 v5, v2, s4, v3
.LBB49_1865:
	s_or_b64 exec, exec, s[6:7]
.LBB49_1866:
	s_or_b64 exec, exec, s[2:3]
	s_mov_b64 s[2:3], 0
	global_store_byte v[7:8], v5, off
.LBB49_1867:
	s_and_b64 vcc, exec, s[2:3]
	s_cbranch_vccz .LBB49_1877
; %bb.1868:
	v_cvt_f32_f64_e32 v2, v[0:1]
	s_mov_b32 s2, 0x43f00000
                                        ; implicit-def: $vgpr3
	v_and_b32_e32 v5, 0x7fffffff, v2
	v_cmp_gt_u32_e32 vcc, s2, v5
	s_and_saveexec_b64 s[2:3], vcc
	s_xor_b64 s[2:3], exec, s[2:3]
	s_cbranch_execz .LBB49_1874
; %bb.1869:
	s_mov_b32 s4, 0x3c7fffff
	v_cmp_lt_u32_e32 vcc, s4, v5
                                        ; implicit-def: $vgpr3
	s_and_saveexec_b64 s[4:5], vcc
	s_xor_b64 s[4:5], exec, s[4:5]
; %bb.1870:
	v_bfe_u32 v3, v2, 20, 1
	s_mov_b32 s6, 0x407ffff
	v_add3_u32 v3, v2, v3, s6
	v_lshrrev_b32_e32 v5, 20, v3
	v_and_b32_e32 v3, 0xff00000, v3
	s_mov_b32 s6, 0x7f00000
	v_mov_b32_e32 v15, 0x7e
	v_cmp_ne_u32_e32 vcc, s6, v3
	v_cndmask_b32_e32 v3, v15, v5, vcc
; %bb.1871:
	s_andn2_saveexec_b64 s[4:5], s[4:5]
; %bb.1872:
	s_mov_b32 s6, 0x46800000
	v_add_f32_e64 v3, |v2|, s6
; %bb.1873:
	s_or_b64 exec, exec, s[4:5]
                                        ; implicit-def: $vgpr5
.LBB49_1874:
	s_andn2_saveexec_b64 s[2:3], s[2:3]
; %bb.1875:
	s_mov_b32 s4, 0x7f800000
	v_mov_b32_e32 v3, 0x7e
	v_mov_b32_e32 v15, 0x7f
	v_cmp_lt_u32_e32 vcc, s4, v5
	v_cndmask_b32_e32 v3, v3, v15, vcc
; %bb.1876:
	s_or_b64 exec, exec, s[2:3]
	v_lshrrev_b32_e32 v2, 24, v2
	s_movk_i32 s2, 0x80
	v_and_or_b32 v2, v2, s2, v3
	global_store_byte v[7:8], v2, off
.LBB49_1877:
	s_mov_b64 s[2:3], 0
.LBB49_1878:
	s_andn2_b64 vcc, exec, s[2:3]
	s_cbranch_vccnz .LBB49_1888
; %bb.1879:
	v_cvt_f32_f64_e32 v2, v[0:1]
	s_mov_b32 s2, 0x47800000
                                        ; implicit-def: $vgpr3
	v_and_b32_e32 v5, 0x7fffffff, v2
	v_cmp_gt_u32_e32 vcc, s2, v5
	s_and_saveexec_b64 s[2:3], vcc
	s_xor_b64 s[2:3], exec, s[2:3]
	s_cbranch_execz .LBB49_1885
; %bb.1880:
	s_mov_b32 s4, 0x387fffff
	v_cmp_lt_u32_e32 vcc, s4, v5
                                        ; implicit-def: $vgpr3
	s_and_saveexec_b64 s[4:5], vcc
	s_xor_b64 s[4:5], exec, s[4:5]
; %bb.1881:
	v_bfe_u32 v3, v2, 21, 1
	s_mov_b32 s6, 0x80fffff
	v_add3_u32 v3, v2, v3, s6
	v_lshrrev_b32_e32 v3, 21, v3
; %bb.1882:
	s_andn2_saveexec_b64 s[4:5], s[4:5]
; %bb.1883:
	s_mov_b32 s6, 0x43000000
	v_add_f32_e64 v3, |v2|, s6
; %bb.1884:
	s_or_b64 exec, exec, s[4:5]
                                        ; implicit-def: $vgpr5
.LBB49_1885:
	s_andn2_saveexec_b64 s[2:3], s[2:3]
; %bb.1886:
	s_mov_b32 s4, 0x7f800000
	v_mov_b32_e32 v3, 0x7c
	v_mov_b32_e32 v15, 0x7f
	v_cmp_lt_u32_e32 vcc, s4, v5
	v_cndmask_b32_e32 v3, v3, v15, vcc
; %bb.1887:
	s_or_b64 exec, exec, s[2:3]
	v_lshrrev_b32_e32 v2, 24, v2
	s_movk_i32 s2, 0x80
	v_and_or_b32 v2, v2, s2, v3
	global_store_byte v[7:8], v2, off
.LBB49_1888:
	s_mov_b64 s[2:3], 0
	s_mov_b64 s[4:5], -1
.LBB49_1889:
	s_andn2_b64 vcc, exec, s[2:3]
	s_mov_b64 s[2:3], 0
	s_cbranch_vccnz .LBB49_1896
; %bb.1890:
	s_cmp_gt_i32 s15, 14
	s_mov_b64 s[6:7], -1
	s_cbranch_scc0 .LBB49_1894
; %bb.1891:
	s_cmp_eq_u32 s15, 15
	s_mov_b64 s[0:1], -1
	s_cbranch_scc0 .LBB49_1893
; %bb.1892:
	v_cvt_f32_f64_e32 v2, v[0:1]
	s_movk_i32 s0, 0x7fff
	v_mov_b32_e32 v3, 0x7fc0
	s_mov_b64 s[4:5], -1
	v_bfe_u32 v5, v2, 16, 1
	v_cmp_o_f32_e32 vcc, v2, v2
	v_add3_u32 v2, v2, v5, s0
	v_cndmask_b32_sdwa v2, v3, v2, vcc dst_sel:DWORD dst_unused:UNUSED_PAD src0_sel:DWORD src1_sel:WORD_1
	global_store_short v[7:8], v2, off
	s_mov_b64 s[0:1], 0
.LBB49_1893:
	s_mov_b64 s[6:7], 0
.LBB49_1894:
	s_and_b64 vcc, exec, s[6:7]
	s_cbranch_vccz .LBB49_1896
; %bb.1895:
	s_cmp_lg_u32 s15, 11
	s_mov_b64 s[2:3], -1
	s_cselect_b64 s[0:1], -1, 0
.LBB49_1896:
	s_and_b64 vcc, exec, s[0:1]
	s_cbranch_vccnz .LBB49_2190
; %bb.1897:
	s_andn2_b64 vcc, exec, s[2:3]
	s_cbranch_vccnz .LBB49_1899
.LBB49_1898:
	v_cmp_neq_f64_e32 vcc, 0, v[0:1]
	s_mov_b64 s[4:5], -1
	v_cndmask_b32_e64 v2, 0, 1, vcc
	global_store_byte v[7:8], v2, off
.LBB49_1899:
	s_mov_b64 s[0:1], 0
	s_branch .LBB49_1901
.LBB49_1900:
	s_mov_b64 s[0:1], -1
	s_mov_b64 s[4:5], 0
.LBB49_1901:
	s_and_b64 vcc, exec, s[0:1]
	s_cbranch_vccz .LBB49_1940
; %bb.1902:
	s_and_b32 s2, 0xffff, s14
	s_cmp_lt_i32 s2, 5
	s_mov_b64 s[0:1], -1
	s_cbranch_scc1 .LBB49_1923
; %bb.1903:
	s_cmp_lt_i32 s2, 8
	s_cbranch_scc1 .LBB49_1913
; %bb.1904:
	s_cmp_lt_i32 s2, 9
	s_cbranch_scc1 .LBB49_1910
; %bb.1905:
	s_cmp_gt_i32 s2, 9
	s_cbranch_scc0 .LBB49_1907
; %bb.1906:
	v_mov_b32_e32 v2, 0
	v_mov_b32_e32 v3, v2
	global_store_dwordx4 v[7:8], v[0:3], off
	s_mov_b64 s[0:1], 0
.LBB49_1907:
	s_andn2_b64 vcc, exec, s[0:1]
	s_cbranch_vccnz .LBB49_1909
; %bb.1908:
	v_cvt_f32_f64_e32 v2, v[0:1]
	v_mov_b32_e32 v3, 0
	global_store_dwordx2 v[7:8], v[2:3], off
.LBB49_1909:
	s_mov_b64 s[0:1], 0
.LBB49_1910:
	s_andn2_b64 vcc, exec, s[0:1]
	s_cbranch_vccnz .LBB49_1912
; %bb.1911:
	s_movk_i32 s0, 0x1ff
	v_and_or_b32 v2, v1, s0, v0
	v_cmp_ne_u32_e32 vcc, 0, v2
	v_cndmask_b32_e64 v2, 0, 1, vcc
	v_lshrrev_b32_e32 v3, 8, v1
	s_movk_i32 s0, 0xffe
	v_bfe_u32 v5, v1, 20, 11
	v_and_or_b32 v2, v3, s0, v2
	v_sub_u32_e32 v15, 0x3f1, v5
	v_or_b32_e32 v3, 0x1000, v2
	v_med3_i32 v15, v15, 0, 13
	v_lshrrev_b32_e32 v16, v15, v3
	v_lshlrev_b32_e32 v15, v15, v16
	v_cmp_ne_u32_e32 vcc, v15, v3
	v_cndmask_b32_e64 v3, 0, 1, vcc
	v_add_u32_e32 v5, 0xfffffc10, v5
	v_or_b32_e32 v3, v16, v3
	v_lshl_or_b32 v15, v5, 12, v2
	v_cmp_gt_i32_e32 vcc, 1, v5
	v_cndmask_b32_e32 v3, v15, v3, vcc
	v_and_b32_e32 v15, 7, v3
	v_cmp_lt_i32_e32 vcc, 5, v15
	v_cndmask_b32_e64 v16, 0, 1, vcc
	v_cmp_eq_u32_e32 vcc, 3, v15
	v_cndmask_b32_e64 v15, 0, 1, vcc
	v_or_b32_e32 v15, v15, v16
	v_lshrrev_b32_e32 v3, 2, v3
	v_add_u32_e32 v3, v3, v15
	v_mov_b32_e32 v15, 0x7c00
	v_cmp_gt_i32_e32 vcc, 31, v5
	v_cndmask_b32_e32 v3, v15, v3, vcc
	v_mov_b32_e32 v16, 0x7e00
	v_cmp_ne_u32_e32 vcc, 0, v2
	s_movk_i32 s0, 0x40f
	v_cndmask_b32_e32 v2, v15, v16, vcc
	v_cmp_eq_u32_e32 vcc, s0, v5
	v_cndmask_b32_e32 v2, v3, v2, vcc
	v_lshrrev_b32_e32 v3, 16, v1
	s_mov_b32 s0, 0x8000
	v_and_or_b32 v2, v3, s0, v2
	v_and_b32_e32 v2, 0xffff, v2
	global_store_dword v[7:8], v2, off
.LBB49_1912:
	s_mov_b64 s[0:1], 0
.LBB49_1913:
	s_andn2_b64 vcc, exec, s[0:1]
	s_cbranch_vccnz .LBB49_1922
; %bb.1914:
	s_cmp_lt_i32 s2, 6
	s_mov_b64 s[0:1], -1
	s_cbranch_scc1 .LBB49_1920
; %bb.1915:
	s_cmp_gt_i32 s2, 6
	s_cbranch_scc0 .LBB49_1917
; %bb.1916:
	global_store_dwordx2 v[7:8], v[0:1], off
	s_mov_b64 s[0:1], 0
.LBB49_1917:
	s_andn2_b64 vcc, exec, s[0:1]
	s_cbranch_vccnz .LBB49_1919
; %bb.1918:
	v_cvt_f32_f64_e32 v2, v[0:1]
	global_store_dword v[7:8], v2, off
.LBB49_1919:
	s_mov_b64 s[0:1], 0
.LBB49_1920:
	s_andn2_b64 vcc, exec, s[0:1]
	s_cbranch_vccnz .LBB49_1922
; %bb.1921:
	s_movk_i32 s0, 0x1ff
	v_and_or_b32 v2, v1, s0, v0
	v_cmp_ne_u32_e32 vcc, 0, v2
	v_cndmask_b32_e64 v2, 0, 1, vcc
	v_lshrrev_b32_e32 v3, 8, v1
	s_movk_i32 s0, 0xffe
	v_bfe_u32 v5, v1, 20, 11
	v_and_or_b32 v2, v3, s0, v2
	v_sub_u32_e32 v15, 0x3f1, v5
	v_or_b32_e32 v3, 0x1000, v2
	v_med3_i32 v15, v15, 0, 13
	v_lshrrev_b32_e32 v16, v15, v3
	v_lshlrev_b32_e32 v15, v15, v16
	v_cmp_ne_u32_e32 vcc, v15, v3
	v_cndmask_b32_e64 v3, 0, 1, vcc
	v_add_u32_e32 v5, 0xfffffc10, v5
	v_or_b32_e32 v3, v16, v3
	v_lshl_or_b32 v15, v5, 12, v2
	v_cmp_gt_i32_e32 vcc, 1, v5
	v_cndmask_b32_e32 v3, v15, v3, vcc
	v_and_b32_e32 v15, 7, v3
	v_cmp_lt_i32_e32 vcc, 5, v15
	v_cndmask_b32_e64 v16, 0, 1, vcc
	v_cmp_eq_u32_e32 vcc, 3, v15
	v_cndmask_b32_e64 v15, 0, 1, vcc
	v_or_b32_e32 v15, v15, v16
	v_lshrrev_b32_e32 v3, 2, v3
	v_add_u32_e32 v3, v3, v15
	v_mov_b32_e32 v15, 0x7c00
	v_cmp_gt_i32_e32 vcc, 31, v5
	v_cndmask_b32_e32 v3, v15, v3, vcc
	v_mov_b32_e32 v16, 0x7e00
	v_cmp_ne_u32_e32 vcc, 0, v2
	s_movk_i32 s0, 0x40f
	v_cndmask_b32_e32 v2, v15, v16, vcc
	v_cmp_eq_u32_e32 vcc, s0, v5
	v_cndmask_b32_e32 v2, v3, v2, vcc
	v_lshrrev_b32_e32 v3, 16, v1
	s_mov_b32 s0, 0x8000
	v_and_or_b32 v2, v3, s0, v2
	global_store_short v[7:8], v2, off
.LBB49_1922:
	s_mov_b64 s[0:1], 0
.LBB49_1923:
	s_andn2_b64 vcc, exec, s[0:1]
	s_cbranch_vccnz .LBB49_1939
; %bb.1924:
	s_cmp_lt_i32 s2, 2
	s_mov_b64 s[0:1], -1
	s_cbranch_scc1 .LBB49_1934
; %bb.1925:
	s_cmp_lt_i32 s2, 3
	s_cbranch_scc1 .LBB49_1931
; %bb.1926:
	s_cmp_gt_i32 s2, 3
	s_cbranch_scc0 .LBB49_1928
; %bb.1927:
	v_trunc_f64_e32 v[2:3], v[0:1]
	s_movk_i32 s0, 0xffe0
	v_ldexp_f64 v[15:16], v[2:3], s0
	s_mov_b32 s0, 0
	s_mov_b32 s1, 0xc1f00000
	v_floor_f64_e32 v[15:16], v[15:16]
	v_fma_f64 v[2:3], v[15:16], s[0:1], v[2:3]
	v_cvt_i32_f64_e32 v16, v[15:16]
	s_mov_b64 s[0:1], 0
	v_cvt_u32_f64_e32 v15, v[2:3]
	global_store_dwordx2 v[7:8], v[15:16], off
.LBB49_1928:
	s_andn2_b64 vcc, exec, s[0:1]
	s_cbranch_vccnz .LBB49_1930
; %bb.1929:
	v_cvt_i32_f64_e32 v2, v[0:1]
	global_store_dword v[7:8], v2, off
.LBB49_1930:
	s_mov_b64 s[0:1], 0
.LBB49_1931:
	s_andn2_b64 vcc, exec, s[0:1]
	s_cbranch_vccnz .LBB49_1933
; %bb.1932:
	v_cvt_i32_f64_e32 v2, v[0:1]
	global_store_short v[7:8], v2, off
.LBB49_1933:
	s_mov_b64 s[0:1], 0
.LBB49_1934:
	s_andn2_b64 vcc, exec, s[0:1]
	s_cbranch_vccnz .LBB49_1939
; %bb.1935:
	s_cmp_gt_i32 s2, 0
	s_mov_b64 s[0:1], -1
	s_cbranch_scc0 .LBB49_1937
; %bb.1936:
	v_cvt_i32_f64_e32 v2, v[0:1]
	s_mov_b64 s[0:1], 0
	global_store_byte v[7:8], v2, off
.LBB49_1937:
	s_andn2_b64 vcc, exec, s[0:1]
	s_cbranch_vccnz .LBB49_1939
; %bb.1938:
	v_trunc_f64_e32 v[0:1], v[0:1]
	s_movk_i32 s0, 0xffe0
	v_ldexp_f64 v[2:3], v[0:1], s0
	s_mov_b32 s0, 0
	s_mov_b32 s1, 0xc1f00000
	v_floor_f64_e32 v[2:3], v[2:3]
	v_fma_f64 v[0:1], v[2:3], s[0:1], v[0:1]
	v_cvt_u32_f64_e32 v0, v[0:1]
	global_store_byte v[7:8], v0, off
.LBB49_1939:
	s_mov_b64 s[4:5], -1
.LBB49_1940:
	s_andn2_b64 vcc, exec, s[4:5]
	s_cbranch_vccnz .LBB49_2136
; %bb.1941:
	v_mul_f64 v[0:1], v[11:12], v[11:12]
	s_cmp_lt_i32 s14, 11
	v_div_scale_f64 v[2:3], s[0:1], v[0:1], v[0:1], 1.0
	v_rcp_f64_e32 v[7:8], v[2:3]
	v_fma_f64 v[15:16], -v[2:3], v[7:8], 1.0
	v_fma_f64 v[7:8], v[7:8], v[15:16], v[7:8]
	v_fma_f64 v[15:16], -v[2:3], v[7:8], 1.0
	v_fma_f64 v[7:8], v[7:8], v[15:16], v[7:8]
	v_div_scale_f64 v[15:16], vcc, 1.0, v[0:1], 1.0
	v_mul_f64 v[21:22], v[15:16], v[7:8]
	v_fma_f64 v[2:3], -v[2:3], v[21:22], v[15:16]
	s_nop 1
	v_div_fmas_f64 v[2:3], v[2:3], v[7:8], v[21:22]
	v_div_fixup_f64 v[0:1], v[2:3], v[0:1], 1.0
	v_add_f64 v[2:3], v[11:12], 1.0
	v_add_f64 v[0:1], v[23:24], v[0:1]
	v_mul_f64 v[7:8], v[2:3], v[2:3]
	v_add_f64 v[2:3], v[2:3], 1.0
	v_div_scale_f64 v[11:12], s[0:1], v[7:8], v[7:8], 1.0
	v_rcp_f64_e32 v[15:16], v[11:12]
	v_fma_f64 v[21:22], -v[11:12], v[15:16], 1.0
	v_fma_f64 v[15:16], v[15:16], v[21:22], v[15:16]
	v_fma_f64 v[21:22], -v[11:12], v[15:16], 1.0
	v_fma_f64 v[15:16], v[15:16], v[21:22], v[15:16]
	v_div_scale_f64 v[21:22], vcc, 1.0, v[7:8], 1.0
	v_mul_f64 v[23:24], v[21:22], v[15:16]
	v_fma_f64 v[11:12], -v[11:12], v[23:24], v[21:22]
	s_nop 1
	v_div_fmas_f64 v[11:12], v[11:12], v[15:16], v[23:24]
	v_div_fixup_f64 v[7:8], v[11:12], v[7:8], 1.0
	v_add_f64 v[0:1], v[0:1], v[7:8]
	v_mul_f64 v[7:8], v[2:3], v[2:3]
	v_add_f64 v[2:3], v[2:3], 1.0
	v_div_scale_f64 v[11:12], s[0:1], v[7:8], v[7:8], 1.0
	v_rcp_f64_e32 v[15:16], v[11:12]
	v_fma_f64 v[21:22], -v[11:12], v[15:16], 1.0
	v_fma_f64 v[15:16], v[15:16], v[21:22], v[15:16]
	v_fma_f64 v[21:22], -v[11:12], v[15:16], 1.0
	v_fma_f64 v[15:16], v[15:16], v[21:22], v[15:16]
	v_div_scale_f64 v[21:22], vcc, 1.0, v[7:8], 1.0
	v_mul_f64 v[23:24], v[21:22], v[15:16]
	v_fma_f64 v[11:12], -v[11:12], v[23:24], v[21:22]
	s_nop 1
	v_div_fmas_f64 v[11:12], v[11:12], v[15:16], v[23:24]
	v_div_fixup_f64 v[7:8], v[11:12], v[7:8], 1.0
	;; [unrolled: 15-line block ×5, first 2 shown]
	v_add_f64 v[0:1], v[0:1], v[7:8]
	v_mul_f64 v[7:8], v[2:3], v[2:3]
	v_div_scale_f64 v[11:12], s[0:1], v[7:8], v[7:8], 1.0
	v_rcp_f64_e32 v[15:16], v[11:12]
	v_fma_f64 v[21:22], -v[11:12], v[15:16], 1.0
	v_fma_f64 v[15:16], v[15:16], v[21:22], v[15:16]
	v_fma_f64 v[21:22], -v[11:12], v[15:16], 1.0
	v_fma_f64 v[15:16], v[15:16], v[21:22], v[15:16]
	v_div_scale_f64 v[21:22], vcc, 1.0, v[7:8], 1.0
	v_mul_f64 v[23:24], v[21:22], v[15:16]
	v_fma_f64 v[11:12], -v[11:12], v[23:24], v[21:22]
	s_nop 1
	v_div_fmas_f64 v[11:12], v[11:12], v[15:16], v[23:24]
	v_div_fixup_f64 v[7:8], v[11:12], v[7:8], 1.0
	v_add_f64 v[11:12], v[2:3], v[2:3]
	v_div_scale_f64 v[15:16], s[0:1], v[11:12], v[11:12], 1.0
	s_mov_b32 s0, 0x18618618
	s_mov_b32 s1, 0xbf986186
	v_rcp_f64_e32 v[21:22], v[15:16]
	v_fma_f64 v[23:24], -v[15:16], v[21:22], 1.0
	v_fma_f64 v[21:22], v[21:22], v[23:24], v[21:22]
	v_fma_f64 v[23:24], -v[15:16], v[21:22], 1.0
	v_fma_f64 v[21:22], v[21:22], v[23:24], v[21:22]
	v_div_scale_f64 v[23:24], vcc, 1.0, v[11:12], 1.0
	v_mul_f64 v[25:26], v[23:24], v[21:22]
	v_fma_f64 v[15:16], -v[15:16], v[25:26], v[23:24]
	s_nop 1
	v_div_fmas_f64 v[15:16], v[15:16], v[21:22], v[25:26]
	v_div_fixup_f64 v[11:12], v[15:16], v[11:12], 1.0
	v_mov_b32_e32 v15, 0x11111111
	v_mov_b32_e32 v16, 0x3fa11111
	v_fma_f64 v[15:16], v[7:8], s[0:1], v[15:16]
	s_mov_b32 s0, 0x55555555
	s_mov_b32 s1, 0x3fc55555
	v_add_f64 v[11:12], v[11:12], 1.0
	v_fma_f64 v[15:16], -v[7:8], v[15:16], s[0:1]
	v_fma_f64 v[7:8], v[7:8], v[15:16], v[11:12]
	v_div_scale_f64 v[11:12], s[0:1], v[2:3], v[2:3], v[7:8]
	v_rcp_f64_e32 v[15:16], v[11:12]
	v_fma_f64 v[21:22], -v[11:12], v[15:16], 1.0
	v_fma_f64 v[15:16], v[15:16], v[21:22], v[15:16]
	v_fma_f64 v[21:22], -v[11:12], v[15:16], 1.0
	v_fma_f64 v[15:16], v[15:16], v[21:22], v[15:16]
	v_div_scale_f64 v[21:22], vcc, v[7:8], v[2:3], v[7:8]
	v_mul_f64 v[23:24], v[21:22], v[15:16]
	v_fma_f64 v[11:12], -v[11:12], v[23:24], v[21:22]
	s_nop 1
	v_div_fmas_f64 v[11:12], v[11:12], v[15:16], v[23:24]
	v_add_co_u32_e32 v5, vcc, s8, v6
	v_div_fixup_f64 v[2:3], v[11:12], v[2:3], v[7:8]
	v_add_f64 v[0:1], v[0:1], v[2:3]
	v_mov_b32_e32 v2, s9
	v_addc_co_u32_e32 v6, vcc, 0, v2, vcc
	v_mul_f64 v[0:1], v[13:14], v[0:1]
	s_cbranch_scc1 .LBB49_2019
; %bb.1942:
	s_and_b32 s15, 0xffff, s14
	s_mov_b64 s[6:7], -1
	s_mov_b64 s[2:3], 0
	s_cmp_gt_i32 s15, 25
	s_mov_b64 s[4:5], 0
	s_mov_b64 s[0:1], 0
	s_cbranch_scc0 .LBB49_1975
; %bb.1943:
	s_cmp_gt_i32 s15, 28
	s_cbranch_scc0 .LBB49_1958
; %bb.1944:
	s_cmp_gt_i32 s15, 43
	;; [unrolled: 3-line block ×3, first 2 shown]
	s_cbranch_scc0 .LBB49_1948
; %bb.1946:
	s_mov_b64 s[0:1], -1
	s_mov_b64 s[6:7], 0
	s_cmp_eq_u32 s15, 46
	s_cbranch_scc0 .LBB49_1948
; %bb.1947:
	v_cvt_f32_f64_e32 v2, v[0:1]
	s_movk_i32 s0, 0x7fff
	v_mov_b32_e32 v3, 0x7fc0
	s_mov_b64 s[4:5], -1
	v_bfe_u32 v7, v2, 16, 1
	v_cmp_o_f32_e32 vcc, v2, v2
	v_add3_u32 v2, v2, v7, s0
	v_cndmask_b32_sdwa v2, v3, v2, vcc dst_sel:DWORD dst_unused:UNUSED_PAD src0_sel:DWORD src1_sel:WORD_1
	global_store_dword v[5:6], v2, off
	s_mov_b64 s[0:1], 0
.LBB49_1948:
	s_and_b64 vcc, exec, s[6:7]
	s_cbranch_vccz .LBB49_1953
; %bb.1949:
	s_cmp_eq_u32 s15, 44
	s_mov_b64 s[0:1], -1
	s_cbranch_scc0 .LBB49_1953
; %bb.1950:
	v_cvt_f32_f64_e32 v2, v[0:1]
	s_movk_i32 s0, 0xff
	v_mov_b32_e32 v7, 0xff
	v_bfe_u32 v3, v2, 23, 8
	v_cmp_ne_u32_e32 vcc, s0, v3
	s_and_saveexec_b64 s[4:5], vcc
; %bb.1951:
	s_mov_b32 s0, 0x3fffff
	v_lshrrev_b32_e32 v7, 23, v2
	v_and_b32_e32 v8, 0x400000, v2
	v_and_or_b32 v2, v2, s0, v3
	v_cmp_ne_u32_e32 vcc, 0, v8
	v_cmp_ne_u32_e64 s[0:1], 0, v2
	s_and_b64 s[0:1], vcc, s[0:1]
	v_cndmask_b32_e64 v2, 0, 1, s[0:1]
	v_add_u32_e32 v7, v7, v2
; %bb.1952:
	s_or_b64 exec, exec, s[4:5]
	s_mov_b64 s[0:1], 0
	s_mov_b64 s[4:5], -1
	global_store_byte v[5:6], v7, off
.LBB49_1953:
	s_mov_b64 s[6:7], 0
.LBB49_1954:
	s_and_b64 vcc, exec, s[6:7]
	s_cbranch_vccz .LBB49_1957
; %bb.1955:
	s_cmp_eq_u32 s15, 29
	s_mov_b64 s[0:1], -1
	s_cbranch_scc0 .LBB49_1957
; %bb.1956:
	v_trunc_f64_e32 v[2:3], v[0:1]
	s_movk_i32 s0, 0xffe0
	s_mov_b64 s[4:5], -1
	v_ldexp_f64 v[7:8], v[2:3], s0
	s_mov_b32 s0, 0
	s_mov_b32 s1, 0xc1f00000
	v_floor_f64_e32 v[7:8], v[7:8]
	v_fma_f64 v[2:3], v[7:8], s[0:1], v[2:3]
	v_cvt_u32_f64_e32 v8, v[7:8]
	s_mov_b64 s[0:1], 0
	v_cvt_u32_f64_e32 v7, v[2:3]
	global_store_dwordx2 v[5:6], v[7:8], off
.LBB49_1957:
	s_mov_b64 s[6:7], 0
.LBB49_1958:
	s_and_b64 vcc, exec, s[6:7]
	s_cbranch_vccz .LBB49_1974
; %bb.1959:
	s_cmp_lt_i32 s15, 27
	s_mov_b64 s[4:5], -1
	s_cbranch_scc1 .LBB49_1965
; %bb.1960:
	v_cvt_u32_f64_e32 v2, v[0:1]
	s_cmp_gt_i32 s15, 27
	s_cbranch_scc0 .LBB49_1962
; %bb.1961:
	s_mov_b64 s[4:5], 0
	global_store_dword v[5:6], v2, off
.LBB49_1962:
	s_andn2_b64 vcc, exec, s[4:5]
	s_cbranch_vccnz .LBB49_1964
; %bb.1963:
	global_store_short v[5:6], v2, off
.LBB49_1964:
	s_mov_b64 s[4:5], 0
.LBB49_1965:
	s_andn2_b64 vcc, exec, s[4:5]
	s_cbranch_vccnz .LBB49_1973
; %bb.1966:
	v_cvt_f32_f64_e32 v2, v[0:1]
	s_mov_b32 s4, 0x43800000
	v_mov_b32_e32 v7, 0x80
	v_and_b32_e32 v3, 0x7fffffff, v2
	v_cmp_gt_u32_e32 vcc, s4, v3
	s_and_saveexec_b64 s[4:5], vcc
	s_cbranch_execz .LBB49_1972
; %bb.1967:
	s_mov_b32 s6, 0x3bffffff
	v_cmp_lt_u32_e32 vcc, s6, v3
	s_mov_b64 s[6:7], 0
                                        ; implicit-def: $vgpr3
	s_and_saveexec_b64 s[10:11], vcc
	s_xor_b64 s[10:11], exec, s[10:11]
	s_cbranch_execz .LBB49_2193
; %bb.1968:
	v_bfe_u32 v3, v2, 20, 1
	s_mov_b32 s16, 0x487ffff
	v_add3_u32 v3, v2, v3, s16
	s_mov_b64 s[6:7], exec
	v_lshrrev_b32_e32 v3, 20, v3
	s_andn2_saveexec_b64 s[10:11], s[10:11]
	s_cbranch_execnz .LBB49_2194
.LBB49_1969:
	s_or_b64 exec, exec, s[10:11]
	v_mov_b32_e32 v7, 0
	s_and_saveexec_b64 s[10:11], s[6:7]
.LBB49_1970:
	v_lshrrev_b32_e32 v2, 24, v2
	s_movk_i32 s6, 0x80
	v_and_or_b32 v7, v2, s6, v3
.LBB49_1971:
	s_or_b64 exec, exec, s[10:11]
.LBB49_1972:
	s_or_b64 exec, exec, s[4:5]
	global_store_byte v[5:6], v7, off
.LBB49_1973:
	s_mov_b64 s[4:5], -1
.LBB49_1974:
	s_mov_b64 s[6:7], 0
.LBB49_1975:
	s_and_b64 vcc, exec, s[6:7]
	s_cbranch_vccz .LBB49_2015
; %bb.1976:
	s_cmp_gt_i32 s15, 22
	s_mov_b64 s[2:3], -1
	s_cbranch_scc0 .LBB49_2008
; %bb.1977:
	s_cmp_lt_i32 s15, 24
	s_cbranch_scc1 .LBB49_1997
; %bb.1978:
	s_cmp_gt_i32 s15, 24
	s_cbranch_scc0 .LBB49_1986
; %bb.1979:
	v_cvt_f32_f64_e32 v2, v[0:1]
	s_mov_b32 s2, 0x47800000
	v_mov_b32_e32 v7, 0x80
	v_and_b32_e32 v3, 0x7fffffff, v2
	v_cmp_gt_u32_e32 vcc, s2, v3
	s_and_saveexec_b64 s[2:3], vcc
	s_cbranch_execz .LBB49_1985
; %bb.1980:
	s_mov_b32 s4, 0x37ffffff
	v_cmp_lt_u32_e32 vcc, s4, v3
	s_mov_b64 s[4:5], 0
                                        ; implicit-def: $vgpr3
	s_and_saveexec_b64 s[6:7], vcc
	s_xor_b64 s[6:7], exec, s[6:7]
	s_cbranch_execz .LBB49_2196
; %bb.1981:
	v_bfe_u32 v3, v2, 21, 1
	s_mov_b32 s10, 0x88fffff
	v_add3_u32 v3, v2, v3, s10
	s_mov_b64 s[4:5], exec
	v_lshrrev_b32_e32 v3, 21, v3
	s_andn2_saveexec_b64 s[6:7], s[6:7]
	s_cbranch_execnz .LBB49_2197
.LBB49_1982:
	s_or_b64 exec, exec, s[6:7]
	v_mov_b32_e32 v7, 0
	s_and_saveexec_b64 s[6:7], s[4:5]
.LBB49_1983:
	v_lshrrev_b32_e32 v2, 24, v2
	s_movk_i32 s4, 0x80
	v_and_or_b32 v7, v2, s4, v3
.LBB49_1984:
	s_or_b64 exec, exec, s[6:7]
.LBB49_1985:
	s_or_b64 exec, exec, s[2:3]
	s_mov_b64 s[2:3], 0
	global_store_byte v[5:6], v7, off
.LBB49_1986:
	s_and_b64 vcc, exec, s[2:3]
	s_cbranch_vccz .LBB49_1996
; %bb.1987:
	v_cvt_f32_f64_e32 v2, v[0:1]
	s_mov_b32 s2, 0x43f00000
                                        ; implicit-def: $vgpr3
	v_and_b32_e32 v7, 0x7fffffff, v2
	v_cmp_gt_u32_e32 vcc, s2, v7
	s_and_saveexec_b64 s[2:3], vcc
	s_xor_b64 s[2:3], exec, s[2:3]
	s_cbranch_execz .LBB49_1993
; %bb.1988:
	s_mov_b32 s4, 0x3c7fffff
	v_cmp_lt_u32_e32 vcc, s4, v7
                                        ; implicit-def: $vgpr3
	s_and_saveexec_b64 s[4:5], vcc
	s_xor_b64 s[4:5], exec, s[4:5]
; %bb.1989:
	v_bfe_u32 v3, v2, 20, 1
	s_mov_b32 s6, 0x407ffff
	v_add3_u32 v3, v2, v3, s6
	v_lshrrev_b32_e32 v7, 20, v3
	v_and_b32_e32 v3, 0xff00000, v3
	s_mov_b32 s6, 0x7f00000
	v_mov_b32_e32 v8, 0x7e
	v_cmp_ne_u32_e32 vcc, s6, v3
	v_cndmask_b32_e32 v3, v8, v7, vcc
; %bb.1990:
	s_andn2_saveexec_b64 s[4:5], s[4:5]
; %bb.1991:
	s_mov_b32 s6, 0x46800000
	v_add_f32_e64 v3, |v2|, s6
; %bb.1992:
	s_or_b64 exec, exec, s[4:5]
                                        ; implicit-def: $vgpr7
.LBB49_1993:
	s_andn2_saveexec_b64 s[2:3], s[2:3]
; %bb.1994:
	s_mov_b32 s4, 0x7f800000
	v_mov_b32_e32 v3, 0x7e
	v_mov_b32_e32 v8, 0x7f
	v_cmp_lt_u32_e32 vcc, s4, v7
	v_cndmask_b32_e32 v3, v3, v8, vcc
; %bb.1995:
	s_or_b64 exec, exec, s[2:3]
	v_lshrrev_b32_e32 v2, 24, v2
	s_movk_i32 s2, 0x80
	v_and_or_b32 v2, v2, s2, v3
	global_store_byte v[5:6], v2, off
.LBB49_1996:
	s_mov_b64 s[2:3], 0
.LBB49_1997:
	s_andn2_b64 vcc, exec, s[2:3]
	s_cbranch_vccnz .LBB49_2007
; %bb.1998:
	v_cvt_f32_f64_e32 v2, v[0:1]
	s_mov_b32 s2, 0x47800000
                                        ; implicit-def: $vgpr3
	v_and_b32_e32 v7, 0x7fffffff, v2
	v_cmp_gt_u32_e32 vcc, s2, v7
	s_and_saveexec_b64 s[2:3], vcc
	s_xor_b64 s[2:3], exec, s[2:3]
	s_cbranch_execz .LBB49_2004
; %bb.1999:
	s_mov_b32 s4, 0x387fffff
	v_cmp_lt_u32_e32 vcc, s4, v7
                                        ; implicit-def: $vgpr3
	s_and_saveexec_b64 s[4:5], vcc
	s_xor_b64 s[4:5], exec, s[4:5]
; %bb.2000:
	v_bfe_u32 v3, v2, 21, 1
	s_mov_b32 s6, 0x80fffff
	v_add3_u32 v3, v2, v3, s6
	v_lshrrev_b32_e32 v3, 21, v3
; %bb.2001:
	s_andn2_saveexec_b64 s[4:5], s[4:5]
; %bb.2002:
	s_mov_b32 s6, 0x43000000
	v_add_f32_e64 v3, |v2|, s6
; %bb.2003:
	s_or_b64 exec, exec, s[4:5]
                                        ; implicit-def: $vgpr7
.LBB49_2004:
	s_andn2_saveexec_b64 s[2:3], s[2:3]
; %bb.2005:
	s_mov_b32 s4, 0x7f800000
	v_mov_b32_e32 v3, 0x7c
	v_mov_b32_e32 v8, 0x7f
	v_cmp_lt_u32_e32 vcc, s4, v7
	v_cndmask_b32_e32 v3, v3, v8, vcc
; %bb.2006:
	s_or_b64 exec, exec, s[2:3]
	v_lshrrev_b32_e32 v2, 24, v2
	s_movk_i32 s2, 0x80
	v_and_or_b32 v2, v2, s2, v3
	global_store_byte v[5:6], v2, off
.LBB49_2007:
	s_mov_b64 s[2:3], 0
	s_mov_b64 s[4:5], -1
.LBB49_2008:
	s_andn2_b64 vcc, exec, s[2:3]
	s_mov_b64 s[2:3], 0
	s_cbranch_vccnz .LBB49_2015
; %bb.2009:
	s_cmp_gt_i32 s15, 14
	s_mov_b64 s[6:7], -1
	s_cbranch_scc0 .LBB49_2013
; %bb.2010:
	s_cmp_eq_u32 s15, 15
	s_mov_b64 s[0:1], -1
	s_cbranch_scc0 .LBB49_2012
; %bb.2011:
	v_cvt_f32_f64_e32 v2, v[0:1]
	s_movk_i32 s0, 0x7fff
	v_mov_b32_e32 v3, 0x7fc0
	s_mov_b64 s[4:5], -1
	v_bfe_u32 v7, v2, 16, 1
	v_cmp_o_f32_e32 vcc, v2, v2
	v_add3_u32 v2, v2, v7, s0
	v_cndmask_b32_sdwa v2, v3, v2, vcc dst_sel:DWORD dst_unused:UNUSED_PAD src0_sel:DWORD src1_sel:WORD_1
	global_store_short v[5:6], v2, off
	s_mov_b64 s[0:1], 0
.LBB49_2012:
	s_mov_b64 s[6:7], 0
.LBB49_2013:
	s_and_b64 vcc, exec, s[6:7]
	s_cbranch_vccz .LBB49_2015
; %bb.2014:
	s_cmp_lg_u32 s15, 11
	s_mov_b64 s[2:3], -1
	s_cselect_b64 s[0:1], -1, 0
.LBB49_2015:
	s_and_b64 vcc, exec, s[0:1]
	s_cbranch_vccnz .LBB49_2195
; %bb.2016:
	s_andn2_b64 vcc, exec, s[2:3]
	s_cbranch_vccnz .LBB49_2018
.LBB49_2017:
	v_cmp_neq_f64_e32 vcc, 0, v[0:1]
	s_mov_b64 s[4:5], -1
	v_cndmask_b32_e64 v2, 0, 1, vcc
	global_store_byte v[5:6], v2, off
.LBB49_2018:
	s_mov_b64 s[0:1], 0
	s_branch .LBB49_2020
.LBB49_2019:
	s_mov_b64 s[0:1], -1
	s_mov_b64 s[4:5], 0
.LBB49_2020:
	s_and_b64 vcc, exec, s[0:1]
	s_cbranch_vccz .LBB49_2059
; %bb.2021:
	s_and_b32 s2, 0xffff, s14
	s_cmp_lt_i32 s2, 5
	s_mov_b64 s[0:1], -1
	s_cbranch_scc1 .LBB49_2042
; %bb.2022:
	s_cmp_lt_i32 s2, 8
	s_cbranch_scc1 .LBB49_2032
; %bb.2023:
	s_cmp_lt_i32 s2, 9
	s_cbranch_scc1 .LBB49_2029
; %bb.2024:
	s_cmp_gt_i32 s2, 9
	s_cbranch_scc0 .LBB49_2026
; %bb.2025:
	v_mov_b32_e32 v2, 0
	v_mov_b32_e32 v3, v2
	global_store_dwordx4 v[5:6], v[0:3], off
	s_mov_b64 s[0:1], 0
.LBB49_2026:
	s_andn2_b64 vcc, exec, s[0:1]
	s_cbranch_vccnz .LBB49_2028
; %bb.2027:
	v_cvt_f32_f64_e32 v2, v[0:1]
	v_mov_b32_e32 v3, 0
	global_store_dwordx2 v[5:6], v[2:3], off
.LBB49_2028:
	s_mov_b64 s[0:1], 0
.LBB49_2029:
	s_andn2_b64 vcc, exec, s[0:1]
	s_cbranch_vccnz .LBB49_2031
; %bb.2030:
	s_movk_i32 s0, 0x1ff
	v_and_or_b32 v2, v1, s0, v0
	v_cmp_ne_u32_e32 vcc, 0, v2
	v_cndmask_b32_e64 v2, 0, 1, vcc
	v_lshrrev_b32_e32 v3, 8, v1
	s_movk_i32 s0, 0xffe
	v_bfe_u32 v7, v1, 20, 11
	v_and_or_b32 v2, v3, s0, v2
	v_sub_u32_e32 v8, 0x3f1, v7
	v_or_b32_e32 v3, 0x1000, v2
	v_med3_i32 v8, v8, 0, 13
	v_lshrrev_b32_e32 v11, v8, v3
	v_lshlrev_b32_e32 v8, v8, v11
	v_cmp_ne_u32_e32 vcc, v8, v3
	v_cndmask_b32_e64 v3, 0, 1, vcc
	v_add_u32_e32 v7, 0xfffffc10, v7
	v_or_b32_e32 v3, v11, v3
	v_lshl_or_b32 v8, v7, 12, v2
	v_cmp_gt_i32_e32 vcc, 1, v7
	v_cndmask_b32_e32 v3, v8, v3, vcc
	v_and_b32_e32 v8, 7, v3
	v_cmp_lt_i32_e32 vcc, 5, v8
	v_cndmask_b32_e64 v11, 0, 1, vcc
	v_cmp_eq_u32_e32 vcc, 3, v8
	v_cndmask_b32_e64 v8, 0, 1, vcc
	v_or_b32_e32 v8, v8, v11
	v_lshrrev_b32_e32 v3, 2, v3
	v_add_u32_e32 v3, v3, v8
	v_mov_b32_e32 v8, 0x7c00
	v_cmp_gt_i32_e32 vcc, 31, v7
	v_cndmask_b32_e32 v3, v8, v3, vcc
	v_mov_b32_e32 v11, 0x7e00
	v_cmp_ne_u32_e32 vcc, 0, v2
	s_movk_i32 s0, 0x40f
	v_cndmask_b32_e32 v2, v8, v11, vcc
	v_cmp_eq_u32_e32 vcc, s0, v7
	v_cndmask_b32_e32 v2, v3, v2, vcc
	v_lshrrev_b32_e32 v3, 16, v1
	s_mov_b32 s0, 0x8000
	v_and_or_b32 v2, v3, s0, v2
	v_and_b32_e32 v2, 0xffff, v2
	global_store_dword v[5:6], v2, off
.LBB49_2031:
	s_mov_b64 s[0:1], 0
.LBB49_2032:
	s_andn2_b64 vcc, exec, s[0:1]
	s_cbranch_vccnz .LBB49_2041
; %bb.2033:
	s_cmp_lt_i32 s2, 6
	s_mov_b64 s[0:1], -1
	s_cbranch_scc1 .LBB49_2039
; %bb.2034:
	s_cmp_gt_i32 s2, 6
	s_cbranch_scc0 .LBB49_2036
; %bb.2035:
	global_store_dwordx2 v[5:6], v[0:1], off
	s_mov_b64 s[0:1], 0
.LBB49_2036:
	s_andn2_b64 vcc, exec, s[0:1]
	s_cbranch_vccnz .LBB49_2038
; %bb.2037:
	v_cvt_f32_f64_e32 v2, v[0:1]
	global_store_dword v[5:6], v2, off
.LBB49_2038:
	s_mov_b64 s[0:1], 0
.LBB49_2039:
	s_andn2_b64 vcc, exec, s[0:1]
	s_cbranch_vccnz .LBB49_2041
; %bb.2040:
	s_movk_i32 s0, 0x1ff
	v_and_or_b32 v2, v1, s0, v0
	v_cmp_ne_u32_e32 vcc, 0, v2
	v_cndmask_b32_e64 v2, 0, 1, vcc
	v_lshrrev_b32_e32 v3, 8, v1
	s_movk_i32 s0, 0xffe
	v_bfe_u32 v7, v1, 20, 11
	v_and_or_b32 v2, v3, s0, v2
	v_sub_u32_e32 v8, 0x3f1, v7
	v_or_b32_e32 v3, 0x1000, v2
	v_med3_i32 v8, v8, 0, 13
	v_lshrrev_b32_e32 v11, v8, v3
	v_lshlrev_b32_e32 v8, v8, v11
	v_cmp_ne_u32_e32 vcc, v8, v3
	v_cndmask_b32_e64 v3, 0, 1, vcc
	v_add_u32_e32 v7, 0xfffffc10, v7
	v_or_b32_e32 v3, v11, v3
	v_lshl_or_b32 v8, v7, 12, v2
	v_cmp_gt_i32_e32 vcc, 1, v7
	v_cndmask_b32_e32 v3, v8, v3, vcc
	v_and_b32_e32 v8, 7, v3
	v_cmp_lt_i32_e32 vcc, 5, v8
	v_cndmask_b32_e64 v11, 0, 1, vcc
	v_cmp_eq_u32_e32 vcc, 3, v8
	v_cndmask_b32_e64 v8, 0, 1, vcc
	v_or_b32_e32 v8, v8, v11
	v_lshrrev_b32_e32 v3, 2, v3
	v_add_u32_e32 v3, v3, v8
	v_mov_b32_e32 v8, 0x7c00
	v_cmp_gt_i32_e32 vcc, 31, v7
	v_cndmask_b32_e32 v3, v8, v3, vcc
	v_mov_b32_e32 v11, 0x7e00
	v_cmp_ne_u32_e32 vcc, 0, v2
	s_movk_i32 s0, 0x40f
	v_cndmask_b32_e32 v2, v8, v11, vcc
	v_cmp_eq_u32_e32 vcc, s0, v7
	v_cndmask_b32_e32 v2, v3, v2, vcc
	v_lshrrev_b32_e32 v3, 16, v1
	s_mov_b32 s0, 0x8000
	v_and_or_b32 v2, v3, s0, v2
	global_store_short v[5:6], v2, off
.LBB49_2041:
	s_mov_b64 s[0:1], 0
.LBB49_2042:
	s_andn2_b64 vcc, exec, s[0:1]
	s_cbranch_vccnz .LBB49_2058
; %bb.2043:
	s_cmp_lt_i32 s2, 2
	s_mov_b64 s[0:1], -1
	s_cbranch_scc1 .LBB49_2053
; %bb.2044:
	s_cmp_lt_i32 s2, 3
	s_cbranch_scc1 .LBB49_2050
; %bb.2045:
	s_cmp_gt_i32 s2, 3
	s_cbranch_scc0 .LBB49_2047
; %bb.2046:
	v_trunc_f64_e32 v[2:3], v[0:1]
	s_movk_i32 s0, 0xffe0
	v_ldexp_f64 v[7:8], v[2:3], s0
	s_mov_b32 s0, 0
	s_mov_b32 s1, 0xc1f00000
	v_floor_f64_e32 v[7:8], v[7:8]
	v_fma_f64 v[2:3], v[7:8], s[0:1], v[2:3]
	v_cvt_i32_f64_e32 v8, v[7:8]
	s_mov_b64 s[0:1], 0
	v_cvt_u32_f64_e32 v7, v[2:3]
	global_store_dwordx2 v[5:6], v[7:8], off
.LBB49_2047:
	s_andn2_b64 vcc, exec, s[0:1]
	s_cbranch_vccnz .LBB49_2049
; %bb.2048:
	v_cvt_i32_f64_e32 v2, v[0:1]
	global_store_dword v[5:6], v2, off
.LBB49_2049:
	s_mov_b64 s[0:1], 0
.LBB49_2050:
	s_andn2_b64 vcc, exec, s[0:1]
	s_cbranch_vccnz .LBB49_2052
; %bb.2051:
	v_cvt_i32_f64_e32 v2, v[0:1]
	global_store_short v[5:6], v2, off
.LBB49_2052:
	s_mov_b64 s[0:1], 0
.LBB49_2053:
	s_andn2_b64 vcc, exec, s[0:1]
	s_cbranch_vccnz .LBB49_2058
; %bb.2054:
	s_cmp_gt_i32 s2, 0
	s_mov_b64 s[0:1], -1
	s_cbranch_scc0 .LBB49_2056
; %bb.2055:
	v_cvt_i32_f64_e32 v2, v[0:1]
	s_mov_b64 s[0:1], 0
	global_store_byte v[5:6], v2, off
.LBB49_2056:
	s_andn2_b64 vcc, exec, s[0:1]
	s_cbranch_vccnz .LBB49_2058
; %bb.2057:
	v_trunc_f64_e32 v[0:1], v[0:1]
	s_movk_i32 s0, 0xffe0
	v_ldexp_f64 v[2:3], v[0:1], s0
	s_mov_b32 s0, 0
	s_mov_b32 s1, 0xc1f00000
	v_floor_f64_e32 v[2:3], v[2:3]
	v_fma_f64 v[0:1], v[2:3], s[0:1], v[0:1]
	v_cvt_u32_f64_e32 v0, v[0:1]
	global_store_byte v[5:6], v0, off
.LBB49_2058:
	s_mov_b64 s[4:5], -1
.LBB49_2059:
	s_andn2_b64 vcc, exec, s[4:5]
	s_cbranch_vccnz .LBB49_2136
; %bb.2060:
	v_add_f64 v[5:6], v[9:10], 1.0
	v_mul_f64 v[2:3], v[9:10], v[9:10]
	s_cmp_lt_i32 s14, 11
	v_mul_f64 v[0:1], v[5:6], v[5:6]
	v_div_scale_f64 v[15:16], s[0:1], v[2:3], v[2:3], 1.0
	v_add_f64 v[7:8], v[5:6], 1.0
	v_div_scale_f64 v[35:36], vcc, 1.0, v[2:3], 1.0
	v_div_scale_f64 v[21:22], s[0:1], v[0:1], v[0:1], 1.0
	v_mul_f64 v[5:6], v[7:8], v[7:8]
	v_add_f64 v[9:10], v[7:8], 1.0
	v_rcp_f64_e32 v[11:12], v[15:16]
	v_div_scale_f64 v[23:24], s[0:1], v[5:6], v[5:6], 1.0
	v_mul_f64 v[7:8], v[9:10], v[9:10]
	v_add_f64 v[9:10], v[9:10], 1.0
	v_rcp_f64_e32 v[13:14], v[21:22]
	v_div_scale_f64 v[25:26], s[0:1], v[7:8], v[7:8], 1.0
	v_add_f64 v[31:32], v[9:10], 1.0
	v_mul_f64 v[9:10], v[9:10], v[9:10]
	v_fma_f64 v[27:28], -v[15:16], v[11:12], 1.0
	v_div_scale_f64 v[39:40], s[0:1], 1.0, v[0:1], 1.0
	v_rcp_f64_e32 v[29:30], v[23:24]
	v_div_scale_f64 v[43:44], s[2:3], v[9:10], v[9:10], 1.0
	v_fma_f64 v[33:34], -v[21:22], v[13:14], 1.0
	v_fma_f64 v[27:28], v[11:12], v[27:28], v[11:12]
	v_add_f64 v[11:12], v[31:32], 1.0
	v_rcp_f64_e32 v[37:38], v[25:26]
	v_fma_f64 v[33:34], v[13:14], v[33:34], v[13:14]
	v_mul_f64 v[13:14], v[31:32], v[31:32]
	v_fma_f64 v[31:32], -v[15:16], v[27:28], 1.0
	v_fma_f64 v[41:42], -v[23:24], v[29:30], 1.0
	v_mul_f64 v[47:48], v[11:12], v[11:12]
	v_add_f64 v[51:52], v[11:12], v[11:12]
	v_fma_f64 v[45:46], -v[21:22], v[33:34], 1.0
	v_div_scale_f64 v[49:50], s[2:3], v[13:14], v[13:14], 1.0
	v_fma_f64 v[27:28], v[27:28], v[31:32], v[27:28]
	v_fma_f64 v[29:30], v[29:30], v[41:42], v[29:30]
	v_fma_f64 v[31:32], -v[25:26], v[37:38], 1.0
	v_div_scale_f64 v[41:42], s[2:3], v[47:48], v[47:48], 1.0
	v_fma_f64 v[33:34], v[33:34], v[45:46], v[33:34]
	v_div_scale_f64 v[45:46], s[2:3], 1.0, v[5:6], 1.0
	v_mul_f64 v[53:54], v[35:36], v[27:28]
	v_fma_f64 v[55:56], -v[23:24], v[29:30], 1.0
	v_fma_f64 v[31:32], v[37:38], v[31:32], v[37:38]
	v_div_scale_f64 v[57:58], s[4:5], v[51:52], v[51:52], 1.0
	v_mul_f64 v[37:38], v[39:40], v[33:34]
	v_fma_f64 v[15:16], -v[15:16], v[53:54], v[35:36]
	v_rcp_f64_e32 v[35:36], v[43:44]
	v_fma_f64 v[29:30], v[29:30], v[55:56], v[29:30]
	v_rcp_f64_e32 v[55:56], v[49:50]
	v_fma_f64 v[21:22], -v[21:22], v[37:38], v[39:40]
	v_rcp_f64_e32 v[39:40], v[41:42]
	v_div_fmas_f64 v[15:16], v[15:16], v[27:28], v[53:54]
	s_mov_b64 vcc, s[0:1]
	v_fma_f64 v[27:28], -v[25:26], v[31:32], 1.0
	v_mul_f64 v[53:54], v[45:46], v[29:30]
	v_div_fmas_f64 v[21:22], v[21:22], v[33:34], v[37:38]
	v_rcp_f64_e32 v[33:34], v[57:58]
	v_div_scale_f64 v[37:38], s[0:1], 1.0, v[7:8], 1.0
	s_mov_b64 vcc, s[2:3]
	v_fma_f64 v[27:28], v[31:32], v[27:28], v[31:32]
	v_fma_f64 v[31:32], -v[43:44], v[35:36], 1.0
	v_fma_f64 v[23:24], -v[23:24], v[53:54], v[45:46]
	v_fma_f64 v[45:46], -v[49:50], v[55:56], 1.0
	v_div_fixup_f64 v[2:3], v[15:16], v[2:3], 1.0
	v_fma_f64 v[31:32], v[35:36], v[31:32], v[35:36]
	v_fma_f64 v[35:36], -v[41:42], v[39:40], 1.0
	v_fma_f64 v[45:46], v[55:56], v[45:46], v[55:56]
	v_fma_f64 v[55:56], -v[57:58], v[33:34], 1.0
	v_div_fmas_f64 v[23:24], v[23:24], v[29:30], v[53:54]
	v_mul_f64 v[29:30], v[37:38], v[27:28]
	s_mov_b64 vcc, s[0:1]
	v_add_f64 v[2:3], v[19:20], v[2:3]
	v_fma_f64 v[53:54], -v[43:44], v[31:32], 1.0
	v_fma_f64 v[35:36], v[39:40], v[35:36], v[39:40]
	v_fma_f64 v[39:40], -v[49:50], v[45:46], 1.0
	v_fma_f64 v[33:34], v[33:34], v[55:56], v[33:34]
	v_div_scale_f64 v[55:56], s[2:3], 1.0, v[9:10], 1.0
	v_fma_f64 v[25:26], -v[25:26], v[29:30], v[37:38]
	v_div_scale_f64 v[37:38], s[4:5], 1.0, v[13:14], 1.0
	v_fma_f64 v[31:32], v[31:32], v[53:54], v[31:32]
	v_fma_f64 v[39:40], v[45:46], v[39:40], v[45:46]
	v_fma_f64 v[45:46], -v[41:42], v[35:36], 1.0
	v_div_scale_f64 v[53:54], s[6:7], 1.0, v[47:48], 1.0
	v_div_fmas_f64 v[25:26], v[25:26], v[27:28], v[29:30]
	v_fma_f64 v[27:28], -v[57:58], v[33:34], 1.0
	v_div_scale_f64 v[29:30], s[0:1], 1.0, v[51:52], 1.0
	s_mov_b64 vcc, s[2:3]
	v_fma_f64 v[35:36], v[35:36], v[45:46], v[35:36]
	v_mul_f64 v[45:46], v[55:56], v[31:32]
	v_div_fixup_f64 v[0:1], v[21:22], v[0:1], 1.0
	v_fma_f64 v[27:28], v[33:34], v[27:28], v[33:34]
	v_mul_f64 v[33:34], v[37:38], v[39:40]
	v_fma_f64 v[43:44], -v[43:44], v[45:46], v[55:56]
	v_mul_f64 v[55:56], v[53:54], v[35:36]
	v_add_f64 v[0:1], v[2:3], v[0:1]
	v_div_fixup_f64 v[2:3], v[23:24], v[5:6], 1.0
	v_fma_f64 v[37:38], -v[49:50], v[33:34], v[37:38]
	v_mul_f64 v[49:50], v[29:30], v[27:28]
	v_div_fmas_f64 v[31:32], v[43:44], v[31:32], v[45:46]
	v_fma_f64 v[41:42], -v[41:42], v[55:56], v[53:54]
	s_mov_b64 vcc, s[4:5]
	v_add_f64 v[0:1], v[0:1], v[2:3]
	v_div_fmas_f64 v[33:34], v[37:38], v[39:40], v[33:34]
	s_mov_b64 vcc, s[6:7]
	v_fma_f64 v[29:30], -v[57:58], v[49:50], v[29:30]
	v_div_fixup_f64 v[2:3], v[25:26], v[7:8], 1.0
	v_div_fmas_f64 v[35:36], v[41:42], v[35:36], v[55:56]
	s_mov_b64 vcc, s[0:1]
	s_mov_b32 s0, 0x18618618
	s_mov_b32 s1, 0xbf986186
	v_div_fmas_f64 v[27:28], v[29:30], v[27:28], v[49:50]
	v_add_f64 v[0:1], v[0:1], v[2:3]
	v_div_fixup_f64 v[2:3], v[31:32], v[9:10], 1.0
	v_add_f64 v[0:1], v[0:1], v[2:3]
	v_div_fixup_f64 v[29:30], v[35:36], v[47:48], 1.0
	v_mov_b32_e32 v35, 0x11111111
	v_mov_b32_e32 v36, 0x3fa11111
	v_div_fixup_f64 v[2:3], v[33:34], v[13:14], 1.0
	v_div_fixup_f64 v[27:28], v[27:28], v[51:52], 1.0
	v_fma_f64 v[35:36], v[29:30], s[0:1], v[35:36]
	s_mov_b32 s0, 0x55555555
	s_mov_b32 s1, 0x3fc55555
	v_add_f64 v[0:1], v[0:1], v[2:3]
	v_add_f64 v[27:28], v[27:28], 1.0
	v_fma_f64 v[35:36], -v[29:30], v[35:36], s[0:1]
	v_fma_f64 v[27:28], v[29:30], v[35:36], v[27:28]
	v_div_scale_f64 v[29:30], s[0:1], v[11:12], v[11:12], v[27:28]
	v_rcp_f64_e32 v[35:36], v[29:30]
	v_fma_f64 v[37:38], -v[29:30], v[35:36], 1.0
	v_fma_f64 v[35:36], v[35:36], v[37:38], v[35:36]
	v_div_scale_f64 v[37:38], vcc, v[27:28], v[11:12], v[27:28]
	v_fma_f64 v[15:16], -v[29:30], v[35:36], 1.0
	v_fma_f64 v[15:16], v[35:36], v[15:16], v[35:36]
	v_mul_f64 v[5:6], v[37:38], v[15:16]
	v_fma_f64 v[7:8], -v[29:30], v[5:6], v[37:38]
	v_div_fmas_f64 v[5:6], v[7:8], v[15:16], v[5:6]
	v_add_co_u32_e32 v4, vcc, s8, v4
	v_div_fixup_f64 v[2:3], v[5:6], v[11:12], v[27:28]
	v_add_f64 v[0:1], v[0:1], v[2:3]
	v_mov_b32_e32 v2, s9
	v_addc_co_u32_e32 v5, vcc, 0, v2, vcc
	v_mul_f64 v[0:1], v[17:18], v[0:1]
	s_cbranch_scc1 .LBB49_2181
; %bb.2061:
	s_and_b32 s10, 0xffff, s14
	s_mov_b64 s[4:5], -1
	s_mov_b64 s[2:3], 0
	s_cmp_gt_i32 s10, 25
	s_mov_b64 s[0:1], 0
	s_cbranch_scc0 .LBB49_2094
; %bb.2062:
	s_cmp_gt_i32 s10, 28
	s_cbranch_scc0 .LBB49_2078
; %bb.2063:
	s_cmp_gt_i32 s10, 43
	;; [unrolled: 3-line block ×3, first 2 shown]
	s_cbranch_scc0 .LBB49_2068
; %bb.2065:
	s_cmp_eq_u32 s10, 46
	s_mov_b64 s[0:1], -1
	s_cbranch_scc0 .LBB49_2067
; %bb.2066:
	v_cvt_f32_f64_e32 v2, v[0:1]
	s_movk_i32 s0, 0x7fff
	v_mov_b32_e32 v3, 0x7fc0
	v_bfe_u32 v6, v2, 16, 1
	v_cmp_o_f32_e32 vcc, v2, v2
	v_add3_u32 v2, v2, v6, s0
	v_cndmask_b32_sdwa v2, v3, v2, vcc dst_sel:DWORD dst_unused:UNUSED_PAD src0_sel:DWORD src1_sel:WORD_1
	global_store_dword v[4:5], v2, off
	s_mov_b64 s[0:1], 0
.LBB49_2067:
	s_mov_b64 s[4:5], 0
.LBB49_2068:
	s_and_b64 vcc, exec, s[4:5]
	s_cbranch_vccz .LBB49_2073
; %bb.2069:
	s_cmp_eq_u32 s10, 44
	s_mov_b64 s[0:1], -1
	s_cbranch_scc0 .LBB49_2073
; %bb.2070:
	v_cvt_f32_f64_e32 v2, v[0:1]
	s_movk_i32 s0, 0xff
	v_mov_b32_e32 v6, 0xff
	v_bfe_u32 v3, v2, 23, 8
	v_cmp_ne_u32_e32 vcc, s0, v3
	s_and_saveexec_b64 s[4:5], vcc
; %bb.2071:
	s_mov_b32 s0, 0x3fffff
	v_lshrrev_b32_e32 v6, 23, v2
	v_and_b32_e32 v7, 0x400000, v2
	v_and_or_b32 v2, v2, s0, v3
	v_cmp_ne_u32_e32 vcc, 0, v7
	v_cmp_ne_u32_e64 s[0:1], 0, v2
	s_and_b64 s[0:1], vcc, s[0:1]
	v_cndmask_b32_e64 v2, 0, 1, s[0:1]
	v_add_u32_e32 v6, v6, v2
; %bb.2072:
	s_or_b64 exec, exec, s[4:5]
	s_mov_b64 s[0:1], 0
	global_store_byte v[4:5], v6, off
.LBB49_2073:
	s_mov_b64 s[4:5], 0
.LBB49_2074:
	s_and_b64 vcc, exec, s[4:5]
	s_cbranch_vccz .LBB49_2077
; %bb.2075:
	s_cmp_eq_u32 s10, 29
	s_mov_b64 s[0:1], -1
	s_cbranch_scc0 .LBB49_2077
; %bb.2076:
	v_trunc_f64_e32 v[2:3], v[0:1]
	s_movk_i32 s0, 0xffe0
	v_ldexp_f64 v[6:7], v[2:3], s0
	s_mov_b32 s0, 0
	s_mov_b32 s1, 0xc1f00000
	v_floor_f64_e32 v[6:7], v[6:7]
	v_fma_f64 v[2:3], v[6:7], s[0:1], v[2:3]
	v_cvt_u32_f64_e32 v7, v[6:7]
	s_mov_b64 s[0:1], 0
	v_cvt_u32_f64_e32 v6, v[2:3]
	global_store_dwordx2 v[4:5], v[6:7], off
.LBB49_2077:
	s_mov_b64 s[4:5], 0
.LBB49_2078:
	s_and_b64 vcc, exec, s[4:5]
	s_cbranch_vccz .LBB49_2093
; %bb.2079:
	s_cmp_lt_i32 s10, 27
	s_mov_b64 s[4:5], -1
	s_cbranch_scc1 .LBB49_2085
; %bb.2080:
	s_cmp_gt_i32 s10, 27
	s_cbranch_scc0 .LBB49_2082
; %bb.2081:
	v_cvt_u32_f64_e32 v2, v[0:1]
	s_mov_b64 s[4:5], 0
	global_store_dword v[4:5], v2, off
.LBB49_2082:
	s_andn2_b64 vcc, exec, s[4:5]
	s_cbranch_vccnz .LBB49_2084
; %bb.2083:
	v_cvt_u32_f64_e32 v2, v[0:1]
	global_store_short v[4:5], v2, off
.LBB49_2084:
	s_mov_b64 s[4:5], 0
.LBB49_2085:
	s_andn2_b64 vcc, exec, s[4:5]
	s_cbranch_vccnz .LBB49_2093
; %bb.2086:
	v_cvt_f32_f64_e32 v2, v[0:1]
	s_mov_b32 s4, 0x43800000
	v_mov_b32_e32 v6, 0x80
	v_and_b32_e32 v3, 0x7fffffff, v2
	v_cmp_gt_u32_e32 vcc, s4, v3
	s_and_saveexec_b64 s[4:5], vcc
	s_cbranch_execz .LBB49_2092
; %bb.2087:
	s_mov_b32 s6, 0x3bffffff
	v_cmp_lt_u32_e32 vcc, s6, v3
	s_mov_b64 s[6:7], 0
                                        ; implicit-def: $vgpr3
	s_and_saveexec_b64 s[8:9], vcc
	s_xor_b64 s[8:9], exec, s[8:9]
	s_cbranch_execz .LBB49_2198
; %bb.2088:
	v_bfe_u32 v3, v2, 20, 1
	s_mov_b32 s11, 0x487ffff
	v_add3_u32 v3, v2, v3, s11
	s_mov_b64 s[6:7], exec
	v_lshrrev_b32_e32 v3, 20, v3
	s_andn2_saveexec_b64 s[8:9], s[8:9]
	s_cbranch_execnz .LBB49_2199
.LBB49_2089:
	s_or_b64 exec, exec, s[8:9]
	v_mov_b32_e32 v6, 0
	s_and_saveexec_b64 s[8:9], s[6:7]
.LBB49_2090:
	v_lshrrev_b32_e32 v2, 24, v2
	s_movk_i32 s6, 0x80
	v_and_or_b32 v6, v2, s6, v3
.LBB49_2091:
	s_or_b64 exec, exec, s[8:9]
.LBB49_2092:
	s_or_b64 exec, exec, s[4:5]
	global_store_byte v[4:5], v6, off
.LBB49_2093:
	s_mov_b64 s[4:5], 0
.LBB49_2094:
	s_and_b64 vcc, exec, s[4:5]
	s_cbranch_vccz .LBB49_2134
; %bb.2095:
	s_cmp_gt_i32 s10, 22
	s_mov_b64 s[2:3], -1
	s_cbranch_scc0 .LBB49_2127
; %bb.2096:
	s_cmp_lt_i32 s10, 24
	s_cbranch_scc1 .LBB49_2116
; %bb.2097:
	s_cmp_gt_i32 s10, 24
	s_cbranch_scc0 .LBB49_2105
; %bb.2098:
	v_cvt_f32_f64_e32 v2, v[0:1]
	s_mov_b32 s2, 0x47800000
	v_mov_b32_e32 v6, 0x80
	v_and_b32_e32 v3, 0x7fffffff, v2
	v_cmp_gt_u32_e32 vcc, s2, v3
	s_and_saveexec_b64 s[2:3], vcc
	s_cbranch_execz .LBB49_2104
; %bb.2099:
	s_mov_b32 s4, 0x37ffffff
	v_cmp_lt_u32_e32 vcc, s4, v3
	s_mov_b64 s[4:5], 0
                                        ; implicit-def: $vgpr3
	s_and_saveexec_b64 s[6:7], vcc
	s_xor_b64 s[6:7], exec, s[6:7]
	s_cbranch_execz .LBB49_2201
; %bb.2100:
	v_bfe_u32 v3, v2, 21, 1
	s_mov_b32 s8, 0x88fffff
	v_add3_u32 v3, v2, v3, s8
	s_mov_b64 s[4:5], exec
	v_lshrrev_b32_e32 v3, 21, v3
	s_andn2_saveexec_b64 s[6:7], s[6:7]
	s_cbranch_execnz .LBB49_2202
.LBB49_2101:
	s_or_b64 exec, exec, s[6:7]
	v_mov_b32_e32 v6, 0
	s_and_saveexec_b64 s[6:7], s[4:5]
.LBB49_2102:
	v_lshrrev_b32_e32 v2, 24, v2
	s_movk_i32 s4, 0x80
	v_and_or_b32 v6, v2, s4, v3
.LBB49_2103:
	s_or_b64 exec, exec, s[6:7]
.LBB49_2104:
	s_or_b64 exec, exec, s[2:3]
	s_mov_b64 s[2:3], 0
	global_store_byte v[4:5], v6, off
.LBB49_2105:
	s_and_b64 vcc, exec, s[2:3]
	s_cbranch_vccz .LBB49_2115
; %bb.2106:
	v_cvt_f32_f64_e32 v2, v[0:1]
	s_mov_b32 s2, 0x43f00000
                                        ; implicit-def: $vgpr3
	v_and_b32_e32 v6, 0x7fffffff, v2
	v_cmp_gt_u32_e32 vcc, s2, v6
	s_and_saveexec_b64 s[2:3], vcc
	s_xor_b64 s[2:3], exec, s[2:3]
	s_cbranch_execz .LBB49_2112
; %bb.2107:
	s_mov_b32 s4, 0x3c7fffff
	v_cmp_lt_u32_e32 vcc, s4, v6
                                        ; implicit-def: $vgpr3
	s_and_saveexec_b64 s[4:5], vcc
	s_xor_b64 s[4:5], exec, s[4:5]
; %bb.2108:
	v_bfe_u32 v3, v2, 20, 1
	s_mov_b32 s6, 0x407ffff
	v_add3_u32 v3, v2, v3, s6
	v_lshrrev_b32_e32 v6, 20, v3
	v_and_b32_e32 v3, 0xff00000, v3
	s_mov_b32 s6, 0x7f00000
	v_mov_b32_e32 v7, 0x7e
	v_cmp_ne_u32_e32 vcc, s6, v3
	v_cndmask_b32_e32 v3, v7, v6, vcc
; %bb.2109:
	s_andn2_saveexec_b64 s[4:5], s[4:5]
; %bb.2110:
	s_mov_b32 s6, 0x46800000
	v_add_f32_e64 v3, |v2|, s6
; %bb.2111:
	s_or_b64 exec, exec, s[4:5]
                                        ; implicit-def: $vgpr6
.LBB49_2112:
	s_andn2_saveexec_b64 s[2:3], s[2:3]
; %bb.2113:
	s_mov_b32 s4, 0x7f800000
	v_mov_b32_e32 v3, 0x7e
	v_mov_b32_e32 v7, 0x7f
	v_cmp_lt_u32_e32 vcc, s4, v6
	v_cndmask_b32_e32 v3, v3, v7, vcc
; %bb.2114:
	s_or_b64 exec, exec, s[2:3]
	v_lshrrev_b32_e32 v2, 24, v2
	s_movk_i32 s2, 0x80
	v_and_or_b32 v2, v2, s2, v3
	global_store_byte v[4:5], v2, off
.LBB49_2115:
	s_mov_b64 s[2:3], 0
.LBB49_2116:
	s_andn2_b64 vcc, exec, s[2:3]
	s_cbranch_vccnz .LBB49_2126
; %bb.2117:
	v_cvt_f32_f64_e32 v2, v[0:1]
	s_mov_b32 s2, 0x47800000
                                        ; implicit-def: $vgpr3
	v_and_b32_e32 v6, 0x7fffffff, v2
	v_cmp_gt_u32_e32 vcc, s2, v6
	s_and_saveexec_b64 s[2:3], vcc
	s_xor_b64 s[2:3], exec, s[2:3]
	s_cbranch_execz .LBB49_2123
; %bb.2118:
	s_mov_b32 s4, 0x387fffff
	v_cmp_lt_u32_e32 vcc, s4, v6
                                        ; implicit-def: $vgpr3
	s_and_saveexec_b64 s[4:5], vcc
	s_xor_b64 s[4:5], exec, s[4:5]
; %bb.2119:
	v_bfe_u32 v3, v2, 21, 1
	s_mov_b32 s6, 0x80fffff
	v_add3_u32 v3, v2, v3, s6
	v_lshrrev_b32_e32 v3, 21, v3
; %bb.2120:
	s_andn2_saveexec_b64 s[4:5], s[4:5]
; %bb.2121:
	s_mov_b32 s6, 0x43000000
	v_add_f32_e64 v3, |v2|, s6
; %bb.2122:
	s_or_b64 exec, exec, s[4:5]
                                        ; implicit-def: $vgpr6
.LBB49_2123:
	s_andn2_saveexec_b64 s[2:3], s[2:3]
; %bb.2124:
	s_mov_b32 s4, 0x7f800000
	v_mov_b32_e32 v3, 0x7c
	v_mov_b32_e32 v7, 0x7f
	v_cmp_lt_u32_e32 vcc, s4, v6
	v_cndmask_b32_e32 v3, v3, v7, vcc
; %bb.2125:
	s_or_b64 exec, exec, s[2:3]
	v_lshrrev_b32_e32 v2, 24, v2
	s_movk_i32 s2, 0x80
	v_and_or_b32 v2, v2, s2, v3
	global_store_byte v[4:5], v2, off
.LBB49_2126:
	s_mov_b64 s[2:3], 0
.LBB49_2127:
	s_andn2_b64 vcc, exec, s[2:3]
	s_mov_b64 s[2:3], 0
	s_cbranch_vccnz .LBB49_2134
; %bb.2128:
	s_cmp_gt_i32 s10, 14
	s_mov_b64 s[4:5], -1
	s_cbranch_scc0 .LBB49_2132
; %bb.2129:
	s_cmp_eq_u32 s10, 15
	s_mov_b64 s[0:1], -1
	s_cbranch_scc0 .LBB49_2131
; %bb.2130:
	v_cvt_f32_f64_e32 v2, v[0:1]
	s_movk_i32 s0, 0x7fff
	v_mov_b32_e32 v3, 0x7fc0
	v_bfe_u32 v6, v2, 16, 1
	v_cmp_o_f32_e32 vcc, v2, v2
	v_add3_u32 v2, v2, v6, s0
	v_cndmask_b32_sdwa v2, v3, v2, vcc dst_sel:DWORD dst_unused:UNUSED_PAD src0_sel:DWORD src1_sel:WORD_1
	global_store_short v[4:5], v2, off
	s_mov_b64 s[0:1], 0
.LBB49_2131:
	s_mov_b64 s[4:5], 0
.LBB49_2132:
	s_and_b64 vcc, exec, s[4:5]
	s_cbranch_vccz .LBB49_2134
; %bb.2133:
	s_cmp_lg_u32 s10, 11
	s_mov_b64 s[2:3], -1
	s_cselect_b64 s[0:1], -1, 0
.LBB49_2134:
	s_and_b64 vcc, exec, s[0:1]
	s_cbranch_vccnz .LBB49_2200
.LBB49_2135:
	s_mov_b64 s[0:1], 0
	s_branch .LBB49_2137
.LBB49_2136:
	s_mov_b64 s[0:1], 0
	s_mov_b64 s[2:3], 0
                                        ; implicit-def: $vgpr4_vgpr5
                                        ; implicit-def: $sgpr14
                                        ; implicit-def: $vgpr0_vgpr1
.LBB49_2137:
	s_and_b64 s[40:41], s[2:3], exec
	s_andn2_b64 s[2:3], s[28:29], exec
	s_and_b64 s[4:5], s[12:13], exec
	s_and_b64 s[0:1], s[0:1], exec
	s_or_b64 s[28:29], s[2:3], s[4:5]
.LBB49_2138:
	s_or_b64 exec, exec, s[30:31]
	s_and_saveexec_b64 s[2:3], s[28:29]
	s_cbranch_execz .LBB49_2141
; %bb.2139:
	; divergent unreachable
	s_or_b64 exec, exec, s[2:3]
	s_and_saveexec_b64 s[2:3], s[40:41]
	s_xor_b64 s[2:3], exec, s[2:3]
	s_cbranch_execnz .LBB49_2142
.LBB49_2140:
	s_or_b64 exec, exec, s[2:3]
	s_and_saveexec_b64 s[2:3], s[0:1]
	s_cbranch_execnz .LBB49_2143
	s_branch .LBB49_2180
.LBB49_2141:
	s_or_b64 exec, exec, s[2:3]
	s_and_saveexec_b64 s[2:3], s[40:41]
	s_xor_b64 s[2:3], exec, s[2:3]
	s_cbranch_execz .LBB49_2140
.LBB49_2142:
	s_waitcnt vmcnt(0)
	v_cmp_neq_f64_e32 vcc, 0, v[0:1]
	v_cndmask_b32_e64 v2, 0, 1, vcc
	global_store_byte v[4:5], v2, off
	s_or_b64 exec, exec, s[2:3]
	s_and_saveexec_b64 s[2:3], s[0:1]
	s_cbranch_execz .LBB49_2180
.LBB49_2143:
	s_sext_i32_i16 s2, s14
	s_cmp_lt_i32 s2, 5
	s_mov_b64 s[0:1], -1
	s_cbranch_scc1 .LBB49_2164
; %bb.2144:
	s_cmp_lt_i32 s2, 8
	s_cbranch_scc1 .LBB49_2154
; %bb.2145:
	s_cmp_lt_i32 s2, 9
	s_cbranch_scc1 .LBB49_2151
; %bb.2146:
	s_cmp_gt_i32 s2, 9
	s_cbranch_scc0 .LBB49_2148
; %bb.2147:
	v_mov_b32_e32 v2, 0
	s_waitcnt vmcnt(0)
	v_mov_b32_e32 v3, v2
	global_store_dwordx4 v[4:5], v[0:3], off
	s_mov_b64 s[0:1], 0
.LBB49_2148:
	s_andn2_b64 vcc, exec, s[0:1]
	s_cbranch_vccnz .LBB49_2150
; %bb.2149:
	s_waitcnt vmcnt(0)
	v_cvt_f32_f64_e32 v2, v[0:1]
	v_mov_b32_e32 v3, 0
	global_store_dwordx2 v[4:5], v[2:3], off
.LBB49_2150:
	s_mov_b64 s[0:1], 0
.LBB49_2151:
	s_andn2_b64 vcc, exec, s[0:1]
	s_cbranch_vccnz .LBB49_2153
; %bb.2152:
	s_movk_i32 s0, 0x1ff
	s_waitcnt vmcnt(0)
	v_and_or_b32 v2, v1, s0, v0
	v_cmp_ne_u32_e32 vcc, 0, v2
	v_cndmask_b32_e64 v2, 0, 1, vcc
	v_lshrrev_b32_e32 v3, 8, v1
	s_movk_i32 s0, 0xffe
	v_bfe_u32 v6, v1, 20, 11
	v_and_or_b32 v2, v3, s0, v2
	v_sub_u32_e32 v7, 0x3f1, v6
	v_or_b32_e32 v3, 0x1000, v2
	v_med3_i32 v7, v7, 0, 13
	v_lshrrev_b32_e32 v8, v7, v3
	v_lshlrev_b32_e32 v7, v7, v8
	v_cmp_ne_u32_e32 vcc, v7, v3
	v_cndmask_b32_e64 v3, 0, 1, vcc
	v_add_u32_e32 v6, 0xfffffc10, v6
	v_or_b32_e32 v3, v8, v3
	v_lshl_or_b32 v7, v6, 12, v2
	v_cmp_gt_i32_e32 vcc, 1, v6
	v_cndmask_b32_e32 v3, v7, v3, vcc
	v_and_b32_e32 v7, 7, v3
	v_cmp_lt_i32_e32 vcc, 5, v7
	v_cndmask_b32_e64 v8, 0, 1, vcc
	v_cmp_eq_u32_e32 vcc, 3, v7
	v_cndmask_b32_e64 v7, 0, 1, vcc
	v_or_b32_e32 v7, v7, v8
	v_lshrrev_b32_e32 v3, 2, v3
	v_add_u32_e32 v3, v3, v7
	v_mov_b32_e32 v7, 0x7c00
	v_cmp_gt_i32_e32 vcc, 31, v6
	v_cndmask_b32_e32 v3, v7, v3, vcc
	v_mov_b32_e32 v8, 0x7e00
	v_cmp_ne_u32_e32 vcc, 0, v2
	s_movk_i32 s0, 0x40f
	v_cndmask_b32_e32 v2, v7, v8, vcc
	v_cmp_eq_u32_e32 vcc, s0, v6
	v_cndmask_b32_e32 v2, v3, v2, vcc
	v_lshrrev_b32_e32 v3, 16, v1
	s_mov_b32 s0, 0x8000
	v_and_or_b32 v2, v3, s0, v2
	v_and_b32_e32 v2, 0xffff, v2
	global_store_dword v[4:5], v2, off
.LBB49_2153:
	s_mov_b64 s[0:1], 0
.LBB49_2154:
	s_andn2_b64 vcc, exec, s[0:1]
	s_cbranch_vccnz .LBB49_2163
; %bb.2155:
	s_sext_i32_i16 s2, s14
	s_cmp_lt_i32 s2, 6
	s_mov_b64 s[0:1], -1
	s_cbranch_scc1 .LBB49_2161
; %bb.2156:
	s_cmp_gt_i32 s2, 6
	s_cbranch_scc0 .LBB49_2158
; %bb.2157:
	s_waitcnt vmcnt(0)
	global_store_dwordx2 v[4:5], v[0:1], off
	s_mov_b64 s[0:1], 0
.LBB49_2158:
	s_andn2_b64 vcc, exec, s[0:1]
	s_cbranch_vccnz .LBB49_2160
; %bb.2159:
	s_waitcnt vmcnt(0)
	v_cvt_f32_f64_e32 v2, v[0:1]
	global_store_dword v[4:5], v2, off
.LBB49_2160:
	s_mov_b64 s[0:1], 0
.LBB49_2161:
	s_andn2_b64 vcc, exec, s[0:1]
	s_cbranch_vccnz .LBB49_2163
; %bb.2162:
	s_movk_i32 s0, 0x1ff
	s_waitcnt vmcnt(0)
	v_and_or_b32 v2, v1, s0, v0
	v_cmp_ne_u32_e32 vcc, 0, v2
	v_cndmask_b32_e64 v2, 0, 1, vcc
	v_lshrrev_b32_e32 v3, 8, v1
	s_movk_i32 s0, 0xffe
	v_bfe_u32 v6, v1, 20, 11
	v_and_or_b32 v2, v3, s0, v2
	v_sub_u32_e32 v7, 0x3f1, v6
	v_or_b32_e32 v3, 0x1000, v2
	v_med3_i32 v7, v7, 0, 13
	v_lshrrev_b32_e32 v8, v7, v3
	v_lshlrev_b32_e32 v7, v7, v8
	v_cmp_ne_u32_e32 vcc, v7, v3
	v_cndmask_b32_e64 v3, 0, 1, vcc
	v_add_u32_e32 v6, 0xfffffc10, v6
	v_or_b32_e32 v3, v8, v3
	v_lshl_or_b32 v7, v6, 12, v2
	v_cmp_gt_i32_e32 vcc, 1, v6
	v_cndmask_b32_e32 v3, v7, v3, vcc
	v_and_b32_e32 v7, 7, v3
	v_cmp_lt_i32_e32 vcc, 5, v7
	v_cndmask_b32_e64 v8, 0, 1, vcc
	v_cmp_eq_u32_e32 vcc, 3, v7
	v_cndmask_b32_e64 v7, 0, 1, vcc
	v_or_b32_e32 v7, v7, v8
	v_lshrrev_b32_e32 v3, 2, v3
	v_add_u32_e32 v3, v3, v7
	v_mov_b32_e32 v7, 0x7c00
	v_cmp_gt_i32_e32 vcc, 31, v6
	v_cndmask_b32_e32 v3, v7, v3, vcc
	v_mov_b32_e32 v8, 0x7e00
	v_cmp_ne_u32_e32 vcc, 0, v2
	s_movk_i32 s0, 0x40f
	v_cndmask_b32_e32 v2, v7, v8, vcc
	v_cmp_eq_u32_e32 vcc, s0, v6
	v_cndmask_b32_e32 v2, v3, v2, vcc
	v_lshrrev_b32_e32 v3, 16, v1
	s_mov_b32 s0, 0x8000
	v_and_or_b32 v2, v3, s0, v2
	global_store_short v[4:5], v2, off
.LBB49_2163:
	s_mov_b64 s[0:1], 0
.LBB49_2164:
	s_andn2_b64 vcc, exec, s[0:1]
	s_cbranch_vccnz .LBB49_2180
; %bb.2165:
	s_sext_i32_i16 s2, s14
	s_cmp_lt_i32 s2, 2
	s_mov_b64 s[0:1], -1
	s_cbranch_scc1 .LBB49_2175
; %bb.2166:
	s_cmp_lt_i32 s2, 3
	s_cbranch_scc1 .LBB49_2172
; %bb.2167:
	s_cmp_gt_i32 s2, 3
	s_cbranch_scc0 .LBB49_2169
; %bb.2168:
	s_waitcnt vmcnt(0)
	v_trunc_f64_e32 v[2:3], v[0:1]
	s_movk_i32 s0, 0xffe0
	v_ldexp_f64 v[6:7], v[2:3], s0
	s_mov_b32 s0, 0
	s_mov_b32 s1, 0xc1f00000
	v_floor_f64_e32 v[6:7], v[6:7]
	v_fma_f64 v[2:3], v[6:7], s[0:1], v[2:3]
	v_cvt_i32_f64_e32 v7, v[6:7]
	s_mov_b64 s[0:1], 0
	v_cvt_u32_f64_e32 v6, v[2:3]
	global_store_dwordx2 v[4:5], v[6:7], off
.LBB49_2169:
	s_andn2_b64 vcc, exec, s[0:1]
	s_cbranch_vccnz .LBB49_2171
; %bb.2170:
	s_waitcnt vmcnt(0)
	v_cvt_i32_f64_e32 v2, v[0:1]
	global_store_dword v[4:5], v2, off
.LBB49_2171:
	s_mov_b64 s[0:1], 0
.LBB49_2172:
	s_andn2_b64 vcc, exec, s[0:1]
	s_cbranch_vccnz .LBB49_2174
; %bb.2173:
	s_waitcnt vmcnt(0)
	v_cvt_i32_f64_e32 v2, v[0:1]
	global_store_short v[4:5], v2, off
.LBB49_2174:
	s_mov_b64 s[0:1], 0
.LBB49_2175:
	s_andn2_b64 vcc, exec, s[0:1]
	s_cbranch_vccnz .LBB49_2180
; %bb.2176:
	s_sext_i32_i16 s0, s14
	s_cmp_gt_i32 s0, 0
	s_mov_b64 s[0:1], -1
	s_cbranch_scc0 .LBB49_2178
; %bb.2177:
	s_waitcnt vmcnt(0)
	v_cvt_i32_f64_e32 v2, v[0:1]
	s_mov_b64 s[0:1], 0
	global_store_byte v[4:5], v2, off
.LBB49_2178:
	s_andn2_b64 vcc, exec, s[0:1]
	s_cbranch_vccnz .LBB49_2180
; %bb.2179:
	s_waitcnt vmcnt(0)
	v_trunc_f64_e32 v[0:1], v[0:1]
	s_movk_i32 s0, 0xffe0
	v_ldexp_f64 v[2:3], v[0:1], s0
	s_mov_b32 s0, 0
	s_mov_b32 s1, 0xc1f00000
	v_floor_f64_e32 v[2:3], v[2:3]
	v_fma_f64 v[0:1], v[2:3], s[0:1], v[0:1]
	v_cvt_u32_f64_e32 v0, v[0:1]
	global_store_byte v[4:5], v0, off
	s_endpgm
.LBB49_2180:
	s_endpgm
.LBB49_2181:
	s_mov_b64 s[2:3], 0
	s_mov_b64 s[0:1], -1
	s_branch .LBB49_2137
.LBB49_2182:
	s_trap 2
	s_or_b64 s[12:13], s[12:13], exec
	s_cbranch_execz .LBB49_1645
	s_branch .LBB49_1646
.LBB49_2183:
	s_andn2_saveexec_b64 s[10:11], s[10:11]
	s_cbranch_execz .LBB49_1731
.LBB49_2184:
	s_mov_b32 s17, 0x46000000
	v_add_f32_e64 v3, |v2|, s17
	v_and_b32_e32 v3, 0xff, v3
	v_cmp_ne_u32_e32 vcc, 0, v3
	s_andn2_b64 s[6:7], s[6:7], exec
	s_and_b64 s[18:19], vcc, exec
	s_or_b64 s[6:7], s[6:7], s[18:19]
	s_or_b64 exec, exec, s[10:11]
	v_mov_b32_e32 v5, 0
	s_and_saveexec_b64 s[10:11], s[6:7]
	s_cbranch_execnz .LBB49_1732
	s_branch .LBB49_1733
.LBB49_2185:
	s_trap 2
	s_or_b64 s[12:13], s[12:13], exec
	s_cbranch_execz .LBB49_1779
	s_branch .LBB49_1780
.LBB49_2186:
	s_andn2_saveexec_b64 s[6:7], s[6:7]
	s_cbranch_execz .LBB49_1744
.LBB49_2187:
	s_mov_b32 s10, 0x42800000
	v_add_f32_e64 v3, |v2|, s10
	v_and_b32_e32 v3, 0xff, v3
	v_cmp_ne_u32_e32 vcc, 0, v3
	s_andn2_b64 s[4:5], s[4:5], exec
	s_and_b64 s[10:11], vcc, exec
	s_or_b64 s[4:5], s[4:5], s[10:11]
	s_or_b64 exec, exec, s[6:7]
	v_mov_b32_e32 v5, 0
	s_and_saveexec_b64 s[6:7], s[4:5]
	s_cbranch_execnz .LBB49_1745
	s_branch .LBB49_1746
.LBB49_2188:
	s_andn2_saveexec_b64 s[10:11], s[10:11]
	s_cbranch_execz .LBB49_1850
.LBB49_2189:
	s_mov_b32 s16, 0x46000000
	v_add_f32_e64 v3, |v2|, s16
	v_and_b32_e32 v3, 0xff, v3
	v_cmp_ne_u32_e32 vcc, 0, v3
	s_andn2_b64 s[6:7], s[6:7], exec
	s_and_b64 s[16:17], vcc, exec
	s_or_b64 s[6:7], s[6:7], s[16:17]
	s_or_b64 exec, exec, s[10:11]
	v_mov_b32_e32 v5, 0
	s_and_saveexec_b64 s[10:11], s[6:7]
	s_cbranch_execnz .LBB49_1851
	s_branch .LBB49_1852
.LBB49_2190:
	s_trap 2
	s_or_b64 s[12:13], s[12:13], exec
	s_cbranch_execz .LBB49_1898
	s_branch .LBB49_1899
.LBB49_2191:
	s_andn2_saveexec_b64 s[6:7], s[6:7]
	s_cbranch_execz .LBB49_1863
.LBB49_2192:
	s_mov_b32 s10, 0x42800000
	v_add_f32_e64 v3, |v2|, s10
	v_and_b32_e32 v3, 0xff, v3
	v_cmp_ne_u32_e32 vcc, 0, v3
	s_andn2_b64 s[4:5], s[4:5], exec
	s_and_b64 s[10:11], vcc, exec
	s_or_b64 s[4:5], s[4:5], s[10:11]
	s_or_b64 exec, exec, s[6:7]
	v_mov_b32_e32 v5, 0
	s_and_saveexec_b64 s[6:7], s[4:5]
	s_cbranch_execnz .LBB49_1864
	s_branch .LBB49_1865
.LBB49_2193:
	s_andn2_saveexec_b64 s[10:11], s[10:11]
	s_cbranch_execz .LBB49_1969
.LBB49_2194:
	s_mov_b32 s16, 0x46000000
	v_add_f32_e64 v3, |v2|, s16
	v_and_b32_e32 v3, 0xff, v3
	v_cmp_ne_u32_e32 vcc, 0, v3
	s_andn2_b64 s[6:7], s[6:7], exec
	s_and_b64 s[16:17], vcc, exec
	s_or_b64 s[6:7], s[6:7], s[16:17]
	s_or_b64 exec, exec, s[10:11]
	v_mov_b32_e32 v7, 0
	s_and_saveexec_b64 s[10:11], s[6:7]
	s_cbranch_execnz .LBB49_1970
	s_branch .LBB49_1971
.LBB49_2195:
	s_trap 2
	s_or_b64 s[12:13], s[12:13], exec
	s_cbranch_execz .LBB49_2017
	s_branch .LBB49_2018
.LBB49_2196:
	s_andn2_saveexec_b64 s[6:7], s[6:7]
	s_cbranch_execz .LBB49_1982
.LBB49_2197:
	s_mov_b32 s10, 0x42800000
	v_add_f32_e64 v3, |v2|, s10
	v_and_b32_e32 v3, 0xff, v3
	v_cmp_ne_u32_e32 vcc, 0, v3
	s_andn2_b64 s[4:5], s[4:5], exec
	s_and_b64 s[10:11], vcc, exec
	s_or_b64 s[4:5], s[4:5], s[10:11]
	s_or_b64 exec, exec, s[6:7]
	v_mov_b32_e32 v7, 0
	s_and_saveexec_b64 s[6:7], s[4:5]
	s_cbranch_execnz .LBB49_1983
	s_branch .LBB49_1984
.LBB49_2198:
	s_andn2_saveexec_b64 s[8:9], s[8:9]
	s_cbranch_execz .LBB49_2089
.LBB49_2199:
	s_mov_b32 s11, 0x46000000
	v_add_f32_e64 v3, |v2|, s11
	v_and_b32_e32 v3, 0xff, v3
	v_cmp_ne_u32_e32 vcc, 0, v3
	s_andn2_b64 s[6:7], s[6:7], exec
	s_and_b64 s[16:17], vcc, exec
	s_or_b64 s[6:7], s[6:7], s[16:17]
	s_or_b64 exec, exec, s[8:9]
	v_mov_b32_e32 v6, 0
	s_and_saveexec_b64 s[8:9], s[6:7]
	s_cbranch_execnz .LBB49_2090
	s_branch .LBB49_2091
.LBB49_2200:
	s_mov_b64 s[2:3], 0
	s_or_b64 s[12:13], s[12:13], exec
	s_trap 2
	s_branch .LBB49_2135
.LBB49_2201:
	s_andn2_saveexec_b64 s[6:7], s[6:7]
	s_cbranch_execz .LBB49_2101
.LBB49_2202:
	s_mov_b32 s8, 0x42800000
	v_add_f32_e64 v3, |v2|, s8
	v_and_b32_e32 v3, 0xff, v3
	v_cmp_ne_u32_e32 vcc, 0, v3
	s_andn2_b64 s[4:5], s[4:5], exec
	s_and_b64 s[8:9], vcc, exec
	s_or_b64 s[4:5], s[4:5], s[8:9]
	s_or_b64 exec, exec, s[6:7]
	v_mov_b32_e32 v6, 0
	s_and_saveexec_b64 s[6:7], s[4:5]
	s_cbranch_execnz .LBB49_2102
	s_branch .LBB49_2103
	.section	.rodata,"a",@progbits
	.p2align	6, 0x0
	.amdhsa_kernel _ZN2at6native32elementwise_kernel_manual_unrollILi128ELi4EZNS0_15gpu_kernel_implIZZZNS0_20trigamma_kernel_cudaERNS_18TensorIteratorBaseEENKUlvE_clEvENKUlvE_clEvEUldE_EEvS4_RKT_EUlibE0_EEviT1_
		.amdhsa_group_segment_fixed_size 0
		.amdhsa_private_segment_fixed_size 0
		.amdhsa_kernarg_size 360
		.amdhsa_user_sgpr_count 6
		.amdhsa_user_sgpr_private_segment_buffer 1
		.amdhsa_user_sgpr_dispatch_ptr 0
		.amdhsa_user_sgpr_queue_ptr 0
		.amdhsa_user_sgpr_kernarg_segment_ptr 1
		.amdhsa_user_sgpr_dispatch_id 0
		.amdhsa_user_sgpr_flat_scratch_init 0
		.amdhsa_user_sgpr_private_segment_size 0
		.amdhsa_uses_dynamic_stack 0
		.amdhsa_system_sgpr_private_segment_wavefront_offset 0
		.amdhsa_system_sgpr_workgroup_id_x 1
		.amdhsa_system_sgpr_workgroup_id_y 0
		.amdhsa_system_sgpr_workgroup_id_z 0
		.amdhsa_system_sgpr_workgroup_info 0
		.amdhsa_system_vgpr_workitem_id 0
		.amdhsa_next_free_vgpr 61
		.amdhsa_next_free_sgpr 78
		.amdhsa_reserve_vcc 1
		.amdhsa_reserve_flat_scratch 0
		.amdhsa_float_round_mode_32 0
		.amdhsa_float_round_mode_16_64 0
		.amdhsa_float_denorm_mode_32 3
		.amdhsa_float_denorm_mode_16_64 3
		.amdhsa_dx10_clamp 1
		.amdhsa_ieee_mode 1
		.amdhsa_fp16_overflow 0
		.amdhsa_exception_fp_ieee_invalid_op 0
		.amdhsa_exception_fp_denorm_src 0
		.amdhsa_exception_fp_ieee_div_zero 0
		.amdhsa_exception_fp_ieee_overflow 0
		.amdhsa_exception_fp_ieee_underflow 0
		.amdhsa_exception_fp_ieee_inexact 0
		.amdhsa_exception_int_div_zero 0
	.end_amdhsa_kernel
	.section	.text._ZN2at6native32elementwise_kernel_manual_unrollILi128ELi4EZNS0_15gpu_kernel_implIZZZNS0_20trigamma_kernel_cudaERNS_18TensorIteratorBaseEENKUlvE_clEvENKUlvE_clEvEUldE_EEvS4_RKT_EUlibE0_EEviT1_,"axG",@progbits,_ZN2at6native32elementwise_kernel_manual_unrollILi128ELi4EZNS0_15gpu_kernel_implIZZZNS0_20trigamma_kernel_cudaERNS_18TensorIteratorBaseEENKUlvE_clEvENKUlvE_clEvEUldE_EEvS4_RKT_EUlibE0_EEviT1_,comdat
.Lfunc_end49:
	.size	_ZN2at6native32elementwise_kernel_manual_unrollILi128ELi4EZNS0_15gpu_kernel_implIZZZNS0_20trigamma_kernel_cudaERNS_18TensorIteratorBaseEENKUlvE_clEvENKUlvE_clEvEUldE_EEvS4_RKT_EUlibE0_EEviT1_, .Lfunc_end49-_ZN2at6native32elementwise_kernel_manual_unrollILi128ELi4EZNS0_15gpu_kernel_implIZZZNS0_20trigamma_kernel_cudaERNS_18TensorIteratorBaseEENKUlvE_clEvENKUlvE_clEvEUldE_EEvS4_RKT_EUlibE0_EEviT1_
                                        ; -- End function
	.set _ZN2at6native32elementwise_kernel_manual_unrollILi128ELi4EZNS0_15gpu_kernel_implIZZZNS0_20trigamma_kernel_cudaERNS_18TensorIteratorBaseEENKUlvE_clEvENKUlvE_clEvEUldE_EEvS4_RKT_EUlibE0_EEviT1_.num_vgpr, 61
	.set _ZN2at6native32elementwise_kernel_manual_unrollILi128ELi4EZNS0_15gpu_kernel_implIZZZNS0_20trigamma_kernel_cudaERNS_18TensorIteratorBaseEENKUlvE_clEvENKUlvE_clEvEUldE_EEvS4_RKT_EUlibE0_EEviT1_.num_agpr, 0
	.set _ZN2at6native32elementwise_kernel_manual_unrollILi128ELi4EZNS0_15gpu_kernel_implIZZZNS0_20trigamma_kernel_cudaERNS_18TensorIteratorBaseEENKUlvE_clEvENKUlvE_clEvEUldE_EEvS4_RKT_EUlibE0_EEviT1_.numbered_sgpr, 78
	.set _ZN2at6native32elementwise_kernel_manual_unrollILi128ELi4EZNS0_15gpu_kernel_implIZZZNS0_20trigamma_kernel_cudaERNS_18TensorIteratorBaseEENKUlvE_clEvENKUlvE_clEvEUldE_EEvS4_RKT_EUlibE0_EEviT1_.num_named_barrier, 0
	.set _ZN2at6native32elementwise_kernel_manual_unrollILi128ELi4EZNS0_15gpu_kernel_implIZZZNS0_20trigamma_kernel_cudaERNS_18TensorIteratorBaseEENKUlvE_clEvENKUlvE_clEvEUldE_EEvS4_RKT_EUlibE0_EEviT1_.private_seg_size, 0
	.set _ZN2at6native32elementwise_kernel_manual_unrollILi128ELi4EZNS0_15gpu_kernel_implIZZZNS0_20trigamma_kernel_cudaERNS_18TensorIteratorBaseEENKUlvE_clEvENKUlvE_clEvEUldE_EEvS4_RKT_EUlibE0_EEviT1_.uses_vcc, 1
	.set _ZN2at6native32elementwise_kernel_manual_unrollILi128ELi4EZNS0_15gpu_kernel_implIZZZNS0_20trigamma_kernel_cudaERNS_18TensorIteratorBaseEENKUlvE_clEvENKUlvE_clEvEUldE_EEvS4_RKT_EUlibE0_EEviT1_.uses_flat_scratch, 0
	.set _ZN2at6native32elementwise_kernel_manual_unrollILi128ELi4EZNS0_15gpu_kernel_implIZZZNS0_20trigamma_kernel_cudaERNS_18TensorIteratorBaseEENKUlvE_clEvENKUlvE_clEvEUldE_EEvS4_RKT_EUlibE0_EEviT1_.has_dyn_sized_stack, 0
	.set _ZN2at6native32elementwise_kernel_manual_unrollILi128ELi4EZNS0_15gpu_kernel_implIZZZNS0_20trigamma_kernel_cudaERNS_18TensorIteratorBaseEENKUlvE_clEvENKUlvE_clEvEUldE_EEvS4_RKT_EUlibE0_EEviT1_.has_recursion, 0
	.set _ZN2at6native32elementwise_kernel_manual_unrollILi128ELi4EZNS0_15gpu_kernel_implIZZZNS0_20trigamma_kernel_cudaERNS_18TensorIteratorBaseEENKUlvE_clEvENKUlvE_clEvEUldE_EEvS4_RKT_EUlibE0_EEviT1_.has_indirect_call, 0
	.section	.AMDGPU.csdata,"",@progbits
; Kernel info:
; codeLenInByte = 61152
; TotalNumSgprs: 82
; NumVgprs: 61
; ScratchSize: 0
; MemoryBound: 1
; FloatMode: 240
; IeeeMode: 1
; LDSByteSize: 0 bytes/workgroup (compile time only)
; SGPRBlocks: 10
; VGPRBlocks: 15
; NumSGPRsForWavesPerEU: 82
; NumVGPRsForWavesPerEU: 61
; Occupancy: 4
; WaveLimiterHint : 1
; COMPUTE_PGM_RSRC2:SCRATCH_EN: 0
; COMPUTE_PGM_RSRC2:USER_SGPR: 6
; COMPUTE_PGM_RSRC2:TRAP_HANDLER: 0
; COMPUTE_PGM_RSRC2:TGID_X_EN: 1
; COMPUTE_PGM_RSRC2:TGID_Y_EN: 0
; COMPUTE_PGM_RSRC2:TGID_Z_EN: 0
; COMPUTE_PGM_RSRC2:TIDIG_COMP_CNT: 0
	.section	.text._ZN2at6native29vectorized_elementwise_kernelILi16EZZZNS0_20trigamma_kernel_cudaERNS_18TensorIteratorBaseEENKUlvE_clEvENKUlvE0_clEvEUlfE_St5arrayIPcLm2EEEEviT0_T1_,"axG",@progbits,_ZN2at6native29vectorized_elementwise_kernelILi16EZZZNS0_20trigamma_kernel_cudaERNS_18TensorIteratorBaseEENKUlvE_clEvENKUlvE0_clEvEUlfE_St5arrayIPcLm2EEEEviT0_T1_,comdat
	.globl	_ZN2at6native29vectorized_elementwise_kernelILi16EZZZNS0_20trigamma_kernel_cudaERNS_18TensorIteratorBaseEENKUlvE_clEvENKUlvE0_clEvEUlfE_St5arrayIPcLm2EEEEviT0_T1_ ; -- Begin function _ZN2at6native29vectorized_elementwise_kernelILi16EZZZNS0_20trigamma_kernel_cudaERNS_18TensorIteratorBaseEENKUlvE_clEvENKUlvE0_clEvEUlfE_St5arrayIPcLm2EEEEviT0_T1_
	.p2align	8
	.type	_ZN2at6native29vectorized_elementwise_kernelILi16EZZZNS0_20trigamma_kernel_cudaERNS_18TensorIteratorBaseEENKUlvE_clEvENKUlvE0_clEvEUlfE_St5arrayIPcLm2EEEEviT0_T1_,@function
_ZN2at6native29vectorized_elementwise_kernelILi16EZZZNS0_20trigamma_kernel_cudaERNS_18TensorIteratorBaseEENKUlvE_clEvENKUlvE0_clEvEUlfE_St5arrayIPcLm2EEEEviT0_T1_: ; @_ZN2at6native29vectorized_elementwise_kernelILi16EZZZNS0_20trigamma_kernel_cudaERNS_18TensorIteratorBaseEENKUlvE_clEvENKUlvE0_clEvEUlfE_St5arrayIPcLm2EEEEviT0_T1_
; %bb.0:
	s_load_dword s0, s[4:5], 0x0
	s_load_dwordx4 s[8:11], s[4:5], 0x8
	s_lshl_b32 s12, s6, 10
	s_waitcnt lgkmcnt(0)
	s_sub_i32 s18, s0, s12
	s_cmpk_gt_i32 s18, 0x3ff
	s_mov_b64 s[0:1], -1
	s_cbranch_scc0 .LBB50_26
; %bb.1:
	s_ashr_i32 s13, s12, 31
	s_lshl_b64 s[6:7], s[12:13], 2
	s_add_u32 s0, s10, s6
	s_addc_u32 s1, s11, s7
	v_lshlrev_b32_e32 v5, 4, v0
	global_load_dwordx4 v[1:4], v5, s[0:1]
	v_mov_b32_e32 v9, 0
	v_mov_b32_e32 v8, 1.0
	s_waitcnt vmcnt(0)
	v_cmp_gt_f32_e32 vcc, 0.5, v1
	s_and_saveexec_b64 s[14:15], vcc
	s_cbranch_execz .LBB50_7
; %bb.2:
	v_mul_f32_e32 v6, 0x40490fdb, v1
	s_brev_b32 s0, 18
	v_and_b32_e32 v7, 0x7fffffff, v6
	v_cmp_nlt_f32_e64 s[0:1], |v6|, s0
                                        ; implicit-def: $vgpr8
                                        ; implicit-def: $vgpr9
	s_and_saveexec_b64 s[2:3], s[0:1]
	s_xor_b64 s[16:17], exec, s[2:3]
	s_cbranch_execz .LBB50_4
; %bb.3:
	v_and_b32_e32 v8, 0x7fffff, v7
	v_or_b32_e32 v17, 0x800000, v8
	s_mov_b32 s0, 0xfe5163ab
	v_mad_u64_u32 v[8:9], s[0:1], v17, s0, 0
	v_mov_b32_e32 v10, 0
	s_mov_b32 s0, 0x3c439041
	v_mad_u64_u32 v[11:12], s[0:1], v17, s0, v[9:10]
	s_mov_b32 s0, 0xdb629599
	v_not_b32_e32 v16, 63
	v_mov_b32_e32 v9, v12
	v_mad_u64_u32 v[12:13], s[0:1], v17, s0, v[9:10]
	s_mov_b32 s0, 0xf534ddc0
	v_not_b32_e32 v19, 31
	v_mov_b32_e32 v9, v13
	v_mad_u64_u32 v[13:14], s[0:1], v17, s0, v[9:10]
	v_lshrrev_b32_e32 v9, 23, v7
	v_add_u32_e32 v18, 0xffffff88, v9
	v_mov_b32_e32 v9, v14
	s_mov_b32 s0, 0xfc2757d1
	v_mad_u64_u32 v[14:15], s[0:1], v17, s0, v[9:10]
	v_cmp_lt_u32_e32 vcc, 63, v18
	v_cndmask_b32_e32 v9, 0, v16, vcc
	v_add_u32_e32 v18, v9, v18
	v_mov_b32_e32 v9, v15
	s_mov_b32 s0, 0x4e441529
	v_mad_u64_u32 v[15:16], s[0:1], v17, s0, v[9:10]
	v_cmp_lt_u32_e64 s[0:1], 31, v18
	v_cndmask_b32_e64 v9, 0, v19, s[0:1]
	v_add_u32_e32 v18, v9, v18
	v_mov_b32_e32 v9, v16
	s_mov_b32 s2, 0xa2f9836e
	v_mad_u64_u32 v[9:10], s[2:3], v17, s2, v[9:10]
	v_cmp_lt_u32_e64 s[2:3], 31, v18
	v_cndmask_b32_e64 v16, 0, v19, s[2:3]
	v_cndmask_b32_e32 v17, v15, v13, vcc
	v_cndmask_b32_e32 v9, v9, v14, vcc
	;; [unrolled: 1-line block ×3, first 2 shown]
	v_add_u32_e32 v16, v16, v18
	v_cndmask_b32_e64 v18, v9, v17, s[0:1]
	v_cndmask_b32_e64 v9, v10, v9, s[0:1]
	v_cndmask_b32_e32 v10, v14, v12, vcc
	v_cndmask_b32_e64 v14, v17, v10, s[0:1]
	v_cndmask_b32_e64 v9, v9, v18, s[2:3]
	;; [unrolled: 1-line block ×3, first 2 shown]
	v_sub_u32_e32 v17, 32, v16
	v_alignbit_b32 v18, v9, v15, v17
	v_cmp_eq_u32_e64 s[4:5], 0, v16
	v_cndmask_b32_e64 v16, v18, v9, s[4:5]
	v_cndmask_b32_e32 v9, v13, v11, vcc
	v_cndmask_b32_e64 v10, v10, v9, s[0:1]
	v_cndmask_b32_e64 v11, v14, v10, s[2:3]
	v_alignbit_b32 v13, v15, v11, v17
	v_cndmask_b32_e32 v8, v12, v8, vcc
	v_cndmask_b32_e64 v13, v13, v15, s[4:5]
	v_bfe_u32 v18, v16, 29, 1
	v_cndmask_b32_e64 v8, v9, v8, s[0:1]
	v_alignbit_b32 v14, v16, v13, 30
	v_sub_u32_e32 v19, 0, v18
	v_cndmask_b32_e64 v8, v10, v8, s[2:3]
	v_xor_b32_e32 v14, v14, v19
	v_alignbit_b32 v9, v11, v8, v17
	v_cndmask_b32_e64 v9, v9, v11, s[4:5]
	v_ffbh_u32_e32 v11, v14
	v_alignbit_b32 v10, v13, v9, 30
	v_min_u32_e32 v11, 32, v11
	v_alignbit_b32 v8, v9, v8, 30
	v_xor_b32_e32 v10, v10, v19
	v_sub_u32_e32 v12, 31, v11
	v_xor_b32_e32 v8, v8, v19
	v_alignbit_b32 v13, v14, v10, v12
	v_alignbit_b32 v8, v10, v8, v12
	;; [unrolled: 1-line block ×3, first 2 shown]
	v_ffbh_u32_e32 v10, v9
	v_min_u32_e32 v10, 32, v10
	v_lshrrev_b32_e32 v15, 29, v16
	v_not_b32_e32 v12, v10
	v_alignbit_b32 v8, v9, v8, v12
	v_lshlrev_b32_e32 v9, 31, v15
	v_or_b32_e32 v12, 0x33000000, v9
	v_add_lshl_u32 v10, v10, v11, 23
	v_lshrrev_b32_e32 v8, 9, v8
	v_sub_u32_e32 v10, v12, v10
	v_or_b32_e32 v9, 0.5, v9
	v_lshlrev_b32_e32 v11, 23, v11
	v_or_b32_e32 v8, v10, v8
	v_lshrrev_b32_e32 v10, 9, v13
	v_sub_u32_e32 v9, v9, v11
	v_or_b32_e32 v9, v10, v9
	s_mov_b32 s0, 0x3fc90fda
	v_mul_f32_e32 v10, 0x3fc90fda, v9
	v_fma_f32 v11, v9, s0, -v10
	v_fmac_f32_e32 v11, 0x33a22168, v9
	v_fmac_f32_e32 v11, 0x3fc90fda, v8
	v_lshrrev_b32_e32 v8, 30, v16
	v_add_f32_e32 v9, v10, v11
	v_add_u32_e32 v8, v18, v8
.LBB50_4:
	s_andn2_saveexec_b64 s[0:1], s[16:17]
	s_cbranch_execz .LBB50_6
; %bb.5:
	s_mov_b32 s2, 0x3f22f983
	v_mul_f32_e64 v8, |v6|, s2
	v_rndne_f32_e32 v10, v8
	s_mov_b32 s2, 0xbfc90fda
	v_cvt_i32_f32_e32 v8, v10
	v_fma_f32 v9, v10, s2, |v6|
	v_fmac_f32_e32 v9, 0xb3a22168, v10
	v_fmac_f32_e32 v9, 0xa7c234c4, v10
.LBB50_6:
	s_or_b64 exec, exec, s[0:1]
	v_mul_f32_e32 v10, v9, v9
	v_mov_b32_e32 v11, 0x3c0881c4
	v_fmac_f32_e32 v11, 0xb94c1982, v10
	v_mov_b32_e32 v12, 0xbe2aaa9d
	v_fmac_f32_e32 v12, v10, v11
	v_mul_f32_e32 v11, v10, v12
	v_fmac_f32_e32 v9, v9, v11
	v_mov_b32_e32 v11, 0xbab64f3b
	v_fmac_f32_e32 v11, 0x37d75334, v10
	v_mov_b32_e32 v12, 0x3d2aabf7
	;; [unrolled: 2-line block ×3, first 2 shown]
	v_fmac_f32_e32 v11, v10, v12
	v_fma_f32 v10, v10, v11, 1.0
	v_and_b32_e32 v11, 1, v8
	v_lshlrev_b32_e32 v8, 30, v8
	v_cmp_eq_u32_e32 vcc, 0, v11
	v_and_b32_e32 v8, 0x80000000, v8
	v_xor_b32_e32 v7, v7, v6
	v_cndmask_b32_e32 v9, v10, v9, vcc
	v_xor_b32_e32 v7, v7, v8
	s_movk_i32 s0, 0x1f8
	v_xor_b32_e32 v7, v7, v9
	v_mov_b32_e32 v8, 0x7fc00000
	v_cmp_class_f32_e64 vcc, v6, s0
	v_cndmask_b32_e32 v6, v8, v7, vcc
	v_mul_f32_e32 v6, v6, v6
	s_mov_b32 s2, 0xc11de9e7
	v_div_scale_f32 v7, s[0:1], v6, v6, s2
	v_div_scale_f32 v8, vcc, s2, v6, s2
	v_sub_f32_e32 v1, 1.0, v1
	v_rcp_f32_e32 v9, v7
	v_fma_f32 v10, -v7, v9, 1.0
	v_fmac_f32_e32 v9, v10, v9
	v_mul_f32_e32 v10, v8, v9
	v_fma_f32 v11, -v7, v10, v8
	v_fmac_f32_e32 v10, v11, v9
	v_fma_f32 v7, -v7, v10, v8
	v_div_fmas_f32 v7, v7, v9, v10
	v_mov_b32_e32 v8, -1.0
	v_div_fixup_f32 v6, v7, v6, s2
	v_add_f32_e32 v9, 0, v6
.LBB50_7:
	s_or_b64 exec, exec, s[14:15]
	v_cmp_gt_f32_e32 vcc, 0.5, v2
	v_mov_b32_e32 v12, 0
	v_mov_b32_e32 v11, 1.0
	s_and_saveexec_b64 s[14:15], vcc
	s_cbranch_execz .LBB50_13
; %bb.8:
	v_mul_f32_e32 v6, 0x40490fdb, v2
	s_brev_b32 s0, 18
	v_and_b32_e32 v7, 0x7fffffff, v6
	v_cmp_nlt_f32_e64 s[0:1], |v6|, s0
                                        ; implicit-def: $vgpr10
                                        ; implicit-def: $vgpr11
	s_and_saveexec_b64 s[2:3], s[0:1]
	s_xor_b64 s[16:17], exec, s[2:3]
	s_cbranch_execz .LBB50_10
; %bb.9:
	v_and_b32_e32 v10, 0x7fffff, v7
	v_or_b32_e32 v19, 0x800000, v10
	s_mov_b32 s0, 0xfe5163ab
	v_mad_u64_u32 v[10:11], s[0:1], v19, s0, 0
	v_mov_b32_e32 v12, 0
	s_mov_b32 s0, 0x3c439041
	v_mad_u64_u32 v[13:14], s[0:1], v19, s0, v[11:12]
	s_mov_b32 s0, 0xdb629599
	v_not_b32_e32 v18, 63
	v_mov_b32_e32 v11, v14
	v_mad_u64_u32 v[14:15], s[0:1], v19, s0, v[11:12]
	s_mov_b32 s0, 0xf534ddc0
	v_not_b32_e32 v21, 31
	v_mov_b32_e32 v11, v15
	v_mad_u64_u32 v[15:16], s[0:1], v19, s0, v[11:12]
	v_lshrrev_b32_e32 v11, 23, v7
	v_add_u32_e32 v20, 0xffffff88, v11
	v_mov_b32_e32 v11, v16
	s_mov_b32 s0, 0xfc2757d1
	v_mad_u64_u32 v[16:17], s[0:1], v19, s0, v[11:12]
	v_cmp_lt_u32_e32 vcc, 63, v20
	v_cndmask_b32_e32 v11, 0, v18, vcc
	v_add_u32_e32 v20, v11, v20
	v_mov_b32_e32 v11, v17
	s_mov_b32 s0, 0x4e441529
	v_mad_u64_u32 v[17:18], s[0:1], v19, s0, v[11:12]
	v_cmp_lt_u32_e64 s[0:1], 31, v20
	v_cndmask_b32_e64 v11, 0, v21, s[0:1]
	v_add_u32_e32 v20, v11, v20
	v_mov_b32_e32 v11, v18
	s_mov_b32 s2, 0xa2f9836e
	v_mad_u64_u32 v[11:12], s[2:3], v19, s2, v[11:12]
	v_cmp_lt_u32_e64 s[2:3], 31, v20
	v_cndmask_b32_e64 v18, 0, v21, s[2:3]
	v_cndmask_b32_e32 v19, v17, v15, vcc
	v_cndmask_b32_e32 v11, v11, v16, vcc
	;; [unrolled: 1-line block ×3, first 2 shown]
	v_add_u32_e32 v18, v18, v20
	v_cndmask_b32_e64 v20, v11, v19, s[0:1]
	v_cndmask_b32_e64 v11, v12, v11, s[0:1]
	v_cndmask_b32_e32 v12, v16, v14, vcc
	v_cndmask_b32_e64 v16, v19, v12, s[0:1]
	v_cndmask_b32_e64 v11, v11, v20, s[2:3]
	;; [unrolled: 1-line block ×3, first 2 shown]
	v_sub_u32_e32 v19, 32, v18
	v_alignbit_b32 v20, v11, v17, v19
	v_cmp_eq_u32_e64 s[4:5], 0, v18
	v_cndmask_b32_e64 v18, v20, v11, s[4:5]
	v_cndmask_b32_e32 v11, v15, v13, vcc
	v_cndmask_b32_e64 v12, v12, v11, s[0:1]
	v_cndmask_b32_e64 v13, v16, v12, s[2:3]
	v_alignbit_b32 v15, v17, v13, v19
	v_cndmask_b32_e32 v10, v14, v10, vcc
	v_cndmask_b32_e64 v15, v15, v17, s[4:5]
	v_bfe_u32 v20, v18, 29, 1
	v_cndmask_b32_e64 v10, v11, v10, s[0:1]
	v_alignbit_b32 v16, v18, v15, 30
	v_sub_u32_e32 v21, 0, v20
	v_cndmask_b32_e64 v10, v12, v10, s[2:3]
	v_xor_b32_e32 v16, v16, v21
	v_alignbit_b32 v11, v13, v10, v19
	v_cndmask_b32_e64 v11, v11, v13, s[4:5]
	v_ffbh_u32_e32 v13, v16
	v_alignbit_b32 v12, v15, v11, 30
	v_min_u32_e32 v13, 32, v13
	v_alignbit_b32 v10, v11, v10, 30
	v_xor_b32_e32 v12, v12, v21
	v_sub_u32_e32 v14, 31, v13
	v_xor_b32_e32 v10, v10, v21
	v_alignbit_b32 v15, v16, v12, v14
	v_alignbit_b32 v10, v12, v10, v14
	;; [unrolled: 1-line block ×3, first 2 shown]
	v_ffbh_u32_e32 v12, v11
	v_min_u32_e32 v12, 32, v12
	v_lshrrev_b32_e32 v17, 29, v18
	v_not_b32_e32 v14, v12
	v_alignbit_b32 v10, v11, v10, v14
	v_lshlrev_b32_e32 v11, 31, v17
	v_or_b32_e32 v14, 0x33000000, v11
	v_add_lshl_u32 v12, v12, v13, 23
	v_lshrrev_b32_e32 v10, 9, v10
	v_sub_u32_e32 v12, v14, v12
	v_or_b32_e32 v11, 0.5, v11
	v_lshlrev_b32_e32 v13, 23, v13
	v_or_b32_e32 v10, v12, v10
	v_lshrrev_b32_e32 v12, 9, v15
	v_sub_u32_e32 v11, v11, v13
	v_or_b32_e32 v11, v12, v11
	s_mov_b32 s0, 0x3fc90fda
	v_mul_f32_e32 v12, 0x3fc90fda, v11
	v_fma_f32 v13, v11, s0, -v12
	v_fmac_f32_e32 v13, 0x33a22168, v11
	v_fmac_f32_e32 v13, 0x3fc90fda, v10
	v_lshrrev_b32_e32 v10, 30, v18
	v_add_f32_e32 v11, v12, v13
	v_add_u32_e32 v10, v20, v10
.LBB50_10:
	s_andn2_saveexec_b64 s[0:1], s[16:17]
	s_cbranch_execz .LBB50_12
; %bb.11:
	s_mov_b32 s2, 0x3f22f983
	v_mul_f32_e64 v10, |v6|, s2
	v_rndne_f32_e32 v12, v10
	s_mov_b32 s2, 0xbfc90fda
	v_cvt_i32_f32_e32 v10, v12
	v_fma_f32 v11, v12, s2, |v6|
	v_fmac_f32_e32 v11, 0xb3a22168, v12
	v_fmac_f32_e32 v11, 0xa7c234c4, v12
.LBB50_12:
	s_or_b64 exec, exec, s[0:1]
	v_mul_f32_e32 v12, v11, v11
	v_mov_b32_e32 v13, 0x3c0881c4
	v_fmac_f32_e32 v13, 0xb94c1982, v12
	v_mov_b32_e32 v14, 0xbe2aaa9d
	v_fmac_f32_e32 v14, v12, v13
	v_mul_f32_e32 v13, v12, v14
	v_fmac_f32_e32 v11, v11, v13
	v_mov_b32_e32 v13, 0xbab64f3b
	v_fmac_f32_e32 v13, 0x37d75334, v12
	v_mov_b32_e32 v14, 0x3d2aabf7
	;; [unrolled: 2-line block ×3, first 2 shown]
	v_fmac_f32_e32 v13, v12, v14
	v_fma_f32 v12, v12, v13, 1.0
	v_and_b32_e32 v13, 1, v10
	v_lshlrev_b32_e32 v10, 30, v10
	v_cmp_eq_u32_e32 vcc, 0, v13
	v_and_b32_e32 v10, 0x80000000, v10
	v_xor_b32_e32 v7, v7, v6
	v_cndmask_b32_e32 v11, v12, v11, vcc
	v_xor_b32_e32 v7, v7, v10
	s_movk_i32 s0, 0x1f8
	v_xor_b32_e32 v7, v7, v11
	v_mov_b32_e32 v10, 0x7fc00000
	v_cmp_class_f32_e64 vcc, v6, s0
	v_cndmask_b32_e32 v6, v10, v7, vcc
	v_mul_f32_e32 v6, v6, v6
	s_mov_b32 s2, 0xc11de9e7
	v_div_scale_f32 v7, s[0:1], v6, v6, s2
	v_div_scale_f32 v10, vcc, s2, v6, s2
	v_sub_f32_e32 v2, 1.0, v2
	v_rcp_f32_e32 v11, v7
	v_fma_f32 v12, -v7, v11, 1.0
	v_fmac_f32_e32 v11, v12, v11
	v_mul_f32_e32 v12, v10, v11
	v_fma_f32 v13, -v7, v12, v10
	v_fmac_f32_e32 v12, v13, v11
	v_fma_f32 v7, -v7, v12, v10
	v_div_fmas_f32 v7, v7, v11, v12
	v_mov_b32_e32 v11, -1.0
	v_div_fixup_f32 v6, v7, v6, s2
	v_add_f32_e32 v12, 0, v6
.LBB50_13:
	s_or_b64 exec, exec, s[14:15]
	v_cmp_gt_f32_e32 vcc, 0.5, v3
	v_mov_b32_e32 v7, 0
	v_mov_b32_e32 v13, 1.0
	s_and_saveexec_b64 s[14:15], vcc
	s_cbranch_execz .LBB50_19
; %bb.14:
	v_mul_f32_e32 v6, 0x40490fdb, v3
	s_brev_b32 s0, 18
	v_and_b32_e32 v7, 0x7fffffff, v6
	v_cmp_nlt_f32_e64 s[0:1], |v6|, s0
                                        ; implicit-def: $vgpr10
                                        ; implicit-def: $vgpr13
	s_and_saveexec_b64 s[2:3], s[0:1]
	s_xor_b64 s[16:17], exec, s[2:3]
	s_cbranch_execz .LBB50_16
; %bb.15:
	v_and_b32_e32 v10, 0x7fffff, v7
	v_or_b32_e32 v10, 0x800000, v10
	s_mov_b32 s0, 0xfe5163ab
	v_mad_u64_u32 v[13:14], s[0:1], v10, s0, 0
	v_mov_b32_e32 v15, 0
	s_mov_b32 s0, 0x3c439041
	v_mad_u64_u32 v[16:17], s[0:1], v10, s0, v[14:15]
	s_mov_b32 s0, 0xdb629599
	v_not_b32_e32 v21, 63
	v_mov_b32_e32 v14, v17
	v_mad_u64_u32 v[17:18], s[0:1], v10, s0, v[14:15]
	s_mov_b32 s0, 0xf534ddc0
	v_not_b32_e32 v23, 31
	v_mov_b32_e32 v14, v18
	v_mad_u64_u32 v[18:19], s[0:1], v10, s0, v[14:15]
	v_lshrrev_b32_e32 v14, 23, v7
	v_add_u32_e32 v22, 0xffffff88, v14
	v_mov_b32_e32 v14, v19
	s_mov_b32 s0, 0xfc2757d1
	v_mad_u64_u32 v[19:20], s[0:1], v10, s0, v[14:15]
	v_cmp_lt_u32_e32 vcc, 63, v22
	v_cndmask_b32_e32 v14, 0, v21, vcc
	v_add_u32_e32 v22, v14, v22
	v_mov_b32_e32 v14, v20
	s_mov_b32 s0, 0x4e441529
	v_mad_u64_u32 v[20:21], s[0:1], v10, s0, v[14:15]
	v_cmp_lt_u32_e64 s[0:1], 31, v22
	v_cndmask_b32_e64 v14, 0, v23, s[0:1]
	v_add_u32_e32 v22, v14, v22
	v_mov_b32_e32 v14, v21
	s_mov_b32 s2, 0xa2f9836e
	v_mad_u64_u32 v[14:15], s[2:3], v10, s2, v[14:15]
	v_cmp_lt_u32_e64 s[2:3], 31, v22
	v_cndmask_b32_e32 v16, v18, v16, vcc
	v_cndmask_b32_e32 v18, v20, v18, vcc
	;; [unrolled: 1-line block ×4, first 2 shown]
	v_cndmask_b32_e64 v10, 0, v23, s[2:3]
	v_cndmask_b32_e64 v20, v14, v18, s[0:1]
	;; [unrolled: 1-line block ×3, first 2 shown]
	v_cndmask_b32_e32 v15, v19, v17, vcc
	v_add_u32_e32 v10, v10, v22
	v_cndmask_b32_e64 v18, v18, v15, s[0:1]
	v_cndmask_b32_e64 v14, v14, v20, s[2:3]
	;; [unrolled: 1-line block ×3, first 2 shown]
	v_sub_u32_e32 v20, 32, v10
	v_alignbit_b32 v21, v14, v19, v20
	v_cmp_eq_u32_e64 s[4:5], 0, v10
	v_cndmask_b32_e64 v10, v21, v14, s[4:5]
	v_cndmask_b32_e64 v14, v15, v16, s[0:1]
	;; [unrolled: 1-line block ×3, first 2 shown]
	v_alignbit_b32 v18, v19, v15, v20
	v_cndmask_b32_e32 v13, v17, v13, vcc
	v_cndmask_b32_e64 v18, v18, v19, s[4:5]
	v_bfe_u32 v17, v10, 29, 1
	v_cndmask_b32_e64 v13, v16, v13, s[0:1]
	v_alignbit_b32 v19, v10, v18, 30
	v_sub_u32_e32 v22, 0, v17
	v_cndmask_b32_e64 v13, v14, v13, s[2:3]
	v_xor_b32_e32 v19, v19, v22
	v_alignbit_b32 v14, v15, v13, v20
	v_cndmask_b32_e64 v14, v14, v15, s[4:5]
	v_ffbh_u32_e32 v16, v19
	v_alignbit_b32 v15, v18, v14, 30
	v_min_u32_e32 v16, 32, v16
	v_alignbit_b32 v13, v14, v13, 30
	v_xor_b32_e32 v15, v15, v22
	v_sub_u32_e32 v18, 31, v16
	v_xor_b32_e32 v13, v13, v22
	v_alignbit_b32 v19, v19, v15, v18
	v_alignbit_b32 v13, v15, v13, v18
	;; [unrolled: 1-line block ×3, first 2 shown]
	v_ffbh_u32_e32 v15, v14
	v_min_u32_e32 v15, 32, v15
	v_lshrrev_b32_e32 v21, 29, v10
	v_not_b32_e32 v18, v15
	v_alignbit_b32 v13, v14, v13, v18
	v_lshlrev_b32_e32 v14, 31, v21
	v_or_b32_e32 v18, 0x33000000, v14
	v_add_lshl_u32 v15, v15, v16, 23
	v_lshrrev_b32_e32 v13, 9, v13
	v_sub_u32_e32 v15, v18, v15
	v_or_b32_e32 v14, 0.5, v14
	v_lshlrev_b32_e32 v16, 23, v16
	v_or_b32_e32 v13, v15, v13
	v_lshrrev_b32_e32 v15, 9, v19
	v_sub_u32_e32 v14, v14, v16
	v_or_b32_e32 v14, v15, v14
	s_mov_b32 s0, 0x3fc90fda
	v_mul_f32_e32 v15, 0x3fc90fda, v14
	v_fma_f32 v16, v14, s0, -v15
	v_fmac_f32_e32 v16, 0x33a22168, v14
	v_fmac_f32_e32 v16, 0x3fc90fda, v13
	v_lshrrev_b32_e32 v10, 30, v10
	v_add_f32_e32 v13, v15, v16
	v_add_u32_e32 v10, v17, v10
.LBB50_16:
	s_andn2_saveexec_b64 s[0:1], s[16:17]
	s_cbranch_execz .LBB50_18
; %bb.17:
	s_mov_b32 s2, 0x3f22f983
	v_mul_f32_e64 v10, |v6|, s2
	v_rndne_f32_e32 v14, v10
	s_mov_b32 s2, 0xbfc90fda
	v_cvt_i32_f32_e32 v10, v14
	v_fma_f32 v13, v14, s2, |v6|
	v_fmac_f32_e32 v13, 0xb3a22168, v14
	v_fmac_f32_e32 v13, 0xa7c234c4, v14
.LBB50_18:
	s_or_b64 exec, exec, s[0:1]
	v_mul_f32_e32 v14, v13, v13
	v_mov_b32_e32 v15, 0x3c0881c4
	v_fmac_f32_e32 v15, 0xb94c1982, v14
	v_mov_b32_e32 v16, 0xbe2aaa9d
	v_fmac_f32_e32 v16, v14, v15
	v_mul_f32_e32 v15, v14, v16
	v_fmac_f32_e32 v13, v13, v15
	v_mov_b32_e32 v15, 0xbab64f3b
	v_fmac_f32_e32 v15, 0x37d75334, v14
	v_mov_b32_e32 v16, 0x3d2aabf7
	;; [unrolled: 2-line block ×3, first 2 shown]
	v_fmac_f32_e32 v15, v14, v16
	v_fma_f32 v14, v14, v15, 1.0
	v_and_b32_e32 v15, 1, v10
	v_lshlrev_b32_e32 v10, 30, v10
	v_cmp_eq_u32_e32 vcc, 0, v15
	v_and_b32_e32 v10, 0x80000000, v10
	v_xor_b32_e32 v7, v7, v6
	v_cndmask_b32_e32 v13, v14, v13, vcc
	v_xor_b32_e32 v7, v7, v10
	s_movk_i32 s0, 0x1f8
	v_xor_b32_e32 v7, v7, v13
	v_mov_b32_e32 v10, 0x7fc00000
	v_cmp_class_f32_e64 vcc, v6, s0
	v_cndmask_b32_e32 v6, v10, v7, vcc
	v_mul_f32_e32 v6, v6, v6
	s_mov_b32 s2, 0xc11de9e7
	v_div_scale_f32 v7, s[0:1], v6, v6, s2
	v_div_scale_f32 v10, vcc, s2, v6, s2
	v_sub_f32_e32 v3, 1.0, v3
	v_rcp_f32_e32 v13, v7
	v_fma_f32 v14, -v7, v13, 1.0
	v_fmac_f32_e32 v13, v14, v13
	v_mul_f32_e32 v14, v10, v13
	v_fma_f32 v15, -v7, v14, v10
	v_fmac_f32_e32 v14, v15, v13
	v_fma_f32 v7, -v7, v14, v10
	v_div_fmas_f32 v7, v7, v13, v14
	v_mov_b32_e32 v13, -1.0
	v_div_fixup_f32 v6, v7, v6, s2
	v_add_f32_e32 v7, 0, v6
.LBB50_19:
	s_or_b64 exec, exec, s[14:15]
	v_cmp_gt_f32_e32 vcc, 0.5, v4
	v_mov_b32_e32 v10, 0
	v_mov_b32_e32 v6, 1.0
	s_and_saveexec_b64 s[14:15], vcc
	s_cbranch_execz .LBB50_25
; %bb.20:
	v_mul_f32_e32 v6, 0x40490fdb, v4
	s_brev_b32 s0, 18
	v_and_b32_e32 v10, 0x7fffffff, v6
	v_cmp_nlt_f32_e64 s[0:1], |v6|, s0
                                        ; implicit-def: $vgpr14
                                        ; implicit-def: $vgpr15
	s_and_saveexec_b64 s[2:3], s[0:1]
	s_xor_b64 s[16:17], exec, s[2:3]
	s_cbranch_execz .LBB50_22
; %bb.21:
	v_and_b32_e32 v14, 0x7fffff, v10
	v_or_b32_e32 v23, 0x800000, v14
	s_mov_b32 s0, 0xfe5163ab
	v_mad_u64_u32 v[14:15], s[0:1], v23, s0, 0
	v_mov_b32_e32 v16, 0
	s_mov_b32 s0, 0x3c439041
	v_mad_u64_u32 v[17:18], s[0:1], v23, s0, v[15:16]
	s_mov_b32 s0, 0xdb629599
	v_not_b32_e32 v22, 63
	v_mov_b32_e32 v15, v18
	v_mad_u64_u32 v[18:19], s[0:1], v23, s0, v[15:16]
	s_mov_b32 s0, 0xf534ddc0
	v_not_b32_e32 v25, 31
	v_mov_b32_e32 v15, v19
	v_mad_u64_u32 v[19:20], s[0:1], v23, s0, v[15:16]
	v_lshrrev_b32_e32 v15, 23, v10
	v_add_u32_e32 v24, 0xffffff88, v15
	v_mov_b32_e32 v15, v20
	s_mov_b32 s0, 0xfc2757d1
	v_mad_u64_u32 v[20:21], s[0:1], v23, s0, v[15:16]
	v_cmp_lt_u32_e32 vcc, 63, v24
	v_cndmask_b32_e32 v15, 0, v22, vcc
	v_add_u32_e32 v24, v15, v24
	v_mov_b32_e32 v15, v21
	s_mov_b32 s0, 0x4e441529
	v_mad_u64_u32 v[21:22], s[0:1], v23, s0, v[15:16]
	v_cmp_lt_u32_e64 s[0:1], 31, v24
	v_cndmask_b32_e64 v15, 0, v25, s[0:1]
	v_add_u32_e32 v24, v15, v24
	v_mov_b32_e32 v15, v22
	s_mov_b32 s2, 0xa2f9836e
	v_mad_u64_u32 v[15:16], s[2:3], v23, s2, v[15:16]
	v_cmp_lt_u32_e64 s[2:3], 31, v24
	v_cndmask_b32_e64 v22, 0, v25, s[2:3]
	v_cndmask_b32_e32 v23, v21, v19, vcc
	v_cndmask_b32_e32 v15, v15, v20, vcc
	;; [unrolled: 1-line block ×3, first 2 shown]
	v_add_u32_e32 v22, v22, v24
	v_cndmask_b32_e64 v24, v15, v23, s[0:1]
	v_cndmask_b32_e64 v15, v16, v15, s[0:1]
	v_cndmask_b32_e32 v16, v20, v18, vcc
	v_cndmask_b32_e64 v20, v23, v16, s[0:1]
	v_cndmask_b32_e64 v15, v15, v24, s[2:3]
	;; [unrolled: 1-line block ×3, first 2 shown]
	v_sub_u32_e32 v23, 32, v22
	v_alignbit_b32 v24, v15, v21, v23
	v_cmp_eq_u32_e64 s[4:5], 0, v22
	v_cndmask_b32_e64 v22, v24, v15, s[4:5]
	v_cndmask_b32_e32 v15, v19, v17, vcc
	v_cndmask_b32_e64 v16, v16, v15, s[0:1]
	v_cndmask_b32_e64 v17, v20, v16, s[2:3]
	v_alignbit_b32 v19, v21, v17, v23
	v_cndmask_b32_e32 v14, v18, v14, vcc
	v_cndmask_b32_e64 v19, v19, v21, s[4:5]
	v_bfe_u32 v24, v22, 29, 1
	v_cndmask_b32_e64 v14, v15, v14, s[0:1]
	v_alignbit_b32 v20, v22, v19, 30
	v_sub_u32_e32 v25, 0, v24
	v_cndmask_b32_e64 v14, v16, v14, s[2:3]
	v_xor_b32_e32 v20, v20, v25
	v_alignbit_b32 v15, v17, v14, v23
	v_cndmask_b32_e64 v15, v15, v17, s[4:5]
	v_ffbh_u32_e32 v17, v20
	v_alignbit_b32 v16, v19, v15, 30
	v_min_u32_e32 v17, 32, v17
	v_alignbit_b32 v14, v15, v14, 30
	v_xor_b32_e32 v16, v16, v25
	v_sub_u32_e32 v18, 31, v17
	v_xor_b32_e32 v14, v14, v25
	v_alignbit_b32 v19, v20, v16, v18
	v_alignbit_b32 v14, v16, v14, v18
	;; [unrolled: 1-line block ×3, first 2 shown]
	v_ffbh_u32_e32 v16, v15
	v_min_u32_e32 v16, 32, v16
	v_lshrrev_b32_e32 v21, 29, v22
	v_not_b32_e32 v18, v16
	v_alignbit_b32 v14, v15, v14, v18
	v_lshlrev_b32_e32 v15, 31, v21
	v_or_b32_e32 v18, 0x33000000, v15
	v_add_lshl_u32 v16, v16, v17, 23
	v_lshrrev_b32_e32 v14, 9, v14
	v_sub_u32_e32 v16, v18, v16
	v_or_b32_e32 v15, 0.5, v15
	v_lshlrev_b32_e32 v17, 23, v17
	v_or_b32_e32 v14, v16, v14
	v_lshrrev_b32_e32 v16, 9, v19
	v_sub_u32_e32 v15, v15, v17
	v_or_b32_e32 v15, v16, v15
	s_mov_b32 s0, 0x3fc90fda
	v_mul_f32_e32 v16, 0x3fc90fda, v15
	v_fma_f32 v17, v15, s0, -v16
	v_fmac_f32_e32 v17, 0x33a22168, v15
	v_fmac_f32_e32 v17, 0x3fc90fda, v14
	v_lshrrev_b32_e32 v14, 30, v22
	v_add_f32_e32 v15, v16, v17
	v_add_u32_e32 v14, v24, v14
.LBB50_22:
	s_andn2_saveexec_b64 s[0:1], s[16:17]
	s_cbranch_execz .LBB50_24
; %bb.23:
	s_mov_b32 s2, 0x3f22f983
	v_mul_f32_e64 v14, |v6|, s2
	v_rndne_f32_e32 v16, v14
	s_mov_b32 s2, 0xbfc90fda
	v_cvt_i32_f32_e32 v14, v16
	v_fma_f32 v15, v16, s2, |v6|
	v_fmac_f32_e32 v15, 0xb3a22168, v16
	v_fmac_f32_e32 v15, 0xa7c234c4, v16
.LBB50_24:
	s_or_b64 exec, exec, s[0:1]
	v_mul_f32_e32 v16, v15, v15
	v_mov_b32_e32 v17, 0x3c0881c4
	v_fmac_f32_e32 v17, 0xb94c1982, v16
	v_mov_b32_e32 v18, 0xbe2aaa9d
	v_fmac_f32_e32 v18, v16, v17
	v_mul_f32_e32 v17, v16, v18
	v_fmac_f32_e32 v15, v15, v17
	v_mov_b32_e32 v17, 0xbab64f3b
	v_fmac_f32_e32 v17, 0x37d75334, v16
	v_mov_b32_e32 v18, 0x3d2aabf7
	v_fmac_f32_e32 v18, v16, v17
	v_mov_b32_e32 v17, 0xbf000004
	v_fmac_f32_e32 v17, v16, v18
	v_fma_f32 v16, v16, v17, 1.0
	v_and_b32_e32 v17, 1, v14
	v_lshlrev_b32_e32 v14, 30, v14
	v_cmp_eq_u32_e32 vcc, 0, v17
	v_and_b32_e32 v14, 0x80000000, v14
	v_xor_b32_e32 v10, v10, v6
	v_cndmask_b32_e32 v15, v16, v15, vcc
	v_xor_b32_e32 v10, v10, v14
	s_movk_i32 s0, 0x1f8
	v_xor_b32_e32 v10, v10, v15
	v_mov_b32_e32 v14, 0x7fc00000
	v_cmp_class_f32_e64 vcc, v6, s0
	v_cndmask_b32_e32 v6, v14, v10, vcc
	v_mul_f32_e32 v6, v6, v6
	s_mov_b32 s2, 0xc11de9e7
	v_div_scale_f32 v10, s[0:1], v6, v6, s2
	v_div_scale_f32 v14, vcc, s2, v6, s2
	v_sub_f32_e32 v4, 1.0, v4
	v_rcp_f32_e32 v15, v10
	v_fma_f32 v16, -v10, v15, 1.0
	v_fmac_f32_e32 v15, v16, v15
	v_mul_f32_e32 v16, v14, v15
	v_fma_f32 v17, -v10, v16, v14
	v_fmac_f32_e32 v16, v17, v15
	v_fma_f32 v10, -v10, v16, v14
	v_div_fmas_f32 v10, v10, v15, v16
	v_div_fixup_f32 v6, v10, v6, s2
	v_add_f32_e32 v10, 0, v6
	v_mov_b32_e32 v6, -1.0
.LBB50_25:
	s_or_b64 exec, exec, s[14:15]
	v_mul_f32_e32 v14, v3, v3
	v_div_scale_f32 v15, s[0:1], v14, v14, 1.0
	v_add_f32_e32 v3, 1.0, v3
	v_rcp_f32_e32 v16, v15
	v_fma_f32 v17, -v15, v16, 1.0
	v_fmac_f32_e32 v16, v17, v16
	v_div_scale_f32 v17, vcc, 1.0, v14, 1.0
	v_mul_f32_e32 v18, v17, v16
	v_fma_f32 v19, -v15, v18, v17
	v_fmac_f32_e32 v18, v19, v16
	v_fma_f32 v15, -v15, v18, v17
	v_div_fmas_f32 v15, v15, v16, v18
	v_div_fixup_f32 v14, v15, v14, 1.0
	v_add_f32_e32 v7, v7, v14
	v_mul_f32_e32 v14, v3, v3
	v_div_scale_f32 v15, s[0:1], v14, v14, 1.0
	v_add_f32_e32 v3, 1.0, v3
	v_rcp_f32_e32 v16, v15
	v_fma_f32 v17, -v15, v16, 1.0
	v_fmac_f32_e32 v16, v17, v16
	v_div_scale_f32 v17, vcc, 1.0, v14, 1.0
	v_mul_f32_e32 v18, v17, v16
	v_fma_f32 v19, -v15, v18, v17
	v_fmac_f32_e32 v18, v19, v16
	v_fma_f32 v15, -v15, v18, v17
	v_div_fmas_f32 v15, v15, v16, v18
	v_div_fixup_f32 v14, v15, v14, 1.0
	v_add_f32_e32 v7, v7, v14
	;; [unrolled: 14-line block ×6, first 2 shown]
	v_add_f32_e32 v7, v3, v3
	v_div_scale_f32 v15, s[0:1], v7, v7, 1.0
	v_rcp_f32_e32 v16, v15
	v_fma_f32 v17, -v15, v16, 1.0
	v_fmac_f32_e32 v16, v17, v16
	v_div_scale_f32 v17, vcc, 1.0, v7, 1.0
	v_mul_f32_e32 v18, v17, v16
	v_fma_f32 v19, -v15, v18, v17
	v_fmac_f32_e32 v18, v19, v16
	v_fma_f32 v15, -v15, v18, v17
	v_div_fmas_f32 v15, v15, v16, v18
	v_div_fixup_f32 v7, v15, v7, 1.0
	v_add_f32_e32 v15, 1.0, v7
	v_mul_f32_e32 v7, v3, v3
	v_div_scale_f32 v16, s[0:1], v7, v7, 1.0
	s_mov_b32 s0, 0x3e2aaaab
	v_rcp_f32_e32 v17, v16
	v_fma_f32 v18, -v16, v17, 1.0
	v_fmac_f32_e32 v17, v18, v17
	v_div_scale_f32 v18, vcc, 1.0, v7, 1.0
	v_mul_f32_e32 v19, v18, v17
	v_fma_f32 v20, -v16, v19, v18
	v_fmac_f32_e32 v19, v20, v17
	v_fma_f32 v16, -v16, v19, v18
	v_div_fmas_f32 v16, v16, v17, v19
	v_mov_b32_e32 v17, 0x3d088889
	v_div_fixup_f32 v16, v16, v7, 1.0
	v_fmac_f32_e32 v17, 0xbcc30c31, v16
	v_fma_f32 v17, -v16, v17, s0
	v_fmac_f32_e32 v15, v16, v17
	v_div_scale_f32 v16, s[2:3], v3, v3, v15
	v_mov_b32_e32 v7, 0x3d088889
	v_rcp_f32_e32 v17, v16
	v_fma_f32 v18, -v16, v17, 1.0
	v_fmac_f32_e32 v17, v18, v17
	v_div_scale_f32 v18, vcc, v15, v3, v15
	v_mul_f32_e32 v19, v18, v17
	v_fma_f32 v20, -v16, v19, v18
	v_fmac_f32_e32 v19, v20, v17
	v_fma_f32 v16, -v16, v19, v18
	v_div_fmas_f32 v16, v16, v17, v19
	v_div_fixup_f32 v3, v16, v3, v15
	v_add_f32_e32 v3, v14, v3
	v_mul_f32_e32 v3, v13, v3
	v_mul_f32_e32 v13, v2, v2
	v_div_scale_f32 v14, s[2:3], v13, v13, 1.0
	v_add_f32_e32 v2, 1.0, v2
	v_rcp_f32_e32 v15, v14
	v_fma_f32 v16, -v14, v15, 1.0
	v_fmac_f32_e32 v15, v16, v15
	v_div_scale_f32 v16, vcc, 1.0, v13, 1.0
	v_mul_f32_e32 v17, v16, v15
	v_fma_f32 v18, -v14, v17, v16
	v_fmac_f32_e32 v17, v18, v15
	v_fma_f32 v14, -v14, v17, v16
	v_div_fmas_f32 v14, v14, v15, v17
	v_div_fixup_f32 v13, v14, v13, 1.0
	v_add_f32_e32 v12, v12, v13
	v_mul_f32_e32 v13, v2, v2
	v_div_scale_f32 v14, s[2:3], v13, v13, 1.0
	v_add_f32_e32 v2, 1.0, v2
	v_rcp_f32_e32 v15, v14
	v_fma_f32 v16, -v14, v15, 1.0
	v_fmac_f32_e32 v15, v16, v15
	v_div_scale_f32 v16, vcc, 1.0, v13, 1.0
	v_mul_f32_e32 v17, v16, v15
	v_fma_f32 v18, -v14, v17, v16
	v_fmac_f32_e32 v17, v18, v15
	v_fma_f32 v14, -v14, v17, v16
	v_div_fmas_f32 v14, v14, v15, v17
	v_div_fixup_f32 v13, v14, v13, 1.0
	v_add_f32_e32 v12, v12, v13
	;; [unrolled: 14-line block ×6, first 2 shown]
	v_add_f32_e32 v13, v2, v2
	v_div_scale_f32 v14, s[2:3], v13, v13, 1.0
	v_rcp_f32_e32 v15, v14
	v_fma_f32 v16, -v14, v15, 1.0
	v_fmac_f32_e32 v15, v16, v15
	v_div_scale_f32 v16, vcc, 1.0, v13, 1.0
	v_mul_f32_e32 v17, v16, v15
	v_fma_f32 v18, -v14, v17, v16
	v_fmac_f32_e32 v17, v18, v15
	v_fma_f32 v14, -v14, v17, v16
	v_div_fmas_f32 v14, v14, v15, v17
	v_div_fixup_f32 v13, v14, v13, 1.0
	v_mul_f32_e32 v14, v2, v2
	v_div_scale_f32 v15, s[2:3], v14, v14, 1.0
	v_add_f32_e32 v13, 1.0, v13
	v_rcp_f32_e32 v16, v15
	v_fma_f32 v17, -v15, v16, 1.0
	v_fmac_f32_e32 v16, v17, v16
	v_div_scale_f32 v17, vcc, 1.0, v14, 1.0
	v_mul_f32_e32 v18, v17, v16
	v_fma_f32 v19, -v15, v18, v17
	v_fmac_f32_e32 v18, v19, v16
	v_fma_f32 v15, -v15, v18, v17
	v_div_fmas_f32 v15, v15, v16, v18
	v_div_fixup_f32 v14, v15, v14, 1.0
	v_mov_b32_e32 v15, 0x3d088889
	v_fmac_f32_e32 v15, 0xbcc30c31, v14
	v_fma_f32 v15, -v14, v15, s0
	v_fmac_f32_e32 v13, v14, v15
	v_div_scale_f32 v14, s[2:3], v2, v2, v13
	v_rcp_f32_e32 v15, v14
	v_fma_f32 v16, -v14, v15, 1.0
	v_fmac_f32_e32 v15, v16, v15
	v_div_scale_f32 v16, vcc, v13, v2, v13
	v_mul_f32_e32 v17, v16, v15
	v_fma_f32 v18, -v14, v17, v16
	v_fmac_f32_e32 v17, v18, v15
	v_fma_f32 v14, -v14, v17, v16
	v_div_fmas_f32 v14, v14, v15, v17
	v_div_fixup_f32 v2, v14, v2, v13
	v_add_f32_e32 v2, v12, v2
	v_mul_f32_e32 v2, v11, v2
	v_mul_f32_e32 v11, v1, v1
	v_div_scale_f32 v12, s[2:3], v11, v11, 1.0
	v_add_f32_e32 v1, 1.0, v1
	v_rcp_f32_e32 v13, v12
	v_fma_f32 v14, -v12, v13, 1.0
	v_fmac_f32_e32 v13, v14, v13
	v_div_scale_f32 v14, vcc, 1.0, v11, 1.0
	v_mul_f32_e32 v15, v14, v13
	v_fma_f32 v16, -v12, v15, v14
	v_fmac_f32_e32 v15, v16, v13
	v_fma_f32 v12, -v12, v15, v14
	v_div_fmas_f32 v12, v12, v13, v15
	v_div_fixup_f32 v11, v12, v11, 1.0
	v_add_f32_e32 v9, v9, v11
	v_mul_f32_e32 v11, v1, v1
	v_div_scale_f32 v12, s[2:3], v11, v11, 1.0
	v_add_f32_e32 v1, 1.0, v1
	v_rcp_f32_e32 v13, v12
	v_fma_f32 v14, -v12, v13, 1.0
	v_fmac_f32_e32 v13, v14, v13
	v_div_scale_f32 v14, vcc, 1.0, v11, 1.0
	v_mul_f32_e32 v15, v14, v13
	v_fma_f32 v16, -v12, v15, v14
	v_fmac_f32_e32 v15, v16, v13
	v_fma_f32 v12, -v12, v15, v14
	v_div_fmas_f32 v12, v12, v13, v15
	v_div_fixup_f32 v11, v12, v11, 1.0
	v_add_f32_e32 v9, v9, v11
	;; [unrolled: 14-line block ×6, first 2 shown]
	v_add_f32_e32 v11, v1, v1
	v_div_scale_f32 v12, s[2:3], v11, v11, 1.0
	v_rcp_f32_e32 v13, v12
	v_fma_f32 v14, -v12, v13, 1.0
	v_fmac_f32_e32 v13, v14, v13
	v_div_scale_f32 v14, vcc, 1.0, v11, 1.0
	v_mul_f32_e32 v15, v14, v13
	v_fma_f32 v16, -v12, v15, v14
	v_fmac_f32_e32 v15, v16, v13
	v_fma_f32 v12, -v12, v15, v14
	v_div_fmas_f32 v12, v12, v13, v15
	v_div_fixup_f32 v11, v12, v11, 1.0
	v_mul_f32_e32 v12, v1, v1
	v_div_scale_f32 v13, s[2:3], v12, v12, 1.0
	v_add_f32_e32 v11, 1.0, v11
	v_rcp_f32_e32 v14, v13
	v_fma_f32 v15, -v13, v14, 1.0
	v_fmac_f32_e32 v14, v15, v14
	v_div_scale_f32 v15, vcc, 1.0, v12, 1.0
	v_mul_f32_e32 v16, v15, v14
	v_fma_f32 v17, -v13, v16, v15
	v_fmac_f32_e32 v16, v17, v14
	v_fma_f32 v13, -v13, v16, v15
	v_div_fmas_f32 v13, v13, v14, v16
	v_div_fixup_f32 v12, v13, v12, 1.0
	v_mov_b32_e32 v13, 0x3d088889
	v_fmac_f32_e32 v13, 0xbcc30c31, v12
	v_fma_f32 v13, -v12, v13, s0
	v_fmac_f32_e32 v11, v12, v13
	v_div_scale_f32 v12, s[2:3], v1, v1, v11
	v_rcp_f32_e32 v13, v12
	v_fma_f32 v14, -v12, v13, 1.0
	v_fmac_f32_e32 v13, v14, v13
	v_div_scale_f32 v14, vcc, v11, v1, v11
	v_mul_f32_e32 v15, v14, v13
	v_fma_f32 v16, -v12, v15, v14
	v_fmac_f32_e32 v15, v16, v13
	v_fma_f32 v12, -v12, v15, v14
	v_div_fmas_f32 v12, v12, v13, v15
	v_div_fixup_f32 v1, v12, v1, v11
	v_add_f32_e32 v1, v9, v1
	v_mul_f32_e32 v1, v8, v1
	v_mul_f32_e32 v8, v4, v4
	v_div_scale_f32 v9, s[2:3], v8, v8, 1.0
	v_add_f32_e32 v4, 1.0, v4
	v_rcp_f32_e32 v11, v9
	v_fma_f32 v12, -v9, v11, 1.0
	v_fmac_f32_e32 v11, v12, v11
	v_div_scale_f32 v12, vcc, 1.0, v8, 1.0
	v_mul_f32_e32 v13, v12, v11
	v_fma_f32 v14, -v9, v13, v12
	v_fmac_f32_e32 v13, v14, v11
	v_fma_f32 v9, -v9, v13, v12
	v_div_fmas_f32 v9, v9, v11, v13
	v_div_fixup_f32 v8, v9, v8, 1.0
	v_mul_f32_e32 v9, v4, v4
	v_add_f32_e32 v8, v10, v8
	v_div_scale_f32 v10, s[2:3], v9, v9, 1.0
	v_add_f32_e32 v4, 1.0, v4
	v_rcp_f32_e32 v11, v10
	v_fma_f32 v12, -v10, v11, 1.0
	v_fmac_f32_e32 v11, v12, v11
	v_div_scale_f32 v12, vcc, 1.0, v9, 1.0
	v_mul_f32_e32 v13, v12, v11
	v_fma_f32 v14, -v10, v13, v12
	v_fmac_f32_e32 v13, v14, v11
	v_fma_f32 v10, -v10, v13, v12
	v_div_fmas_f32 v10, v10, v11, v13
	v_div_fixup_f32 v9, v10, v9, 1.0
	v_add_f32_e32 v8, v8, v9
	v_mul_f32_e32 v9, v4, v4
	v_div_scale_f32 v10, s[2:3], v9, v9, 1.0
	v_add_f32_e32 v4, 1.0, v4
	v_rcp_f32_e32 v11, v10
	v_fma_f32 v12, -v10, v11, 1.0
	v_fmac_f32_e32 v11, v12, v11
	v_div_scale_f32 v12, vcc, 1.0, v9, 1.0
	v_mul_f32_e32 v13, v12, v11
	v_fma_f32 v14, -v10, v13, v12
	v_fmac_f32_e32 v13, v14, v11
	v_fma_f32 v10, -v10, v13, v12
	v_div_fmas_f32 v10, v10, v11, v13
	v_div_fixup_f32 v9, v10, v9, 1.0
	v_add_f32_e32 v8, v8, v9
	v_mul_f32_e32 v9, v4, v4
	;; [unrolled: 14-line block ×5, first 2 shown]
	v_div_scale_f32 v10, s[2:3], v9, v9, 1.0
	v_rcp_f32_e32 v11, v10
	v_fma_f32 v12, -v10, v11, 1.0
	v_fmac_f32_e32 v11, v12, v11
	v_div_scale_f32 v12, vcc, 1.0, v9, 1.0
	v_mul_f32_e32 v13, v12, v11
	v_fma_f32 v14, -v10, v13, v12
	v_fmac_f32_e32 v13, v14, v11
	v_fma_f32 v10, -v10, v13, v12
	v_div_fmas_f32 v10, v10, v11, v13
	v_div_fixup_f32 v9, v10, v9, 1.0
	v_add_f32_e32 v10, v4, v4
	v_div_scale_f32 v11, s[2:3], v10, v10, 1.0
	v_fmac_f32_e32 v7, 0xbcc30c31, v9
	v_fma_f32 v7, -v9, v7, s0
	v_rcp_f32_e32 v12, v11
	v_fma_f32 v13, -v11, v12, 1.0
	v_fmac_f32_e32 v12, v13, v12
	v_div_scale_f32 v13, vcc, 1.0, v10, 1.0
	v_mul_f32_e32 v14, v13, v12
	v_fma_f32 v15, -v11, v14, v13
	v_fmac_f32_e32 v14, v15, v12
	v_fma_f32 v11, -v11, v14, v13
	v_div_fmas_f32 v11, v11, v12, v14
	v_div_fixup_f32 v10, v11, v10, 1.0
	v_add_f32_e32 v10, 1.0, v10
	v_fmac_f32_e32 v10, v9, v7
	v_div_scale_f32 v7, s[0:1], v4, v4, v10
	s_add_u32 s0, s8, s6
	s_addc_u32 s1, s9, s7
	v_rcp_f32_e32 v9, v7
	v_fma_f32 v11, -v7, v9, 1.0
	v_fmac_f32_e32 v9, v11, v9
	v_div_scale_f32 v11, vcc, v10, v4, v10
	v_mul_f32_e32 v12, v11, v9
	v_fma_f32 v13, -v7, v12, v11
	v_fmac_f32_e32 v12, v13, v9
	v_fma_f32 v7, -v7, v12, v11
	v_div_fmas_f32 v7, v7, v9, v12
	v_div_fixup_f32 v4, v7, v4, v10
	v_add_f32_e32 v4, v8, v4
	v_mul_f32_e32 v4, v6, v4
	global_store_dwordx4 v5, v[1:4], s[0:1]
	s_mov_b64 s[0:1], 0
.LBB50_26:
	s_and_b64 vcc, exec, s[0:1]
	s_cbranch_vccz .LBB50_65
; %bb.27:
	v_cmp_gt_i32_e64 s[0:1], s18, v0
	v_mov_b32_e32 v9, 0
	v_or_b32_e32 v1, s12, v0
	v_mov_b32_e32 v10, 0
	v_mov_b32_e32 v3, v0
	s_and_saveexec_b64 s[2:3], s[0:1]
	s_cbranch_execz .LBB50_29
; %bb.28:
	v_mov_b32_e32 v2, 0
	v_lshlrev_b64 v[2:3], 2, v[1:2]
	v_mov_b32_e32 v4, s11
	v_add_co_u32_e32 v2, vcc, s10, v2
	v_addc_co_u32_e32 v3, vcc, v4, v3, vcc
	global_load_dword v10, v[2:3], off
	v_or_b32_e32 v3, 0x100, v0
.LBB50_29:
	s_or_b64 exec, exec, s[2:3]
	v_cmp_gt_i32_e32 vcc, s18, v3
	s_and_saveexec_b64 s[2:3], vcc
	s_cbranch_execz .LBB50_31
; %bb.30:
	v_add_u32_e32 v4, s12, v3
	v_mov_b32_e32 v5, 0
	v_lshlrev_b64 v[4:5], 2, v[4:5]
	v_mov_b32_e32 v2, s11
	v_add_co_u32_e32 v4, vcc, s10, v4
	v_addc_co_u32_e32 v5, vcc, v2, v5, vcc
	global_load_dword v9, v[4:5], off
	v_add_u32_e32 v3, 0x100, v3
.LBB50_31:
	s_or_b64 exec, exec, s[2:3]
	v_cmp_gt_i32_e32 vcc, s18, v3
	v_mov_b32_e32 v2, 0
	v_mov_b32_e32 v5, 0
	s_and_saveexec_b64 s[2:3], vcc
	s_cbranch_execz .LBB50_33
; %bb.32:
	v_add_u32_e32 v4, s12, v3
	v_mov_b32_e32 v5, 0
	v_lshlrev_b64 v[4:5], 2, v[4:5]
	v_mov_b32_e32 v6, s11
	v_add_co_u32_e32 v4, vcc, s10, v4
	v_addc_co_u32_e32 v5, vcc, v6, v5, vcc
	global_load_dword v5, v[4:5], off
	v_add_u32_e32 v3, 0x100, v3
.LBB50_33:
	s_or_b64 exec, exec, s[2:3]
	v_cmp_gt_i32_e32 vcc, s18, v3
	s_and_saveexec_b64 s[2:3], vcc
	s_cbranch_execz .LBB50_35
; %bb.34:
	v_add_u32_e32 v2, s12, v3
	v_mov_b32_e32 v3, 0
	v_lshlrev_b64 v[2:3], 2, v[2:3]
	v_mov_b32_e32 v4, s11
	v_add_co_u32_e32 v2, vcc, s10, v2
	v_addc_co_u32_e32 v3, vcc, v4, v3, vcc
	global_load_dword v2, v[2:3], off
.LBB50_35:
	s_or_b64 exec, exec, s[2:3]
	v_mov_b32_e32 v3, 0
	v_mov_b32_e32 v8, v3
	v_mov_b32_e32 v7, v3
	v_mov_b32_e32 v6, v3
	s_and_saveexec_b64 s[10:11], s[0:1]
	s_cbranch_execz .LBB50_43
; %bb.36:
	s_waitcnt vmcnt(0)
	v_cmp_gt_f32_e32 vcc, 0.5, v10
	v_mov_b32_e32 v4, 1.0
	s_and_saveexec_b64 s[14:15], vcc
	s_cbranch_execz .LBB50_42
; %bb.37:
	v_mul_f32_e32 v3, 0x40490fdb, v10
	s_brev_b32 s2, 18
	v_and_b32_e32 v4, 0x7fffffff, v3
	v_cmp_nlt_f32_e64 s[2:3], |v3|, s2
                                        ; implicit-def: $vgpr6
                                        ; implicit-def: $vgpr7
	s_and_saveexec_b64 s[4:5], s[2:3]
	s_xor_b64 s[16:17], exec, s[4:5]
	s_cbranch_execz .LBB50_39
; %bb.38:
	v_and_b32_e32 v6, 0x7fffff, v4
	v_or_b32_e32 v17, 0x800000, v6
	s_mov_b32 s2, 0xfe5163ab
	v_mad_u64_u32 v[6:7], s[2:3], v17, s2, 0
	v_mov_b32_e32 v8, 0
	s_mov_b32 s2, 0x3c439041
	v_mad_u64_u32 v[11:12], s[2:3], v17, s2, v[7:8]
	s_mov_b32 s2, 0xdb629599
	v_not_b32_e32 v16, 63
	v_mov_b32_e32 v7, v12
	v_mad_u64_u32 v[12:13], s[2:3], v17, s2, v[7:8]
	s_mov_b32 s2, 0xf534ddc0
	v_not_b32_e32 v19, 31
	v_mov_b32_e32 v7, v13
	v_mad_u64_u32 v[13:14], s[2:3], v17, s2, v[7:8]
	v_lshrrev_b32_e32 v7, 23, v4
	v_add_u32_e32 v18, 0xffffff88, v7
	v_mov_b32_e32 v7, v14
	s_mov_b32 s2, 0xfc2757d1
	v_mad_u64_u32 v[14:15], s[2:3], v17, s2, v[7:8]
	v_cmp_lt_u32_e32 vcc, 63, v18
	v_cndmask_b32_e32 v7, 0, v16, vcc
	v_add_u32_e32 v18, v7, v18
	v_mov_b32_e32 v7, v15
	s_mov_b32 s2, 0x4e441529
	v_mad_u64_u32 v[15:16], s[2:3], v17, s2, v[7:8]
	v_cmp_lt_u32_e64 s[2:3], 31, v18
	v_cndmask_b32_e64 v7, 0, v19, s[2:3]
	v_add_u32_e32 v18, v7, v18
	v_mov_b32_e32 v7, v16
	s_mov_b32 s4, 0xa2f9836e
	v_mad_u64_u32 v[7:8], s[4:5], v17, s4, v[7:8]
	v_cmp_lt_u32_e64 s[4:5], 31, v18
	v_cndmask_b32_e64 v16, 0, v19, s[4:5]
	v_cndmask_b32_e32 v17, v15, v13, vcc
	v_cndmask_b32_e32 v7, v7, v14, vcc
	;; [unrolled: 1-line block ×3, first 2 shown]
	v_add_u32_e32 v16, v16, v18
	v_cndmask_b32_e64 v18, v7, v17, s[2:3]
	v_cndmask_b32_e64 v7, v8, v7, s[2:3]
	v_cndmask_b32_e32 v8, v14, v12, vcc
	v_cndmask_b32_e64 v14, v17, v8, s[2:3]
	v_cndmask_b32_e64 v7, v7, v18, s[4:5]
	v_cndmask_b32_e64 v15, v18, v14, s[4:5]
	v_sub_u32_e32 v17, 32, v16
	v_alignbit_b32 v18, v7, v15, v17
	v_cmp_eq_u32_e64 s[6:7], 0, v16
	v_cndmask_b32_e64 v16, v18, v7, s[6:7]
	v_cndmask_b32_e32 v7, v13, v11, vcc
	v_cndmask_b32_e64 v8, v8, v7, s[2:3]
	v_cndmask_b32_e64 v11, v14, v8, s[4:5]
	v_alignbit_b32 v13, v15, v11, v17
	v_cndmask_b32_e32 v6, v12, v6, vcc
	v_cndmask_b32_e64 v13, v13, v15, s[6:7]
	v_bfe_u32 v18, v16, 29, 1
	v_cndmask_b32_e64 v6, v7, v6, s[2:3]
	v_alignbit_b32 v14, v16, v13, 30
	v_sub_u32_e32 v19, 0, v18
	v_cndmask_b32_e64 v6, v8, v6, s[4:5]
	v_xor_b32_e32 v14, v14, v19
	v_alignbit_b32 v7, v11, v6, v17
	v_cndmask_b32_e64 v7, v7, v11, s[6:7]
	v_ffbh_u32_e32 v11, v14
	v_alignbit_b32 v8, v13, v7, 30
	v_min_u32_e32 v11, 32, v11
	v_alignbit_b32 v6, v7, v6, 30
	v_xor_b32_e32 v8, v8, v19
	v_sub_u32_e32 v12, 31, v11
	v_xor_b32_e32 v6, v6, v19
	v_alignbit_b32 v13, v14, v8, v12
	v_alignbit_b32 v6, v8, v6, v12
	;; [unrolled: 1-line block ×3, first 2 shown]
	v_ffbh_u32_e32 v8, v7
	v_min_u32_e32 v8, 32, v8
	v_lshrrev_b32_e32 v15, 29, v16
	v_not_b32_e32 v12, v8
	v_alignbit_b32 v6, v7, v6, v12
	v_lshlrev_b32_e32 v7, 31, v15
	v_or_b32_e32 v12, 0x33000000, v7
	v_add_lshl_u32 v8, v8, v11, 23
	v_lshrrev_b32_e32 v6, 9, v6
	v_sub_u32_e32 v8, v12, v8
	v_or_b32_e32 v7, 0.5, v7
	v_lshlrev_b32_e32 v11, 23, v11
	v_or_b32_e32 v6, v8, v6
	v_lshrrev_b32_e32 v8, 9, v13
	v_sub_u32_e32 v7, v7, v11
	v_or_b32_e32 v7, v8, v7
	s_mov_b32 s2, 0x3fc90fda
	v_mul_f32_e32 v8, 0x3fc90fda, v7
	v_fma_f32 v11, v7, s2, -v8
	v_fmac_f32_e32 v11, 0x33a22168, v7
	v_fmac_f32_e32 v11, 0x3fc90fda, v6
	v_lshrrev_b32_e32 v6, 30, v16
	v_add_f32_e32 v7, v8, v11
	v_add_u32_e32 v6, v18, v6
.LBB50_39:
	s_andn2_saveexec_b64 s[2:3], s[16:17]
	s_cbranch_execz .LBB50_41
; %bb.40:
	s_mov_b32 s4, 0x3f22f983
	v_mul_f32_e64 v6, |v3|, s4
	v_rndne_f32_e32 v8, v6
	s_mov_b32 s4, 0xbfc90fda
	v_cvt_i32_f32_e32 v6, v8
	v_fma_f32 v7, v8, s4, |v3|
	v_fmac_f32_e32 v7, 0xb3a22168, v8
	v_fmac_f32_e32 v7, 0xa7c234c4, v8
.LBB50_41:
	s_or_b64 exec, exec, s[2:3]
	v_mul_f32_e32 v8, v7, v7
	v_mov_b32_e32 v11, 0x3c0881c4
	v_fmac_f32_e32 v11, 0xb94c1982, v8
	v_mov_b32_e32 v12, 0xbe2aaa9d
	v_fmac_f32_e32 v12, v8, v11
	v_mul_f32_e32 v11, v8, v12
	v_fmac_f32_e32 v7, v7, v11
	v_mov_b32_e32 v11, 0xbab64f3b
	v_fmac_f32_e32 v11, 0x37d75334, v8
	v_mov_b32_e32 v12, 0x3d2aabf7
	;; [unrolled: 2-line block ×3, first 2 shown]
	v_fmac_f32_e32 v11, v8, v12
	v_fma_f32 v8, v8, v11, 1.0
	v_and_b32_e32 v11, 1, v6
	v_lshlrev_b32_e32 v6, 30, v6
	v_cmp_eq_u32_e32 vcc, 0, v11
	v_and_b32_e32 v6, 0x80000000, v6
	v_xor_b32_e32 v4, v4, v3
	v_cndmask_b32_e32 v7, v8, v7, vcc
	v_xor_b32_e32 v4, v4, v6
	s_movk_i32 s2, 0x1f8
	v_xor_b32_e32 v4, v4, v7
	v_mov_b32_e32 v6, 0x7fc00000
	v_cmp_class_f32_e64 vcc, v3, s2
	v_cndmask_b32_e32 v3, v6, v4, vcc
	v_mul_f32_e32 v3, v3, v3
	s_mov_b32 s4, 0xc11de9e7
	v_div_scale_f32 v4, s[2:3], v3, v3, s4
	v_div_scale_f32 v6, vcc, s4, v3, s4
	v_sub_f32_e32 v10, 1.0, v10
	v_rcp_f32_e32 v7, v4
	v_fma_f32 v8, -v4, v7, 1.0
	v_fmac_f32_e32 v7, v8, v7
	v_mul_f32_e32 v8, v6, v7
	v_fma_f32 v11, -v4, v8, v6
	v_fmac_f32_e32 v8, v11, v7
	v_fma_f32 v4, -v4, v8, v6
	v_div_fmas_f32 v4, v4, v7, v8
	v_div_fixup_f32 v3, v4, v3, s4
	v_add_f32_e32 v3, 0, v3
	v_mov_b32_e32 v4, -1.0
.LBB50_42:
	s_or_b64 exec, exec, s[14:15]
	v_mul_f32_e32 v6, v10, v10
	v_div_scale_f32 v7, s[2:3], v6, v6, 1.0
	v_rcp_f32_e32 v8, v7
	v_fma_f32 v11, -v7, v8, 1.0
	v_fmac_f32_e32 v8, v11, v8
	v_div_scale_f32 v11, vcc, 1.0, v6, 1.0
	v_mul_f32_e32 v12, v11, v8
	v_fma_f32 v13, -v7, v12, v11
	v_fmac_f32_e32 v12, v13, v8
	v_fma_f32 v7, -v7, v12, v11
	v_div_fmas_f32 v7, v7, v8, v12
	v_div_fixup_f32 v6, v7, v6, 1.0
	v_add_f32_e32 v3, v3, v6
	v_add_f32_e32 v6, 1.0, v10
	v_mul_f32_e32 v7, v6, v6
	v_div_scale_f32 v8, s[2:3], v7, v7, 1.0
	v_add_f32_e32 v6, 1.0, v6
	v_rcp_f32_e32 v10, v8
	v_fma_f32 v11, -v8, v10, 1.0
	v_fmac_f32_e32 v10, v11, v10
	v_div_scale_f32 v11, vcc, 1.0, v7, 1.0
	v_mul_f32_e32 v12, v11, v10
	v_fma_f32 v13, -v8, v12, v11
	v_fmac_f32_e32 v12, v13, v10
	v_fma_f32 v8, -v8, v12, v11
	v_div_fmas_f32 v8, v8, v10, v12
	v_div_fixup_f32 v7, v8, v7, 1.0
	v_add_f32_e32 v3, v3, v7
	v_mul_f32_e32 v7, v6, v6
	v_div_scale_f32 v8, s[2:3], v7, v7, 1.0
	v_add_f32_e32 v6, 1.0, v6
	v_rcp_f32_e32 v10, v8
	v_fma_f32 v11, -v8, v10, 1.0
	v_fmac_f32_e32 v10, v11, v10
	v_div_scale_f32 v11, vcc, 1.0, v7, 1.0
	v_mul_f32_e32 v12, v11, v10
	v_fma_f32 v13, -v8, v12, v11
	v_fmac_f32_e32 v12, v13, v10
	v_fma_f32 v8, -v8, v12, v11
	v_div_fmas_f32 v8, v8, v10, v12
	v_div_fixup_f32 v7, v8, v7, 1.0
	v_add_f32_e32 v3, v3, v7
	;; [unrolled: 14-line block ×5, first 2 shown]
	v_mul_f32_e32 v7, v6, v6
	v_div_scale_f32 v8, s[2:3], v7, v7, 1.0
	v_rcp_f32_e32 v10, v8
	v_fma_f32 v11, -v8, v10, 1.0
	v_fmac_f32_e32 v10, v11, v10
	v_div_scale_f32 v11, vcc, 1.0, v7, 1.0
	v_mul_f32_e32 v12, v11, v10
	v_fma_f32 v13, -v8, v12, v11
	v_fmac_f32_e32 v12, v13, v10
	v_fma_f32 v8, -v8, v12, v11
	v_div_fmas_f32 v8, v8, v10, v12
	v_div_fixup_f32 v7, v8, v7, 1.0
	v_add_f32_e32 v8, v6, v6
	v_div_scale_f32 v10, s[2:3], v8, v8, 1.0
	s_mov_b32 s2, 0x3e2aaaab
	v_rcp_f32_e32 v11, v10
	v_fma_f32 v12, -v10, v11, 1.0
	v_fmac_f32_e32 v11, v12, v11
	v_div_scale_f32 v12, vcc, 1.0, v8, 1.0
	v_mul_f32_e32 v13, v12, v11
	v_fma_f32 v14, -v10, v13, v12
	v_fmac_f32_e32 v13, v14, v11
	v_fma_f32 v10, -v10, v13, v12
	v_div_fmas_f32 v10, v10, v11, v13
	v_div_fixup_f32 v8, v10, v8, 1.0
	v_mov_b32_e32 v10, 0x3d088889
	v_fmac_f32_e32 v10, 0xbcc30c31, v7
	v_add_f32_e32 v8, 1.0, v8
	v_fma_f32 v10, -v7, v10, s2
	v_fmac_f32_e32 v8, v7, v10
	v_div_scale_f32 v7, s[2:3], v6, v6, v8
	v_rcp_f32_e32 v10, v7
	v_fma_f32 v11, -v7, v10, 1.0
	v_fmac_f32_e32 v10, v11, v10
	v_div_scale_f32 v11, vcc, v8, v6, v8
	v_mul_f32_e32 v12, v11, v10
	v_fma_f32 v13, -v7, v12, v11
	v_fmac_f32_e32 v12, v13, v10
	v_fma_f32 v7, -v7, v12, v11
	v_div_fmas_f32 v7, v7, v10, v12
	v_div_fixup_f32 v6, v7, v6, v8
	v_add_f32_e32 v3, v3, v6
	v_mov_b32_e32 v8, 0
	v_mul_f32_e32 v3, v4, v3
	v_mov_b32_e32 v7, v8
	v_mov_b32_e32 v6, v8
.LBB50_43:
	s_or_b64 exec, exec, s[10:11]
	v_or_b32_e32 v4, 0x100, v0
	v_cmp_gt_i32_e32 vcc, s18, v4
	s_and_saveexec_b64 s[10:11], vcc
	s_cbranch_execz .LBB50_51
; %bb.44:
	s_waitcnt vmcnt(0)
	v_cmp_gt_f32_e32 vcc, 0.5, v9
	v_mov_b32_e32 v10, 0
	v_mov_b32_e32 v8, 1.0
	s_and_saveexec_b64 s[14:15], vcc
	s_cbranch_execz .LBB50_50
; %bb.45:
	v_mul_f32_e32 v8, 0x40490fdb, v9
	s_brev_b32 s2, 18
	v_and_b32_e32 v10, 0x7fffffff, v8
	v_cmp_nlt_f32_e64 s[2:3], |v8|, s2
                                        ; implicit-def: $vgpr11
                                        ; implicit-def: $vgpr12
	s_and_saveexec_b64 s[4:5], s[2:3]
	s_xor_b64 s[16:17], exec, s[4:5]
	s_cbranch_execz .LBB50_47
; %bb.46:
	v_and_b32_e32 v11, 0x7fffff, v10
	v_or_b32_e32 v20, 0x800000, v11
	s_mov_b32 s2, 0xfe5163ab
	v_mad_u64_u32 v[11:12], s[2:3], v20, s2, 0
	v_mov_b32_e32 v13, 0
	s_mov_b32 s2, 0x3c439041
	v_mad_u64_u32 v[14:15], s[2:3], v20, s2, v[12:13]
	s_mov_b32 s2, 0xdb629599
	v_not_b32_e32 v19, 63
	v_mov_b32_e32 v12, v15
	v_mad_u64_u32 v[15:16], s[2:3], v20, s2, v[12:13]
	s_mov_b32 s2, 0xf534ddc0
	v_not_b32_e32 v22, 31
	v_mov_b32_e32 v12, v16
	v_mad_u64_u32 v[16:17], s[2:3], v20, s2, v[12:13]
	v_lshrrev_b32_e32 v12, 23, v10
	v_add_u32_e32 v21, 0xffffff88, v12
	v_mov_b32_e32 v12, v17
	s_mov_b32 s2, 0xfc2757d1
	v_mad_u64_u32 v[17:18], s[2:3], v20, s2, v[12:13]
	v_cmp_lt_u32_e32 vcc, 63, v21
	v_cndmask_b32_e32 v12, 0, v19, vcc
	v_add_u32_e32 v21, v12, v21
	v_mov_b32_e32 v12, v18
	s_mov_b32 s2, 0x4e441529
	v_mad_u64_u32 v[18:19], s[2:3], v20, s2, v[12:13]
	v_cmp_lt_u32_e64 s[2:3], 31, v21
	v_cndmask_b32_e64 v12, 0, v22, s[2:3]
	v_add_u32_e32 v21, v12, v21
	v_mov_b32_e32 v12, v19
	s_mov_b32 s4, 0xa2f9836e
	v_mad_u64_u32 v[12:13], s[4:5], v20, s4, v[12:13]
	v_cmp_lt_u32_e64 s[4:5], 31, v21
	v_cndmask_b32_e64 v19, 0, v22, s[4:5]
	v_cndmask_b32_e32 v20, v18, v16, vcc
	v_cndmask_b32_e32 v12, v12, v17, vcc
	;; [unrolled: 1-line block ×3, first 2 shown]
	v_add_u32_e32 v19, v19, v21
	v_cndmask_b32_e64 v21, v12, v20, s[2:3]
	v_cndmask_b32_e64 v12, v13, v12, s[2:3]
	v_cndmask_b32_e32 v13, v17, v15, vcc
	v_cndmask_b32_e64 v17, v20, v13, s[2:3]
	v_cndmask_b32_e64 v12, v12, v21, s[4:5]
	;; [unrolled: 1-line block ×3, first 2 shown]
	v_sub_u32_e32 v20, 32, v19
	v_alignbit_b32 v21, v12, v18, v20
	v_cmp_eq_u32_e64 s[6:7], 0, v19
	v_cndmask_b32_e64 v19, v21, v12, s[6:7]
	v_cndmask_b32_e32 v12, v16, v14, vcc
	v_cndmask_b32_e64 v13, v13, v12, s[2:3]
	v_cndmask_b32_e64 v14, v17, v13, s[4:5]
	v_alignbit_b32 v16, v18, v14, v20
	v_cndmask_b32_e32 v11, v15, v11, vcc
	v_cndmask_b32_e64 v16, v16, v18, s[6:7]
	v_bfe_u32 v21, v19, 29, 1
	v_cndmask_b32_e64 v11, v12, v11, s[2:3]
	v_alignbit_b32 v17, v19, v16, 30
	v_sub_u32_e32 v22, 0, v21
	v_cndmask_b32_e64 v11, v13, v11, s[4:5]
	v_xor_b32_e32 v17, v17, v22
	v_alignbit_b32 v12, v14, v11, v20
	v_cndmask_b32_e64 v12, v12, v14, s[6:7]
	v_ffbh_u32_e32 v14, v17
	v_alignbit_b32 v13, v16, v12, 30
	v_min_u32_e32 v14, 32, v14
	v_alignbit_b32 v11, v12, v11, 30
	v_xor_b32_e32 v13, v13, v22
	v_sub_u32_e32 v15, 31, v14
	v_xor_b32_e32 v11, v11, v22
	v_alignbit_b32 v16, v17, v13, v15
	v_alignbit_b32 v11, v13, v11, v15
	;; [unrolled: 1-line block ×3, first 2 shown]
	v_ffbh_u32_e32 v13, v12
	v_min_u32_e32 v13, 32, v13
	v_lshrrev_b32_e32 v18, 29, v19
	v_not_b32_e32 v15, v13
	v_alignbit_b32 v11, v12, v11, v15
	v_lshlrev_b32_e32 v12, 31, v18
	v_or_b32_e32 v15, 0x33000000, v12
	v_add_lshl_u32 v13, v13, v14, 23
	v_lshrrev_b32_e32 v11, 9, v11
	v_sub_u32_e32 v13, v15, v13
	v_or_b32_e32 v12, 0.5, v12
	v_lshlrev_b32_e32 v14, 23, v14
	v_or_b32_e32 v11, v13, v11
	v_lshrrev_b32_e32 v13, 9, v16
	v_sub_u32_e32 v12, v12, v14
	v_or_b32_e32 v12, v13, v12
	s_mov_b32 s2, 0x3fc90fda
	v_mul_f32_e32 v13, 0x3fc90fda, v12
	v_fma_f32 v14, v12, s2, -v13
	v_fmac_f32_e32 v14, 0x33a22168, v12
	v_fmac_f32_e32 v14, 0x3fc90fda, v11
	v_lshrrev_b32_e32 v11, 30, v19
	v_add_f32_e32 v12, v13, v14
	v_add_u32_e32 v11, v21, v11
.LBB50_47:
	s_andn2_saveexec_b64 s[2:3], s[16:17]
	s_cbranch_execz .LBB50_49
; %bb.48:
	s_mov_b32 s4, 0x3f22f983
	v_mul_f32_e64 v11, |v8|, s4
	v_rndne_f32_e32 v13, v11
	s_mov_b32 s4, 0xbfc90fda
	v_cvt_i32_f32_e32 v11, v13
	v_fma_f32 v12, v13, s4, |v8|
	v_fmac_f32_e32 v12, 0xb3a22168, v13
	v_fmac_f32_e32 v12, 0xa7c234c4, v13
.LBB50_49:
	s_or_b64 exec, exec, s[2:3]
	v_mul_f32_e32 v13, v12, v12
	v_mov_b32_e32 v14, 0x3c0881c4
	v_fmac_f32_e32 v14, 0xb94c1982, v13
	v_mov_b32_e32 v15, 0xbe2aaa9d
	v_fmac_f32_e32 v15, v13, v14
	v_mul_f32_e32 v14, v13, v15
	v_fmac_f32_e32 v12, v12, v14
	v_mov_b32_e32 v14, 0xbab64f3b
	v_fmac_f32_e32 v14, 0x37d75334, v13
	v_mov_b32_e32 v15, 0x3d2aabf7
	;; [unrolled: 2-line block ×3, first 2 shown]
	v_fmac_f32_e32 v14, v13, v15
	v_fma_f32 v13, v13, v14, 1.0
	v_and_b32_e32 v14, 1, v11
	v_lshlrev_b32_e32 v11, 30, v11
	v_cmp_eq_u32_e32 vcc, 0, v14
	v_and_b32_e32 v11, 0x80000000, v11
	v_xor_b32_e32 v10, v10, v8
	v_cndmask_b32_e32 v12, v13, v12, vcc
	v_xor_b32_e32 v10, v10, v11
	s_movk_i32 s2, 0x1f8
	v_xor_b32_e32 v10, v10, v12
	v_mov_b32_e32 v11, 0x7fc00000
	v_cmp_class_f32_e64 vcc, v8, s2
	v_cndmask_b32_e32 v8, v11, v10, vcc
	v_mul_f32_e32 v8, v8, v8
	s_mov_b32 s4, 0xc11de9e7
	v_div_scale_f32 v10, s[2:3], v8, v8, s4
	v_div_scale_f32 v11, vcc, s4, v8, s4
	v_sub_f32_e32 v9, 1.0, v9
	v_rcp_f32_e32 v12, v10
	v_fma_f32 v13, -v10, v12, 1.0
	v_fmac_f32_e32 v12, v13, v12
	v_mul_f32_e32 v13, v11, v12
	v_fma_f32 v14, -v10, v13, v11
	v_fmac_f32_e32 v13, v14, v12
	v_fma_f32 v10, -v10, v13, v11
	v_div_fmas_f32 v10, v10, v12, v13
	v_div_fixup_f32 v8, v10, v8, s4
	v_add_f32_e32 v10, 0, v8
	v_mov_b32_e32 v8, -1.0
.LBB50_50:
	s_or_b64 exec, exec, s[14:15]
	v_mul_f32_e32 v11, v9, v9
	v_div_scale_f32 v12, s[2:3], v11, v11, 1.0
	v_add_f32_e32 v9, 1.0, v9
	v_rcp_f32_e32 v13, v12
	v_fma_f32 v14, -v12, v13, 1.0
	v_fmac_f32_e32 v13, v14, v13
	v_div_scale_f32 v14, vcc, 1.0, v11, 1.0
	v_mul_f32_e32 v15, v14, v13
	v_fma_f32 v16, -v12, v15, v14
	v_fmac_f32_e32 v15, v16, v13
	v_fma_f32 v12, -v12, v15, v14
	v_div_fmas_f32 v12, v12, v13, v15
	v_div_fixup_f32 v11, v12, v11, 1.0
	v_add_f32_e32 v10, v10, v11
	v_mul_f32_e32 v11, v9, v9
	v_div_scale_f32 v12, s[2:3], v11, v11, 1.0
	v_add_f32_e32 v9, 1.0, v9
	v_rcp_f32_e32 v13, v12
	v_fma_f32 v14, -v12, v13, 1.0
	v_fmac_f32_e32 v13, v14, v13
	v_div_scale_f32 v14, vcc, 1.0, v11, 1.0
	v_mul_f32_e32 v15, v14, v13
	v_fma_f32 v16, -v12, v15, v14
	v_fmac_f32_e32 v15, v16, v13
	v_fma_f32 v12, -v12, v15, v14
	v_div_fmas_f32 v12, v12, v13, v15
	v_div_fixup_f32 v11, v12, v11, 1.0
	v_add_f32_e32 v10, v10, v11
	;; [unrolled: 14-line block ×6, first 2 shown]
	v_mul_f32_e32 v11, v9, v9
	v_div_scale_f32 v12, s[2:3], v11, v11, 1.0
	v_rcp_f32_e32 v13, v12
	v_fma_f32 v14, -v12, v13, 1.0
	v_fmac_f32_e32 v13, v14, v13
	v_div_scale_f32 v14, vcc, 1.0, v11, 1.0
	v_mul_f32_e32 v15, v14, v13
	v_fma_f32 v16, -v12, v15, v14
	v_fmac_f32_e32 v15, v16, v13
	v_fma_f32 v12, -v12, v15, v14
	v_div_fmas_f32 v12, v12, v13, v15
	v_div_fixup_f32 v11, v12, v11, 1.0
	v_add_f32_e32 v12, v9, v9
	v_div_scale_f32 v13, s[2:3], v12, v12, 1.0
	s_mov_b32 s2, 0x3e2aaaab
	v_rcp_f32_e32 v14, v13
	v_fma_f32 v15, -v13, v14, 1.0
	v_fmac_f32_e32 v14, v15, v14
	v_div_scale_f32 v15, vcc, 1.0, v12, 1.0
	v_mul_f32_e32 v16, v15, v14
	v_fma_f32 v17, -v13, v16, v15
	v_fmac_f32_e32 v16, v17, v14
	v_fma_f32 v13, -v13, v16, v15
	v_div_fmas_f32 v13, v13, v14, v16
	v_div_fixup_f32 v12, v13, v12, 1.0
	v_mov_b32_e32 v13, 0x3d088889
	v_fmac_f32_e32 v13, 0xbcc30c31, v11
	v_add_f32_e32 v12, 1.0, v12
	v_fma_f32 v13, -v11, v13, s2
	v_fmac_f32_e32 v12, v11, v13
	v_div_scale_f32 v11, s[2:3], v9, v9, v12
	v_rcp_f32_e32 v13, v11
	v_fma_f32 v14, -v11, v13, 1.0
	v_fmac_f32_e32 v13, v14, v13
	v_div_scale_f32 v14, vcc, v12, v9, v12
	v_mul_f32_e32 v15, v14, v13
	v_fma_f32 v16, -v11, v15, v14
	v_fmac_f32_e32 v15, v16, v13
	v_fma_f32 v11, -v11, v15, v14
	v_div_fmas_f32 v11, v11, v13, v15
	v_div_fixup_f32 v9, v11, v9, v12
	v_add_f32_e32 v9, v10, v9
	v_mul_f32_e32 v8, v8, v9
.LBB50_51:
	s_or_b64 exec, exec, s[10:11]
	s_waitcnt vmcnt(0)
	v_or_b32_e32 v9, 0x200, v0
	v_cmp_gt_i32_e32 vcc, s18, v9
	s_and_saveexec_b64 s[10:11], vcc
	s_cbranch_execz .LBB50_59
; %bb.52:
	v_cmp_gt_f32_e32 vcc, 0.5, v5
	v_mov_b32_e32 v9, 0
	v_mov_b32_e32 v7, 1.0
	s_and_saveexec_b64 s[14:15], vcc
	s_cbranch_execz .LBB50_58
; %bb.53:
	v_mul_f32_e32 v7, 0x40490fdb, v5
	s_brev_b32 s2, 18
	v_and_b32_e32 v9, 0x7fffffff, v7
	v_cmp_nlt_f32_e64 s[2:3], |v7|, s2
                                        ; implicit-def: $vgpr10
                                        ; implicit-def: $vgpr11
	s_and_saveexec_b64 s[4:5], s[2:3]
	s_xor_b64 s[16:17], exec, s[4:5]
	s_cbranch_execz .LBB50_55
; %bb.54:
	v_and_b32_e32 v10, 0x7fffff, v9
	v_or_b32_e32 v19, 0x800000, v10
	s_mov_b32 s2, 0xfe5163ab
	v_mad_u64_u32 v[10:11], s[2:3], v19, s2, 0
	v_mov_b32_e32 v12, 0
	s_mov_b32 s2, 0x3c439041
	v_mad_u64_u32 v[13:14], s[2:3], v19, s2, v[11:12]
	s_mov_b32 s2, 0xdb629599
	v_not_b32_e32 v18, 63
	v_mov_b32_e32 v11, v14
	v_mad_u64_u32 v[14:15], s[2:3], v19, s2, v[11:12]
	s_mov_b32 s2, 0xf534ddc0
	v_not_b32_e32 v21, 31
	v_mov_b32_e32 v11, v15
	v_mad_u64_u32 v[15:16], s[2:3], v19, s2, v[11:12]
	v_lshrrev_b32_e32 v11, 23, v9
	v_add_u32_e32 v20, 0xffffff88, v11
	v_mov_b32_e32 v11, v16
	s_mov_b32 s2, 0xfc2757d1
	v_mad_u64_u32 v[16:17], s[2:3], v19, s2, v[11:12]
	v_cmp_lt_u32_e32 vcc, 63, v20
	v_cndmask_b32_e32 v11, 0, v18, vcc
	v_add_u32_e32 v20, v11, v20
	v_mov_b32_e32 v11, v17
	s_mov_b32 s2, 0x4e441529
	v_mad_u64_u32 v[17:18], s[2:3], v19, s2, v[11:12]
	v_cmp_lt_u32_e64 s[2:3], 31, v20
	v_cndmask_b32_e64 v11, 0, v21, s[2:3]
	v_add_u32_e32 v20, v11, v20
	v_mov_b32_e32 v11, v18
	s_mov_b32 s4, 0xa2f9836e
	v_mad_u64_u32 v[11:12], s[4:5], v19, s4, v[11:12]
	v_cmp_lt_u32_e64 s[4:5], 31, v20
	v_cndmask_b32_e64 v18, 0, v21, s[4:5]
	v_cndmask_b32_e32 v19, v17, v15, vcc
	v_cndmask_b32_e32 v11, v11, v16, vcc
	;; [unrolled: 1-line block ×3, first 2 shown]
	v_add_u32_e32 v18, v18, v20
	v_cndmask_b32_e64 v20, v11, v19, s[2:3]
	v_cndmask_b32_e64 v11, v12, v11, s[2:3]
	v_cndmask_b32_e32 v12, v16, v14, vcc
	v_cndmask_b32_e64 v16, v19, v12, s[2:3]
	v_cndmask_b32_e64 v11, v11, v20, s[4:5]
	;; [unrolled: 1-line block ×3, first 2 shown]
	v_sub_u32_e32 v19, 32, v18
	v_alignbit_b32 v20, v11, v17, v19
	v_cmp_eq_u32_e64 s[6:7], 0, v18
	v_cndmask_b32_e64 v18, v20, v11, s[6:7]
	v_cndmask_b32_e32 v11, v15, v13, vcc
	v_cndmask_b32_e64 v12, v12, v11, s[2:3]
	v_cndmask_b32_e64 v13, v16, v12, s[4:5]
	v_alignbit_b32 v15, v17, v13, v19
	v_cndmask_b32_e32 v10, v14, v10, vcc
	v_cndmask_b32_e64 v15, v15, v17, s[6:7]
	v_bfe_u32 v20, v18, 29, 1
	v_cndmask_b32_e64 v10, v11, v10, s[2:3]
	v_alignbit_b32 v16, v18, v15, 30
	v_sub_u32_e32 v21, 0, v20
	v_cndmask_b32_e64 v10, v12, v10, s[4:5]
	v_xor_b32_e32 v16, v16, v21
	v_alignbit_b32 v11, v13, v10, v19
	v_cndmask_b32_e64 v11, v11, v13, s[6:7]
	v_ffbh_u32_e32 v13, v16
	v_alignbit_b32 v12, v15, v11, 30
	v_min_u32_e32 v13, 32, v13
	v_alignbit_b32 v10, v11, v10, 30
	v_xor_b32_e32 v12, v12, v21
	v_sub_u32_e32 v14, 31, v13
	v_xor_b32_e32 v10, v10, v21
	v_alignbit_b32 v15, v16, v12, v14
	v_alignbit_b32 v10, v12, v10, v14
	;; [unrolled: 1-line block ×3, first 2 shown]
	v_ffbh_u32_e32 v12, v11
	v_min_u32_e32 v12, 32, v12
	v_lshrrev_b32_e32 v17, 29, v18
	v_not_b32_e32 v14, v12
	v_alignbit_b32 v10, v11, v10, v14
	v_lshlrev_b32_e32 v11, 31, v17
	v_or_b32_e32 v14, 0x33000000, v11
	v_add_lshl_u32 v12, v12, v13, 23
	v_lshrrev_b32_e32 v10, 9, v10
	v_sub_u32_e32 v12, v14, v12
	v_or_b32_e32 v11, 0.5, v11
	v_lshlrev_b32_e32 v13, 23, v13
	v_or_b32_e32 v10, v12, v10
	v_lshrrev_b32_e32 v12, 9, v15
	v_sub_u32_e32 v11, v11, v13
	v_or_b32_e32 v11, v12, v11
	s_mov_b32 s2, 0x3fc90fda
	v_mul_f32_e32 v12, 0x3fc90fda, v11
	v_fma_f32 v13, v11, s2, -v12
	v_fmac_f32_e32 v13, 0x33a22168, v11
	v_fmac_f32_e32 v13, 0x3fc90fda, v10
	v_lshrrev_b32_e32 v10, 30, v18
	v_add_f32_e32 v11, v12, v13
	v_add_u32_e32 v10, v20, v10
.LBB50_55:
	s_andn2_saveexec_b64 s[2:3], s[16:17]
	s_cbranch_execz .LBB50_57
; %bb.56:
	s_mov_b32 s4, 0x3f22f983
	v_mul_f32_e64 v10, |v7|, s4
	v_rndne_f32_e32 v12, v10
	s_mov_b32 s4, 0xbfc90fda
	v_cvt_i32_f32_e32 v10, v12
	v_fma_f32 v11, v12, s4, |v7|
	v_fmac_f32_e32 v11, 0xb3a22168, v12
	v_fmac_f32_e32 v11, 0xa7c234c4, v12
.LBB50_57:
	s_or_b64 exec, exec, s[2:3]
	v_mul_f32_e32 v12, v11, v11
	v_mov_b32_e32 v13, 0x3c0881c4
	v_fmac_f32_e32 v13, 0xb94c1982, v12
	v_mov_b32_e32 v14, 0xbe2aaa9d
	v_fmac_f32_e32 v14, v12, v13
	v_mul_f32_e32 v13, v12, v14
	v_fmac_f32_e32 v11, v11, v13
	v_mov_b32_e32 v13, 0xbab64f3b
	v_fmac_f32_e32 v13, 0x37d75334, v12
	v_mov_b32_e32 v14, 0x3d2aabf7
	v_fmac_f32_e32 v14, v12, v13
	v_mov_b32_e32 v13, 0xbf000004
	v_fmac_f32_e32 v13, v12, v14
	v_fma_f32 v12, v12, v13, 1.0
	v_and_b32_e32 v13, 1, v10
	v_lshlrev_b32_e32 v10, 30, v10
	v_cmp_eq_u32_e32 vcc, 0, v13
	v_and_b32_e32 v10, 0x80000000, v10
	v_xor_b32_e32 v9, v9, v7
	v_cndmask_b32_e32 v11, v12, v11, vcc
	v_xor_b32_e32 v9, v9, v10
	s_movk_i32 s2, 0x1f8
	v_xor_b32_e32 v9, v9, v11
	v_mov_b32_e32 v10, 0x7fc00000
	v_cmp_class_f32_e64 vcc, v7, s2
	v_cndmask_b32_e32 v7, v10, v9, vcc
	v_mul_f32_e32 v7, v7, v7
	s_mov_b32 s4, 0xc11de9e7
	v_div_scale_f32 v9, s[2:3], v7, v7, s4
	v_div_scale_f32 v10, vcc, s4, v7, s4
	v_sub_f32_e32 v5, 1.0, v5
	v_rcp_f32_e32 v11, v9
	v_fma_f32 v12, -v9, v11, 1.0
	v_fmac_f32_e32 v11, v12, v11
	v_mul_f32_e32 v12, v10, v11
	v_fma_f32 v13, -v9, v12, v10
	v_fmac_f32_e32 v12, v13, v11
	v_fma_f32 v9, -v9, v12, v10
	v_div_fmas_f32 v9, v9, v11, v12
	v_div_fixup_f32 v7, v9, v7, s4
	v_add_f32_e32 v9, 0, v7
	v_mov_b32_e32 v7, -1.0
.LBB50_58:
	s_or_b64 exec, exec, s[14:15]
	v_mul_f32_e32 v10, v5, v5
	v_div_scale_f32 v11, s[2:3], v10, v10, 1.0
	v_add_f32_e32 v5, 1.0, v5
	v_rcp_f32_e32 v12, v11
	v_fma_f32 v13, -v11, v12, 1.0
	v_fmac_f32_e32 v12, v13, v12
	v_div_scale_f32 v13, vcc, 1.0, v10, 1.0
	v_mul_f32_e32 v14, v13, v12
	v_fma_f32 v15, -v11, v14, v13
	v_fmac_f32_e32 v14, v15, v12
	v_fma_f32 v11, -v11, v14, v13
	v_div_fmas_f32 v11, v11, v12, v14
	v_div_fixup_f32 v10, v11, v10, 1.0
	v_add_f32_e32 v9, v9, v10
	v_mul_f32_e32 v10, v5, v5
	v_div_scale_f32 v11, s[2:3], v10, v10, 1.0
	v_add_f32_e32 v5, 1.0, v5
	v_rcp_f32_e32 v12, v11
	v_fma_f32 v13, -v11, v12, 1.0
	v_fmac_f32_e32 v12, v13, v12
	v_div_scale_f32 v13, vcc, 1.0, v10, 1.0
	v_mul_f32_e32 v14, v13, v12
	v_fma_f32 v15, -v11, v14, v13
	v_fmac_f32_e32 v14, v15, v12
	v_fma_f32 v11, -v11, v14, v13
	v_div_fmas_f32 v11, v11, v12, v14
	v_div_fixup_f32 v10, v11, v10, 1.0
	v_add_f32_e32 v9, v9, v10
	;; [unrolled: 14-line block ×6, first 2 shown]
	v_mul_f32_e32 v10, v5, v5
	v_div_scale_f32 v11, s[2:3], v10, v10, 1.0
	v_rcp_f32_e32 v12, v11
	v_fma_f32 v13, -v11, v12, 1.0
	v_fmac_f32_e32 v12, v13, v12
	v_div_scale_f32 v13, vcc, 1.0, v10, 1.0
	v_mul_f32_e32 v14, v13, v12
	v_fma_f32 v15, -v11, v14, v13
	v_fmac_f32_e32 v14, v15, v12
	v_fma_f32 v11, -v11, v14, v13
	v_div_fmas_f32 v11, v11, v12, v14
	v_div_fixup_f32 v10, v11, v10, 1.0
	v_add_f32_e32 v11, v5, v5
	v_div_scale_f32 v12, s[2:3], v11, v11, 1.0
	s_mov_b32 s2, 0x3e2aaaab
	v_rcp_f32_e32 v13, v12
	v_fma_f32 v14, -v12, v13, 1.0
	v_fmac_f32_e32 v13, v14, v13
	v_div_scale_f32 v14, vcc, 1.0, v11, 1.0
	v_mul_f32_e32 v15, v14, v13
	v_fma_f32 v16, -v12, v15, v14
	v_fmac_f32_e32 v15, v16, v13
	v_fma_f32 v12, -v12, v15, v14
	v_div_fmas_f32 v12, v12, v13, v15
	v_div_fixup_f32 v11, v12, v11, 1.0
	v_mov_b32_e32 v12, 0x3d088889
	v_fmac_f32_e32 v12, 0xbcc30c31, v10
	v_add_f32_e32 v11, 1.0, v11
	v_fma_f32 v12, -v10, v12, s2
	v_fmac_f32_e32 v11, v10, v12
	v_div_scale_f32 v10, s[2:3], v5, v5, v11
	v_rcp_f32_e32 v12, v10
	v_fma_f32 v13, -v10, v12, 1.0
	v_fmac_f32_e32 v12, v13, v12
	v_div_scale_f32 v13, vcc, v11, v5, v11
	v_mul_f32_e32 v14, v13, v12
	v_fma_f32 v15, -v10, v14, v13
	v_fmac_f32_e32 v14, v15, v12
	v_fma_f32 v10, -v10, v14, v13
	v_div_fmas_f32 v10, v10, v12, v14
	v_div_fixup_f32 v5, v10, v5, v11
	v_add_f32_e32 v5, v9, v5
	v_mul_f32_e32 v7, v7, v5
.LBB50_59:
	s_or_b64 exec, exec, s[10:11]
	v_or_b32_e32 v5, 0x300, v0
	v_cmp_gt_i32_e32 vcc, s18, v5
	s_and_saveexec_b64 s[10:11], vcc
	s_cbranch_execnz .LBB50_66
; %bb.60:
	s_or_b64 exec, exec, s[10:11]
	s_and_saveexec_b64 s[2:3], s[0:1]
	s_xor_b64 s[0:1], exec, s[2:3]
	s_cbranch_execnz .LBB50_73
.LBB50_61:
	s_or_b64 exec, exec, s[0:1]
	v_cmp_gt_i32_e32 vcc, s18, v0
	s_and_saveexec_b64 s[0:1], vcc
	s_cbranch_execnz .LBB50_74
.LBB50_62:
	s_or_b64 exec, exec, s[0:1]
	v_cmp_gt_i32_e32 vcc, s18, v0
	s_and_saveexec_b64 s[0:1], vcc
	s_cbranch_execnz .LBB50_75
.LBB50_63:
	s_or_b64 exec, exec, s[0:1]
	v_cmp_gt_i32_e32 vcc, s18, v0
	s_and_saveexec_b64 s[0:1], vcc
	s_cbranch_execz .LBB50_65
.LBB50_64:
	v_add_u32_e32 v0, s12, v0
	v_mov_b32_e32 v1, 0
	v_lshlrev_b64 v[0:1], 2, v[0:1]
	v_mov_b32_e32 v2, s9
	v_add_co_u32_e32 v0, vcc, s8, v0
	v_addc_co_u32_e32 v1, vcc, v2, v1, vcc
	global_store_dword v[0:1], v6, off
.LBB50_65:
	s_endpgm
.LBB50_66:
	v_cmp_gt_f32_e32 vcc, 0.5, v2
	v_mov_b32_e32 v6, 0
	v_mov_b32_e32 v5, 1.0
	s_and_saveexec_b64 s[14:15], vcc
	s_cbranch_execz .LBB50_72
; %bb.67:
	v_mul_f32_e32 v5, 0x40490fdb, v2
	s_brev_b32 s2, 18
	v_and_b32_e32 v6, 0x7fffffff, v5
	v_cmp_nlt_f32_e64 s[2:3], |v5|, s2
                                        ; implicit-def: $vgpr9
                                        ; implicit-def: $vgpr10
	s_and_saveexec_b64 s[4:5], s[2:3]
	s_xor_b64 s[16:17], exec, s[4:5]
	s_cbranch_execz .LBB50_69
; %bb.68:
	v_and_b32_e32 v9, 0x7fffff, v6
	v_or_b32_e32 v18, 0x800000, v9
	s_mov_b32 s2, 0xfe5163ab
	v_mad_u64_u32 v[9:10], s[2:3], v18, s2, 0
	v_mov_b32_e32 v11, 0
	s_mov_b32 s2, 0x3c439041
	v_mad_u64_u32 v[12:13], s[2:3], v18, s2, v[10:11]
	s_mov_b32 s2, 0xdb629599
	v_not_b32_e32 v17, 63
	v_mov_b32_e32 v10, v13
	v_mad_u64_u32 v[13:14], s[2:3], v18, s2, v[10:11]
	s_mov_b32 s2, 0xf534ddc0
	v_not_b32_e32 v20, 31
	v_mov_b32_e32 v10, v14
	v_mad_u64_u32 v[14:15], s[2:3], v18, s2, v[10:11]
	v_lshrrev_b32_e32 v10, 23, v6
	v_add_u32_e32 v19, 0xffffff88, v10
	v_mov_b32_e32 v10, v15
	s_mov_b32 s2, 0xfc2757d1
	v_mad_u64_u32 v[15:16], s[2:3], v18, s2, v[10:11]
	v_cmp_lt_u32_e32 vcc, 63, v19
	v_cndmask_b32_e32 v10, 0, v17, vcc
	v_add_u32_e32 v19, v10, v19
	v_mov_b32_e32 v10, v16
	s_mov_b32 s2, 0x4e441529
	v_mad_u64_u32 v[16:17], s[2:3], v18, s2, v[10:11]
	v_cmp_lt_u32_e64 s[2:3], 31, v19
	v_cndmask_b32_e64 v10, 0, v20, s[2:3]
	v_add_u32_e32 v19, v10, v19
	v_mov_b32_e32 v10, v17
	s_mov_b32 s4, 0xa2f9836e
	v_mad_u64_u32 v[10:11], s[4:5], v18, s4, v[10:11]
	v_cmp_lt_u32_e64 s[4:5], 31, v19
	v_cndmask_b32_e64 v17, 0, v20, s[4:5]
	v_cndmask_b32_e32 v18, v16, v14, vcc
	v_cndmask_b32_e32 v10, v10, v15, vcc
	;; [unrolled: 1-line block ×3, first 2 shown]
	v_add_u32_e32 v17, v17, v19
	v_cndmask_b32_e64 v19, v10, v18, s[2:3]
	v_cndmask_b32_e64 v10, v11, v10, s[2:3]
	v_cndmask_b32_e32 v11, v15, v13, vcc
	v_cndmask_b32_e64 v15, v18, v11, s[2:3]
	v_cndmask_b32_e64 v10, v10, v19, s[4:5]
	v_cndmask_b32_e64 v16, v19, v15, s[4:5]
	v_sub_u32_e32 v18, 32, v17
	v_alignbit_b32 v19, v10, v16, v18
	v_cmp_eq_u32_e64 s[6:7], 0, v17
	v_cndmask_b32_e64 v17, v19, v10, s[6:7]
	v_cndmask_b32_e32 v10, v14, v12, vcc
	v_cndmask_b32_e64 v11, v11, v10, s[2:3]
	v_cndmask_b32_e64 v12, v15, v11, s[4:5]
	v_alignbit_b32 v14, v16, v12, v18
	v_cndmask_b32_e32 v9, v13, v9, vcc
	v_cndmask_b32_e64 v14, v14, v16, s[6:7]
	v_bfe_u32 v19, v17, 29, 1
	v_cndmask_b32_e64 v9, v10, v9, s[2:3]
	v_alignbit_b32 v15, v17, v14, 30
	v_sub_u32_e32 v20, 0, v19
	v_cndmask_b32_e64 v9, v11, v9, s[4:5]
	v_xor_b32_e32 v15, v15, v20
	v_alignbit_b32 v10, v12, v9, v18
	v_cndmask_b32_e64 v10, v10, v12, s[6:7]
	v_ffbh_u32_e32 v12, v15
	v_alignbit_b32 v11, v14, v10, 30
	v_min_u32_e32 v12, 32, v12
	v_alignbit_b32 v9, v10, v9, 30
	v_xor_b32_e32 v11, v11, v20
	v_sub_u32_e32 v13, 31, v12
	v_xor_b32_e32 v9, v9, v20
	v_alignbit_b32 v14, v15, v11, v13
	v_alignbit_b32 v9, v11, v9, v13
	v_alignbit_b32 v10, v14, v9, 9
	v_ffbh_u32_e32 v11, v10
	v_min_u32_e32 v11, 32, v11
	v_lshrrev_b32_e32 v16, 29, v17
	v_not_b32_e32 v13, v11
	v_alignbit_b32 v9, v10, v9, v13
	v_lshlrev_b32_e32 v10, 31, v16
	v_or_b32_e32 v13, 0x33000000, v10
	v_add_lshl_u32 v11, v11, v12, 23
	v_lshrrev_b32_e32 v9, 9, v9
	v_sub_u32_e32 v11, v13, v11
	v_or_b32_e32 v10, 0.5, v10
	v_lshlrev_b32_e32 v12, 23, v12
	v_or_b32_e32 v9, v11, v9
	v_lshrrev_b32_e32 v11, 9, v14
	v_sub_u32_e32 v10, v10, v12
	v_or_b32_e32 v10, v11, v10
	s_mov_b32 s2, 0x3fc90fda
	v_mul_f32_e32 v11, 0x3fc90fda, v10
	v_fma_f32 v12, v10, s2, -v11
	v_fmac_f32_e32 v12, 0x33a22168, v10
	v_fmac_f32_e32 v12, 0x3fc90fda, v9
	v_lshrrev_b32_e32 v9, 30, v17
	v_add_f32_e32 v10, v11, v12
	v_add_u32_e32 v9, v19, v9
.LBB50_69:
	s_andn2_saveexec_b64 s[2:3], s[16:17]
	s_cbranch_execz .LBB50_71
; %bb.70:
	s_mov_b32 s4, 0x3f22f983
	v_mul_f32_e64 v9, |v5|, s4
	v_rndne_f32_e32 v11, v9
	s_mov_b32 s4, 0xbfc90fda
	v_cvt_i32_f32_e32 v9, v11
	v_fma_f32 v10, v11, s4, |v5|
	v_fmac_f32_e32 v10, 0xb3a22168, v11
	v_fmac_f32_e32 v10, 0xa7c234c4, v11
.LBB50_71:
	s_or_b64 exec, exec, s[2:3]
	v_mul_f32_e32 v11, v10, v10
	v_mov_b32_e32 v12, 0x3c0881c4
	v_fmac_f32_e32 v12, 0xb94c1982, v11
	v_mov_b32_e32 v13, 0xbe2aaa9d
	v_fmac_f32_e32 v13, v11, v12
	v_mul_f32_e32 v12, v11, v13
	v_fmac_f32_e32 v10, v10, v12
	v_mov_b32_e32 v12, 0xbab64f3b
	v_fmac_f32_e32 v12, 0x37d75334, v11
	v_mov_b32_e32 v13, 0x3d2aabf7
	;; [unrolled: 2-line block ×3, first 2 shown]
	v_fmac_f32_e32 v12, v11, v13
	v_fma_f32 v11, v11, v12, 1.0
	v_and_b32_e32 v12, 1, v9
	v_lshlrev_b32_e32 v9, 30, v9
	v_cmp_eq_u32_e32 vcc, 0, v12
	v_and_b32_e32 v9, 0x80000000, v9
	v_xor_b32_e32 v6, v6, v5
	v_cndmask_b32_e32 v10, v11, v10, vcc
	v_xor_b32_e32 v6, v6, v9
	s_movk_i32 s2, 0x1f8
	v_xor_b32_e32 v6, v6, v10
	v_mov_b32_e32 v9, 0x7fc00000
	v_cmp_class_f32_e64 vcc, v5, s2
	v_cndmask_b32_e32 v5, v9, v6, vcc
	v_mul_f32_e32 v5, v5, v5
	s_mov_b32 s4, 0xc11de9e7
	v_div_scale_f32 v6, s[2:3], v5, v5, s4
	v_div_scale_f32 v9, vcc, s4, v5, s4
	v_sub_f32_e32 v2, 1.0, v2
	v_rcp_f32_e32 v10, v6
	v_fma_f32 v11, -v6, v10, 1.0
	v_fmac_f32_e32 v10, v11, v10
	v_mul_f32_e32 v11, v9, v10
	v_fma_f32 v12, -v6, v11, v9
	v_fmac_f32_e32 v11, v12, v10
	v_fma_f32 v6, -v6, v11, v9
	v_div_fmas_f32 v6, v6, v10, v11
	v_div_fixup_f32 v5, v6, v5, s4
	v_add_f32_e32 v6, 0, v5
	v_mov_b32_e32 v5, -1.0
.LBB50_72:
	s_or_b64 exec, exec, s[14:15]
	v_mul_f32_e32 v9, v2, v2
	v_div_scale_f32 v10, s[2:3], v9, v9, 1.0
	v_add_f32_e32 v2, 1.0, v2
	v_rcp_f32_e32 v11, v10
	v_fma_f32 v12, -v10, v11, 1.0
	v_fmac_f32_e32 v11, v12, v11
	v_div_scale_f32 v12, vcc, 1.0, v9, 1.0
	v_mul_f32_e32 v13, v12, v11
	v_fma_f32 v14, -v10, v13, v12
	v_fmac_f32_e32 v13, v14, v11
	v_fma_f32 v10, -v10, v13, v12
	v_div_fmas_f32 v10, v10, v11, v13
	v_div_fixup_f32 v9, v10, v9, 1.0
	v_add_f32_e32 v6, v6, v9
	v_mul_f32_e32 v9, v2, v2
	v_div_scale_f32 v10, s[2:3], v9, v9, 1.0
	v_add_f32_e32 v2, 1.0, v2
	v_rcp_f32_e32 v11, v10
	v_fma_f32 v12, -v10, v11, 1.0
	v_fmac_f32_e32 v11, v12, v11
	v_div_scale_f32 v12, vcc, 1.0, v9, 1.0
	v_mul_f32_e32 v13, v12, v11
	v_fma_f32 v14, -v10, v13, v12
	v_fmac_f32_e32 v13, v14, v11
	v_fma_f32 v10, -v10, v13, v12
	v_div_fmas_f32 v10, v10, v11, v13
	v_div_fixup_f32 v9, v10, v9, 1.0
	v_add_f32_e32 v6, v6, v9
	;; [unrolled: 14-line block ×6, first 2 shown]
	v_mul_f32_e32 v9, v2, v2
	v_div_scale_f32 v10, s[2:3], v9, v9, 1.0
	v_rcp_f32_e32 v11, v10
	v_fma_f32 v12, -v10, v11, 1.0
	v_fmac_f32_e32 v11, v12, v11
	v_div_scale_f32 v12, vcc, 1.0, v9, 1.0
	v_mul_f32_e32 v13, v12, v11
	v_fma_f32 v14, -v10, v13, v12
	v_fmac_f32_e32 v13, v14, v11
	v_fma_f32 v10, -v10, v13, v12
	v_div_fmas_f32 v10, v10, v11, v13
	v_div_fixup_f32 v9, v10, v9, 1.0
	v_add_f32_e32 v10, v2, v2
	v_div_scale_f32 v11, s[2:3], v10, v10, 1.0
	s_mov_b32 s2, 0x3e2aaaab
	v_rcp_f32_e32 v12, v11
	v_fma_f32 v13, -v11, v12, 1.0
	v_fmac_f32_e32 v12, v13, v12
	v_div_scale_f32 v13, vcc, 1.0, v10, 1.0
	v_mul_f32_e32 v14, v13, v12
	v_fma_f32 v15, -v11, v14, v13
	v_fmac_f32_e32 v14, v15, v12
	v_fma_f32 v11, -v11, v14, v13
	v_div_fmas_f32 v11, v11, v12, v14
	v_div_fixup_f32 v10, v11, v10, 1.0
	v_mov_b32_e32 v11, 0x3d088889
	v_fmac_f32_e32 v11, 0xbcc30c31, v9
	v_add_f32_e32 v10, 1.0, v10
	v_fma_f32 v11, -v9, v11, s2
	v_fmac_f32_e32 v10, v9, v11
	v_div_scale_f32 v9, s[2:3], v2, v2, v10
	v_rcp_f32_e32 v11, v9
	v_fma_f32 v12, -v9, v11, 1.0
	v_fmac_f32_e32 v11, v12, v11
	v_div_scale_f32 v12, vcc, v10, v2, v10
	v_mul_f32_e32 v13, v12, v11
	v_fma_f32 v14, -v9, v13, v12
	v_fmac_f32_e32 v13, v14, v11
	v_fma_f32 v9, -v9, v13, v12
	v_div_fmas_f32 v9, v9, v11, v13
	v_div_fixup_f32 v2, v9, v2, v10
	v_add_f32_e32 v2, v6, v2
	v_mul_f32_e32 v6, v5, v2
	s_or_b64 exec, exec, s[10:11]
	s_and_saveexec_b64 s[2:3], s[0:1]
	s_xor_b64 s[0:1], exec, s[2:3]
	s_cbranch_execz .LBB50_61
.LBB50_73:
	v_mov_b32_e32 v2, 0
	v_lshlrev_b64 v[0:1], 2, v[1:2]
	v_mov_b32_e32 v2, s9
	v_add_co_u32_e32 v0, vcc, s8, v0
	v_addc_co_u32_e32 v1, vcc, v2, v1, vcc
	global_store_dword v[0:1], v3, off
	v_mov_b32_e32 v0, v4
	s_or_b64 exec, exec, s[0:1]
	v_cmp_gt_i32_e32 vcc, s18, v0
	s_and_saveexec_b64 s[0:1], vcc
	s_cbranch_execz .LBB50_62
.LBB50_74:
	v_add_u32_e32 v1, s12, v0
	v_mov_b32_e32 v2, 0
	v_lshlrev_b64 v[1:2], 2, v[1:2]
	v_mov_b32_e32 v3, s9
	v_add_co_u32_e32 v1, vcc, s8, v1
	v_addc_co_u32_e32 v2, vcc, v3, v2, vcc
	v_add_u32_e32 v0, 0x100, v0
	global_store_dword v[1:2], v8, off
	s_or_b64 exec, exec, s[0:1]
	v_cmp_gt_i32_e32 vcc, s18, v0
	s_and_saveexec_b64 s[0:1], vcc
	s_cbranch_execz .LBB50_63
.LBB50_75:
	v_add_u32_e32 v1, s12, v0
	v_mov_b32_e32 v2, 0
	v_lshlrev_b64 v[1:2], 2, v[1:2]
	v_mov_b32_e32 v3, s9
	v_add_co_u32_e32 v1, vcc, s8, v1
	v_addc_co_u32_e32 v2, vcc, v3, v2, vcc
	v_add_u32_e32 v0, 0x100, v0
	global_store_dword v[1:2], v7, off
	s_or_b64 exec, exec, s[0:1]
	v_cmp_gt_i32_e32 vcc, s18, v0
	s_and_saveexec_b64 s[0:1], vcc
	s_cbranch_execnz .LBB50_64
	s_branch .LBB50_65
	.section	.rodata,"a",@progbits
	.p2align	6, 0x0
	.amdhsa_kernel _ZN2at6native29vectorized_elementwise_kernelILi16EZZZNS0_20trigamma_kernel_cudaERNS_18TensorIteratorBaseEENKUlvE_clEvENKUlvE0_clEvEUlfE_St5arrayIPcLm2EEEEviT0_T1_
		.amdhsa_group_segment_fixed_size 0
		.amdhsa_private_segment_fixed_size 0
		.amdhsa_kernarg_size 24
		.amdhsa_user_sgpr_count 6
		.amdhsa_user_sgpr_private_segment_buffer 1
		.amdhsa_user_sgpr_dispatch_ptr 0
		.amdhsa_user_sgpr_queue_ptr 0
		.amdhsa_user_sgpr_kernarg_segment_ptr 1
		.amdhsa_user_sgpr_dispatch_id 0
		.amdhsa_user_sgpr_flat_scratch_init 0
		.amdhsa_user_sgpr_private_segment_size 0
		.amdhsa_uses_dynamic_stack 0
		.amdhsa_system_sgpr_private_segment_wavefront_offset 0
		.amdhsa_system_sgpr_workgroup_id_x 1
		.amdhsa_system_sgpr_workgroup_id_y 0
		.amdhsa_system_sgpr_workgroup_id_z 0
		.amdhsa_system_sgpr_workgroup_info 0
		.amdhsa_system_vgpr_workitem_id 0
		.amdhsa_next_free_vgpr 26
		.amdhsa_next_free_sgpr 19
		.amdhsa_reserve_vcc 1
		.amdhsa_reserve_flat_scratch 0
		.amdhsa_float_round_mode_32 0
		.amdhsa_float_round_mode_16_64 0
		.amdhsa_float_denorm_mode_32 3
		.amdhsa_float_denorm_mode_16_64 3
		.amdhsa_dx10_clamp 1
		.amdhsa_ieee_mode 1
		.amdhsa_fp16_overflow 0
		.amdhsa_exception_fp_ieee_invalid_op 0
		.amdhsa_exception_fp_denorm_src 0
		.amdhsa_exception_fp_ieee_div_zero 0
		.amdhsa_exception_fp_ieee_overflow 0
		.amdhsa_exception_fp_ieee_underflow 0
		.amdhsa_exception_fp_ieee_inexact 0
		.amdhsa_exception_int_div_zero 0
	.end_amdhsa_kernel
	.section	.text._ZN2at6native29vectorized_elementwise_kernelILi16EZZZNS0_20trigamma_kernel_cudaERNS_18TensorIteratorBaseEENKUlvE_clEvENKUlvE0_clEvEUlfE_St5arrayIPcLm2EEEEviT0_T1_,"axG",@progbits,_ZN2at6native29vectorized_elementwise_kernelILi16EZZZNS0_20trigamma_kernel_cudaERNS_18TensorIteratorBaseEENKUlvE_clEvENKUlvE0_clEvEUlfE_St5arrayIPcLm2EEEEviT0_T1_,comdat
.Lfunc_end50:
	.size	_ZN2at6native29vectorized_elementwise_kernelILi16EZZZNS0_20trigamma_kernel_cudaERNS_18TensorIteratorBaseEENKUlvE_clEvENKUlvE0_clEvEUlfE_St5arrayIPcLm2EEEEviT0_T1_, .Lfunc_end50-_ZN2at6native29vectorized_elementwise_kernelILi16EZZZNS0_20trigamma_kernel_cudaERNS_18TensorIteratorBaseEENKUlvE_clEvENKUlvE0_clEvEUlfE_St5arrayIPcLm2EEEEviT0_T1_
                                        ; -- End function
	.set _ZN2at6native29vectorized_elementwise_kernelILi16EZZZNS0_20trigamma_kernel_cudaERNS_18TensorIteratorBaseEENKUlvE_clEvENKUlvE0_clEvEUlfE_St5arrayIPcLm2EEEEviT0_T1_.num_vgpr, 26
	.set _ZN2at6native29vectorized_elementwise_kernelILi16EZZZNS0_20trigamma_kernel_cudaERNS_18TensorIteratorBaseEENKUlvE_clEvENKUlvE0_clEvEUlfE_St5arrayIPcLm2EEEEviT0_T1_.num_agpr, 0
	.set _ZN2at6native29vectorized_elementwise_kernelILi16EZZZNS0_20trigamma_kernel_cudaERNS_18TensorIteratorBaseEENKUlvE_clEvENKUlvE0_clEvEUlfE_St5arrayIPcLm2EEEEviT0_T1_.numbered_sgpr, 19
	.set _ZN2at6native29vectorized_elementwise_kernelILi16EZZZNS0_20trigamma_kernel_cudaERNS_18TensorIteratorBaseEENKUlvE_clEvENKUlvE0_clEvEUlfE_St5arrayIPcLm2EEEEviT0_T1_.num_named_barrier, 0
	.set _ZN2at6native29vectorized_elementwise_kernelILi16EZZZNS0_20trigamma_kernel_cudaERNS_18TensorIteratorBaseEENKUlvE_clEvENKUlvE0_clEvEUlfE_St5arrayIPcLm2EEEEviT0_T1_.private_seg_size, 0
	.set _ZN2at6native29vectorized_elementwise_kernelILi16EZZZNS0_20trigamma_kernel_cudaERNS_18TensorIteratorBaseEENKUlvE_clEvENKUlvE0_clEvEUlfE_St5arrayIPcLm2EEEEviT0_T1_.uses_vcc, 1
	.set _ZN2at6native29vectorized_elementwise_kernelILi16EZZZNS0_20trigamma_kernel_cudaERNS_18TensorIteratorBaseEENKUlvE_clEvENKUlvE0_clEvEUlfE_St5arrayIPcLm2EEEEviT0_T1_.uses_flat_scratch, 0
	.set _ZN2at6native29vectorized_elementwise_kernelILi16EZZZNS0_20trigamma_kernel_cudaERNS_18TensorIteratorBaseEENKUlvE_clEvENKUlvE0_clEvEUlfE_St5arrayIPcLm2EEEEviT0_T1_.has_dyn_sized_stack, 0
	.set _ZN2at6native29vectorized_elementwise_kernelILi16EZZZNS0_20trigamma_kernel_cudaERNS_18TensorIteratorBaseEENKUlvE_clEvENKUlvE0_clEvEUlfE_St5arrayIPcLm2EEEEviT0_T1_.has_recursion, 0
	.set _ZN2at6native29vectorized_elementwise_kernelILi16EZZZNS0_20trigamma_kernel_cudaERNS_18TensorIteratorBaseEENKUlvE_clEvENKUlvE0_clEvEUlfE_St5arrayIPcLm2EEEEviT0_T1_.has_indirect_call, 0
	.section	.AMDGPU.csdata,"",@progbits
; Kernel info:
; codeLenInByte = 14696
; TotalNumSgprs: 23
; NumVgprs: 26
; ScratchSize: 0
; MemoryBound: 0
; FloatMode: 240
; IeeeMode: 1
; LDSByteSize: 0 bytes/workgroup (compile time only)
; SGPRBlocks: 2
; VGPRBlocks: 6
; NumSGPRsForWavesPerEU: 23
; NumVGPRsForWavesPerEU: 26
; Occupancy: 9
; WaveLimiterHint : 0
; COMPUTE_PGM_RSRC2:SCRATCH_EN: 0
; COMPUTE_PGM_RSRC2:USER_SGPR: 6
; COMPUTE_PGM_RSRC2:TRAP_HANDLER: 0
; COMPUTE_PGM_RSRC2:TGID_X_EN: 1
; COMPUTE_PGM_RSRC2:TGID_Y_EN: 0
; COMPUTE_PGM_RSRC2:TGID_Z_EN: 0
; COMPUTE_PGM_RSRC2:TIDIG_COMP_CNT: 0
	.section	.text._ZN2at6native29vectorized_elementwise_kernelILi8EZZZNS0_20trigamma_kernel_cudaERNS_18TensorIteratorBaseEENKUlvE_clEvENKUlvE0_clEvEUlfE_St5arrayIPcLm2EEEEviT0_T1_,"axG",@progbits,_ZN2at6native29vectorized_elementwise_kernelILi8EZZZNS0_20trigamma_kernel_cudaERNS_18TensorIteratorBaseEENKUlvE_clEvENKUlvE0_clEvEUlfE_St5arrayIPcLm2EEEEviT0_T1_,comdat
	.globl	_ZN2at6native29vectorized_elementwise_kernelILi8EZZZNS0_20trigamma_kernel_cudaERNS_18TensorIteratorBaseEENKUlvE_clEvENKUlvE0_clEvEUlfE_St5arrayIPcLm2EEEEviT0_T1_ ; -- Begin function _ZN2at6native29vectorized_elementwise_kernelILi8EZZZNS0_20trigamma_kernel_cudaERNS_18TensorIteratorBaseEENKUlvE_clEvENKUlvE0_clEvEUlfE_St5arrayIPcLm2EEEEviT0_T1_
	.p2align	8
	.type	_ZN2at6native29vectorized_elementwise_kernelILi8EZZZNS0_20trigamma_kernel_cudaERNS_18TensorIteratorBaseEENKUlvE_clEvENKUlvE0_clEvEUlfE_St5arrayIPcLm2EEEEviT0_T1_,@function
_ZN2at6native29vectorized_elementwise_kernelILi8EZZZNS0_20trigamma_kernel_cudaERNS_18TensorIteratorBaseEENKUlvE_clEvENKUlvE0_clEvEUlfE_St5arrayIPcLm2EEEEviT0_T1_: ; @_ZN2at6native29vectorized_elementwise_kernelILi8EZZZNS0_20trigamma_kernel_cudaERNS_18TensorIteratorBaseEENKUlvE_clEvENKUlvE0_clEvEUlfE_St5arrayIPcLm2EEEEviT0_T1_
; %bb.0:
	s_load_dword s0, s[4:5], 0x0
	s_load_dwordx4 s[8:11], s[4:5], 0x8
	s_lshl_b32 s12, s6, 10
	s_waitcnt lgkmcnt(0)
	s_sub_i32 s18, s0, s12
	s_cmpk_gt_i32 s18, 0x3ff
	s_mov_b64 s[0:1], -1
	s_cbranch_scc0 .LBB51_26
; %bb.1:
	s_ashr_i32 s13, s12, 31
	s_lshl_b64 s[6:7], s[12:13], 2
	s_add_u32 s0, s10, s6
	s_addc_u32 s1, s11, s7
	v_lshlrev_b32_e32 v5, 4, v0
	global_load_dwordx4 v[1:4], v5, s[0:1]
	v_mov_b32_e32 v9, 0
	v_mov_b32_e32 v8, 1.0
	s_waitcnt vmcnt(0)
	v_cmp_gt_f32_e32 vcc, 0.5, v1
	s_and_saveexec_b64 s[14:15], vcc
	s_cbranch_execz .LBB51_7
; %bb.2:
	v_mul_f32_e32 v6, 0x40490fdb, v1
	s_brev_b32 s0, 18
	v_and_b32_e32 v7, 0x7fffffff, v6
	v_cmp_nlt_f32_e64 s[0:1], |v6|, s0
                                        ; implicit-def: $vgpr8
                                        ; implicit-def: $vgpr9
	s_and_saveexec_b64 s[2:3], s[0:1]
	s_xor_b64 s[16:17], exec, s[2:3]
	s_cbranch_execz .LBB51_4
; %bb.3:
	v_and_b32_e32 v8, 0x7fffff, v7
	v_or_b32_e32 v17, 0x800000, v8
	s_mov_b32 s0, 0xfe5163ab
	v_mad_u64_u32 v[8:9], s[0:1], v17, s0, 0
	v_mov_b32_e32 v10, 0
	s_mov_b32 s0, 0x3c439041
	v_mad_u64_u32 v[11:12], s[0:1], v17, s0, v[9:10]
	s_mov_b32 s0, 0xdb629599
	v_not_b32_e32 v16, 63
	v_mov_b32_e32 v9, v12
	v_mad_u64_u32 v[12:13], s[0:1], v17, s0, v[9:10]
	s_mov_b32 s0, 0xf534ddc0
	v_not_b32_e32 v19, 31
	v_mov_b32_e32 v9, v13
	v_mad_u64_u32 v[13:14], s[0:1], v17, s0, v[9:10]
	v_lshrrev_b32_e32 v9, 23, v7
	v_add_u32_e32 v18, 0xffffff88, v9
	v_mov_b32_e32 v9, v14
	s_mov_b32 s0, 0xfc2757d1
	v_mad_u64_u32 v[14:15], s[0:1], v17, s0, v[9:10]
	v_cmp_lt_u32_e32 vcc, 63, v18
	v_cndmask_b32_e32 v9, 0, v16, vcc
	v_add_u32_e32 v18, v9, v18
	v_mov_b32_e32 v9, v15
	s_mov_b32 s0, 0x4e441529
	v_mad_u64_u32 v[15:16], s[0:1], v17, s0, v[9:10]
	v_cmp_lt_u32_e64 s[0:1], 31, v18
	v_cndmask_b32_e64 v9, 0, v19, s[0:1]
	v_add_u32_e32 v18, v9, v18
	v_mov_b32_e32 v9, v16
	s_mov_b32 s2, 0xa2f9836e
	v_mad_u64_u32 v[9:10], s[2:3], v17, s2, v[9:10]
	v_cmp_lt_u32_e64 s[2:3], 31, v18
	v_cndmask_b32_e64 v16, 0, v19, s[2:3]
	v_cndmask_b32_e32 v17, v15, v13, vcc
	v_cndmask_b32_e32 v9, v9, v14, vcc
	;; [unrolled: 1-line block ×3, first 2 shown]
	v_add_u32_e32 v16, v16, v18
	v_cndmask_b32_e64 v18, v9, v17, s[0:1]
	v_cndmask_b32_e64 v9, v10, v9, s[0:1]
	v_cndmask_b32_e32 v10, v14, v12, vcc
	v_cndmask_b32_e64 v14, v17, v10, s[0:1]
	v_cndmask_b32_e64 v9, v9, v18, s[2:3]
	;; [unrolled: 1-line block ×3, first 2 shown]
	v_sub_u32_e32 v17, 32, v16
	v_alignbit_b32 v18, v9, v15, v17
	v_cmp_eq_u32_e64 s[4:5], 0, v16
	v_cndmask_b32_e64 v16, v18, v9, s[4:5]
	v_cndmask_b32_e32 v9, v13, v11, vcc
	v_cndmask_b32_e64 v10, v10, v9, s[0:1]
	v_cndmask_b32_e64 v11, v14, v10, s[2:3]
	v_alignbit_b32 v13, v15, v11, v17
	v_cndmask_b32_e32 v8, v12, v8, vcc
	v_cndmask_b32_e64 v13, v13, v15, s[4:5]
	v_bfe_u32 v18, v16, 29, 1
	v_cndmask_b32_e64 v8, v9, v8, s[0:1]
	v_alignbit_b32 v14, v16, v13, 30
	v_sub_u32_e32 v19, 0, v18
	v_cndmask_b32_e64 v8, v10, v8, s[2:3]
	v_xor_b32_e32 v14, v14, v19
	v_alignbit_b32 v9, v11, v8, v17
	v_cndmask_b32_e64 v9, v9, v11, s[4:5]
	v_ffbh_u32_e32 v11, v14
	v_alignbit_b32 v10, v13, v9, 30
	v_min_u32_e32 v11, 32, v11
	v_alignbit_b32 v8, v9, v8, 30
	v_xor_b32_e32 v10, v10, v19
	v_sub_u32_e32 v12, 31, v11
	v_xor_b32_e32 v8, v8, v19
	v_alignbit_b32 v13, v14, v10, v12
	v_alignbit_b32 v8, v10, v8, v12
	;; [unrolled: 1-line block ×3, first 2 shown]
	v_ffbh_u32_e32 v10, v9
	v_min_u32_e32 v10, 32, v10
	v_lshrrev_b32_e32 v15, 29, v16
	v_not_b32_e32 v12, v10
	v_alignbit_b32 v8, v9, v8, v12
	v_lshlrev_b32_e32 v9, 31, v15
	v_or_b32_e32 v12, 0x33000000, v9
	v_add_lshl_u32 v10, v10, v11, 23
	v_lshrrev_b32_e32 v8, 9, v8
	v_sub_u32_e32 v10, v12, v10
	v_or_b32_e32 v9, 0.5, v9
	v_lshlrev_b32_e32 v11, 23, v11
	v_or_b32_e32 v8, v10, v8
	v_lshrrev_b32_e32 v10, 9, v13
	v_sub_u32_e32 v9, v9, v11
	v_or_b32_e32 v9, v10, v9
	s_mov_b32 s0, 0x3fc90fda
	v_mul_f32_e32 v10, 0x3fc90fda, v9
	v_fma_f32 v11, v9, s0, -v10
	v_fmac_f32_e32 v11, 0x33a22168, v9
	v_fmac_f32_e32 v11, 0x3fc90fda, v8
	v_lshrrev_b32_e32 v8, 30, v16
	v_add_f32_e32 v9, v10, v11
	v_add_u32_e32 v8, v18, v8
.LBB51_4:
	s_andn2_saveexec_b64 s[0:1], s[16:17]
	s_cbranch_execz .LBB51_6
; %bb.5:
	s_mov_b32 s2, 0x3f22f983
	v_mul_f32_e64 v8, |v6|, s2
	v_rndne_f32_e32 v10, v8
	s_mov_b32 s2, 0xbfc90fda
	v_cvt_i32_f32_e32 v8, v10
	v_fma_f32 v9, v10, s2, |v6|
	v_fmac_f32_e32 v9, 0xb3a22168, v10
	v_fmac_f32_e32 v9, 0xa7c234c4, v10
.LBB51_6:
	s_or_b64 exec, exec, s[0:1]
	v_mul_f32_e32 v10, v9, v9
	v_mov_b32_e32 v11, 0x3c0881c4
	v_fmac_f32_e32 v11, 0xb94c1982, v10
	v_mov_b32_e32 v12, 0xbe2aaa9d
	v_fmac_f32_e32 v12, v10, v11
	v_mul_f32_e32 v11, v10, v12
	v_fmac_f32_e32 v9, v9, v11
	v_mov_b32_e32 v11, 0xbab64f3b
	v_fmac_f32_e32 v11, 0x37d75334, v10
	v_mov_b32_e32 v12, 0x3d2aabf7
	;; [unrolled: 2-line block ×3, first 2 shown]
	v_fmac_f32_e32 v11, v10, v12
	v_fma_f32 v10, v10, v11, 1.0
	v_and_b32_e32 v11, 1, v8
	v_lshlrev_b32_e32 v8, 30, v8
	v_cmp_eq_u32_e32 vcc, 0, v11
	v_and_b32_e32 v8, 0x80000000, v8
	v_xor_b32_e32 v7, v7, v6
	v_cndmask_b32_e32 v9, v10, v9, vcc
	v_xor_b32_e32 v7, v7, v8
	s_movk_i32 s0, 0x1f8
	v_xor_b32_e32 v7, v7, v9
	v_mov_b32_e32 v8, 0x7fc00000
	v_cmp_class_f32_e64 vcc, v6, s0
	v_cndmask_b32_e32 v6, v8, v7, vcc
	v_mul_f32_e32 v6, v6, v6
	s_mov_b32 s2, 0xc11de9e7
	v_div_scale_f32 v7, s[0:1], v6, v6, s2
	v_div_scale_f32 v8, vcc, s2, v6, s2
	v_sub_f32_e32 v1, 1.0, v1
	v_rcp_f32_e32 v9, v7
	v_fma_f32 v10, -v7, v9, 1.0
	v_fmac_f32_e32 v9, v10, v9
	v_mul_f32_e32 v10, v8, v9
	v_fma_f32 v11, -v7, v10, v8
	v_fmac_f32_e32 v10, v11, v9
	v_fma_f32 v7, -v7, v10, v8
	v_div_fmas_f32 v7, v7, v9, v10
	v_mov_b32_e32 v8, -1.0
	v_div_fixup_f32 v6, v7, v6, s2
	v_add_f32_e32 v9, 0, v6
.LBB51_7:
	s_or_b64 exec, exec, s[14:15]
	v_cmp_gt_f32_e32 vcc, 0.5, v2
	v_mov_b32_e32 v12, 0
	v_mov_b32_e32 v11, 1.0
	s_and_saveexec_b64 s[14:15], vcc
	s_cbranch_execz .LBB51_13
; %bb.8:
	v_mul_f32_e32 v6, 0x40490fdb, v2
	s_brev_b32 s0, 18
	v_and_b32_e32 v7, 0x7fffffff, v6
	v_cmp_nlt_f32_e64 s[0:1], |v6|, s0
                                        ; implicit-def: $vgpr10
                                        ; implicit-def: $vgpr11
	s_and_saveexec_b64 s[2:3], s[0:1]
	s_xor_b64 s[16:17], exec, s[2:3]
	s_cbranch_execz .LBB51_10
; %bb.9:
	v_and_b32_e32 v10, 0x7fffff, v7
	v_or_b32_e32 v19, 0x800000, v10
	s_mov_b32 s0, 0xfe5163ab
	v_mad_u64_u32 v[10:11], s[0:1], v19, s0, 0
	v_mov_b32_e32 v12, 0
	s_mov_b32 s0, 0x3c439041
	v_mad_u64_u32 v[13:14], s[0:1], v19, s0, v[11:12]
	s_mov_b32 s0, 0xdb629599
	v_not_b32_e32 v18, 63
	v_mov_b32_e32 v11, v14
	v_mad_u64_u32 v[14:15], s[0:1], v19, s0, v[11:12]
	s_mov_b32 s0, 0xf534ddc0
	v_not_b32_e32 v21, 31
	v_mov_b32_e32 v11, v15
	v_mad_u64_u32 v[15:16], s[0:1], v19, s0, v[11:12]
	v_lshrrev_b32_e32 v11, 23, v7
	v_add_u32_e32 v20, 0xffffff88, v11
	v_mov_b32_e32 v11, v16
	s_mov_b32 s0, 0xfc2757d1
	v_mad_u64_u32 v[16:17], s[0:1], v19, s0, v[11:12]
	v_cmp_lt_u32_e32 vcc, 63, v20
	v_cndmask_b32_e32 v11, 0, v18, vcc
	v_add_u32_e32 v20, v11, v20
	v_mov_b32_e32 v11, v17
	s_mov_b32 s0, 0x4e441529
	v_mad_u64_u32 v[17:18], s[0:1], v19, s0, v[11:12]
	v_cmp_lt_u32_e64 s[0:1], 31, v20
	v_cndmask_b32_e64 v11, 0, v21, s[0:1]
	v_add_u32_e32 v20, v11, v20
	v_mov_b32_e32 v11, v18
	s_mov_b32 s2, 0xa2f9836e
	v_mad_u64_u32 v[11:12], s[2:3], v19, s2, v[11:12]
	v_cmp_lt_u32_e64 s[2:3], 31, v20
	v_cndmask_b32_e64 v18, 0, v21, s[2:3]
	v_cndmask_b32_e32 v19, v17, v15, vcc
	v_cndmask_b32_e32 v11, v11, v16, vcc
	;; [unrolled: 1-line block ×3, first 2 shown]
	v_add_u32_e32 v18, v18, v20
	v_cndmask_b32_e64 v20, v11, v19, s[0:1]
	v_cndmask_b32_e64 v11, v12, v11, s[0:1]
	v_cndmask_b32_e32 v12, v16, v14, vcc
	v_cndmask_b32_e64 v16, v19, v12, s[0:1]
	v_cndmask_b32_e64 v11, v11, v20, s[2:3]
	;; [unrolled: 1-line block ×3, first 2 shown]
	v_sub_u32_e32 v19, 32, v18
	v_alignbit_b32 v20, v11, v17, v19
	v_cmp_eq_u32_e64 s[4:5], 0, v18
	v_cndmask_b32_e64 v18, v20, v11, s[4:5]
	v_cndmask_b32_e32 v11, v15, v13, vcc
	v_cndmask_b32_e64 v12, v12, v11, s[0:1]
	v_cndmask_b32_e64 v13, v16, v12, s[2:3]
	v_alignbit_b32 v15, v17, v13, v19
	v_cndmask_b32_e32 v10, v14, v10, vcc
	v_cndmask_b32_e64 v15, v15, v17, s[4:5]
	v_bfe_u32 v20, v18, 29, 1
	v_cndmask_b32_e64 v10, v11, v10, s[0:1]
	v_alignbit_b32 v16, v18, v15, 30
	v_sub_u32_e32 v21, 0, v20
	v_cndmask_b32_e64 v10, v12, v10, s[2:3]
	v_xor_b32_e32 v16, v16, v21
	v_alignbit_b32 v11, v13, v10, v19
	v_cndmask_b32_e64 v11, v11, v13, s[4:5]
	v_ffbh_u32_e32 v13, v16
	v_alignbit_b32 v12, v15, v11, 30
	v_min_u32_e32 v13, 32, v13
	v_alignbit_b32 v10, v11, v10, 30
	v_xor_b32_e32 v12, v12, v21
	v_sub_u32_e32 v14, 31, v13
	v_xor_b32_e32 v10, v10, v21
	v_alignbit_b32 v15, v16, v12, v14
	v_alignbit_b32 v10, v12, v10, v14
	;; [unrolled: 1-line block ×3, first 2 shown]
	v_ffbh_u32_e32 v12, v11
	v_min_u32_e32 v12, 32, v12
	v_lshrrev_b32_e32 v17, 29, v18
	v_not_b32_e32 v14, v12
	v_alignbit_b32 v10, v11, v10, v14
	v_lshlrev_b32_e32 v11, 31, v17
	v_or_b32_e32 v14, 0x33000000, v11
	v_add_lshl_u32 v12, v12, v13, 23
	v_lshrrev_b32_e32 v10, 9, v10
	v_sub_u32_e32 v12, v14, v12
	v_or_b32_e32 v11, 0.5, v11
	v_lshlrev_b32_e32 v13, 23, v13
	v_or_b32_e32 v10, v12, v10
	v_lshrrev_b32_e32 v12, 9, v15
	v_sub_u32_e32 v11, v11, v13
	v_or_b32_e32 v11, v12, v11
	s_mov_b32 s0, 0x3fc90fda
	v_mul_f32_e32 v12, 0x3fc90fda, v11
	v_fma_f32 v13, v11, s0, -v12
	v_fmac_f32_e32 v13, 0x33a22168, v11
	v_fmac_f32_e32 v13, 0x3fc90fda, v10
	v_lshrrev_b32_e32 v10, 30, v18
	v_add_f32_e32 v11, v12, v13
	v_add_u32_e32 v10, v20, v10
.LBB51_10:
	s_andn2_saveexec_b64 s[0:1], s[16:17]
	s_cbranch_execz .LBB51_12
; %bb.11:
	s_mov_b32 s2, 0x3f22f983
	v_mul_f32_e64 v10, |v6|, s2
	v_rndne_f32_e32 v12, v10
	s_mov_b32 s2, 0xbfc90fda
	v_cvt_i32_f32_e32 v10, v12
	v_fma_f32 v11, v12, s2, |v6|
	v_fmac_f32_e32 v11, 0xb3a22168, v12
	v_fmac_f32_e32 v11, 0xa7c234c4, v12
.LBB51_12:
	s_or_b64 exec, exec, s[0:1]
	v_mul_f32_e32 v12, v11, v11
	v_mov_b32_e32 v13, 0x3c0881c4
	v_fmac_f32_e32 v13, 0xb94c1982, v12
	v_mov_b32_e32 v14, 0xbe2aaa9d
	v_fmac_f32_e32 v14, v12, v13
	v_mul_f32_e32 v13, v12, v14
	v_fmac_f32_e32 v11, v11, v13
	v_mov_b32_e32 v13, 0xbab64f3b
	v_fmac_f32_e32 v13, 0x37d75334, v12
	v_mov_b32_e32 v14, 0x3d2aabf7
	;; [unrolled: 2-line block ×3, first 2 shown]
	v_fmac_f32_e32 v13, v12, v14
	v_fma_f32 v12, v12, v13, 1.0
	v_and_b32_e32 v13, 1, v10
	v_lshlrev_b32_e32 v10, 30, v10
	v_cmp_eq_u32_e32 vcc, 0, v13
	v_and_b32_e32 v10, 0x80000000, v10
	v_xor_b32_e32 v7, v7, v6
	v_cndmask_b32_e32 v11, v12, v11, vcc
	v_xor_b32_e32 v7, v7, v10
	s_movk_i32 s0, 0x1f8
	v_xor_b32_e32 v7, v7, v11
	v_mov_b32_e32 v10, 0x7fc00000
	v_cmp_class_f32_e64 vcc, v6, s0
	v_cndmask_b32_e32 v6, v10, v7, vcc
	v_mul_f32_e32 v6, v6, v6
	s_mov_b32 s2, 0xc11de9e7
	v_div_scale_f32 v7, s[0:1], v6, v6, s2
	v_div_scale_f32 v10, vcc, s2, v6, s2
	v_sub_f32_e32 v2, 1.0, v2
	v_rcp_f32_e32 v11, v7
	v_fma_f32 v12, -v7, v11, 1.0
	v_fmac_f32_e32 v11, v12, v11
	v_mul_f32_e32 v12, v10, v11
	v_fma_f32 v13, -v7, v12, v10
	v_fmac_f32_e32 v12, v13, v11
	v_fma_f32 v7, -v7, v12, v10
	v_div_fmas_f32 v7, v7, v11, v12
	v_mov_b32_e32 v11, -1.0
	v_div_fixup_f32 v6, v7, v6, s2
	v_add_f32_e32 v12, 0, v6
.LBB51_13:
	s_or_b64 exec, exec, s[14:15]
	v_cmp_gt_f32_e32 vcc, 0.5, v3
	v_mov_b32_e32 v7, 0
	v_mov_b32_e32 v13, 1.0
	s_and_saveexec_b64 s[14:15], vcc
	s_cbranch_execz .LBB51_19
; %bb.14:
	v_mul_f32_e32 v6, 0x40490fdb, v3
	s_brev_b32 s0, 18
	v_and_b32_e32 v7, 0x7fffffff, v6
	v_cmp_nlt_f32_e64 s[0:1], |v6|, s0
                                        ; implicit-def: $vgpr10
                                        ; implicit-def: $vgpr13
	s_and_saveexec_b64 s[2:3], s[0:1]
	s_xor_b64 s[16:17], exec, s[2:3]
	s_cbranch_execz .LBB51_16
; %bb.15:
	v_and_b32_e32 v10, 0x7fffff, v7
	v_or_b32_e32 v10, 0x800000, v10
	s_mov_b32 s0, 0xfe5163ab
	v_mad_u64_u32 v[13:14], s[0:1], v10, s0, 0
	v_mov_b32_e32 v15, 0
	s_mov_b32 s0, 0x3c439041
	v_mad_u64_u32 v[16:17], s[0:1], v10, s0, v[14:15]
	s_mov_b32 s0, 0xdb629599
	v_not_b32_e32 v21, 63
	v_mov_b32_e32 v14, v17
	v_mad_u64_u32 v[17:18], s[0:1], v10, s0, v[14:15]
	s_mov_b32 s0, 0xf534ddc0
	v_not_b32_e32 v23, 31
	v_mov_b32_e32 v14, v18
	v_mad_u64_u32 v[18:19], s[0:1], v10, s0, v[14:15]
	v_lshrrev_b32_e32 v14, 23, v7
	v_add_u32_e32 v22, 0xffffff88, v14
	v_mov_b32_e32 v14, v19
	s_mov_b32 s0, 0xfc2757d1
	v_mad_u64_u32 v[19:20], s[0:1], v10, s0, v[14:15]
	v_cmp_lt_u32_e32 vcc, 63, v22
	v_cndmask_b32_e32 v14, 0, v21, vcc
	v_add_u32_e32 v22, v14, v22
	v_mov_b32_e32 v14, v20
	s_mov_b32 s0, 0x4e441529
	v_mad_u64_u32 v[20:21], s[0:1], v10, s0, v[14:15]
	v_cmp_lt_u32_e64 s[0:1], 31, v22
	v_cndmask_b32_e64 v14, 0, v23, s[0:1]
	v_add_u32_e32 v22, v14, v22
	v_mov_b32_e32 v14, v21
	s_mov_b32 s2, 0xa2f9836e
	v_mad_u64_u32 v[14:15], s[2:3], v10, s2, v[14:15]
	v_cmp_lt_u32_e64 s[2:3], 31, v22
	v_cndmask_b32_e32 v16, v18, v16, vcc
	v_cndmask_b32_e32 v18, v20, v18, vcc
	;; [unrolled: 1-line block ×4, first 2 shown]
	v_cndmask_b32_e64 v10, 0, v23, s[2:3]
	v_cndmask_b32_e64 v20, v14, v18, s[0:1]
	;; [unrolled: 1-line block ×3, first 2 shown]
	v_cndmask_b32_e32 v15, v19, v17, vcc
	v_add_u32_e32 v10, v10, v22
	v_cndmask_b32_e64 v18, v18, v15, s[0:1]
	v_cndmask_b32_e64 v14, v14, v20, s[2:3]
	;; [unrolled: 1-line block ×3, first 2 shown]
	v_sub_u32_e32 v20, 32, v10
	v_alignbit_b32 v21, v14, v19, v20
	v_cmp_eq_u32_e64 s[4:5], 0, v10
	v_cndmask_b32_e64 v10, v21, v14, s[4:5]
	v_cndmask_b32_e64 v14, v15, v16, s[0:1]
	;; [unrolled: 1-line block ×3, first 2 shown]
	v_alignbit_b32 v18, v19, v15, v20
	v_cndmask_b32_e32 v13, v17, v13, vcc
	v_cndmask_b32_e64 v18, v18, v19, s[4:5]
	v_bfe_u32 v17, v10, 29, 1
	v_cndmask_b32_e64 v13, v16, v13, s[0:1]
	v_alignbit_b32 v19, v10, v18, 30
	v_sub_u32_e32 v22, 0, v17
	v_cndmask_b32_e64 v13, v14, v13, s[2:3]
	v_xor_b32_e32 v19, v19, v22
	v_alignbit_b32 v14, v15, v13, v20
	v_cndmask_b32_e64 v14, v14, v15, s[4:5]
	v_ffbh_u32_e32 v16, v19
	v_alignbit_b32 v15, v18, v14, 30
	v_min_u32_e32 v16, 32, v16
	v_alignbit_b32 v13, v14, v13, 30
	v_xor_b32_e32 v15, v15, v22
	v_sub_u32_e32 v18, 31, v16
	v_xor_b32_e32 v13, v13, v22
	v_alignbit_b32 v19, v19, v15, v18
	v_alignbit_b32 v13, v15, v13, v18
	;; [unrolled: 1-line block ×3, first 2 shown]
	v_ffbh_u32_e32 v15, v14
	v_min_u32_e32 v15, 32, v15
	v_lshrrev_b32_e32 v21, 29, v10
	v_not_b32_e32 v18, v15
	v_alignbit_b32 v13, v14, v13, v18
	v_lshlrev_b32_e32 v14, 31, v21
	v_or_b32_e32 v18, 0x33000000, v14
	v_add_lshl_u32 v15, v15, v16, 23
	v_lshrrev_b32_e32 v13, 9, v13
	v_sub_u32_e32 v15, v18, v15
	v_or_b32_e32 v14, 0.5, v14
	v_lshlrev_b32_e32 v16, 23, v16
	v_or_b32_e32 v13, v15, v13
	v_lshrrev_b32_e32 v15, 9, v19
	v_sub_u32_e32 v14, v14, v16
	v_or_b32_e32 v14, v15, v14
	s_mov_b32 s0, 0x3fc90fda
	v_mul_f32_e32 v15, 0x3fc90fda, v14
	v_fma_f32 v16, v14, s0, -v15
	v_fmac_f32_e32 v16, 0x33a22168, v14
	v_fmac_f32_e32 v16, 0x3fc90fda, v13
	v_lshrrev_b32_e32 v10, 30, v10
	v_add_f32_e32 v13, v15, v16
	v_add_u32_e32 v10, v17, v10
.LBB51_16:
	s_andn2_saveexec_b64 s[0:1], s[16:17]
	s_cbranch_execz .LBB51_18
; %bb.17:
	s_mov_b32 s2, 0x3f22f983
	v_mul_f32_e64 v10, |v6|, s2
	v_rndne_f32_e32 v14, v10
	s_mov_b32 s2, 0xbfc90fda
	v_cvt_i32_f32_e32 v10, v14
	v_fma_f32 v13, v14, s2, |v6|
	v_fmac_f32_e32 v13, 0xb3a22168, v14
	v_fmac_f32_e32 v13, 0xa7c234c4, v14
.LBB51_18:
	s_or_b64 exec, exec, s[0:1]
	v_mul_f32_e32 v14, v13, v13
	v_mov_b32_e32 v15, 0x3c0881c4
	v_fmac_f32_e32 v15, 0xb94c1982, v14
	v_mov_b32_e32 v16, 0xbe2aaa9d
	v_fmac_f32_e32 v16, v14, v15
	v_mul_f32_e32 v15, v14, v16
	v_fmac_f32_e32 v13, v13, v15
	v_mov_b32_e32 v15, 0xbab64f3b
	v_fmac_f32_e32 v15, 0x37d75334, v14
	v_mov_b32_e32 v16, 0x3d2aabf7
	;; [unrolled: 2-line block ×3, first 2 shown]
	v_fmac_f32_e32 v15, v14, v16
	v_fma_f32 v14, v14, v15, 1.0
	v_and_b32_e32 v15, 1, v10
	v_lshlrev_b32_e32 v10, 30, v10
	v_cmp_eq_u32_e32 vcc, 0, v15
	v_and_b32_e32 v10, 0x80000000, v10
	v_xor_b32_e32 v7, v7, v6
	v_cndmask_b32_e32 v13, v14, v13, vcc
	v_xor_b32_e32 v7, v7, v10
	s_movk_i32 s0, 0x1f8
	v_xor_b32_e32 v7, v7, v13
	v_mov_b32_e32 v10, 0x7fc00000
	v_cmp_class_f32_e64 vcc, v6, s0
	v_cndmask_b32_e32 v6, v10, v7, vcc
	v_mul_f32_e32 v6, v6, v6
	s_mov_b32 s2, 0xc11de9e7
	v_div_scale_f32 v7, s[0:1], v6, v6, s2
	v_div_scale_f32 v10, vcc, s2, v6, s2
	v_sub_f32_e32 v3, 1.0, v3
	v_rcp_f32_e32 v13, v7
	v_fma_f32 v14, -v7, v13, 1.0
	v_fmac_f32_e32 v13, v14, v13
	v_mul_f32_e32 v14, v10, v13
	v_fma_f32 v15, -v7, v14, v10
	v_fmac_f32_e32 v14, v15, v13
	v_fma_f32 v7, -v7, v14, v10
	v_div_fmas_f32 v7, v7, v13, v14
	v_mov_b32_e32 v13, -1.0
	v_div_fixup_f32 v6, v7, v6, s2
	v_add_f32_e32 v7, 0, v6
.LBB51_19:
	s_or_b64 exec, exec, s[14:15]
	v_cmp_gt_f32_e32 vcc, 0.5, v4
	v_mov_b32_e32 v10, 0
	v_mov_b32_e32 v6, 1.0
	s_and_saveexec_b64 s[14:15], vcc
	s_cbranch_execz .LBB51_25
; %bb.20:
	v_mul_f32_e32 v6, 0x40490fdb, v4
	s_brev_b32 s0, 18
	v_and_b32_e32 v10, 0x7fffffff, v6
	v_cmp_nlt_f32_e64 s[0:1], |v6|, s0
                                        ; implicit-def: $vgpr14
                                        ; implicit-def: $vgpr15
	s_and_saveexec_b64 s[2:3], s[0:1]
	s_xor_b64 s[16:17], exec, s[2:3]
	s_cbranch_execz .LBB51_22
; %bb.21:
	v_and_b32_e32 v14, 0x7fffff, v10
	v_or_b32_e32 v23, 0x800000, v14
	s_mov_b32 s0, 0xfe5163ab
	v_mad_u64_u32 v[14:15], s[0:1], v23, s0, 0
	v_mov_b32_e32 v16, 0
	s_mov_b32 s0, 0x3c439041
	v_mad_u64_u32 v[17:18], s[0:1], v23, s0, v[15:16]
	s_mov_b32 s0, 0xdb629599
	v_not_b32_e32 v22, 63
	v_mov_b32_e32 v15, v18
	v_mad_u64_u32 v[18:19], s[0:1], v23, s0, v[15:16]
	s_mov_b32 s0, 0xf534ddc0
	v_not_b32_e32 v25, 31
	v_mov_b32_e32 v15, v19
	v_mad_u64_u32 v[19:20], s[0:1], v23, s0, v[15:16]
	v_lshrrev_b32_e32 v15, 23, v10
	v_add_u32_e32 v24, 0xffffff88, v15
	v_mov_b32_e32 v15, v20
	s_mov_b32 s0, 0xfc2757d1
	v_mad_u64_u32 v[20:21], s[0:1], v23, s0, v[15:16]
	v_cmp_lt_u32_e32 vcc, 63, v24
	v_cndmask_b32_e32 v15, 0, v22, vcc
	v_add_u32_e32 v24, v15, v24
	v_mov_b32_e32 v15, v21
	s_mov_b32 s0, 0x4e441529
	v_mad_u64_u32 v[21:22], s[0:1], v23, s0, v[15:16]
	v_cmp_lt_u32_e64 s[0:1], 31, v24
	v_cndmask_b32_e64 v15, 0, v25, s[0:1]
	v_add_u32_e32 v24, v15, v24
	v_mov_b32_e32 v15, v22
	s_mov_b32 s2, 0xa2f9836e
	v_mad_u64_u32 v[15:16], s[2:3], v23, s2, v[15:16]
	v_cmp_lt_u32_e64 s[2:3], 31, v24
	v_cndmask_b32_e64 v22, 0, v25, s[2:3]
	v_cndmask_b32_e32 v23, v21, v19, vcc
	v_cndmask_b32_e32 v15, v15, v20, vcc
	;; [unrolled: 1-line block ×3, first 2 shown]
	v_add_u32_e32 v22, v22, v24
	v_cndmask_b32_e64 v24, v15, v23, s[0:1]
	v_cndmask_b32_e64 v15, v16, v15, s[0:1]
	v_cndmask_b32_e32 v16, v20, v18, vcc
	v_cndmask_b32_e64 v20, v23, v16, s[0:1]
	v_cndmask_b32_e64 v15, v15, v24, s[2:3]
	;; [unrolled: 1-line block ×3, first 2 shown]
	v_sub_u32_e32 v23, 32, v22
	v_alignbit_b32 v24, v15, v21, v23
	v_cmp_eq_u32_e64 s[4:5], 0, v22
	v_cndmask_b32_e64 v22, v24, v15, s[4:5]
	v_cndmask_b32_e32 v15, v19, v17, vcc
	v_cndmask_b32_e64 v16, v16, v15, s[0:1]
	v_cndmask_b32_e64 v17, v20, v16, s[2:3]
	v_alignbit_b32 v19, v21, v17, v23
	v_cndmask_b32_e32 v14, v18, v14, vcc
	v_cndmask_b32_e64 v19, v19, v21, s[4:5]
	v_bfe_u32 v24, v22, 29, 1
	v_cndmask_b32_e64 v14, v15, v14, s[0:1]
	v_alignbit_b32 v20, v22, v19, 30
	v_sub_u32_e32 v25, 0, v24
	v_cndmask_b32_e64 v14, v16, v14, s[2:3]
	v_xor_b32_e32 v20, v20, v25
	v_alignbit_b32 v15, v17, v14, v23
	v_cndmask_b32_e64 v15, v15, v17, s[4:5]
	v_ffbh_u32_e32 v17, v20
	v_alignbit_b32 v16, v19, v15, 30
	v_min_u32_e32 v17, 32, v17
	v_alignbit_b32 v14, v15, v14, 30
	v_xor_b32_e32 v16, v16, v25
	v_sub_u32_e32 v18, 31, v17
	v_xor_b32_e32 v14, v14, v25
	v_alignbit_b32 v19, v20, v16, v18
	v_alignbit_b32 v14, v16, v14, v18
	v_alignbit_b32 v15, v19, v14, 9
	v_ffbh_u32_e32 v16, v15
	v_min_u32_e32 v16, 32, v16
	v_lshrrev_b32_e32 v21, 29, v22
	v_not_b32_e32 v18, v16
	v_alignbit_b32 v14, v15, v14, v18
	v_lshlrev_b32_e32 v15, 31, v21
	v_or_b32_e32 v18, 0x33000000, v15
	v_add_lshl_u32 v16, v16, v17, 23
	v_lshrrev_b32_e32 v14, 9, v14
	v_sub_u32_e32 v16, v18, v16
	v_or_b32_e32 v15, 0.5, v15
	v_lshlrev_b32_e32 v17, 23, v17
	v_or_b32_e32 v14, v16, v14
	v_lshrrev_b32_e32 v16, 9, v19
	v_sub_u32_e32 v15, v15, v17
	v_or_b32_e32 v15, v16, v15
	s_mov_b32 s0, 0x3fc90fda
	v_mul_f32_e32 v16, 0x3fc90fda, v15
	v_fma_f32 v17, v15, s0, -v16
	v_fmac_f32_e32 v17, 0x33a22168, v15
	v_fmac_f32_e32 v17, 0x3fc90fda, v14
	v_lshrrev_b32_e32 v14, 30, v22
	v_add_f32_e32 v15, v16, v17
	v_add_u32_e32 v14, v24, v14
.LBB51_22:
	s_andn2_saveexec_b64 s[0:1], s[16:17]
	s_cbranch_execz .LBB51_24
; %bb.23:
	s_mov_b32 s2, 0x3f22f983
	v_mul_f32_e64 v14, |v6|, s2
	v_rndne_f32_e32 v16, v14
	s_mov_b32 s2, 0xbfc90fda
	v_cvt_i32_f32_e32 v14, v16
	v_fma_f32 v15, v16, s2, |v6|
	v_fmac_f32_e32 v15, 0xb3a22168, v16
	v_fmac_f32_e32 v15, 0xa7c234c4, v16
.LBB51_24:
	s_or_b64 exec, exec, s[0:1]
	v_mul_f32_e32 v16, v15, v15
	v_mov_b32_e32 v17, 0x3c0881c4
	v_fmac_f32_e32 v17, 0xb94c1982, v16
	v_mov_b32_e32 v18, 0xbe2aaa9d
	v_fmac_f32_e32 v18, v16, v17
	v_mul_f32_e32 v17, v16, v18
	v_fmac_f32_e32 v15, v15, v17
	v_mov_b32_e32 v17, 0xbab64f3b
	v_fmac_f32_e32 v17, 0x37d75334, v16
	v_mov_b32_e32 v18, 0x3d2aabf7
	;; [unrolled: 2-line block ×3, first 2 shown]
	v_fmac_f32_e32 v17, v16, v18
	v_fma_f32 v16, v16, v17, 1.0
	v_and_b32_e32 v17, 1, v14
	v_lshlrev_b32_e32 v14, 30, v14
	v_cmp_eq_u32_e32 vcc, 0, v17
	v_and_b32_e32 v14, 0x80000000, v14
	v_xor_b32_e32 v10, v10, v6
	v_cndmask_b32_e32 v15, v16, v15, vcc
	v_xor_b32_e32 v10, v10, v14
	s_movk_i32 s0, 0x1f8
	v_xor_b32_e32 v10, v10, v15
	v_mov_b32_e32 v14, 0x7fc00000
	v_cmp_class_f32_e64 vcc, v6, s0
	v_cndmask_b32_e32 v6, v14, v10, vcc
	v_mul_f32_e32 v6, v6, v6
	s_mov_b32 s2, 0xc11de9e7
	v_div_scale_f32 v10, s[0:1], v6, v6, s2
	v_div_scale_f32 v14, vcc, s2, v6, s2
	v_sub_f32_e32 v4, 1.0, v4
	v_rcp_f32_e32 v15, v10
	v_fma_f32 v16, -v10, v15, 1.0
	v_fmac_f32_e32 v15, v16, v15
	v_mul_f32_e32 v16, v14, v15
	v_fma_f32 v17, -v10, v16, v14
	v_fmac_f32_e32 v16, v17, v15
	v_fma_f32 v10, -v10, v16, v14
	v_div_fmas_f32 v10, v10, v15, v16
	v_div_fixup_f32 v6, v10, v6, s2
	v_add_f32_e32 v10, 0, v6
	v_mov_b32_e32 v6, -1.0
.LBB51_25:
	s_or_b64 exec, exec, s[14:15]
	v_mul_f32_e32 v14, v3, v3
	v_div_scale_f32 v15, s[0:1], v14, v14, 1.0
	v_add_f32_e32 v3, 1.0, v3
	v_rcp_f32_e32 v16, v15
	v_fma_f32 v17, -v15, v16, 1.0
	v_fmac_f32_e32 v16, v17, v16
	v_div_scale_f32 v17, vcc, 1.0, v14, 1.0
	v_mul_f32_e32 v18, v17, v16
	v_fma_f32 v19, -v15, v18, v17
	v_fmac_f32_e32 v18, v19, v16
	v_fma_f32 v15, -v15, v18, v17
	v_div_fmas_f32 v15, v15, v16, v18
	v_div_fixup_f32 v14, v15, v14, 1.0
	v_add_f32_e32 v7, v7, v14
	v_mul_f32_e32 v14, v3, v3
	v_div_scale_f32 v15, s[0:1], v14, v14, 1.0
	v_add_f32_e32 v3, 1.0, v3
	v_rcp_f32_e32 v16, v15
	v_fma_f32 v17, -v15, v16, 1.0
	v_fmac_f32_e32 v16, v17, v16
	v_div_scale_f32 v17, vcc, 1.0, v14, 1.0
	v_mul_f32_e32 v18, v17, v16
	v_fma_f32 v19, -v15, v18, v17
	v_fmac_f32_e32 v18, v19, v16
	v_fma_f32 v15, -v15, v18, v17
	v_div_fmas_f32 v15, v15, v16, v18
	v_div_fixup_f32 v14, v15, v14, 1.0
	v_add_f32_e32 v7, v7, v14
	;; [unrolled: 14-line block ×6, first 2 shown]
	v_add_f32_e32 v7, v3, v3
	v_div_scale_f32 v15, s[0:1], v7, v7, 1.0
	v_rcp_f32_e32 v16, v15
	v_fma_f32 v17, -v15, v16, 1.0
	v_fmac_f32_e32 v16, v17, v16
	v_div_scale_f32 v17, vcc, 1.0, v7, 1.0
	v_mul_f32_e32 v18, v17, v16
	v_fma_f32 v19, -v15, v18, v17
	v_fmac_f32_e32 v18, v19, v16
	v_fma_f32 v15, -v15, v18, v17
	v_div_fmas_f32 v15, v15, v16, v18
	v_div_fixup_f32 v7, v15, v7, 1.0
	v_add_f32_e32 v15, 1.0, v7
	v_mul_f32_e32 v7, v3, v3
	v_div_scale_f32 v16, s[0:1], v7, v7, 1.0
	s_mov_b32 s0, 0x3e2aaaab
	v_rcp_f32_e32 v17, v16
	v_fma_f32 v18, -v16, v17, 1.0
	v_fmac_f32_e32 v17, v18, v17
	v_div_scale_f32 v18, vcc, 1.0, v7, 1.0
	v_mul_f32_e32 v19, v18, v17
	v_fma_f32 v20, -v16, v19, v18
	v_fmac_f32_e32 v19, v20, v17
	v_fma_f32 v16, -v16, v19, v18
	v_div_fmas_f32 v16, v16, v17, v19
	v_mov_b32_e32 v17, 0x3d088889
	v_div_fixup_f32 v16, v16, v7, 1.0
	v_fmac_f32_e32 v17, 0xbcc30c31, v16
	v_fma_f32 v17, -v16, v17, s0
	v_fmac_f32_e32 v15, v16, v17
	v_div_scale_f32 v16, s[2:3], v3, v3, v15
	v_mov_b32_e32 v7, 0x3d088889
	v_rcp_f32_e32 v17, v16
	v_fma_f32 v18, -v16, v17, 1.0
	v_fmac_f32_e32 v17, v18, v17
	v_div_scale_f32 v18, vcc, v15, v3, v15
	v_mul_f32_e32 v19, v18, v17
	v_fma_f32 v20, -v16, v19, v18
	v_fmac_f32_e32 v19, v20, v17
	v_fma_f32 v16, -v16, v19, v18
	v_div_fmas_f32 v16, v16, v17, v19
	v_div_fixup_f32 v3, v16, v3, v15
	v_add_f32_e32 v3, v14, v3
	v_mul_f32_e32 v3, v13, v3
	v_mul_f32_e32 v13, v2, v2
	v_div_scale_f32 v14, s[2:3], v13, v13, 1.0
	v_add_f32_e32 v2, 1.0, v2
	v_rcp_f32_e32 v15, v14
	v_fma_f32 v16, -v14, v15, 1.0
	v_fmac_f32_e32 v15, v16, v15
	v_div_scale_f32 v16, vcc, 1.0, v13, 1.0
	v_mul_f32_e32 v17, v16, v15
	v_fma_f32 v18, -v14, v17, v16
	v_fmac_f32_e32 v17, v18, v15
	v_fma_f32 v14, -v14, v17, v16
	v_div_fmas_f32 v14, v14, v15, v17
	v_div_fixup_f32 v13, v14, v13, 1.0
	v_add_f32_e32 v12, v12, v13
	v_mul_f32_e32 v13, v2, v2
	v_div_scale_f32 v14, s[2:3], v13, v13, 1.0
	v_add_f32_e32 v2, 1.0, v2
	v_rcp_f32_e32 v15, v14
	v_fma_f32 v16, -v14, v15, 1.0
	v_fmac_f32_e32 v15, v16, v15
	v_div_scale_f32 v16, vcc, 1.0, v13, 1.0
	v_mul_f32_e32 v17, v16, v15
	v_fma_f32 v18, -v14, v17, v16
	v_fmac_f32_e32 v17, v18, v15
	v_fma_f32 v14, -v14, v17, v16
	v_div_fmas_f32 v14, v14, v15, v17
	v_div_fixup_f32 v13, v14, v13, 1.0
	v_add_f32_e32 v12, v12, v13
	;; [unrolled: 14-line block ×6, first 2 shown]
	v_add_f32_e32 v13, v2, v2
	v_div_scale_f32 v14, s[2:3], v13, v13, 1.0
	v_rcp_f32_e32 v15, v14
	v_fma_f32 v16, -v14, v15, 1.0
	v_fmac_f32_e32 v15, v16, v15
	v_div_scale_f32 v16, vcc, 1.0, v13, 1.0
	v_mul_f32_e32 v17, v16, v15
	v_fma_f32 v18, -v14, v17, v16
	v_fmac_f32_e32 v17, v18, v15
	v_fma_f32 v14, -v14, v17, v16
	v_div_fmas_f32 v14, v14, v15, v17
	v_div_fixup_f32 v13, v14, v13, 1.0
	v_mul_f32_e32 v14, v2, v2
	v_div_scale_f32 v15, s[2:3], v14, v14, 1.0
	v_add_f32_e32 v13, 1.0, v13
	v_rcp_f32_e32 v16, v15
	v_fma_f32 v17, -v15, v16, 1.0
	v_fmac_f32_e32 v16, v17, v16
	v_div_scale_f32 v17, vcc, 1.0, v14, 1.0
	v_mul_f32_e32 v18, v17, v16
	v_fma_f32 v19, -v15, v18, v17
	v_fmac_f32_e32 v18, v19, v16
	v_fma_f32 v15, -v15, v18, v17
	v_div_fmas_f32 v15, v15, v16, v18
	v_div_fixup_f32 v14, v15, v14, 1.0
	v_mov_b32_e32 v15, 0x3d088889
	v_fmac_f32_e32 v15, 0xbcc30c31, v14
	v_fma_f32 v15, -v14, v15, s0
	v_fmac_f32_e32 v13, v14, v15
	v_div_scale_f32 v14, s[2:3], v2, v2, v13
	v_rcp_f32_e32 v15, v14
	v_fma_f32 v16, -v14, v15, 1.0
	v_fmac_f32_e32 v15, v16, v15
	v_div_scale_f32 v16, vcc, v13, v2, v13
	v_mul_f32_e32 v17, v16, v15
	v_fma_f32 v18, -v14, v17, v16
	v_fmac_f32_e32 v17, v18, v15
	v_fma_f32 v14, -v14, v17, v16
	v_div_fmas_f32 v14, v14, v15, v17
	v_div_fixup_f32 v2, v14, v2, v13
	v_add_f32_e32 v2, v12, v2
	v_mul_f32_e32 v2, v11, v2
	v_mul_f32_e32 v11, v1, v1
	v_div_scale_f32 v12, s[2:3], v11, v11, 1.0
	v_add_f32_e32 v1, 1.0, v1
	v_rcp_f32_e32 v13, v12
	v_fma_f32 v14, -v12, v13, 1.0
	v_fmac_f32_e32 v13, v14, v13
	v_div_scale_f32 v14, vcc, 1.0, v11, 1.0
	v_mul_f32_e32 v15, v14, v13
	v_fma_f32 v16, -v12, v15, v14
	v_fmac_f32_e32 v15, v16, v13
	v_fma_f32 v12, -v12, v15, v14
	v_div_fmas_f32 v12, v12, v13, v15
	v_div_fixup_f32 v11, v12, v11, 1.0
	v_add_f32_e32 v9, v9, v11
	v_mul_f32_e32 v11, v1, v1
	v_div_scale_f32 v12, s[2:3], v11, v11, 1.0
	v_add_f32_e32 v1, 1.0, v1
	v_rcp_f32_e32 v13, v12
	v_fma_f32 v14, -v12, v13, 1.0
	v_fmac_f32_e32 v13, v14, v13
	v_div_scale_f32 v14, vcc, 1.0, v11, 1.0
	v_mul_f32_e32 v15, v14, v13
	v_fma_f32 v16, -v12, v15, v14
	v_fmac_f32_e32 v15, v16, v13
	v_fma_f32 v12, -v12, v15, v14
	v_div_fmas_f32 v12, v12, v13, v15
	v_div_fixup_f32 v11, v12, v11, 1.0
	v_add_f32_e32 v9, v9, v11
	v_mul_f32_e32 v11, v1, v1
	v_div_scale_f32 v12, s[2:3], v11, v11, 1.0
	v_add_f32_e32 v1, 1.0, v1
	v_rcp_f32_e32 v13, v12
	v_fma_f32 v14, -v12, v13, 1.0
	v_fmac_f32_e32 v13, v14, v13
	v_div_scale_f32 v14, vcc, 1.0, v11, 1.0
	v_mul_f32_e32 v15, v14, v13
	v_fma_f32 v16, -v12, v15, v14
	v_fmac_f32_e32 v15, v16, v13
	v_fma_f32 v12, -v12, v15, v14
	v_div_fmas_f32 v12, v12, v13, v15
	v_div_fixup_f32 v11, v12, v11, 1.0
	v_add_f32_e32 v9, v9, v11
	v_mul_f32_e32 v11, v1, v1
	v_div_scale_f32 v12, s[2:3], v11, v11, 1.0
	v_add_f32_e32 v1, 1.0, v1
	v_rcp_f32_e32 v13, v12
	v_fma_f32 v14, -v12, v13, 1.0
	v_fmac_f32_e32 v13, v14, v13
	v_div_scale_f32 v14, vcc, 1.0, v11, 1.0
	v_mul_f32_e32 v15, v14, v13
	v_fma_f32 v16, -v12, v15, v14
	v_fmac_f32_e32 v15, v16, v13
	v_fma_f32 v12, -v12, v15, v14
	v_div_fmas_f32 v12, v12, v13, v15
	v_div_fixup_f32 v11, v12, v11, 1.0
	v_add_f32_e32 v9, v9, v11
	v_mul_f32_e32 v11, v1, v1
	v_div_scale_f32 v12, s[2:3], v11, v11, 1.0
	v_add_f32_e32 v1, 1.0, v1
	v_rcp_f32_e32 v13, v12
	v_fma_f32 v14, -v12, v13, 1.0
	v_fmac_f32_e32 v13, v14, v13
	v_div_scale_f32 v14, vcc, 1.0, v11, 1.0
	v_mul_f32_e32 v15, v14, v13
	v_fma_f32 v16, -v12, v15, v14
	v_fmac_f32_e32 v15, v16, v13
	v_fma_f32 v12, -v12, v15, v14
	v_div_fmas_f32 v12, v12, v13, v15
	v_div_fixup_f32 v11, v12, v11, 1.0
	v_add_f32_e32 v9, v9, v11
	v_mul_f32_e32 v11, v1, v1
	v_div_scale_f32 v12, s[2:3], v11, v11, 1.0
	v_add_f32_e32 v1, 1.0, v1
	v_rcp_f32_e32 v13, v12
	v_fma_f32 v14, -v12, v13, 1.0
	v_fmac_f32_e32 v13, v14, v13
	v_div_scale_f32 v14, vcc, 1.0, v11, 1.0
	v_mul_f32_e32 v15, v14, v13
	v_fma_f32 v16, -v12, v15, v14
	v_fmac_f32_e32 v15, v16, v13
	v_fma_f32 v12, -v12, v15, v14
	v_div_fmas_f32 v12, v12, v13, v15
	v_div_fixup_f32 v11, v12, v11, 1.0
	v_add_f32_e32 v9, v9, v11
	v_add_f32_e32 v11, v1, v1
	v_div_scale_f32 v12, s[2:3], v11, v11, 1.0
	v_rcp_f32_e32 v13, v12
	v_fma_f32 v14, -v12, v13, 1.0
	v_fmac_f32_e32 v13, v14, v13
	v_div_scale_f32 v14, vcc, 1.0, v11, 1.0
	v_mul_f32_e32 v15, v14, v13
	v_fma_f32 v16, -v12, v15, v14
	v_fmac_f32_e32 v15, v16, v13
	v_fma_f32 v12, -v12, v15, v14
	v_div_fmas_f32 v12, v12, v13, v15
	v_div_fixup_f32 v11, v12, v11, 1.0
	v_mul_f32_e32 v12, v1, v1
	v_div_scale_f32 v13, s[2:3], v12, v12, 1.0
	v_add_f32_e32 v11, 1.0, v11
	v_rcp_f32_e32 v14, v13
	v_fma_f32 v15, -v13, v14, 1.0
	v_fmac_f32_e32 v14, v15, v14
	v_div_scale_f32 v15, vcc, 1.0, v12, 1.0
	v_mul_f32_e32 v16, v15, v14
	v_fma_f32 v17, -v13, v16, v15
	v_fmac_f32_e32 v16, v17, v14
	v_fma_f32 v13, -v13, v16, v15
	v_div_fmas_f32 v13, v13, v14, v16
	v_div_fixup_f32 v12, v13, v12, 1.0
	v_mov_b32_e32 v13, 0x3d088889
	v_fmac_f32_e32 v13, 0xbcc30c31, v12
	v_fma_f32 v13, -v12, v13, s0
	v_fmac_f32_e32 v11, v12, v13
	v_div_scale_f32 v12, s[2:3], v1, v1, v11
	v_rcp_f32_e32 v13, v12
	v_fma_f32 v14, -v12, v13, 1.0
	v_fmac_f32_e32 v13, v14, v13
	v_div_scale_f32 v14, vcc, v11, v1, v11
	v_mul_f32_e32 v15, v14, v13
	v_fma_f32 v16, -v12, v15, v14
	v_fmac_f32_e32 v15, v16, v13
	v_fma_f32 v12, -v12, v15, v14
	v_div_fmas_f32 v12, v12, v13, v15
	v_div_fixup_f32 v1, v12, v1, v11
	v_add_f32_e32 v1, v9, v1
	v_mul_f32_e32 v1, v8, v1
	v_mul_f32_e32 v8, v4, v4
	v_div_scale_f32 v9, s[2:3], v8, v8, 1.0
	v_add_f32_e32 v4, 1.0, v4
	v_rcp_f32_e32 v11, v9
	v_fma_f32 v12, -v9, v11, 1.0
	v_fmac_f32_e32 v11, v12, v11
	v_div_scale_f32 v12, vcc, 1.0, v8, 1.0
	v_mul_f32_e32 v13, v12, v11
	v_fma_f32 v14, -v9, v13, v12
	v_fmac_f32_e32 v13, v14, v11
	v_fma_f32 v9, -v9, v13, v12
	v_div_fmas_f32 v9, v9, v11, v13
	v_div_fixup_f32 v8, v9, v8, 1.0
	v_mul_f32_e32 v9, v4, v4
	v_add_f32_e32 v8, v10, v8
	v_div_scale_f32 v10, s[2:3], v9, v9, 1.0
	v_add_f32_e32 v4, 1.0, v4
	v_rcp_f32_e32 v11, v10
	v_fma_f32 v12, -v10, v11, 1.0
	v_fmac_f32_e32 v11, v12, v11
	v_div_scale_f32 v12, vcc, 1.0, v9, 1.0
	v_mul_f32_e32 v13, v12, v11
	v_fma_f32 v14, -v10, v13, v12
	v_fmac_f32_e32 v13, v14, v11
	v_fma_f32 v10, -v10, v13, v12
	v_div_fmas_f32 v10, v10, v11, v13
	v_div_fixup_f32 v9, v10, v9, 1.0
	v_add_f32_e32 v8, v8, v9
	v_mul_f32_e32 v9, v4, v4
	v_div_scale_f32 v10, s[2:3], v9, v9, 1.0
	v_add_f32_e32 v4, 1.0, v4
	v_rcp_f32_e32 v11, v10
	v_fma_f32 v12, -v10, v11, 1.0
	v_fmac_f32_e32 v11, v12, v11
	v_div_scale_f32 v12, vcc, 1.0, v9, 1.0
	v_mul_f32_e32 v13, v12, v11
	v_fma_f32 v14, -v10, v13, v12
	v_fmac_f32_e32 v13, v14, v11
	v_fma_f32 v10, -v10, v13, v12
	v_div_fmas_f32 v10, v10, v11, v13
	v_div_fixup_f32 v9, v10, v9, 1.0
	v_add_f32_e32 v8, v8, v9
	v_mul_f32_e32 v9, v4, v4
	v_div_scale_f32 v10, s[2:3], v9, v9, 1.0
	v_add_f32_e32 v4, 1.0, v4
	v_rcp_f32_e32 v11, v10
	v_fma_f32 v12, -v10, v11, 1.0
	v_fmac_f32_e32 v11, v12, v11
	v_div_scale_f32 v12, vcc, 1.0, v9, 1.0
	v_mul_f32_e32 v13, v12, v11
	v_fma_f32 v14, -v10, v13, v12
	v_fmac_f32_e32 v13, v14, v11
	v_fma_f32 v10, -v10, v13, v12
	v_div_fmas_f32 v10, v10, v11, v13
	v_div_fixup_f32 v9, v10, v9, 1.0
	v_add_f32_e32 v8, v8, v9
	v_mul_f32_e32 v9, v4, v4
	v_div_scale_f32 v10, s[2:3], v9, v9, 1.0
	v_add_f32_e32 v4, 1.0, v4
	v_rcp_f32_e32 v11, v10
	v_fma_f32 v12, -v10, v11, 1.0
	v_fmac_f32_e32 v11, v12, v11
	v_div_scale_f32 v12, vcc, 1.0, v9, 1.0
	v_mul_f32_e32 v13, v12, v11
	v_fma_f32 v14, -v10, v13, v12
	v_fmac_f32_e32 v13, v14, v11
	v_fma_f32 v10, -v10, v13, v12
	v_div_fmas_f32 v10, v10, v11, v13
	v_div_fixup_f32 v9, v10, v9, 1.0
	v_add_f32_e32 v8, v8, v9
	v_mul_f32_e32 v9, v4, v4
	v_div_scale_f32 v10, s[2:3], v9, v9, 1.0
	v_add_f32_e32 v4, 1.0, v4
	v_rcp_f32_e32 v11, v10
	v_fma_f32 v12, -v10, v11, 1.0
	v_fmac_f32_e32 v11, v12, v11
	v_div_scale_f32 v12, vcc, 1.0, v9, 1.0
	v_mul_f32_e32 v13, v12, v11
	v_fma_f32 v14, -v10, v13, v12
	v_fmac_f32_e32 v13, v14, v11
	v_fma_f32 v10, -v10, v13, v12
	v_div_fmas_f32 v10, v10, v11, v13
	v_div_fixup_f32 v9, v10, v9, 1.0
	v_add_f32_e32 v8, v8, v9
	v_mul_f32_e32 v9, v4, v4
	v_div_scale_f32 v10, s[2:3], v9, v9, 1.0
	v_rcp_f32_e32 v11, v10
	v_fma_f32 v12, -v10, v11, 1.0
	v_fmac_f32_e32 v11, v12, v11
	v_div_scale_f32 v12, vcc, 1.0, v9, 1.0
	v_mul_f32_e32 v13, v12, v11
	v_fma_f32 v14, -v10, v13, v12
	v_fmac_f32_e32 v13, v14, v11
	v_fma_f32 v10, -v10, v13, v12
	v_div_fmas_f32 v10, v10, v11, v13
	v_div_fixup_f32 v9, v10, v9, 1.0
	v_add_f32_e32 v10, v4, v4
	v_div_scale_f32 v11, s[2:3], v10, v10, 1.0
	v_fmac_f32_e32 v7, 0xbcc30c31, v9
	v_fma_f32 v7, -v9, v7, s0
	v_rcp_f32_e32 v12, v11
	v_fma_f32 v13, -v11, v12, 1.0
	v_fmac_f32_e32 v12, v13, v12
	v_div_scale_f32 v13, vcc, 1.0, v10, 1.0
	v_mul_f32_e32 v14, v13, v12
	v_fma_f32 v15, -v11, v14, v13
	v_fmac_f32_e32 v14, v15, v12
	v_fma_f32 v11, -v11, v14, v13
	v_div_fmas_f32 v11, v11, v12, v14
	v_div_fixup_f32 v10, v11, v10, 1.0
	v_add_f32_e32 v10, 1.0, v10
	v_fmac_f32_e32 v10, v9, v7
	v_div_scale_f32 v7, s[0:1], v4, v4, v10
	s_add_u32 s0, s8, s6
	s_addc_u32 s1, s9, s7
	v_rcp_f32_e32 v9, v7
	v_fma_f32 v11, -v7, v9, 1.0
	v_fmac_f32_e32 v9, v11, v9
	v_div_scale_f32 v11, vcc, v10, v4, v10
	v_mul_f32_e32 v12, v11, v9
	v_fma_f32 v13, -v7, v12, v11
	v_fmac_f32_e32 v12, v13, v9
	v_fma_f32 v7, -v7, v12, v11
	v_div_fmas_f32 v7, v7, v9, v12
	v_div_fixup_f32 v4, v7, v4, v10
	v_add_f32_e32 v4, v8, v4
	v_mul_f32_e32 v4, v6, v4
	global_store_dwordx4 v5, v[1:4], s[0:1]
	s_mov_b64 s[0:1], 0
.LBB51_26:
	s_and_b64 vcc, exec, s[0:1]
	s_cbranch_vccz .LBB51_65
; %bb.27:
	v_cmp_gt_i32_e64 s[0:1], s18, v0
	v_mov_b32_e32 v9, 0
	v_or_b32_e32 v1, s12, v0
	v_mov_b32_e32 v10, 0
	v_mov_b32_e32 v3, v0
	s_and_saveexec_b64 s[2:3], s[0:1]
	s_cbranch_execz .LBB51_29
; %bb.28:
	v_mov_b32_e32 v2, 0
	v_lshlrev_b64 v[2:3], 2, v[1:2]
	v_mov_b32_e32 v4, s11
	v_add_co_u32_e32 v2, vcc, s10, v2
	v_addc_co_u32_e32 v3, vcc, v4, v3, vcc
	global_load_dword v10, v[2:3], off
	v_or_b32_e32 v3, 0x100, v0
.LBB51_29:
	s_or_b64 exec, exec, s[2:3]
	v_cmp_gt_i32_e32 vcc, s18, v3
	s_and_saveexec_b64 s[2:3], vcc
	s_cbranch_execz .LBB51_31
; %bb.30:
	v_add_u32_e32 v4, s12, v3
	v_mov_b32_e32 v5, 0
	v_lshlrev_b64 v[4:5], 2, v[4:5]
	v_mov_b32_e32 v2, s11
	v_add_co_u32_e32 v4, vcc, s10, v4
	v_addc_co_u32_e32 v5, vcc, v2, v5, vcc
	global_load_dword v9, v[4:5], off
	v_add_u32_e32 v3, 0x100, v3
.LBB51_31:
	s_or_b64 exec, exec, s[2:3]
	v_cmp_gt_i32_e32 vcc, s18, v3
	v_mov_b32_e32 v2, 0
	v_mov_b32_e32 v5, 0
	s_and_saveexec_b64 s[2:3], vcc
	s_cbranch_execz .LBB51_33
; %bb.32:
	v_add_u32_e32 v4, s12, v3
	v_mov_b32_e32 v5, 0
	v_lshlrev_b64 v[4:5], 2, v[4:5]
	v_mov_b32_e32 v6, s11
	v_add_co_u32_e32 v4, vcc, s10, v4
	v_addc_co_u32_e32 v5, vcc, v6, v5, vcc
	global_load_dword v5, v[4:5], off
	v_add_u32_e32 v3, 0x100, v3
.LBB51_33:
	s_or_b64 exec, exec, s[2:3]
	v_cmp_gt_i32_e32 vcc, s18, v3
	s_and_saveexec_b64 s[2:3], vcc
	s_cbranch_execz .LBB51_35
; %bb.34:
	v_add_u32_e32 v2, s12, v3
	v_mov_b32_e32 v3, 0
	v_lshlrev_b64 v[2:3], 2, v[2:3]
	v_mov_b32_e32 v4, s11
	v_add_co_u32_e32 v2, vcc, s10, v2
	v_addc_co_u32_e32 v3, vcc, v4, v3, vcc
	global_load_dword v2, v[2:3], off
.LBB51_35:
	s_or_b64 exec, exec, s[2:3]
	v_mov_b32_e32 v3, 0
	v_mov_b32_e32 v8, v3
	;; [unrolled: 1-line block ×4, first 2 shown]
	s_and_saveexec_b64 s[10:11], s[0:1]
	s_cbranch_execz .LBB51_43
; %bb.36:
	s_waitcnt vmcnt(0)
	v_cmp_gt_f32_e32 vcc, 0.5, v10
	v_mov_b32_e32 v4, 1.0
	s_and_saveexec_b64 s[14:15], vcc
	s_cbranch_execz .LBB51_42
; %bb.37:
	v_mul_f32_e32 v3, 0x40490fdb, v10
	s_brev_b32 s2, 18
	v_and_b32_e32 v4, 0x7fffffff, v3
	v_cmp_nlt_f32_e64 s[2:3], |v3|, s2
                                        ; implicit-def: $vgpr6
                                        ; implicit-def: $vgpr7
	s_and_saveexec_b64 s[4:5], s[2:3]
	s_xor_b64 s[16:17], exec, s[4:5]
	s_cbranch_execz .LBB51_39
; %bb.38:
	v_and_b32_e32 v6, 0x7fffff, v4
	v_or_b32_e32 v17, 0x800000, v6
	s_mov_b32 s2, 0xfe5163ab
	v_mad_u64_u32 v[6:7], s[2:3], v17, s2, 0
	v_mov_b32_e32 v8, 0
	s_mov_b32 s2, 0x3c439041
	v_mad_u64_u32 v[11:12], s[2:3], v17, s2, v[7:8]
	s_mov_b32 s2, 0xdb629599
	v_not_b32_e32 v16, 63
	v_mov_b32_e32 v7, v12
	v_mad_u64_u32 v[12:13], s[2:3], v17, s2, v[7:8]
	s_mov_b32 s2, 0xf534ddc0
	v_not_b32_e32 v19, 31
	v_mov_b32_e32 v7, v13
	v_mad_u64_u32 v[13:14], s[2:3], v17, s2, v[7:8]
	v_lshrrev_b32_e32 v7, 23, v4
	v_add_u32_e32 v18, 0xffffff88, v7
	v_mov_b32_e32 v7, v14
	s_mov_b32 s2, 0xfc2757d1
	v_mad_u64_u32 v[14:15], s[2:3], v17, s2, v[7:8]
	v_cmp_lt_u32_e32 vcc, 63, v18
	v_cndmask_b32_e32 v7, 0, v16, vcc
	v_add_u32_e32 v18, v7, v18
	v_mov_b32_e32 v7, v15
	s_mov_b32 s2, 0x4e441529
	v_mad_u64_u32 v[15:16], s[2:3], v17, s2, v[7:8]
	v_cmp_lt_u32_e64 s[2:3], 31, v18
	v_cndmask_b32_e64 v7, 0, v19, s[2:3]
	v_add_u32_e32 v18, v7, v18
	v_mov_b32_e32 v7, v16
	s_mov_b32 s4, 0xa2f9836e
	v_mad_u64_u32 v[7:8], s[4:5], v17, s4, v[7:8]
	v_cmp_lt_u32_e64 s[4:5], 31, v18
	v_cndmask_b32_e64 v16, 0, v19, s[4:5]
	v_cndmask_b32_e32 v17, v15, v13, vcc
	v_cndmask_b32_e32 v7, v7, v14, vcc
	;; [unrolled: 1-line block ×3, first 2 shown]
	v_add_u32_e32 v16, v16, v18
	v_cndmask_b32_e64 v18, v7, v17, s[2:3]
	v_cndmask_b32_e64 v7, v8, v7, s[2:3]
	v_cndmask_b32_e32 v8, v14, v12, vcc
	v_cndmask_b32_e64 v14, v17, v8, s[2:3]
	v_cndmask_b32_e64 v7, v7, v18, s[4:5]
	;; [unrolled: 1-line block ×3, first 2 shown]
	v_sub_u32_e32 v17, 32, v16
	v_alignbit_b32 v18, v7, v15, v17
	v_cmp_eq_u32_e64 s[6:7], 0, v16
	v_cndmask_b32_e64 v16, v18, v7, s[6:7]
	v_cndmask_b32_e32 v7, v13, v11, vcc
	v_cndmask_b32_e64 v8, v8, v7, s[2:3]
	v_cndmask_b32_e64 v11, v14, v8, s[4:5]
	v_alignbit_b32 v13, v15, v11, v17
	v_cndmask_b32_e32 v6, v12, v6, vcc
	v_cndmask_b32_e64 v13, v13, v15, s[6:7]
	v_bfe_u32 v18, v16, 29, 1
	v_cndmask_b32_e64 v6, v7, v6, s[2:3]
	v_alignbit_b32 v14, v16, v13, 30
	v_sub_u32_e32 v19, 0, v18
	v_cndmask_b32_e64 v6, v8, v6, s[4:5]
	v_xor_b32_e32 v14, v14, v19
	v_alignbit_b32 v7, v11, v6, v17
	v_cndmask_b32_e64 v7, v7, v11, s[6:7]
	v_ffbh_u32_e32 v11, v14
	v_alignbit_b32 v8, v13, v7, 30
	v_min_u32_e32 v11, 32, v11
	v_alignbit_b32 v6, v7, v6, 30
	v_xor_b32_e32 v8, v8, v19
	v_sub_u32_e32 v12, 31, v11
	v_xor_b32_e32 v6, v6, v19
	v_alignbit_b32 v13, v14, v8, v12
	v_alignbit_b32 v6, v8, v6, v12
	;; [unrolled: 1-line block ×3, first 2 shown]
	v_ffbh_u32_e32 v8, v7
	v_min_u32_e32 v8, 32, v8
	v_lshrrev_b32_e32 v15, 29, v16
	v_not_b32_e32 v12, v8
	v_alignbit_b32 v6, v7, v6, v12
	v_lshlrev_b32_e32 v7, 31, v15
	v_or_b32_e32 v12, 0x33000000, v7
	v_add_lshl_u32 v8, v8, v11, 23
	v_lshrrev_b32_e32 v6, 9, v6
	v_sub_u32_e32 v8, v12, v8
	v_or_b32_e32 v7, 0.5, v7
	v_lshlrev_b32_e32 v11, 23, v11
	v_or_b32_e32 v6, v8, v6
	v_lshrrev_b32_e32 v8, 9, v13
	v_sub_u32_e32 v7, v7, v11
	v_or_b32_e32 v7, v8, v7
	s_mov_b32 s2, 0x3fc90fda
	v_mul_f32_e32 v8, 0x3fc90fda, v7
	v_fma_f32 v11, v7, s2, -v8
	v_fmac_f32_e32 v11, 0x33a22168, v7
	v_fmac_f32_e32 v11, 0x3fc90fda, v6
	v_lshrrev_b32_e32 v6, 30, v16
	v_add_f32_e32 v7, v8, v11
	v_add_u32_e32 v6, v18, v6
.LBB51_39:
	s_andn2_saveexec_b64 s[2:3], s[16:17]
	s_cbranch_execz .LBB51_41
; %bb.40:
	s_mov_b32 s4, 0x3f22f983
	v_mul_f32_e64 v6, |v3|, s4
	v_rndne_f32_e32 v8, v6
	s_mov_b32 s4, 0xbfc90fda
	v_cvt_i32_f32_e32 v6, v8
	v_fma_f32 v7, v8, s4, |v3|
	v_fmac_f32_e32 v7, 0xb3a22168, v8
	v_fmac_f32_e32 v7, 0xa7c234c4, v8
.LBB51_41:
	s_or_b64 exec, exec, s[2:3]
	v_mul_f32_e32 v8, v7, v7
	v_mov_b32_e32 v11, 0x3c0881c4
	v_fmac_f32_e32 v11, 0xb94c1982, v8
	v_mov_b32_e32 v12, 0xbe2aaa9d
	v_fmac_f32_e32 v12, v8, v11
	v_mul_f32_e32 v11, v8, v12
	v_fmac_f32_e32 v7, v7, v11
	v_mov_b32_e32 v11, 0xbab64f3b
	v_fmac_f32_e32 v11, 0x37d75334, v8
	v_mov_b32_e32 v12, 0x3d2aabf7
	;; [unrolled: 2-line block ×3, first 2 shown]
	v_fmac_f32_e32 v11, v8, v12
	v_fma_f32 v8, v8, v11, 1.0
	v_and_b32_e32 v11, 1, v6
	v_lshlrev_b32_e32 v6, 30, v6
	v_cmp_eq_u32_e32 vcc, 0, v11
	v_and_b32_e32 v6, 0x80000000, v6
	v_xor_b32_e32 v4, v4, v3
	v_cndmask_b32_e32 v7, v8, v7, vcc
	v_xor_b32_e32 v4, v4, v6
	s_movk_i32 s2, 0x1f8
	v_xor_b32_e32 v4, v4, v7
	v_mov_b32_e32 v6, 0x7fc00000
	v_cmp_class_f32_e64 vcc, v3, s2
	v_cndmask_b32_e32 v3, v6, v4, vcc
	v_mul_f32_e32 v3, v3, v3
	s_mov_b32 s4, 0xc11de9e7
	v_div_scale_f32 v4, s[2:3], v3, v3, s4
	v_div_scale_f32 v6, vcc, s4, v3, s4
	v_sub_f32_e32 v10, 1.0, v10
	v_rcp_f32_e32 v7, v4
	v_fma_f32 v8, -v4, v7, 1.0
	v_fmac_f32_e32 v7, v8, v7
	v_mul_f32_e32 v8, v6, v7
	v_fma_f32 v11, -v4, v8, v6
	v_fmac_f32_e32 v8, v11, v7
	v_fma_f32 v4, -v4, v8, v6
	v_div_fmas_f32 v4, v4, v7, v8
	v_div_fixup_f32 v3, v4, v3, s4
	v_add_f32_e32 v3, 0, v3
	v_mov_b32_e32 v4, -1.0
.LBB51_42:
	s_or_b64 exec, exec, s[14:15]
	v_mul_f32_e32 v6, v10, v10
	v_div_scale_f32 v7, s[2:3], v6, v6, 1.0
	v_rcp_f32_e32 v8, v7
	v_fma_f32 v11, -v7, v8, 1.0
	v_fmac_f32_e32 v8, v11, v8
	v_div_scale_f32 v11, vcc, 1.0, v6, 1.0
	v_mul_f32_e32 v12, v11, v8
	v_fma_f32 v13, -v7, v12, v11
	v_fmac_f32_e32 v12, v13, v8
	v_fma_f32 v7, -v7, v12, v11
	v_div_fmas_f32 v7, v7, v8, v12
	v_div_fixup_f32 v6, v7, v6, 1.0
	v_add_f32_e32 v3, v3, v6
	v_add_f32_e32 v6, 1.0, v10
	v_mul_f32_e32 v7, v6, v6
	v_div_scale_f32 v8, s[2:3], v7, v7, 1.0
	v_add_f32_e32 v6, 1.0, v6
	v_rcp_f32_e32 v10, v8
	v_fma_f32 v11, -v8, v10, 1.0
	v_fmac_f32_e32 v10, v11, v10
	v_div_scale_f32 v11, vcc, 1.0, v7, 1.0
	v_mul_f32_e32 v12, v11, v10
	v_fma_f32 v13, -v8, v12, v11
	v_fmac_f32_e32 v12, v13, v10
	v_fma_f32 v8, -v8, v12, v11
	v_div_fmas_f32 v8, v8, v10, v12
	v_div_fixup_f32 v7, v8, v7, 1.0
	v_add_f32_e32 v3, v3, v7
	v_mul_f32_e32 v7, v6, v6
	v_div_scale_f32 v8, s[2:3], v7, v7, 1.0
	v_add_f32_e32 v6, 1.0, v6
	v_rcp_f32_e32 v10, v8
	v_fma_f32 v11, -v8, v10, 1.0
	v_fmac_f32_e32 v10, v11, v10
	v_div_scale_f32 v11, vcc, 1.0, v7, 1.0
	v_mul_f32_e32 v12, v11, v10
	v_fma_f32 v13, -v8, v12, v11
	v_fmac_f32_e32 v12, v13, v10
	v_fma_f32 v8, -v8, v12, v11
	v_div_fmas_f32 v8, v8, v10, v12
	v_div_fixup_f32 v7, v8, v7, 1.0
	v_add_f32_e32 v3, v3, v7
	;; [unrolled: 14-line block ×5, first 2 shown]
	v_mul_f32_e32 v7, v6, v6
	v_div_scale_f32 v8, s[2:3], v7, v7, 1.0
	v_rcp_f32_e32 v10, v8
	v_fma_f32 v11, -v8, v10, 1.0
	v_fmac_f32_e32 v10, v11, v10
	v_div_scale_f32 v11, vcc, 1.0, v7, 1.0
	v_mul_f32_e32 v12, v11, v10
	v_fma_f32 v13, -v8, v12, v11
	v_fmac_f32_e32 v12, v13, v10
	v_fma_f32 v8, -v8, v12, v11
	v_div_fmas_f32 v8, v8, v10, v12
	v_div_fixup_f32 v7, v8, v7, 1.0
	v_add_f32_e32 v8, v6, v6
	v_div_scale_f32 v10, s[2:3], v8, v8, 1.0
	s_mov_b32 s2, 0x3e2aaaab
	v_rcp_f32_e32 v11, v10
	v_fma_f32 v12, -v10, v11, 1.0
	v_fmac_f32_e32 v11, v12, v11
	v_div_scale_f32 v12, vcc, 1.0, v8, 1.0
	v_mul_f32_e32 v13, v12, v11
	v_fma_f32 v14, -v10, v13, v12
	v_fmac_f32_e32 v13, v14, v11
	v_fma_f32 v10, -v10, v13, v12
	v_div_fmas_f32 v10, v10, v11, v13
	v_div_fixup_f32 v8, v10, v8, 1.0
	v_mov_b32_e32 v10, 0x3d088889
	v_fmac_f32_e32 v10, 0xbcc30c31, v7
	v_add_f32_e32 v8, 1.0, v8
	v_fma_f32 v10, -v7, v10, s2
	v_fmac_f32_e32 v8, v7, v10
	v_div_scale_f32 v7, s[2:3], v6, v6, v8
	v_rcp_f32_e32 v10, v7
	v_fma_f32 v11, -v7, v10, 1.0
	v_fmac_f32_e32 v10, v11, v10
	v_div_scale_f32 v11, vcc, v8, v6, v8
	v_mul_f32_e32 v12, v11, v10
	v_fma_f32 v13, -v7, v12, v11
	v_fmac_f32_e32 v12, v13, v10
	v_fma_f32 v7, -v7, v12, v11
	v_div_fmas_f32 v7, v7, v10, v12
	v_div_fixup_f32 v6, v7, v6, v8
	v_add_f32_e32 v3, v3, v6
	v_mov_b32_e32 v8, 0
	v_mul_f32_e32 v3, v4, v3
	v_mov_b32_e32 v7, v8
	v_mov_b32_e32 v6, v8
.LBB51_43:
	s_or_b64 exec, exec, s[10:11]
	v_or_b32_e32 v4, 0x100, v0
	v_cmp_gt_i32_e32 vcc, s18, v4
	s_and_saveexec_b64 s[10:11], vcc
	s_cbranch_execz .LBB51_51
; %bb.44:
	s_waitcnt vmcnt(0)
	v_cmp_gt_f32_e32 vcc, 0.5, v9
	v_mov_b32_e32 v10, 0
	v_mov_b32_e32 v8, 1.0
	s_and_saveexec_b64 s[14:15], vcc
	s_cbranch_execz .LBB51_50
; %bb.45:
	v_mul_f32_e32 v8, 0x40490fdb, v9
	s_brev_b32 s2, 18
	v_and_b32_e32 v10, 0x7fffffff, v8
	v_cmp_nlt_f32_e64 s[2:3], |v8|, s2
                                        ; implicit-def: $vgpr11
                                        ; implicit-def: $vgpr12
	s_and_saveexec_b64 s[4:5], s[2:3]
	s_xor_b64 s[16:17], exec, s[4:5]
	s_cbranch_execz .LBB51_47
; %bb.46:
	v_and_b32_e32 v11, 0x7fffff, v10
	v_or_b32_e32 v20, 0x800000, v11
	s_mov_b32 s2, 0xfe5163ab
	v_mad_u64_u32 v[11:12], s[2:3], v20, s2, 0
	v_mov_b32_e32 v13, 0
	s_mov_b32 s2, 0x3c439041
	v_mad_u64_u32 v[14:15], s[2:3], v20, s2, v[12:13]
	s_mov_b32 s2, 0xdb629599
	v_not_b32_e32 v19, 63
	v_mov_b32_e32 v12, v15
	v_mad_u64_u32 v[15:16], s[2:3], v20, s2, v[12:13]
	s_mov_b32 s2, 0xf534ddc0
	v_not_b32_e32 v22, 31
	v_mov_b32_e32 v12, v16
	v_mad_u64_u32 v[16:17], s[2:3], v20, s2, v[12:13]
	v_lshrrev_b32_e32 v12, 23, v10
	v_add_u32_e32 v21, 0xffffff88, v12
	v_mov_b32_e32 v12, v17
	s_mov_b32 s2, 0xfc2757d1
	v_mad_u64_u32 v[17:18], s[2:3], v20, s2, v[12:13]
	v_cmp_lt_u32_e32 vcc, 63, v21
	v_cndmask_b32_e32 v12, 0, v19, vcc
	v_add_u32_e32 v21, v12, v21
	v_mov_b32_e32 v12, v18
	s_mov_b32 s2, 0x4e441529
	v_mad_u64_u32 v[18:19], s[2:3], v20, s2, v[12:13]
	v_cmp_lt_u32_e64 s[2:3], 31, v21
	v_cndmask_b32_e64 v12, 0, v22, s[2:3]
	v_add_u32_e32 v21, v12, v21
	v_mov_b32_e32 v12, v19
	s_mov_b32 s4, 0xa2f9836e
	v_mad_u64_u32 v[12:13], s[4:5], v20, s4, v[12:13]
	v_cmp_lt_u32_e64 s[4:5], 31, v21
	v_cndmask_b32_e64 v19, 0, v22, s[4:5]
	v_cndmask_b32_e32 v20, v18, v16, vcc
	v_cndmask_b32_e32 v12, v12, v17, vcc
	;; [unrolled: 1-line block ×3, first 2 shown]
	v_add_u32_e32 v19, v19, v21
	v_cndmask_b32_e64 v21, v12, v20, s[2:3]
	v_cndmask_b32_e64 v12, v13, v12, s[2:3]
	v_cndmask_b32_e32 v13, v17, v15, vcc
	v_cndmask_b32_e64 v17, v20, v13, s[2:3]
	v_cndmask_b32_e64 v12, v12, v21, s[4:5]
	;; [unrolled: 1-line block ×3, first 2 shown]
	v_sub_u32_e32 v20, 32, v19
	v_alignbit_b32 v21, v12, v18, v20
	v_cmp_eq_u32_e64 s[6:7], 0, v19
	v_cndmask_b32_e64 v19, v21, v12, s[6:7]
	v_cndmask_b32_e32 v12, v16, v14, vcc
	v_cndmask_b32_e64 v13, v13, v12, s[2:3]
	v_cndmask_b32_e64 v14, v17, v13, s[4:5]
	v_alignbit_b32 v16, v18, v14, v20
	v_cndmask_b32_e32 v11, v15, v11, vcc
	v_cndmask_b32_e64 v16, v16, v18, s[6:7]
	v_bfe_u32 v21, v19, 29, 1
	v_cndmask_b32_e64 v11, v12, v11, s[2:3]
	v_alignbit_b32 v17, v19, v16, 30
	v_sub_u32_e32 v22, 0, v21
	v_cndmask_b32_e64 v11, v13, v11, s[4:5]
	v_xor_b32_e32 v17, v17, v22
	v_alignbit_b32 v12, v14, v11, v20
	v_cndmask_b32_e64 v12, v12, v14, s[6:7]
	v_ffbh_u32_e32 v14, v17
	v_alignbit_b32 v13, v16, v12, 30
	v_min_u32_e32 v14, 32, v14
	v_alignbit_b32 v11, v12, v11, 30
	v_xor_b32_e32 v13, v13, v22
	v_sub_u32_e32 v15, 31, v14
	v_xor_b32_e32 v11, v11, v22
	v_alignbit_b32 v16, v17, v13, v15
	v_alignbit_b32 v11, v13, v11, v15
	;; [unrolled: 1-line block ×3, first 2 shown]
	v_ffbh_u32_e32 v13, v12
	v_min_u32_e32 v13, 32, v13
	v_lshrrev_b32_e32 v18, 29, v19
	v_not_b32_e32 v15, v13
	v_alignbit_b32 v11, v12, v11, v15
	v_lshlrev_b32_e32 v12, 31, v18
	v_or_b32_e32 v15, 0x33000000, v12
	v_add_lshl_u32 v13, v13, v14, 23
	v_lshrrev_b32_e32 v11, 9, v11
	v_sub_u32_e32 v13, v15, v13
	v_or_b32_e32 v12, 0.5, v12
	v_lshlrev_b32_e32 v14, 23, v14
	v_or_b32_e32 v11, v13, v11
	v_lshrrev_b32_e32 v13, 9, v16
	v_sub_u32_e32 v12, v12, v14
	v_or_b32_e32 v12, v13, v12
	s_mov_b32 s2, 0x3fc90fda
	v_mul_f32_e32 v13, 0x3fc90fda, v12
	v_fma_f32 v14, v12, s2, -v13
	v_fmac_f32_e32 v14, 0x33a22168, v12
	v_fmac_f32_e32 v14, 0x3fc90fda, v11
	v_lshrrev_b32_e32 v11, 30, v19
	v_add_f32_e32 v12, v13, v14
	v_add_u32_e32 v11, v21, v11
.LBB51_47:
	s_andn2_saveexec_b64 s[2:3], s[16:17]
	s_cbranch_execz .LBB51_49
; %bb.48:
	s_mov_b32 s4, 0x3f22f983
	v_mul_f32_e64 v11, |v8|, s4
	v_rndne_f32_e32 v13, v11
	s_mov_b32 s4, 0xbfc90fda
	v_cvt_i32_f32_e32 v11, v13
	v_fma_f32 v12, v13, s4, |v8|
	v_fmac_f32_e32 v12, 0xb3a22168, v13
	v_fmac_f32_e32 v12, 0xa7c234c4, v13
.LBB51_49:
	s_or_b64 exec, exec, s[2:3]
	v_mul_f32_e32 v13, v12, v12
	v_mov_b32_e32 v14, 0x3c0881c4
	v_fmac_f32_e32 v14, 0xb94c1982, v13
	v_mov_b32_e32 v15, 0xbe2aaa9d
	v_fmac_f32_e32 v15, v13, v14
	v_mul_f32_e32 v14, v13, v15
	v_fmac_f32_e32 v12, v12, v14
	v_mov_b32_e32 v14, 0xbab64f3b
	v_fmac_f32_e32 v14, 0x37d75334, v13
	v_mov_b32_e32 v15, 0x3d2aabf7
	;; [unrolled: 2-line block ×3, first 2 shown]
	v_fmac_f32_e32 v14, v13, v15
	v_fma_f32 v13, v13, v14, 1.0
	v_and_b32_e32 v14, 1, v11
	v_lshlrev_b32_e32 v11, 30, v11
	v_cmp_eq_u32_e32 vcc, 0, v14
	v_and_b32_e32 v11, 0x80000000, v11
	v_xor_b32_e32 v10, v10, v8
	v_cndmask_b32_e32 v12, v13, v12, vcc
	v_xor_b32_e32 v10, v10, v11
	s_movk_i32 s2, 0x1f8
	v_xor_b32_e32 v10, v10, v12
	v_mov_b32_e32 v11, 0x7fc00000
	v_cmp_class_f32_e64 vcc, v8, s2
	v_cndmask_b32_e32 v8, v11, v10, vcc
	v_mul_f32_e32 v8, v8, v8
	s_mov_b32 s4, 0xc11de9e7
	v_div_scale_f32 v10, s[2:3], v8, v8, s4
	v_div_scale_f32 v11, vcc, s4, v8, s4
	v_sub_f32_e32 v9, 1.0, v9
	v_rcp_f32_e32 v12, v10
	v_fma_f32 v13, -v10, v12, 1.0
	v_fmac_f32_e32 v12, v13, v12
	v_mul_f32_e32 v13, v11, v12
	v_fma_f32 v14, -v10, v13, v11
	v_fmac_f32_e32 v13, v14, v12
	v_fma_f32 v10, -v10, v13, v11
	v_div_fmas_f32 v10, v10, v12, v13
	v_div_fixup_f32 v8, v10, v8, s4
	v_add_f32_e32 v10, 0, v8
	v_mov_b32_e32 v8, -1.0
.LBB51_50:
	s_or_b64 exec, exec, s[14:15]
	v_mul_f32_e32 v11, v9, v9
	v_div_scale_f32 v12, s[2:3], v11, v11, 1.0
	v_add_f32_e32 v9, 1.0, v9
	v_rcp_f32_e32 v13, v12
	v_fma_f32 v14, -v12, v13, 1.0
	v_fmac_f32_e32 v13, v14, v13
	v_div_scale_f32 v14, vcc, 1.0, v11, 1.0
	v_mul_f32_e32 v15, v14, v13
	v_fma_f32 v16, -v12, v15, v14
	v_fmac_f32_e32 v15, v16, v13
	v_fma_f32 v12, -v12, v15, v14
	v_div_fmas_f32 v12, v12, v13, v15
	v_div_fixup_f32 v11, v12, v11, 1.0
	v_add_f32_e32 v10, v10, v11
	v_mul_f32_e32 v11, v9, v9
	v_div_scale_f32 v12, s[2:3], v11, v11, 1.0
	v_add_f32_e32 v9, 1.0, v9
	v_rcp_f32_e32 v13, v12
	v_fma_f32 v14, -v12, v13, 1.0
	v_fmac_f32_e32 v13, v14, v13
	v_div_scale_f32 v14, vcc, 1.0, v11, 1.0
	v_mul_f32_e32 v15, v14, v13
	v_fma_f32 v16, -v12, v15, v14
	v_fmac_f32_e32 v15, v16, v13
	v_fma_f32 v12, -v12, v15, v14
	v_div_fmas_f32 v12, v12, v13, v15
	v_div_fixup_f32 v11, v12, v11, 1.0
	v_add_f32_e32 v10, v10, v11
	;; [unrolled: 14-line block ×6, first 2 shown]
	v_mul_f32_e32 v11, v9, v9
	v_div_scale_f32 v12, s[2:3], v11, v11, 1.0
	v_rcp_f32_e32 v13, v12
	v_fma_f32 v14, -v12, v13, 1.0
	v_fmac_f32_e32 v13, v14, v13
	v_div_scale_f32 v14, vcc, 1.0, v11, 1.0
	v_mul_f32_e32 v15, v14, v13
	v_fma_f32 v16, -v12, v15, v14
	v_fmac_f32_e32 v15, v16, v13
	v_fma_f32 v12, -v12, v15, v14
	v_div_fmas_f32 v12, v12, v13, v15
	v_div_fixup_f32 v11, v12, v11, 1.0
	v_add_f32_e32 v12, v9, v9
	v_div_scale_f32 v13, s[2:3], v12, v12, 1.0
	s_mov_b32 s2, 0x3e2aaaab
	v_rcp_f32_e32 v14, v13
	v_fma_f32 v15, -v13, v14, 1.0
	v_fmac_f32_e32 v14, v15, v14
	v_div_scale_f32 v15, vcc, 1.0, v12, 1.0
	v_mul_f32_e32 v16, v15, v14
	v_fma_f32 v17, -v13, v16, v15
	v_fmac_f32_e32 v16, v17, v14
	v_fma_f32 v13, -v13, v16, v15
	v_div_fmas_f32 v13, v13, v14, v16
	v_div_fixup_f32 v12, v13, v12, 1.0
	v_mov_b32_e32 v13, 0x3d088889
	v_fmac_f32_e32 v13, 0xbcc30c31, v11
	v_add_f32_e32 v12, 1.0, v12
	v_fma_f32 v13, -v11, v13, s2
	v_fmac_f32_e32 v12, v11, v13
	v_div_scale_f32 v11, s[2:3], v9, v9, v12
	v_rcp_f32_e32 v13, v11
	v_fma_f32 v14, -v11, v13, 1.0
	v_fmac_f32_e32 v13, v14, v13
	v_div_scale_f32 v14, vcc, v12, v9, v12
	v_mul_f32_e32 v15, v14, v13
	v_fma_f32 v16, -v11, v15, v14
	v_fmac_f32_e32 v15, v16, v13
	v_fma_f32 v11, -v11, v15, v14
	v_div_fmas_f32 v11, v11, v13, v15
	v_div_fixup_f32 v9, v11, v9, v12
	v_add_f32_e32 v9, v10, v9
	v_mul_f32_e32 v8, v8, v9
.LBB51_51:
	s_or_b64 exec, exec, s[10:11]
	s_waitcnt vmcnt(0)
	v_or_b32_e32 v9, 0x200, v0
	v_cmp_gt_i32_e32 vcc, s18, v9
	s_and_saveexec_b64 s[10:11], vcc
	s_cbranch_execz .LBB51_59
; %bb.52:
	v_cmp_gt_f32_e32 vcc, 0.5, v5
	v_mov_b32_e32 v9, 0
	v_mov_b32_e32 v7, 1.0
	s_and_saveexec_b64 s[14:15], vcc
	s_cbranch_execz .LBB51_58
; %bb.53:
	v_mul_f32_e32 v7, 0x40490fdb, v5
	s_brev_b32 s2, 18
	v_and_b32_e32 v9, 0x7fffffff, v7
	v_cmp_nlt_f32_e64 s[2:3], |v7|, s2
                                        ; implicit-def: $vgpr10
                                        ; implicit-def: $vgpr11
	s_and_saveexec_b64 s[4:5], s[2:3]
	s_xor_b64 s[16:17], exec, s[4:5]
	s_cbranch_execz .LBB51_55
; %bb.54:
	v_and_b32_e32 v10, 0x7fffff, v9
	v_or_b32_e32 v19, 0x800000, v10
	s_mov_b32 s2, 0xfe5163ab
	v_mad_u64_u32 v[10:11], s[2:3], v19, s2, 0
	v_mov_b32_e32 v12, 0
	s_mov_b32 s2, 0x3c439041
	v_mad_u64_u32 v[13:14], s[2:3], v19, s2, v[11:12]
	s_mov_b32 s2, 0xdb629599
	v_not_b32_e32 v18, 63
	v_mov_b32_e32 v11, v14
	v_mad_u64_u32 v[14:15], s[2:3], v19, s2, v[11:12]
	s_mov_b32 s2, 0xf534ddc0
	v_not_b32_e32 v21, 31
	v_mov_b32_e32 v11, v15
	v_mad_u64_u32 v[15:16], s[2:3], v19, s2, v[11:12]
	v_lshrrev_b32_e32 v11, 23, v9
	v_add_u32_e32 v20, 0xffffff88, v11
	v_mov_b32_e32 v11, v16
	s_mov_b32 s2, 0xfc2757d1
	v_mad_u64_u32 v[16:17], s[2:3], v19, s2, v[11:12]
	v_cmp_lt_u32_e32 vcc, 63, v20
	v_cndmask_b32_e32 v11, 0, v18, vcc
	v_add_u32_e32 v20, v11, v20
	v_mov_b32_e32 v11, v17
	s_mov_b32 s2, 0x4e441529
	v_mad_u64_u32 v[17:18], s[2:3], v19, s2, v[11:12]
	v_cmp_lt_u32_e64 s[2:3], 31, v20
	v_cndmask_b32_e64 v11, 0, v21, s[2:3]
	v_add_u32_e32 v20, v11, v20
	v_mov_b32_e32 v11, v18
	s_mov_b32 s4, 0xa2f9836e
	v_mad_u64_u32 v[11:12], s[4:5], v19, s4, v[11:12]
	v_cmp_lt_u32_e64 s[4:5], 31, v20
	v_cndmask_b32_e64 v18, 0, v21, s[4:5]
	v_cndmask_b32_e32 v19, v17, v15, vcc
	v_cndmask_b32_e32 v11, v11, v16, vcc
	;; [unrolled: 1-line block ×3, first 2 shown]
	v_add_u32_e32 v18, v18, v20
	v_cndmask_b32_e64 v20, v11, v19, s[2:3]
	v_cndmask_b32_e64 v11, v12, v11, s[2:3]
	v_cndmask_b32_e32 v12, v16, v14, vcc
	v_cndmask_b32_e64 v16, v19, v12, s[2:3]
	v_cndmask_b32_e64 v11, v11, v20, s[4:5]
	;; [unrolled: 1-line block ×3, first 2 shown]
	v_sub_u32_e32 v19, 32, v18
	v_alignbit_b32 v20, v11, v17, v19
	v_cmp_eq_u32_e64 s[6:7], 0, v18
	v_cndmask_b32_e64 v18, v20, v11, s[6:7]
	v_cndmask_b32_e32 v11, v15, v13, vcc
	v_cndmask_b32_e64 v12, v12, v11, s[2:3]
	v_cndmask_b32_e64 v13, v16, v12, s[4:5]
	v_alignbit_b32 v15, v17, v13, v19
	v_cndmask_b32_e32 v10, v14, v10, vcc
	v_cndmask_b32_e64 v15, v15, v17, s[6:7]
	v_bfe_u32 v20, v18, 29, 1
	v_cndmask_b32_e64 v10, v11, v10, s[2:3]
	v_alignbit_b32 v16, v18, v15, 30
	v_sub_u32_e32 v21, 0, v20
	v_cndmask_b32_e64 v10, v12, v10, s[4:5]
	v_xor_b32_e32 v16, v16, v21
	v_alignbit_b32 v11, v13, v10, v19
	v_cndmask_b32_e64 v11, v11, v13, s[6:7]
	v_ffbh_u32_e32 v13, v16
	v_alignbit_b32 v12, v15, v11, 30
	v_min_u32_e32 v13, 32, v13
	v_alignbit_b32 v10, v11, v10, 30
	v_xor_b32_e32 v12, v12, v21
	v_sub_u32_e32 v14, 31, v13
	v_xor_b32_e32 v10, v10, v21
	v_alignbit_b32 v15, v16, v12, v14
	v_alignbit_b32 v10, v12, v10, v14
	;; [unrolled: 1-line block ×3, first 2 shown]
	v_ffbh_u32_e32 v12, v11
	v_min_u32_e32 v12, 32, v12
	v_lshrrev_b32_e32 v17, 29, v18
	v_not_b32_e32 v14, v12
	v_alignbit_b32 v10, v11, v10, v14
	v_lshlrev_b32_e32 v11, 31, v17
	v_or_b32_e32 v14, 0x33000000, v11
	v_add_lshl_u32 v12, v12, v13, 23
	v_lshrrev_b32_e32 v10, 9, v10
	v_sub_u32_e32 v12, v14, v12
	v_or_b32_e32 v11, 0.5, v11
	v_lshlrev_b32_e32 v13, 23, v13
	v_or_b32_e32 v10, v12, v10
	v_lshrrev_b32_e32 v12, 9, v15
	v_sub_u32_e32 v11, v11, v13
	v_or_b32_e32 v11, v12, v11
	s_mov_b32 s2, 0x3fc90fda
	v_mul_f32_e32 v12, 0x3fc90fda, v11
	v_fma_f32 v13, v11, s2, -v12
	v_fmac_f32_e32 v13, 0x33a22168, v11
	v_fmac_f32_e32 v13, 0x3fc90fda, v10
	v_lshrrev_b32_e32 v10, 30, v18
	v_add_f32_e32 v11, v12, v13
	v_add_u32_e32 v10, v20, v10
.LBB51_55:
	s_andn2_saveexec_b64 s[2:3], s[16:17]
	s_cbranch_execz .LBB51_57
; %bb.56:
	s_mov_b32 s4, 0x3f22f983
	v_mul_f32_e64 v10, |v7|, s4
	v_rndne_f32_e32 v12, v10
	s_mov_b32 s4, 0xbfc90fda
	v_cvt_i32_f32_e32 v10, v12
	v_fma_f32 v11, v12, s4, |v7|
	v_fmac_f32_e32 v11, 0xb3a22168, v12
	v_fmac_f32_e32 v11, 0xa7c234c4, v12
.LBB51_57:
	s_or_b64 exec, exec, s[2:3]
	v_mul_f32_e32 v12, v11, v11
	v_mov_b32_e32 v13, 0x3c0881c4
	v_fmac_f32_e32 v13, 0xb94c1982, v12
	v_mov_b32_e32 v14, 0xbe2aaa9d
	v_fmac_f32_e32 v14, v12, v13
	v_mul_f32_e32 v13, v12, v14
	v_fmac_f32_e32 v11, v11, v13
	v_mov_b32_e32 v13, 0xbab64f3b
	v_fmac_f32_e32 v13, 0x37d75334, v12
	v_mov_b32_e32 v14, 0x3d2aabf7
	;; [unrolled: 2-line block ×3, first 2 shown]
	v_fmac_f32_e32 v13, v12, v14
	v_fma_f32 v12, v12, v13, 1.0
	v_and_b32_e32 v13, 1, v10
	v_lshlrev_b32_e32 v10, 30, v10
	v_cmp_eq_u32_e32 vcc, 0, v13
	v_and_b32_e32 v10, 0x80000000, v10
	v_xor_b32_e32 v9, v9, v7
	v_cndmask_b32_e32 v11, v12, v11, vcc
	v_xor_b32_e32 v9, v9, v10
	s_movk_i32 s2, 0x1f8
	v_xor_b32_e32 v9, v9, v11
	v_mov_b32_e32 v10, 0x7fc00000
	v_cmp_class_f32_e64 vcc, v7, s2
	v_cndmask_b32_e32 v7, v10, v9, vcc
	v_mul_f32_e32 v7, v7, v7
	s_mov_b32 s4, 0xc11de9e7
	v_div_scale_f32 v9, s[2:3], v7, v7, s4
	v_div_scale_f32 v10, vcc, s4, v7, s4
	v_sub_f32_e32 v5, 1.0, v5
	v_rcp_f32_e32 v11, v9
	v_fma_f32 v12, -v9, v11, 1.0
	v_fmac_f32_e32 v11, v12, v11
	v_mul_f32_e32 v12, v10, v11
	v_fma_f32 v13, -v9, v12, v10
	v_fmac_f32_e32 v12, v13, v11
	v_fma_f32 v9, -v9, v12, v10
	v_div_fmas_f32 v9, v9, v11, v12
	v_div_fixup_f32 v7, v9, v7, s4
	v_add_f32_e32 v9, 0, v7
	v_mov_b32_e32 v7, -1.0
.LBB51_58:
	s_or_b64 exec, exec, s[14:15]
	v_mul_f32_e32 v10, v5, v5
	v_div_scale_f32 v11, s[2:3], v10, v10, 1.0
	v_add_f32_e32 v5, 1.0, v5
	v_rcp_f32_e32 v12, v11
	v_fma_f32 v13, -v11, v12, 1.0
	v_fmac_f32_e32 v12, v13, v12
	v_div_scale_f32 v13, vcc, 1.0, v10, 1.0
	v_mul_f32_e32 v14, v13, v12
	v_fma_f32 v15, -v11, v14, v13
	v_fmac_f32_e32 v14, v15, v12
	v_fma_f32 v11, -v11, v14, v13
	v_div_fmas_f32 v11, v11, v12, v14
	v_div_fixup_f32 v10, v11, v10, 1.0
	v_add_f32_e32 v9, v9, v10
	v_mul_f32_e32 v10, v5, v5
	v_div_scale_f32 v11, s[2:3], v10, v10, 1.0
	v_add_f32_e32 v5, 1.0, v5
	v_rcp_f32_e32 v12, v11
	v_fma_f32 v13, -v11, v12, 1.0
	v_fmac_f32_e32 v12, v13, v12
	v_div_scale_f32 v13, vcc, 1.0, v10, 1.0
	v_mul_f32_e32 v14, v13, v12
	v_fma_f32 v15, -v11, v14, v13
	v_fmac_f32_e32 v14, v15, v12
	v_fma_f32 v11, -v11, v14, v13
	v_div_fmas_f32 v11, v11, v12, v14
	v_div_fixup_f32 v10, v11, v10, 1.0
	v_add_f32_e32 v9, v9, v10
	v_mul_f32_e32 v10, v5, v5
	v_div_scale_f32 v11, s[2:3], v10, v10, 1.0
	v_add_f32_e32 v5, 1.0, v5
	v_rcp_f32_e32 v12, v11
	v_fma_f32 v13, -v11, v12, 1.0
	v_fmac_f32_e32 v12, v13, v12
	v_div_scale_f32 v13, vcc, 1.0, v10, 1.0
	v_mul_f32_e32 v14, v13, v12
	v_fma_f32 v15, -v11, v14, v13
	v_fmac_f32_e32 v14, v15, v12
	v_fma_f32 v11, -v11, v14, v13
	v_div_fmas_f32 v11, v11, v12, v14
	v_div_fixup_f32 v10, v11, v10, 1.0
	v_add_f32_e32 v9, v9, v10
	v_mul_f32_e32 v10, v5, v5
	v_div_scale_f32 v11, s[2:3], v10, v10, 1.0
	v_add_f32_e32 v5, 1.0, v5
	v_rcp_f32_e32 v12, v11
	v_fma_f32 v13, -v11, v12, 1.0
	v_fmac_f32_e32 v12, v13, v12
	v_div_scale_f32 v13, vcc, 1.0, v10, 1.0
	v_mul_f32_e32 v14, v13, v12
	v_fma_f32 v15, -v11, v14, v13
	v_fmac_f32_e32 v14, v15, v12
	v_fma_f32 v11, -v11, v14, v13
	v_div_fmas_f32 v11, v11, v12, v14
	v_div_fixup_f32 v10, v11, v10, 1.0
	v_add_f32_e32 v9, v9, v10
	v_mul_f32_e32 v10, v5, v5
	v_div_scale_f32 v11, s[2:3], v10, v10, 1.0
	v_add_f32_e32 v5, 1.0, v5
	v_rcp_f32_e32 v12, v11
	v_fma_f32 v13, -v11, v12, 1.0
	v_fmac_f32_e32 v12, v13, v12
	v_div_scale_f32 v13, vcc, 1.0, v10, 1.0
	v_mul_f32_e32 v14, v13, v12
	v_fma_f32 v15, -v11, v14, v13
	v_fmac_f32_e32 v14, v15, v12
	v_fma_f32 v11, -v11, v14, v13
	v_div_fmas_f32 v11, v11, v12, v14
	v_div_fixup_f32 v10, v11, v10, 1.0
	v_add_f32_e32 v9, v9, v10
	v_mul_f32_e32 v10, v5, v5
	v_div_scale_f32 v11, s[2:3], v10, v10, 1.0
	v_add_f32_e32 v5, 1.0, v5
	v_rcp_f32_e32 v12, v11
	v_fma_f32 v13, -v11, v12, 1.0
	v_fmac_f32_e32 v12, v13, v12
	v_div_scale_f32 v13, vcc, 1.0, v10, 1.0
	v_mul_f32_e32 v14, v13, v12
	v_fma_f32 v15, -v11, v14, v13
	v_fmac_f32_e32 v14, v15, v12
	v_fma_f32 v11, -v11, v14, v13
	v_div_fmas_f32 v11, v11, v12, v14
	v_div_fixup_f32 v10, v11, v10, 1.0
	v_add_f32_e32 v9, v9, v10
	v_mul_f32_e32 v10, v5, v5
	v_div_scale_f32 v11, s[2:3], v10, v10, 1.0
	v_rcp_f32_e32 v12, v11
	v_fma_f32 v13, -v11, v12, 1.0
	v_fmac_f32_e32 v12, v13, v12
	v_div_scale_f32 v13, vcc, 1.0, v10, 1.0
	v_mul_f32_e32 v14, v13, v12
	v_fma_f32 v15, -v11, v14, v13
	v_fmac_f32_e32 v14, v15, v12
	v_fma_f32 v11, -v11, v14, v13
	v_div_fmas_f32 v11, v11, v12, v14
	v_div_fixup_f32 v10, v11, v10, 1.0
	v_add_f32_e32 v11, v5, v5
	v_div_scale_f32 v12, s[2:3], v11, v11, 1.0
	s_mov_b32 s2, 0x3e2aaaab
	v_rcp_f32_e32 v13, v12
	v_fma_f32 v14, -v12, v13, 1.0
	v_fmac_f32_e32 v13, v14, v13
	v_div_scale_f32 v14, vcc, 1.0, v11, 1.0
	v_mul_f32_e32 v15, v14, v13
	v_fma_f32 v16, -v12, v15, v14
	v_fmac_f32_e32 v15, v16, v13
	v_fma_f32 v12, -v12, v15, v14
	v_div_fmas_f32 v12, v12, v13, v15
	v_div_fixup_f32 v11, v12, v11, 1.0
	v_mov_b32_e32 v12, 0x3d088889
	v_fmac_f32_e32 v12, 0xbcc30c31, v10
	v_add_f32_e32 v11, 1.0, v11
	v_fma_f32 v12, -v10, v12, s2
	v_fmac_f32_e32 v11, v10, v12
	v_div_scale_f32 v10, s[2:3], v5, v5, v11
	v_rcp_f32_e32 v12, v10
	v_fma_f32 v13, -v10, v12, 1.0
	v_fmac_f32_e32 v12, v13, v12
	v_div_scale_f32 v13, vcc, v11, v5, v11
	v_mul_f32_e32 v14, v13, v12
	v_fma_f32 v15, -v10, v14, v13
	v_fmac_f32_e32 v14, v15, v12
	v_fma_f32 v10, -v10, v14, v13
	v_div_fmas_f32 v10, v10, v12, v14
	v_div_fixup_f32 v5, v10, v5, v11
	v_add_f32_e32 v5, v9, v5
	v_mul_f32_e32 v7, v7, v5
.LBB51_59:
	s_or_b64 exec, exec, s[10:11]
	v_or_b32_e32 v5, 0x300, v0
	v_cmp_gt_i32_e32 vcc, s18, v5
	s_and_saveexec_b64 s[10:11], vcc
	s_cbranch_execnz .LBB51_66
; %bb.60:
	s_or_b64 exec, exec, s[10:11]
	s_and_saveexec_b64 s[2:3], s[0:1]
	s_xor_b64 s[0:1], exec, s[2:3]
	s_cbranch_execnz .LBB51_73
.LBB51_61:
	s_or_b64 exec, exec, s[0:1]
	v_cmp_gt_i32_e32 vcc, s18, v0
	s_and_saveexec_b64 s[0:1], vcc
	s_cbranch_execnz .LBB51_74
.LBB51_62:
	s_or_b64 exec, exec, s[0:1]
	v_cmp_gt_i32_e32 vcc, s18, v0
	s_and_saveexec_b64 s[0:1], vcc
	s_cbranch_execnz .LBB51_75
.LBB51_63:
	s_or_b64 exec, exec, s[0:1]
	v_cmp_gt_i32_e32 vcc, s18, v0
	s_and_saveexec_b64 s[0:1], vcc
	s_cbranch_execz .LBB51_65
.LBB51_64:
	v_add_u32_e32 v0, s12, v0
	v_mov_b32_e32 v1, 0
	v_lshlrev_b64 v[0:1], 2, v[0:1]
	v_mov_b32_e32 v2, s9
	v_add_co_u32_e32 v0, vcc, s8, v0
	v_addc_co_u32_e32 v1, vcc, v2, v1, vcc
	global_store_dword v[0:1], v6, off
.LBB51_65:
	s_endpgm
.LBB51_66:
	v_cmp_gt_f32_e32 vcc, 0.5, v2
	v_mov_b32_e32 v6, 0
	v_mov_b32_e32 v5, 1.0
	s_and_saveexec_b64 s[14:15], vcc
	s_cbranch_execz .LBB51_72
; %bb.67:
	v_mul_f32_e32 v5, 0x40490fdb, v2
	s_brev_b32 s2, 18
	v_and_b32_e32 v6, 0x7fffffff, v5
	v_cmp_nlt_f32_e64 s[2:3], |v5|, s2
                                        ; implicit-def: $vgpr9
                                        ; implicit-def: $vgpr10
	s_and_saveexec_b64 s[4:5], s[2:3]
	s_xor_b64 s[16:17], exec, s[4:5]
	s_cbranch_execz .LBB51_69
; %bb.68:
	v_and_b32_e32 v9, 0x7fffff, v6
	v_or_b32_e32 v18, 0x800000, v9
	s_mov_b32 s2, 0xfe5163ab
	v_mad_u64_u32 v[9:10], s[2:3], v18, s2, 0
	v_mov_b32_e32 v11, 0
	s_mov_b32 s2, 0x3c439041
	v_mad_u64_u32 v[12:13], s[2:3], v18, s2, v[10:11]
	s_mov_b32 s2, 0xdb629599
	v_not_b32_e32 v17, 63
	v_mov_b32_e32 v10, v13
	v_mad_u64_u32 v[13:14], s[2:3], v18, s2, v[10:11]
	s_mov_b32 s2, 0xf534ddc0
	v_not_b32_e32 v20, 31
	v_mov_b32_e32 v10, v14
	v_mad_u64_u32 v[14:15], s[2:3], v18, s2, v[10:11]
	v_lshrrev_b32_e32 v10, 23, v6
	v_add_u32_e32 v19, 0xffffff88, v10
	v_mov_b32_e32 v10, v15
	s_mov_b32 s2, 0xfc2757d1
	v_mad_u64_u32 v[15:16], s[2:3], v18, s2, v[10:11]
	v_cmp_lt_u32_e32 vcc, 63, v19
	v_cndmask_b32_e32 v10, 0, v17, vcc
	v_add_u32_e32 v19, v10, v19
	v_mov_b32_e32 v10, v16
	s_mov_b32 s2, 0x4e441529
	v_mad_u64_u32 v[16:17], s[2:3], v18, s2, v[10:11]
	v_cmp_lt_u32_e64 s[2:3], 31, v19
	v_cndmask_b32_e64 v10, 0, v20, s[2:3]
	v_add_u32_e32 v19, v10, v19
	v_mov_b32_e32 v10, v17
	s_mov_b32 s4, 0xa2f9836e
	v_mad_u64_u32 v[10:11], s[4:5], v18, s4, v[10:11]
	v_cmp_lt_u32_e64 s[4:5], 31, v19
	v_cndmask_b32_e64 v17, 0, v20, s[4:5]
	v_cndmask_b32_e32 v18, v16, v14, vcc
	v_cndmask_b32_e32 v10, v10, v15, vcc
	;; [unrolled: 1-line block ×3, first 2 shown]
	v_add_u32_e32 v17, v17, v19
	v_cndmask_b32_e64 v19, v10, v18, s[2:3]
	v_cndmask_b32_e64 v10, v11, v10, s[2:3]
	v_cndmask_b32_e32 v11, v15, v13, vcc
	v_cndmask_b32_e64 v15, v18, v11, s[2:3]
	v_cndmask_b32_e64 v10, v10, v19, s[4:5]
	;; [unrolled: 1-line block ×3, first 2 shown]
	v_sub_u32_e32 v18, 32, v17
	v_alignbit_b32 v19, v10, v16, v18
	v_cmp_eq_u32_e64 s[6:7], 0, v17
	v_cndmask_b32_e64 v17, v19, v10, s[6:7]
	v_cndmask_b32_e32 v10, v14, v12, vcc
	v_cndmask_b32_e64 v11, v11, v10, s[2:3]
	v_cndmask_b32_e64 v12, v15, v11, s[4:5]
	v_alignbit_b32 v14, v16, v12, v18
	v_cndmask_b32_e32 v9, v13, v9, vcc
	v_cndmask_b32_e64 v14, v14, v16, s[6:7]
	v_bfe_u32 v19, v17, 29, 1
	v_cndmask_b32_e64 v9, v10, v9, s[2:3]
	v_alignbit_b32 v15, v17, v14, 30
	v_sub_u32_e32 v20, 0, v19
	v_cndmask_b32_e64 v9, v11, v9, s[4:5]
	v_xor_b32_e32 v15, v15, v20
	v_alignbit_b32 v10, v12, v9, v18
	v_cndmask_b32_e64 v10, v10, v12, s[6:7]
	v_ffbh_u32_e32 v12, v15
	v_alignbit_b32 v11, v14, v10, 30
	v_min_u32_e32 v12, 32, v12
	v_alignbit_b32 v9, v10, v9, 30
	v_xor_b32_e32 v11, v11, v20
	v_sub_u32_e32 v13, 31, v12
	v_xor_b32_e32 v9, v9, v20
	v_alignbit_b32 v14, v15, v11, v13
	v_alignbit_b32 v9, v11, v9, v13
	;; [unrolled: 1-line block ×3, first 2 shown]
	v_ffbh_u32_e32 v11, v10
	v_min_u32_e32 v11, 32, v11
	v_lshrrev_b32_e32 v16, 29, v17
	v_not_b32_e32 v13, v11
	v_alignbit_b32 v9, v10, v9, v13
	v_lshlrev_b32_e32 v10, 31, v16
	v_or_b32_e32 v13, 0x33000000, v10
	v_add_lshl_u32 v11, v11, v12, 23
	v_lshrrev_b32_e32 v9, 9, v9
	v_sub_u32_e32 v11, v13, v11
	v_or_b32_e32 v10, 0.5, v10
	v_lshlrev_b32_e32 v12, 23, v12
	v_or_b32_e32 v9, v11, v9
	v_lshrrev_b32_e32 v11, 9, v14
	v_sub_u32_e32 v10, v10, v12
	v_or_b32_e32 v10, v11, v10
	s_mov_b32 s2, 0x3fc90fda
	v_mul_f32_e32 v11, 0x3fc90fda, v10
	v_fma_f32 v12, v10, s2, -v11
	v_fmac_f32_e32 v12, 0x33a22168, v10
	v_fmac_f32_e32 v12, 0x3fc90fda, v9
	v_lshrrev_b32_e32 v9, 30, v17
	v_add_f32_e32 v10, v11, v12
	v_add_u32_e32 v9, v19, v9
.LBB51_69:
	s_andn2_saveexec_b64 s[2:3], s[16:17]
	s_cbranch_execz .LBB51_71
; %bb.70:
	s_mov_b32 s4, 0x3f22f983
	v_mul_f32_e64 v9, |v5|, s4
	v_rndne_f32_e32 v11, v9
	s_mov_b32 s4, 0xbfc90fda
	v_cvt_i32_f32_e32 v9, v11
	v_fma_f32 v10, v11, s4, |v5|
	v_fmac_f32_e32 v10, 0xb3a22168, v11
	v_fmac_f32_e32 v10, 0xa7c234c4, v11
.LBB51_71:
	s_or_b64 exec, exec, s[2:3]
	v_mul_f32_e32 v11, v10, v10
	v_mov_b32_e32 v12, 0x3c0881c4
	v_fmac_f32_e32 v12, 0xb94c1982, v11
	v_mov_b32_e32 v13, 0xbe2aaa9d
	v_fmac_f32_e32 v13, v11, v12
	v_mul_f32_e32 v12, v11, v13
	v_fmac_f32_e32 v10, v10, v12
	v_mov_b32_e32 v12, 0xbab64f3b
	v_fmac_f32_e32 v12, 0x37d75334, v11
	v_mov_b32_e32 v13, 0x3d2aabf7
	;; [unrolled: 2-line block ×3, first 2 shown]
	v_fmac_f32_e32 v12, v11, v13
	v_fma_f32 v11, v11, v12, 1.0
	v_and_b32_e32 v12, 1, v9
	v_lshlrev_b32_e32 v9, 30, v9
	v_cmp_eq_u32_e32 vcc, 0, v12
	v_and_b32_e32 v9, 0x80000000, v9
	v_xor_b32_e32 v6, v6, v5
	v_cndmask_b32_e32 v10, v11, v10, vcc
	v_xor_b32_e32 v6, v6, v9
	s_movk_i32 s2, 0x1f8
	v_xor_b32_e32 v6, v6, v10
	v_mov_b32_e32 v9, 0x7fc00000
	v_cmp_class_f32_e64 vcc, v5, s2
	v_cndmask_b32_e32 v5, v9, v6, vcc
	v_mul_f32_e32 v5, v5, v5
	s_mov_b32 s4, 0xc11de9e7
	v_div_scale_f32 v6, s[2:3], v5, v5, s4
	v_div_scale_f32 v9, vcc, s4, v5, s4
	v_sub_f32_e32 v2, 1.0, v2
	v_rcp_f32_e32 v10, v6
	v_fma_f32 v11, -v6, v10, 1.0
	v_fmac_f32_e32 v10, v11, v10
	v_mul_f32_e32 v11, v9, v10
	v_fma_f32 v12, -v6, v11, v9
	v_fmac_f32_e32 v11, v12, v10
	v_fma_f32 v6, -v6, v11, v9
	v_div_fmas_f32 v6, v6, v10, v11
	v_div_fixup_f32 v5, v6, v5, s4
	v_add_f32_e32 v6, 0, v5
	v_mov_b32_e32 v5, -1.0
.LBB51_72:
	s_or_b64 exec, exec, s[14:15]
	v_mul_f32_e32 v9, v2, v2
	v_div_scale_f32 v10, s[2:3], v9, v9, 1.0
	v_add_f32_e32 v2, 1.0, v2
	v_rcp_f32_e32 v11, v10
	v_fma_f32 v12, -v10, v11, 1.0
	v_fmac_f32_e32 v11, v12, v11
	v_div_scale_f32 v12, vcc, 1.0, v9, 1.0
	v_mul_f32_e32 v13, v12, v11
	v_fma_f32 v14, -v10, v13, v12
	v_fmac_f32_e32 v13, v14, v11
	v_fma_f32 v10, -v10, v13, v12
	v_div_fmas_f32 v10, v10, v11, v13
	v_div_fixup_f32 v9, v10, v9, 1.0
	v_add_f32_e32 v6, v6, v9
	v_mul_f32_e32 v9, v2, v2
	v_div_scale_f32 v10, s[2:3], v9, v9, 1.0
	v_add_f32_e32 v2, 1.0, v2
	v_rcp_f32_e32 v11, v10
	v_fma_f32 v12, -v10, v11, 1.0
	v_fmac_f32_e32 v11, v12, v11
	v_div_scale_f32 v12, vcc, 1.0, v9, 1.0
	v_mul_f32_e32 v13, v12, v11
	v_fma_f32 v14, -v10, v13, v12
	v_fmac_f32_e32 v13, v14, v11
	v_fma_f32 v10, -v10, v13, v12
	v_div_fmas_f32 v10, v10, v11, v13
	v_div_fixup_f32 v9, v10, v9, 1.0
	v_add_f32_e32 v6, v6, v9
	;; [unrolled: 14-line block ×6, first 2 shown]
	v_mul_f32_e32 v9, v2, v2
	v_div_scale_f32 v10, s[2:3], v9, v9, 1.0
	v_rcp_f32_e32 v11, v10
	v_fma_f32 v12, -v10, v11, 1.0
	v_fmac_f32_e32 v11, v12, v11
	v_div_scale_f32 v12, vcc, 1.0, v9, 1.0
	v_mul_f32_e32 v13, v12, v11
	v_fma_f32 v14, -v10, v13, v12
	v_fmac_f32_e32 v13, v14, v11
	v_fma_f32 v10, -v10, v13, v12
	v_div_fmas_f32 v10, v10, v11, v13
	v_div_fixup_f32 v9, v10, v9, 1.0
	v_add_f32_e32 v10, v2, v2
	v_div_scale_f32 v11, s[2:3], v10, v10, 1.0
	s_mov_b32 s2, 0x3e2aaaab
	v_rcp_f32_e32 v12, v11
	v_fma_f32 v13, -v11, v12, 1.0
	v_fmac_f32_e32 v12, v13, v12
	v_div_scale_f32 v13, vcc, 1.0, v10, 1.0
	v_mul_f32_e32 v14, v13, v12
	v_fma_f32 v15, -v11, v14, v13
	v_fmac_f32_e32 v14, v15, v12
	v_fma_f32 v11, -v11, v14, v13
	v_div_fmas_f32 v11, v11, v12, v14
	v_div_fixup_f32 v10, v11, v10, 1.0
	v_mov_b32_e32 v11, 0x3d088889
	v_fmac_f32_e32 v11, 0xbcc30c31, v9
	v_add_f32_e32 v10, 1.0, v10
	v_fma_f32 v11, -v9, v11, s2
	v_fmac_f32_e32 v10, v9, v11
	v_div_scale_f32 v9, s[2:3], v2, v2, v10
	v_rcp_f32_e32 v11, v9
	v_fma_f32 v12, -v9, v11, 1.0
	v_fmac_f32_e32 v11, v12, v11
	v_div_scale_f32 v12, vcc, v10, v2, v10
	v_mul_f32_e32 v13, v12, v11
	v_fma_f32 v14, -v9, v13, v12
	v_fmac_f32_e32 v13, v14, v11
	v_fma_f32 v9, -v9, v13, v12
	v_div_fmas_f32 v9, v9, v11, v13
	v_div_fixup_f32 v2, v9, v2, v10
	v_add_f32_e32 v2, v6, v2
	v_mul_f32_e32 v6, v5, v2
	s_or_b64 exec, exec, s[10:11]
	s_and_saveexec_b64 s[2:3], s[0:1]
	s_xor_b64 s[0:1], exec, s[2:3]
	s_cbranch_execz .LBB51_61
.LBB51_73:
	v_mov_b32_e32 v2, 0
	v_lshlrev_b64 v[0:1], 2, v[1:2]
	v_mov_b32_e32 v2, s9
	v_add_co_u32_e32 v0, vcc, s8, v0
	v_addc_co_u32_e32 v1, vcc, v2, v1, vcc
	global_store_dword v[0:1], v3, off
	v_mov_b32_e32 v0, v4
	s_or_b64 exec, exec, s[0:1]
	v_cmp_gt_i32_e32 vcc, s18, v0
	s_and_saveexec_b64 s[0:1], vcc
	s_cbranch_execz .LBB51_62
.LBB51_74:
	v_add_u32_e32 v1, s12, v0
	v_mov_b32_e32 v2, 0
	v_lshlrev_b64 v[1:2], 2, v[1:2]
	v_mov_b32_e32 v3, s9
	v_add_co_u32_e32 v1, vcc, s8, v1
	v_addc_co_u32_e32 v2, vcc, v3, v2, vcc
	v_add_u32_e32 v0, 0x100, v0
	global_store_dword v[1:2], v8, off
	s_or_b64 exec, exec, s[0:1]
	v_cmp_gt_i32_e32 vcc, s18, v0
	s_and_saveexec_b64 s[0:1], vcc
	s_cbranch_execz .LBB51_63
.LBB51_75:
	v_add_u32_e32 v1, s12, v0
	v_mov_b32_e32 v2, 0
	v_lshlrev_b64 v[1:2], 2, v[1:2]
	v_mov_b32_e32 v3, s9
	v_add_co_u32_e32 v1, vcc, s8, v1
	v_addc_co_u32_e32 v2, vcc, v3, v2, vcc
	v_add_u32_e32 v0, 0x100, v0
	global_store_dword v[1:2], v7, off
	s_or_b64 exec, exec, s[0:1]
	v_cmp_gt_i32_e32 vcc, s18, v0
	s_and_saveexec_b64 s[0:1], vcc
	s_cbranch_execnz .LBB51_64
	s_branch .LBB51_65
	.section	.rodata,"a",@progbits
	.p2align	6, 0x0
	.amdhsa_kernel _ZN2at6native29vectorized_elementwise_kernelILi8EZZZNS0_20trigamma_kernel_cudaERNS_18TensorIteratorBaseEENKUlvE_clEvENKUlvE0_clEvEUlfE_St5arrayIPcLm2EEEEviT0_T1_
		.amdhsa_group_segment_fixed_size 0
		.amdhsa_private_segment_fixed_size 0
		.amdhsa_kernarg_size 24
		.amdhsa_user_sgpr_count 6
		.amdhsa_user_sgpr_private_segment_buffer 1
		.amdhsa_user_sgpr_dispatch_ptr 0
		.amdhsa_user_sgpr_queue_ptr 0
		.amdhsa_user_sgpr_kernarg_segment_ptr 1
		.amdhsa_user_sgpr_dispatch_id 0
		.amdhsa_user_sgpr_flat_scratch_init 0
		.amdhsa_user_sgpr_private_segment_size 0
		.amdhsa_uses_dynamic_stack 0
		.amdhsa_system_sgpr_private_segment_wavefront_offset 0
		.amdhsa_system_sgpr_workgroup_id_x 1
		.amdhsa_system_sgpr_workgroup_id_y 0
		.amdhsa_system_sgpr_workgroup_id_z 0
		.amdhsa_system_sgpr_workgroup_info 0
		.amdhsa_system_vgpr_workitem_id 0
		.amdhsa_next_free_vgpr 26
		.amdhsa_next_free_sgpr 19
		.amdhsa_reserve_vcc 1
		.amdhsa_reserve_flat_scratch 0
		.amdhsa_float_round_mode_32 0
		.amdhsa_float_round_mode_16_64 0
		.amdhsa_float_denorm_mode_32 3
		.amdhsa_float_denorm_mode_16_64 3
		.amdhsa_dx10_clamp 1
		.amdhsa_ieee_mode 1
		.amdhsa_fp16_overflow 0
		.amdhsa_exception_fp_ieee_invalid_op 0
		.amdhsa_exception_fp_denorm_src 0
		.amdhsa_exception_fp_ieee_div_zero 0
		.amdhsa_exception_fp_ieee_overflow 0
		.amdhsa_exception_fp_ieee_underflow 0
		.amdhsa_exception_fp_ieee_inexact 0
		.amdhsa_exception_int_div_zero 0
	.end_amdhsa_kernel
	.section	.text._ZN2at6native29vectorized_elementwise_kernelILi8EZZZNS0_20trigamma_kernel_cudaERNS_18TensorIteratorBaseEENKUlvE_clEvENKUlvE0_clEvEUlfE_St5arrayIPcLm2EEEEviT0_T1_,"axG",@progbits,_ZN2at6native29vectorized_elementwise_kernelILi8EZZZNS0_20trigamma_kernel_cudaERNS_18TensorIteratorBaseEENKUlvE_clEvENKUlvE0_clEvEUlfE_St5arrayIPcLm2EEEEviT0_T1_,comdat
.Lfunc_end51:
	.size	_ZN2at6native29vectorized_elementwise_kernelILi8EZZZNS0_20trigamma_kernel_cudaERNS_18TensorIteratorBaseEENKUlvE_clEvENKUlvE0_clEvEUlfE_St5arrayIPcLm2EEEEviT0_T1_, .Lfunc_end51-_ZN2at6native29vectorized_elementwise_kernelILi8EZZZNS0_20trigamma_kernel_cudaERNS_18TensorIteratorBaseEENKUlvE_clEvENKUlvE0_clEvEUlfE_St5arrayIPcLm2EEEEviT0_T1_
                                        ; -- End function
	.set _ZN2at6native29vectorized_elementwise_kernelILi8EZZZNS0_20trigamma_kernel_cudaERNS_18TensorIteratorBaseEENKUlvE_clEvENKUlvE0_clEvEUlfE_St5arrayIPcLm2EEEEviT0_T1_.num_vgpr, 26
	.set _ZN2at6native29vectorized_elementwise_kernelILi8EZZZNS0_20trigamma_kernel_cudaERNS_18TensorIteratorBaseEENKUlvE_clEvENKUlvE0_clEvEUlfE_St5arrayIPcLm2EEEEviT0_T1_.num_agpr, 0
	.set _ZN2at6native29vectorized_elementwise_kernelILi8EZZZNS0_20trigamma_kernel_cudaERNS_18TensorIteratorBaseEENKUlvE_clEvENKUlvE0_clEvEUlfE_St5arrayIPcLm2EEEEviT0_T1_.numbered_sgpr, 19
	.set _ZN2at6native29vectorized_elementwise_kernelILi8EZZZNS0_20trigamma_kernel_cudaERNS_18TensorIteratorBaseEENKUlvE_clEvENKUlvE0_clEvEUlfE_St5arrayIPcLm2EEEEviT0_T1_.num_named_barrier, 0
	.set _ZN2at6native29vectorized_elementwise_kernelILi8EZZZNS0_20trigamma_kernel_cudaERNS_18TensorIteratorBaseEENKUlvE_clEvENKUlvE0_clEvEUlfE_St5arrayIPcLm2EEEEviT0_T1_.private_seg_size, 0
	.set _ZN2at6native29vectorized_elementwise_kernelILi8EZZZNS0_20trigamma_kernel_cudaERNS_18TensorIteratorBaseEENKUlvE_clEvENKUlvE0_clEvEUlfE_St5arrayIPcLm2EEEEviT0_T1_.uses_vcc, 1
	.set _ZN2at6native29vectorized_elementwise_kernelILi8EZZZNS0_20trigamma_kernel_cudaERNS_18TensorIteratorBaseEENKUlvE_clEvENKUlvE0_clEvEUlfE_St5arrayIPcLm2EEEEviT0_T1_.uses_flat_scratch, 0
	.set _ZN2at6native29vectorized_elementwise_kernelILi8EZZZNS0_20trigamma_kernel_cudaERNS_18TensorIteratorBaseEENKUlvE_clEvENKUlvE0_clEvEUlfE_St5arrayIPcLm2EEEEviT0_T1_.has_dyn_sized_stack, 0
	.set _ZN2at6native29vectorized_elementwise_kernelILi8EZZZNS0_20trigamma_kernel_cudaERNS_18TensorIteratorBaseEENKUlvE_clEvENKUlvE0_clEvEUlfE_St5arrayIPcLm2EEEEviT0_T1_.has_recursion, 0
	.set _ZN2at6native29vectorized_elementwise_kernelILi8EZZZNS0_20trigamma_kernel_cudaERNS_18TensorIteratorBaseEENKUlvE_clEvENKUlvE0_clEvEUlfE_St5arrayIPcLm2EEEEviT0_T1_.has_indirect_call, 0
	.section	.AMDGPU.csdata,"",@progbits
; Kernel info:
; codeLenInByte = 14696
; TotalNumSgprs: 23
; NumVgprs: 26
; ScratchSize: 0
; MemoryBound: 0
; FloatMode: 240
; IeeeMode: 1
; LDSByteSize: 0 bytes/workgroup (compile time only)
; SGPRBlocks: 2
; VGPRBlocks: 6
; NumSGPRsForWavesPerEU: 23
; NumVGPRsForWavesPerEU: 26
; Occupancy: 9
; WaveLimiterHint : 0
; COMPUTE_PGM_RSRC2:SCRATCH_EN: 0
; COMPUTE_PGM_RSRC2:USER_SGPR: 6
; COMPUTE_PGM_RSRC2:TRAP_HANDLER: 0
; COMPUTE_PGM_RSRC2:TGID_X_EN: 1
; COMPUTE_PGM_RSRC2:TGID_Y_EN: 0
; COMPUTE_PGM_RSRC2:TGID_Z_EN: 0
; COMPUTE_PGM_RSRC2:TIDIG_COMP_CNT: 0
	.section	.text._ZN2at6native29vectorized_elementwise_kernelILi4EZZZNS0_20trigamma_kernel_cudaERNS_18TensorIteratorBaseEENKUlvE_clEvENKUlvE0_clEvEUlfE_St5arrayIPcLm2EEEEviT0_T1_,"axG",@progbits,_ZN2at6native29vectorized_elementwise_kernelILi4EZZZNS0_20trigamma_kernel_cudaERNS_18TensorIteratorBaseEENKUlvE_clEvENKUlvE0_clEvEUlfE_St5arrayIPcLm2EEEEviT0_T1_,comdat
	.globl	_ZN2at6native29vectorized_elementwise_kernelILi4EZZZNS0_20trigamma_kernel_cudaERNS_18TensorIteratorBaseEENKUlvE_clEvENKUlvE0_clEvEUlfE_St5arrayIPcLm2EEEEviT0_T1_ ; -- Begin function _ZN2at6native29vectorized_elementwise_kernelILi4EZZZNS0_20trigamma_kernel_cudaERNS_18TensorIteratorBaseEENKUlvE_clEvENKUlvE0_clEvEUlfE_St5arrayIPcLm2EEEEviT0_T1_
	.p2align	8
	.type	_ZN2at6native29vectorized_elementwise_kernelILi4EZZZNS0_20trigamma_kernel_cudaERNS_18TensorIteratorBaseEENKUlvE_clEvENKUlvE0_clEvEUlfE_St5arrayIPcLm2EEEEviT0_T1_,@function
_ZN2at6native29vectorized_elementwise_kernelILi4EZZZNS0_20trigamma_kernel_cudaERNS_18TensorIteratorBaseEENKUlvE_clEvENKUlvE0_clEvEUlfE_St5arrayIPcLm2EEEEviT0_T1_: ; @_ZN2at6native29vectorized_elementwise_kernelILi4EZZZNS0_20trigamma_kernel_cudaERNS_18TensorIteratorBaseEENKUlvE_clEvENKUlvE0_clEvEUlfE_St5arrayIPcLm2EEEEviT0_T1_
; %bb.0:
	s_load_dword s0, s[4:5], 0x0
	s_load_dwordx4 s[8:11], s[4:5], 0x8
	s_lshl_b32 s12, s6, 10
	s_waitcnt lgkmcnt(0)
	s_sub_i32 s18, s0, s12
	s_cmpk_gt_i32 s18, 0x3ff
	s_mov_b64 s[0:1], -1
	s_cbranch_scc0 .LBB52_26
; %bb.1:
	s_ashr_i32 s13, s12, 31
	s_lshl_b64 s[6:7], s[12:13], 2
	s_add_u32 s0, s10, s6
	s_addc_u32 s1, s11, s7
	v_lshlrev_b32_e32 v5, 4, v0
	global_load_dwordx4 v[1:4], v5, s[0:1]
	v_mov_b32_e32 v9, 0
	v_mov_b32_e32 v8, 1.0
	s_waitcnt vmcnt(0)
	v_cmp_gt_f32_e32 vcc, 0.5, v1
	s_and_saveexec_b64 s[14:15], vcc
	s_cbranch_execz .LBB52_7
; %bb.2:
	v_mul_f32_e32 v6, 0x40490fdb, v1
	s_brev_b32 s0, 18
	v_and_b32_e32 v7, 0x7fffffff, v6
	v_cmp_nlt_f32_e64 s[0:1], |v6|, s0
                                        ; implicit-def: $vgpr8
                                        ; implicit-def: $vgpr9
	s_and_saveexec_b64 s[2:3], s[0:1]
	s_xor_b64 s[16:17], exec, s[2:3]
	s_cbranch_execz .LBB52_4
; %bb.3:
	v_and_b32_e32 v8, 0x7fffff, v7
	v_or_b32_e32 v17, 0x800000, v8
	s_mov_b32 s0, 0xfe5163ab
	v_mad_u64_u32 v[8:9], s[0:1], v17, s0, 0
	v_mov_b32_e32 v10, 0
	s_mov_b32 s0, 0x3c439041
	v_mad_u64_u32 v[11:12], s[0:1], v17, s0, v[9:10]
	s_mov_b32 s0, 0xdb629599
	v_not_b32_e32 v16, 63
	v_mov_b32_e32 v9, v12
	v_mad_u64_u32 v[12:13], s[0:1], v17, s0, v[9:10]
	s_mov_b32 s0, 0xf534ddc0
	v_not_b32_e32 v19, 31
	v_mov_b32_e32 v9, v13
	v_mad_u64_u32 v[13:14], s[0:1], v17, s0, v[9:10]
	v_lshrrev_b32_e32 v9, 23, v7
	v_add_u32_e32 v18, 0xffffff88, v9
	v_mov_b32_e32 v9, v14
	s_mov_b32 s0, 0xfc2757d1
	v_mad_u64_u32 v[14:15], s[0:1], v17, s0, v[9:10]
	v_cmp_lt_u32_e32 vcc, 63, v18
	v_cndmask_b32_e32 v9, 0, v16, vcc
	v_add_u32_e32 v18, v9, v18
	v_mov_b32_e32 v9, v15
	s_mov_b32 s0, 0x4e441529
	v_mad_u64_u32 v[15:16], s[0:1], v17, s0, v[9:10]
	v_cmp_lt_u32_e64 s[0:1], 31, v18
	v_cndmask_b32_e64 v9, 0, v19, s[0:1]
	v_add_u32_e32 v18, v9, v18
	v_mov_b32_e32 v9, v16
	s_mov_b32 s2, 0xa2f9836e
	v_mad_u64_u32 v[9:10], s[2:3], v17, s2, v[9:10]
	v_cmp_lt_u32_e64 s[2:3], 31, v18
	v_cndmask_b32_e64 v16, 0, v19, s[2:3]
	v_cndmask_b32_e32 v17, v15, v13, vcc
	v_cndmask_b32_e32 v9, v9, v14, vcc
	;; [unrolled: 1-line block ×3, first 2 shown]
	v_add_u32_e32 v16, v16, v18
	v_cndmask_b32_e64 v18, v9, v17, s[0:1]
	v_cndmask_b32_e64 v9, v10, v9, s[0:1]
	v_cndmask_b32_e32 v10, v14, v12, vcc
	v_cndmask_b32_e64 v14, v17, v10, s[0:1]
	v_cndmask_b32_e64 v9, v9, v18, s[2:3]
	;; [unrolled: 1-line block ×3, first 2 shown]
	v_sub_u32_e32 v17, 32, v16
	v_alignbit_b32 v18, v9, v15, v17
	v_cmp_eq_u32_e64 s[4:5], 0, v16
	v_cndmask_b32_e64 v16, v18, v9, s[4:5]
	v_cndmask_b32_e32 v9, v13, v11, vcc
	v_cndmask_b32_e64 v10, v10, v9, s[0:1]
	v_cndmask_b32_e64 v11, v14, v10, s[2:3]
	v_alignbit_b32 v13, v15, v11, v17
	v_cndmask_b32_e32 v8, v12, v8, vcc
	v_cndmask_b32_e64 v13, v13, v15, s[4:5]
	v_bfe_u32 v18, v16, 29, 1
	v_cndmask_b32_e64 v8, v9, v8, s[0:1]
	v_alignbit_b32 v14, v16, v13, 30
	v_sub_u32_e32 v19, 0, v18
	v_cndmask_b32_e64 v8, v10, v8, s[2:3]
	v_xor_b32_e32 v14, v14, v19
	v_alignbit_b32 v9, v11, v8, v17
	v_cndmask_b32_e64 v9, v9, v11, s[4:5]
	v_ffbh_u32_e32 v11, v14
	v_alignbit_b32 v10, v13, v9, 30
	v_min_u32_e32 v11, 32, v11
	v_alignbit_b32 v8, v9, v8, 30
	v_xor_b32_e32 v10, v10, v19
	v_sub_u32_e32 v12, 31, v11
	v_xor_b32_e32 v8, v8, v19
	v_alignbit_b32 v13, v14, v10, v12
	v_alignbit_b32 v8, v10, v8, v12
	;; [unrolled: 1-line block ×3, first 2 shown]
	v_ffbh_u32_e32 v10, v9
	v_min_u32_e32 v10, 32, v10
	v_lshrrev_b32_e32 v15, 29, v16
	v_not_b32_e32 v12, v10
	v_alignbit_b32 v8, v9, v8, v12
	v_lshlrev_b32_e32 v9, 31, v15
	v_or_b32_e32 v12, 0x33000000, v9
	v_add_lshl_u32 v10, v10, v11, 23
	v_lshrrev_b32_e32 v8, 9, v8
	v_sub_u32_e32 v10, v12, v10
	v_or_b32_e32 v9, 0.5, v9
	v_lshlrev_b32_e32 v11, 23, v11
	v_or_b32_e32 v8, v10, v8
	v_lshrrev_b32_e32 v10, 9, v13
	v_sub_u32_e32 v9, v9, v11
	v_or_b32_e32 v9, v10, v9
	s_mov_b32 s0, 0x3fc90fda
	v_mul_f32_e32 v10, 0x3fc90fda, v9
	v_fma_f32 v11, v9, s0, -v10
	v_fmac_f32_e32 v11, 0x33a22168, v9
	v_fmac_f32_e32 v11, 0x3fc90fda, v8
	v_lshrrev_b32_e32 v8, 30, v16
	v_add_f32_e32 v9, v10, v11
	v_add_u32_e32 v8, v18, v8
.LBB52_4:
	s_andn2_saveexec_b64 s[0:1], s[16:17]
	s_cbranch_execz .LBB52_6
; %bb.5:
	s_mov_b32 s2, 0x3f22f983
	v_mul_f32_e64 v8, |v6|, s2
	v_rndne_f32_e32 v10, v8
	s_mov_b32 s2, 0xbfc90fda
	v_cvt_i32_f32_e32 v8, v10
	v_fma_f32 v9, v10, s2, |v6|
	v_fmac_f32_e32 v9, 0xb3a22168, v10
	v_fmac_f32_e32 v9, 0xa7c234c4, v10
.LBB52_6:
	s_or_b64 exec, exec, s[0:1]
	v_mul_f32_e32 v10, v9, v9
	v_mov_b32_e32 v11, 0x3c0881c4
	v_fmac_f32_e32 v11, 0xb94c1982, v10
	v_mov_b32_e32 v12, 0xbe2aaa9d
	v_fmac_f32_e32 v12, v10, v11
	v_mul_f32_e32 v11, v10, v12
	v_fmac_f32_e32 v9, v9, v11
	v_mov_b32_e32 v11, 0xbab64f3b
	v_fmac_f32_e32 v11, 0x37d75334, v10
	v_mov_b32_e32 v12, 0x3d2aabf7
	;; [unrolled: 2-line block ×3, first 2 shown]
	v_fmac_f32_e32 v11, v10, v12
	v_fma_f32 v10, v10, v11, 1.0
	v_and_b32_e32 v11, 1, v8
	v_lshlrev_b32_e32 v8, 30, v8
	v_cmp_eq_u32_e32 vcc, 0, v11
	v_and_b32_e32 v8, 0x80000000, v8
	v_xor_b32_e32 v7, v7, v6
	v_cndmask_b32_e32 v9, v10, v9, vcc
	v_xor_b32_e32 v7, v7, v8
	s_movk_i32 s0, 0x1f8
	v_xor_b32_e32 v7, v7, v9
	v_mov_b32_e32 v8, 0x7fc00000
	v_cmp_class_f32_e64 vcc, v6, s0
	v_cndmask_b32_e32 v6, v8, v7, vcc
	v_mul_f32_e32 v6, v6, v6
	s_mov_b32 s2, 0xc11de9e7
	v_div_scale_f32 v7, s[0:1], v6, v6, s2
	v_div_scale_f32 v8, vcc, s2, v6, s2
	v_sub_f32_e32 v1, 1.0, v1
	v_rcp_f32_e32 v9, v7
	v_fma_f32 v10, -v7, v9, 1.0
	v_fmac_f32_e32 v9, v10, v9
	v_mul_f32_e32 v10, v8, v9
	v_fma_f32 v11, -v7, v10, v8
	v_fmac_f32_e32 v10, v11, v9
	v_fma_f32 v7, -v7, v10, v8
	v_div_fmas_f32 v7, v7, v9, v10
	v_mov_b32_e32 v8, -1.0
	v_div_fixup_f32 v6, v7, v6, s2
	v_add_f32_e32 v9, 0, v6
.LBB52_7:
	s_or_b64 exec, exec, s[14:15]
	v_cmp_gt_f32_e32 vcc, 0.5, v2
	v_mov_b32_e32 v12, 0
	v_mov_b32_e32 v11, 1.0
	s_and_saveexec_b64 s[14:15], vcc
	s_cbranch_execz .LBB52_13
; %bb.8:
	v_mul_f32_e32 v6, 0x40490fdb, v2
	s_brev_b32 s0, 18
	v_and_b32_e32 v7, 0x7fffffff, v6
	v_cmp_nlt_f32_e64 s[0:1], |v6|, s0
                                        ; implicit-def: $vgpr10
                                        ; implicit-def: $vgpr11
	s_and_saveexec_b64 s[2:3], s[0:1]
	s_xor_b64 s[16:17], exec, s[2:3]
	s_cbranch_execz .LBB52_10
; %bb.9:
	v_and_b32_e32 v10, 0x7fffff, v7
	v_or_b32_e32 v19, 0x800000, v10
	s_mov_b32 s0, 0xfe5163ab
	v_mad_u64_u32 v[10:11], s[0:1], v19, s0, 0
	v_mov_b32_e32 v12, 0
	s_mov_b32 s0, 0x3c439041
	v_mad_u64_u32 v[13:14], s[0:1], v19, s0, v[11:12]
	s_mov_b32 s0, 0xdb629599
	v_not_b32_e32 v18, 63
	v_mov_b32_e32 v11, v14
	v_mad_u64_u32 v[14:15], s[0:1], v19, s0, v[11:12]
	s_mov_b32 s0, 0xf534ddc0
	v_not_b32_e32 v21, 31
	v_mov_b32_e32 v11, v15
	v_mad_u64_u32 v[15:16], s[0:1], v19, s0, v[11:12]
	v_lshrrev_b32_e32 v11, 23, v7
	v_add_u32_e32 v20, 0xffffff88, v11
	v_mov_b32_e32 v11, v16
	s_mov_b32 s0, 0xfc2757d1
	v_mad_u64_u32 v[16:17], s[0:1], v19, s0, v[11:12]
	v_cmp_lt_u32_e32 vcc, 63, v20
	v_cndmask_b32_e32 v11, 0, v18, vcc
	v_add_u32_e32 v20, v11, v20
	v_mov_b32_e32 v11, v17
	s_mov_b32 s0, 0x4e441529
	v_mad_u64_u32 v[17:18], s[0:1], v19, s0, v[11:12]
	v_cmp_lt_u32_e64 s[0:1], 31, v20
	v_cndmask_b32_e64 v11, 0, v21, s[0:1]
	v_add_u32_e32 v20, v11, v20
	v_mov_b32_e32 v11, v18
	s_mov_b32 s2, 0xa2f9836e
	v_mad_u64_u32 v[11:12], s[2:3], v19, s2, v[11:12]
	v_cmp_lt_u32_e64 s[2:3], 31, v20
	v_cndmask_b32_e64 v18, 0, v21, s[2:3]
	v_cndmask_b32_e32 v19, v17, v15, vcc
	v_cndmask_b32_e32 v11, v11, v16, vcc
	;; [unrolled: 1-line block ×3, first 2 shown]
	v_add_u32_e32 v18, v18, v20
	v_cndmask_b32_e64 v20, v11, v19, s[0:1]
	v_cndmask_b32_e64 v11, v12, v11, s[0:1]
	v_cndmask_b32_e32 v12, v16, v14, vcc
	v_cndmask_b32_e64 v16, v19, v12, s[0:1]
	v_cndmask_b32_e64 v11, v11, v20, s[2:3]
	;; [unrolled: 1-line block ×3, first 2 shown]
	v_sub_u32_e32 v19, 32, v18
	v_alignbit_b32 v20, v11, v17, v19
	v_cmp_eq_u32_e64 s[4:5], 0, v18
	v_cndmask_b32_e64 v18, v20, v11, s[4:5]
	v_cndmask_b32_e32 v11, v15, v13, vcc
	v_cndmask_b32_e64 v12, v12, v11, s[0:1]
	v_cndmask_b32_e64 v13, v16, v12, s[2:3]
	v_alignbit_b32 v15, v17, v13, v19
	v_cndmask_b32_e32 v10, v14, v10, vcc
	v_cndmask_b32_e64 v15, v15, v17, s[4:5]
	v_bfe_u32 v20, v18, 29, 1
	v_cndmask_b32_e64 v10, v11, v10, s[0:1]
	v_alignbit_b32 v16, v18, v15, 30
	v_sub_u32_e32 v21, 0, v20
	v_cndmask_b32_e64 v10, v12, v10, s[2:3]
	v_xor_b32_e32 v16, v16, v21
	v_alignbit_b32 v11, v13, v10, v19
	v_cndmask_b32_e64 v11, v11, v13, s[4:5]
	v_ffbh_u32_e32 v13, v16
	v_alignbit_b32 v12, v15, v11, 30
	v_min_u32_e32 v13, 32, v13
	v_alignbit_b32 v10, v11, v10, 30
	v_xor_b32_e32 v12, v12, v21
	v_sub_u32_e32 v14, 31, v13
	v_xor_b32_e32 v10, v10, v21
	v_alignbit_b32 v15, v16, v12, v14
	v_alignbit_b32 v10, v12, v10, v14
	;; [unrolled: 1-line block ×3, first 2 shown]
	v_ffbh_u32_e32 v12, v11
	v_min_u32_e32 v12, 32, v12
	v_lshrrev_b32_e32 v17, 29, v18
	v_not_b32_e32 v14, v12
	v_alignbit_b32 v10, v11, v10, v14
	v_lshlrev_b32_e32 v11, 31, v17
	v_or_b32_e32 v14, 0x33000000, v11
	v_add_lshl_u32 v12, v12, v13, 23
	v_lshrrev_b32_e32 v10, 9, v10
	v_sub_u32_e32 v12, v14, v12
	v_or_b32_e32 v11, 0.5, v11
	v_lshlrev_b32_e32 v13, 23, v13
	v_or_b32_e32 v10, v12, v10
	v_lshrrev_b32_e32 v12, 9, v15
	v_sub_u32_e32 v11, v11, v13
	v_or_b32_e32 v11, v12, v11
	s_mov_b32 s0, 0x3fc90fda
	v_mul_f32_e32 v12, 0x3fc90fda, v11
	v_fma_f32 v13, v11, s0, -v12
	v_fmac_f32_e32 v13, 0x33a22168, v11
	v_fmac_f32_e32 v13, 0x3fc90fda, v10
	v_lshrrev_b32_e32 v10, 30, v18
	v_add_f32_e32 v11, v12, v13
	v_add_u32_e32 v10, v20, v10
.LBB52_10:
	s_andn2_saveexec_b64 s[0:1], s[16:17]
	s_cbranch_execz .LBB52_12
; %bb.11:
	s_mov_b32 s2, 0x3f22f983
	v_mul_f32_e64 v10, |v6|, s2
	v_rndne_f32_e32 v12, v10
	s_mov_b32 s2, 0xbfc90fda
	v_cvt_i32_f32_e32 v10, v12
	v_fma_f32 v11, v12, s2, |v6|
	v_fmac_f32_e32 v11, 0xb3a22168, v12
	v_fmac_f32_e32 v11, 0xa7c234c4, v12
.LBB52_12:
	s_or_b64 exec, exec, s[0:1]
	v_mul_f32_e32 v12, v11, v11
	v_mov_b32_e32 v13, 0x3c0881c4
	v_fmac_f32_e32 v13, 0xb94c1982, v12
	v_mov_b32_e32 v14, 0xbe2aaa9d
	v_fmac_f32_e32 v14, v12, v13
	v_mul_f32_e32 v13, v12, v14
	v_fmac_f32_e32 v11, v11, v13
	v_mov_b32_e32 v13, 0xbab64f3b
	v_fmac_f32_e32 v13, 0x37d75334, v12
	v_mov_b32_e32 v14, 0x3d2aabf7
	;; [unrolled: 2-line block ×3, first 2 shown]
	v_fmac_f32_e32 v13, v12, v14
	v_fma_f32 v12, v12, v13, 1.0
	v_and_b32_e32 v13, 1, v10
	v_lshlrev_b32_e32 v10, 30, v10
	v_cmp_eq_u32_e32 vcc, 0, v13
	v_and_b32_e32 v10, 0x80000000, v10
	v_xor_b32_e32 v7, v7, v6
	v_cndmask_b32_e32 v11, v12, v11, vcc
	v_xor_b32_e32 v7, v7, v10
	s_movk_i32 s0, 0x1f8
	v_xor_b32_e32 v7, v7, v11
	v_mov_b32_e32 v10, 0x7fc00000
	v_cmp_class_f32_e64 vcc, v6, s0
	v_cndmask_b32_e32 v6, v10, v7, vcc
	v_mul_f32_e32 v6, v6, v6
	s_mov_b32 s2, 0xc11de9e7
	v_div_scale_f32 v7, s[0:1], v6, v6, s2
	v_div_scale_f32 v10, vcc, s2, v6, s2
	v_sub_f32_e32 v2, 1.0, v2
	v_rcp_f32_e32 v11, v7
	v_fma_f32 v12, -v7, v11, 1.0
	v_fmac_f32_e32 v11, v12, v11
	v_mul_f32_e32 v12, v10, v11
	v_fma_f32 v13, -v7, v12, v10
	v_fmac_f32_e32 v12, v13, v11
	v_fma_f32 v7, -v7, v12, v10
	v_div_fmas_f32 v7, v7, v11, v12
	v_mov_b32_e32 v11, -1.0
	v_div_fixup_f32 v6, v7, v6, s2
	v_add_f32_e32 v12, 0, v6
.LBB52_13:
	s_or_b64 exec, exec, s[14:15]
	v_cmp_gt_f32_e32 vcc, 0.5, v3
	v_mov_b32_e32 v7, 0
	v_mov_b32_e32 v13, 1.0
	s_and_saveexec_b64 s[14:15], vcc
	s_cbranch_execz .LBB52_19
; %bb.14:
	v_mul_f32_e32 v6, 0x40490fdb, v3
	s_brev_b32 s0, 18
	v_and_b32_e32 v7, 0x7fffffff, v6
	v_cmp_nlt_f32_e64 s[0:1], |v6|, s0
                                        ; implicit-def: $vgpr10
                                        ; implicit-def: $vgpr13
	s_and_saveexec_b64 s[2:3], s[0:1]
	s_xor_b64 s[16:17], exec, s[2:3]
	s_cbranch_execz .LBB52_16
; %bb.15:
	v_and_b32_e32 v10, 0x7fffff, v7
	v_or_b32_e32 v10, 0x800000, v10
	s_mov_b32 s0, 0xfe5163ab
	v_mad_u64_u32 v[13:14], s[0:1], v10, s0, 0
	v_mov_b32_e32 v15, 0
	s_mov_b32 s0, 0x3c439041
	v_mad_u64_u32 v[16:17], s[0:1], v10, s0, v[14:15]
	s_mov_b32 s0, 0xdb629599
	v_not_b32_e32 v21, 63
	v_mov_b32_e32 v14, v17
	v_mad_u64_u32 v[17:18], s[0:1], v10, s0, v[14:15]
	s_mov_b32 s0, 0xf534ddc0
	v_not_b32_e32 v23, 31
	v_mov_b32_e32 v14, v18
	v_mad_u64_u32 v[18:19], s[0:1], v10, s0, v[14:15]
	v_lshrrev_b32_e32 v14, 23, v7
	v_add_u32_e32 v22, 0xffffff88, v14
	v_mov_b32_e32 v14, v19
	s_mov_b32 s0, 0xfc2757d1
	v_mad_u64_u32 v[19:20], s[0:1], v10, s0, v[14:15]
	v_cmp_lt_u32_e32 vcc, 63, v22
	v_cndmask_b32_e32 v14, 0, v21, vcc
	v_add_u32_e32 v22, v14, v22
	v_mov_b32_e32 v14, v20
	s_mov_b32 s0, 0x4e441529
	v_mad_u64_u32 v[20:21], s[0:1], v10, s0, v[14:15]
	v_cmp_lt_u32_e64 s[0:1], 31, v22
	v_cndmask_b32_e64 v14, 0, v23, s[0:1]
	v_add_u32_e32 v22, v14, v22
	v_mov_b32_e32 v14, v21
	s_mov_b32 s2, 0xa2f9836e
	v_mad_u64_u32 v[14:15], s[2:3], v10, s2, v[14:15]
	v_cmp_lt_u32_e64 s[2:3], 31, v22
	v_cndmask_b32_e32 v16, v18, v16, vcc
	v_cndmask_b32_e32 v18, v20, v18, vcc
	v_cndmask_b32_e32 v15, v15, v20, vcc
	v_cndmask_b32_e32 v14, v14, v19, vcc
	v_cndmask_b32_e64 v10, 0, v23, s[2:3]
	v_cndmask_b32_e64 v20, v14, v18, s[0:1]
	v_cndmask_b32_e64 v14, v15, v14, s[0:1]
	v_cndmask_b32_e32 v15, v19, v17, vcc
	v_add_u32_e32 v10, v10, v22
	v_cndmask_b32_e64 v18, v18, v15, s[0:1]
	v_cndmask_b32_e64 v14, v14, v20, s[2:3]
	;; [unrolled: 1-line block ×3, first 2 shown]
	v_sub_u32_e32 v20, 32, v10
	v_alignbit_b32 v21, v14, v19, v20
	v_cmp_eq_u32_e64 s[4:5], 0, v10
	v_cndmask_b32_e64 v10, v21, v14, s[4:5]
	v_cndmask_b32_e64 v14, v15, v16, s[0:1]
	;; [unrolled: 1-line block ×3, first 2 shown]
	v_alignbit_b32 v18, v19, v15, v20
	v_cndmask_b32_e32 v13, v17, v13, vcc
	v_cndmask_b32_e64 v18, v18, v19, s[4:5]
	v_bfe_u32 v17, v10, 29, 1
	v_cndmask_b32_e64 v13, v16, v13, s[0:1]
	v_alignbit_b32 v19, v10, v18, 30
	v_sub_u32_e32 v22, 0, v17
	v_cndmask_b32_e64 v13, v14, v13, s[2:3]
	v_xor_b32_e32 v19, v19, v22
	v_alignbit_b32 v14, v15, v13, v20
	v_cndmask_b32_e64 v14, v14, v15, s[4:5]
	v_ffbh_u32_e32 v16, v19
	v_alignbit_b32 v15, v18, v14, 30
	v_min_u32_e32 v16, 32, v16
	v_alignbit_b32 v13, v14, v13, 30
	v_xor_b32_e32 v15, v15, v22
	v_sub_u32_e32 v18, 31, v16
	v_xor_b32_e32 v13, v13, v22
	v_alignbit_b32 v19, v19, v15, v18
	v_alignbit_b32 v13, v15, v13, v18
	;; [unrolled: 1-line block ×3, first 2 shown]
	v_ffbh_u32_e32 v15, v14
	v_min_u32_e32 v15, 32, v15
	v_lshrrev_b32_e32 v21, 29, v10
	v_not_b32_e32 v18, v15
	v_alignbit_b32 v13, v14, v13, v18
	v_lshlrev_b32_e32 v14, 31, v21
	v_or_b32_e32 v18, 0x33000000, v14
	v_add_lshl_u32 v15, v15, v16, 23
	v_lshrrev_b32_e32 v13, 9, v13
	v_sub_u32_e32 v15, v18, v15
	v_or_b32_e32 v14, 0.5, v14
	v_lshlrev_b32_e32 v16, 23, v16
	v_or_b32_e32 v13, v15, v13
	v_lshrrev_b32_e32 v15, 9, v19
	v_sub_u32_e32 v14, v14, v16
	v_or_b32_e32 v14, v15, v14
	s_mov_b32 s0, 0x3fc90fda
	v_mul_f32_e32 v15, 0x3fc90fda, v14
	v_fma_f32 v16, v14, s0, -v15
	v_fmac_f32_e32 v16, 0x33a22168, v14
	v_fmac_f32_e32 v16, 0x3fc90fda, v13
	v_lshrrev_b32_e32 v10, 30, v10
	v_add_f32_e32 v13, v15, v16
	v_add_u32_e32 v10, v17, v10
.LBB52_16:
	s_andn2_saveexec_b64 s[0:1], s[16:17]
	s_cbranch_execz .LBB52_18
; %bb.17:
	s_mov_b32 s2, 0x3f22f983
	v_mul_f32_e64 v10, |v6|, s2
	v_rndne_f32_e32 v14, v10
	s_mov_b32 s2, 0xbfc90fda
	v_cvt_i32_f32_e32 v10, v14
	v_fma_f32 v13, v14, s2, |v6|
	v_fmac_f32_e32 v13, 0xb3a22168, v14
	v_fmac_f32_e32 v13, 0xa7c234c4, v14
.LBB52_18:
	s_or_b64 exec, exec, s[0:1]
	v_mul_f32_e32 v14, v13, v13
	v_mov_b32_e32 v15, 0x3c0881c4
	v_fmac_f32_e32 v15, 0xb94c1982, v14
	v_mov_b32_e32 v16, 0xbe2aaa9d
	v_fmac_f32_e32 v16, v14, v15
	v_mul_f32_e32 v15, v14, v16
	v_fmac_f32_e32 v13, v13, v15
	v_mov_b32_e32 v15, 0xbab64f3b
	v_fmac_f32_e32 v15, 0x37d75334, v14
	v_mov_b32_e32 v16, 0x3d2aabf7
	;; [unrolled: 2-line block ×3, first 2 shown]
	v_fmac_f32_e32 v15, v14, v16
	v_fma_f32 v14, v14, v15, 1.0
	v_and_b32_e32 v15, 1, v10
	v_lshlrev_b32_e32 v10, 30, v10
	v_cmp_eq_u32_e32 vcc, 0, v15
	v_and_b32_e32 v10, 0x80000000, v10
	v_xor_b32_e32 v7, v7, v6
	v_cndmask_b32_e32 v13, v14, v13, vcc
	v_xor_b32_e32 v7, v7, v10
	s_movk_i32 s0, 0x1f8
	v_xor_b32_e32 v7, v7, v13
	v_mov_b32_e32 v10, 0x7fc00000
	v_cmp_class_f32_e64 vcc, v6, s0
	v_cndmask_b32_e32 v6, v10, v7, vcc
	v_mul_f32_e32 v6, v6, v6
	s_mov_b32 s2, 0xc11de9e7
	v_div_scale_f32 v7, s[0:1], v6, v6, s2
	v_div_scale_f32 v10, vcc, s2, v6, s2
	v_sub_f32_e32 v3, 1.0, v3
	v_rcp_f32_e32 v13, v7
	v_fma_f32 v14, -v7, v13, 1.0
	v_fmac_f32_e32 v13, v14, v13
	v_mul_f32_e32 v14, v10, v13
	v_fma_f32 v15, -v7, v14, v10
	v_fmac_f32_e32 v14, v15, v13
	v_fma_f32 v7, -v7, v14, v10
	v_div_fmas_f32 v7, v7, v13, v14
	v_mov_b32_e32 v13, -1.0
	v_div_fixup_f32 v6, v7, v6, s2
	v_add_f32_e32 v7, 0, v6
.LBB52_19:
	s_or_b64 exec, exec, s[14:15]
	v_cmp_gt_f32_e32 vcc, 0.5, v4
	v_mov_b32_e32 v10, 0
	v_mov_b32_e32 v6, 1.0
	s_and_saveexec_b64 s[14:15], vcc
	s_cbranch_execz .LBB52_25
; %bb.20:
	v_mul_f32_e32 v6, 0x40490fdb, v4
	s_brev_b32 s0, 18
	v_and_b32_e32 v10, 0x7fffffff, v6
	v_cmp_nlt_f32_e64 s[0:1], |v6|, s0
                                        ; implicit-def: $vgpr14
                                        ; implicit-def: $vgpr15
	s_and_saveexec_b64 s[2:3], s[0:1]
	s_xor_b64 s[16:17], exec, s[2:3]
	s_cbranch_execz .LBB52_22
; %bb.21:
	v_and_b32_e32 v14, 0x7fffff, v10
	v_or_b32_e32 v23, 0x800000, v14
	s_mov_b32 s0, 0xfe5163ab
	v_mad_u64_u32 v[14:15], s[0:1], v23, s0, 0
	v_mov_b32_e32 v16, 0
	s_mov_b32 s0, 0x3c439041
	v_mad_u64_u32 v[17:18], s[0:1], v23, s0, v[15:16]
	s_mov_b32 s0, 0xdb629599
	v_not_b32_e32 v22, 63
	v_mov_b32_e32 v15, v18
	v_mad_u64_u32 v[18:19], s[0:1], v23, s0, v[15:16]
	s_mov_b32 s0, 0xf534ddc0
	v_not_b32_e32 v25, 31
	v_mov_b32_e32 v15, v19
	v_mad_u64_u32 v[19:20], s[0:1], v23, s0, v[15:16]
	v_lshrrev_b32_e32 v15, 23, v10
	v_add_u32_e32 v24, 0xffffff88, v15
	v_mov_b32_e32 v15, v20
	s_mov_b32 s0, 0xfc2757d1
	v_mad_u64_u32 v[20:21], s[0:1], v23, s0, v[15:16]
	v_cmp_lt_u32_e32 vcc, 63, v24
	v_cndmask_b32_e32 v15, 0, v22, vcc
	v_add_u32_e32 v24, v15, v24
	v_mov_b32_e32 v15, v21
	s_mov_b32 s0, 0x4e441529
	v_mad_u64_u32 v[21:22], s[0:1], v23, s0, v[15:16]
	v_cmp_lt_u32_e64 s[0:1], 31, v24
	v_cndmask_b32_e64 v15, 0, v25, s[0:1]
	v_add_u32_e32 v24, v15, v24
	v_mov_b32_e32 v15, v22
	s_mov_b32 s2, 0xa2f9836e
	v_mad_u64_u32 v[15:16], s[2:3], v23, s2, v[15:16]
	v_cmp_lt_u32_e64 s[2:3], 31, v24
	v_cndmask_b32_e64 v22, 0, v25, s[2:3]
	v_cndmask_b32_e32 v23, v21, v19, vcc
	v_cndmask_b32_e32 v15, v15, v20, vcc
	;; [unrolled: 1-line block ×3, first 2 shown]
	v_add_u32_e32 v22, v22, v24
	v_cndmask_b32_e64 v24, v15, v23, s[0:1]
	v_cndmask_b32_e64 v15, v16, v15, s[0:1]
	v_cndmask_b32_e32 v16, v20, v18, vcc
	v_cndmask_b32_e64 v20, v23, v16, s[0:1]
	v_cndmask_b32_e64 v15, v15, v24, s[2:3]
	;; [unrolled: 1-line block ×3, first 2 shown]
	v_sub_u32_e32 v23, 32, v22
	v_alignbit_b32 v24, v15, v21, v23
	v_cmp_eq_u32_e64 s[4:5], 0, v22
	v_cndmask_b32_e64 v22, v24, v15, s[4:5]
	v_cndmask_b32_e32 v15, v19, v17, vcc
	v_cndmask_b32_e64 v16, v16, v15, s[0:1]
	v_cndmask_b32_e64 v17, v20, v16, s[2:3]
	v_alignbit_b32 v19, v21, v17, v23
	v_cndmask_b32_e32 v14, v18, v14, vcc
	v_cndmask_b32_e64 v19, v19, v21, s[4:5]
	v_bfe_u32 v24, v22, 29, 1
	v_cndmask_b32_e64 v14, v15, v14, s[0:1]
	v_alignbit_b32 v20, v22, v19, 30
	v_sub_u32_e32 v25, 0, v24
	v_cndmask_b32_e64 v14, v16, v14, s[2:3]
	v_xor_b32_e32 v20, v20, v25
	v_alignbit_b32 v15, v17, v14, v23
	v_cndmask_b32_e64 v15, v15, v17, s[4:5]
	v_ffbh_u32_e32 v17, v20
	v_alignbit_b32 v16, v19, v15, 30
	v_min_u32_e32 v17, 32, v17
	v_alignbit_b32 v14, v15, v14, 30
	v_xor_b32_e32 v16, v16, v25
	v_sub_u32_e32 v18, 31, v17
	v_xor_b32_e32 v14, v14, v25
	v_alignbit_b32 v19, v20, v16, v18
	v_alignbit_b32 v14, v16, v14, v18
	;; [unrolled: 1-line block ×3, first 2 shown]
	v_ffbh_u32_e32 v16, v15
	v_min_u32_e32 v16, 32, v16
	v_lshrrev_b32_e32 v21, 29, v22
	v_not_b32_e32 v18, v16
	v_alignbit_b32 v14, v15, v14, v18
	v_lshlrev_b32_e32 v15, 31, v21
	v_or_b32_e32 v18, 0x33000000, v15
	v_add_lshl_u32 v16, v16, v17, 23
	v_lshrrev_b32_e32 v14, 9, v14
	v_sub_u32_e32 v16, v18, v16
	v_or_b32_e32 v15, 0.5, v15
	v_lshlrev_b32_e32 v17, 23, v17
	v_or_b32_e32 v14, v16, v14
	v_lshrrev_b32_e32 v16, 9, v19
	v_sub_u32_e32 v15, v15, v17
	v_or_b32_e32 v15, v16, v15
	s_mov_b32 s0, 0x3fc90fda
	v_mul_f32_e32 v16, 0x3fc90fda, v15
	v_fma_f32 v17, v15, s0, -v16
	v_fmac_f32_e32 v17, 0x33a22168, v15
	v_fmac_f32_e32 v17, 0x3fc90fda, v14
	v_lshrrev_b32_e32 v14, 30, v22
	v_add_f32_e32 v15, v16, v17
	v_add_u32_e32 v14, v24, v14
.LBB52_22:
	s_andn2_saveexec_b64 s[0:1], s[16:17]
	s_cbranch_execz .LBB52_24
; %bb.23:
	s_mov_b32 s2, 0x3f22f983
	v_mul_f32_e64 v14, |v6|, s2
	v_rndne_f32_e32 v16, v14
	s_mov_b32 s2, 0xbfc90fda
	v_cvt_i32_f32_e32 v14, v16
	v_fma_f32 v15, v16, s2, |v6|
	v_fmac_f32_e32 v15, 0xb3a22168, v16
	v_fmac_f32_e32 v15, 0xa7c234c4, v16
.LBB52_24:
	s_or_b64 exec, exec, s[0:1]
	v_mul_f32_e32 v16, v15, v15
	v_mov_b32_e32 v17, 0x3c0881c4
	v_fmac_f32_e32 v17, 0xb94c1982, v16
	v_mov_b32_e32 v18, 0xbe2aaa9d
	v_fmac_f32_e32 v18, v16, v17
	v_mul_f32_e32 v17, v16, v18
	v_fmac_f32_e32 v15, v15, v17
	v_mov_b32_e32 v17, 0xbab64f3b
	v_fmac_f32_e32 v17, 0x37d75334, v16
	v_mov_b32_e32 v18, 0x3d2aabf7
	;; [unrolled: 2-line block ×3, first 2 shown]
	v_fmac_f32_e32 v17, v16, v18
	v_fma_f32 v16, v16, v17, 1.0
	v_and_b32_e32 v17, 1, v14
	v_lshlrev_b32_e32 v14, 30, v14
	v_cmp_eq_u32_e32 vcc, 0, v17
	v_and_b32_e32 v14, 0x80000000, v14
	v_xor_b32_e32 v10, v10, v6
	v_cndmask_b32_e32 v15, v16, v15, vcc
	v_xor_b32_e32 v10, v10, v14
	s_movk_i32 s0, 0x1f8
	v_xor_b32_e32 v10, v10, v15
	v_mov_b32_e32 v14, 0x7fc00000
	v_cmp_class_f32_e64 vcc, v6, s0
	v_cndmask_b32_e32 v6, v14, v10, vcc
	v_mul_f32_e32 v6, v6, v6
	s_mov_b32 s2, 0xc11de9e7
	v_div_scale_f32 v10, s[0:1], v6, v6, s2
	v_div_scale_f32 v14, vcc, s2, v6, s2
	v_sub_f32_e32 v4, 1.0, v4
	v_rcp_f32_e32 v15, v10
	v_fma_f32 v16, -v10, v15, 1.0
	v_fmac_f32_e32 v15, v16, v15
	v_mul_f32_e32 v16, v14, v15
	v_fma_f32 v17, -v10, v16, v14
	v_fmac_f32_e32 v16, v17, v15
	v_fma_f32 v10, -v10, v16, v14
	v_div_fmas_f32 v10, v10, v15, v16
	v_div_fixup_f32 v6, v10, v6, s2
	v_add_f32_e32 v10, 0, v6
	v_mov_b32_e32 v6, -1.0
.LBB52_25:
	s_or_b64 exec, exec, s[14:15]
	v_mul_f32_e32 v14, v3, v3
	v_div_scale_f32 v15, s[0:1], v14, v14, 1.0
	v_add_f32_e32 v3, 1.0, v3
	v_rcp_f32_e32 v16, v15
	v_fma_f32 v17, -v15, v16, 1.0
	v_fmac_f32_e32 v16, v17, v16
	v_div_scale_f32 v17, vcc, 1.0, v14, 1.0
	v_mul_f32_e32 v18, v17, v16
	v_fma_f32 v19, -v15, v18, v17
	v_fmac_f32_e32 v18, v19, v16
	v_fma_f32 v15, -v15, v18, v17
	v_div_fmas_f32 v15, v15, v16, v18
	v_div_fixup_f32 v14, v15, v14, 1.0
	v_add_f32_e32 v7, v7, v14
	v_mul_f32_e32 v14, v3, v3
	v_div_scale_f32 v15, s[0:1], v14, v14, 1.0
	v_add_f32_e32 v3, 1.0, v3
	v_rcp_f32_e32 v16, v15
	v_fma_f32 v17, -v15, v16, 1.0
	v_fmac_f32_e32 v16, v17, v16
	v_div_scale_f32 v17, vcc, 1.0, v14, 1.0
	v_mul_f32_e32 v18, v17, v16
	v_fma_f32 v19, -v15, v18, v17
	v_fmac_f32_e32 v18, v19, v16
	v_fma_f32 v15, -v15, v18, v17
	v_div_fmas_f32 v15, v15, v16, v18
	v_div_fixup_f32 v14, v15, v14, 1.0
	v_add_f32_e32 v7, v7, v14
	v_mul_f32_e32 v14, v3, v3
	v_div_scale_f32 v15, s[0:1], v14, v14, 1.0
	v_add_f32_e32 v3, 1.0, v3
	v_rcp_f32_e32 v16, v15
	v_fma_f32 v17, -v15, v16, 1.0
	v_fmac_f32_e32 v16, v17, v16
	v_div_scale_f32 v17, vcc, 1.0, v14, 1.0
	v_mul_f32_e32 v18, v17, v16
	v_fma_f32 v19, -v15, v18, v17
	v_fmac_f32_e32 v18, v19, v16
	v_fma_f32 v15, -v15, v18, v17
	v_div_fmas_f32 v15, v15, v16, v18
	v_div_fixup_f32 v14, v15, v14, 1.0
	v_add_f32_e32 v7, v7, v14
	v_mul_f32_e32 v14, v3, v3
	v_div_scale_f32 v15, s[0:1], v14, v14, 1.0
	v_add_f32_e32 v3, 1.0, v3
	v_rcp_f32_e32 v16, v15
	v_fma_f32 v17, -v15, v16, 1.0
	v_fmac_f32_e32 v16, v17, v16
	v_div_scale_f32 v17, vcc, 1.0, v14, 1.0
	v_mul_f32_e32 v18, v17, v16
	v_fma_f32 v19, -v15, v18, v17
	v_fmac_f32_e32 v18, v19, v16
	v_fma_f32 v15, -v15, v18, v17
	v_div_fmas_f32 v15, v15, v16, v18
	v_div_fixup_f32 v14, v15, v14, 1.0
	v_add_f32_e32 v7, v7, v14
	v_mul_f32_e32 v14, v3, v3
	v_div_scale_f32 v15, s[0:1], v14, v14, 1.0
	v_add_f32_e32 v3, 1.0, v3
	v_rcp_f32_e32 v16, v15
	v_fma_f32 v17, -v15, v16, 1.0
	v_fmac_f32_e32 v16, v17, v16
	v_div_scale_f32 v17, vcc, 1.0, v14, 1.0
	v_mul_f32_e32 v18, v17, v16
	v_fma_f32 v19, -v15, v18, v17
	v_fmac_f32_e32 v18, v19, v16
	v_fma_f32 v15, -v15, v18, v17
	v_div_fmas_f32 v15, v15, v16, v18
	v_div_fixup_f32 v14, v15, v14, 1.0
	v_add_f32_e32 v7, v7, v14
	v_mul_f32_e32 v14, v3, v3
	v_div_scale_f32 v15, s[0:1], v14, v14, 1.0
	v_add_f32_e32 v3, 1.0, v3
	v_rcp_f32_e32 v16, v15
	v_fma_f32 v17, -v15, v16, 1.0
	v_fmac_f32_e32 v16, v17, v16
	v_div_scale_f32 v17, vcc, 1.0, v14, 1.0
	v_mul_f32_e32 v18, v17, v16
	v_fma_f32 v19, -v15, v18, v17
	v_fmac_f32_e32 v18, v19, v16
	v_fma_f32 v15, -v15, v18, v17
	v_div_fmas_f32 v15, v15, v16, v18
	v_div_fixup_f32 v14, v15, v14, 1.0
	v_add_f32_e32 v14, v7, v14
	v_add_f32_e32 v7, v3, v3
	v_div_scale_f32 v15, s[0:1], v7, v7, 1.0
	v_rcp_f32_e32 v16, v15
	v_fma_f32 v17, -v15, v16, 1.0
	v_fmac_f32_e32 v16, v17, v16
	v_div_scale_f32 v17, vcc, 1.0, v7, 1.0
	v_mul_f32_e32 v18, v17, v16
	v_fma_f32 v19, -v15, v18, v17
	v_fmac_f32_e32 v18, v19, v16
	v_fma_f32 v15, -v15, v18, v17
	v_div_fmas_f32 v15, v15, v16, v18
	v_div_fixup_f32 v7, v15, v7, 1.0
	v_add_f32_e32 v15, 1.0, v7
	v_mul_f32_e32 v7, v3, v3
	v_div_scale_f32 v16, s[0:1], v7, v7, 1.0
	s_mov_b32 s0, 0x3e2aaaab
	v_rcp_f32_e32 v17, v16
	v_fma_f32 v18, -v16, v17, 1.0
	v_fmac_f32_e32 v17, v18, v17
	v_div_scale_f32 v18, vcc, 1.0, v7, 1.0
	v_mul_f32_e32 v19, v18, v17
	v_fma_f32 v20, -v16, v19, v18
	v_fmac_f32_e32 v19, v20, v17
	v_fma_f32 v16, -v16, v19, v18
	v_div_fmas_f32 v16, v16, v17, v19
	v_mov_b32_e32 v17, 0x3d088889
	v_div_fixup_f32 v16, v16, v7, 1.0
	v_fmac_f32_e32 v17, 0xbcc30c31, v16
	v_fma_f32 v17, -v16, v17, s0
	v_fmac_f32_e32 v15, v16, v17
	v_div_scale_f32 v16, s[2:3], v3, v3, v15
	v_mov_b32_e32 v7, 0x3d088889
	v_rcp_f32_e32 v17, v16
	v_fma_f32 v18, -v16, v17, 1.0
	v_fmac_f32_e32 v17, v18, v17
	v_div_scale_f32 v18, vcc, v15, v3, v15
	v_mul_f32_e32 v19, v18, v17
	v_fma_f32 v20, -v16, v19, v18
	v_fmac_f32_e32 v19, v20, v17
	v_fma_f32 v16, -v16, v19, v18
	v_div_fmas_f32 v16, v16, v17, v19
	v_div_fixup_f32 v3, v16, v3, v15
	v_add_f32_e32 v3, v14, v3
	v_mul_f32_e32 v3, v13, v3
	v_mul_f32_e32 v13, v2, v2
	v_div_scale_f32 v14, s[2:3], v13, v13, 1.0
	v_add_f32_e32 v2, 1.0, v2
	v_rcp_f32_e32 v15, v14
	v_fma_f32 v16, -v14, v15, 1.0
	v_fmac_f32_e32 v15, v16, v15
	v_div_scale_f32 v16, vcc, 1.0, v13, 1.0
	v_mul_f32_e32 v17, v16, v15
	v_fma_f32 v18, -v14, v17, v16
	v_fmac_f32_e32 v17, v18, v15
	v_fma_f32 v14, -v14, v17, v16
	v_div_fmas_f32 v14, v14, v15, v17
	v_div_fixup_f32 v13, v14, v13, 1.0
	v_add_f32_e32 v12, v12, v13
	v_mul_f32_e32 v13, v2, v2
	v_div_scale_f32 v14, s[2:3], v13, v13, 1.0
	v_add_f32_e32 v2, 1.0, v2
	v_rcp_f32_e32 v15, v14
	v_fma_f32 v16, -v14, v15, 1.0
	v_fmac_f32_e32 v15, v16, v15
	v_div_scale_f32 v16, vcc, 1.0, v13, 1.0
	v_mul_f32_e32 v17, v16, v15
	v_fma_f32 v18, -v14, v17, v16
	v_fmac_f32_e32 v17, v18, v15
	v_fma_f32 v14, -v14, v17, v16
	v_div_fmas_f32 v14, v14, v15, v17
	v_div_fixup_f32 v13, v14, v13, 1.0
	v_add_f32_e32 v12, v12, v13
	;; [unrolled: 14-line block ×6, first 2 shown]
	v_add_f32_e32 v13, v2, v2
	v_div_scale_f32 v14, s[2:3], v13, v13, 1.0
	v_rcp_f32_e32 v15, v14
	v_fma_f32 v16, -v14, v15, 1.0
	v_fmac_f32_e32 v15, v16, v15
	v_div_scale_f32 v16, vcc, 1.0, v13, 1.0
	v_mul_f32_e32 v17, v16, v15
	v_fma_f32 v18, -v14, v17, v16
	v_fmac_f32_e32 v17, v18, v15
	v_fma_f32 v14, -v14, v17, v16
	v_div_fmas_f32 v14, v14, v15, v17
	v_div_fixup_f32 v13, v14, v13, 1.0
	v_mul_f32_e32 v14, v2, v2
	v_div_scale_f32 v15, s[2:3], v14, v14, 1.0
	v_add_f32_e32 v13, 1.0, v13
	v_rcp_f32_e32 v16, v15
	v_fma_f32 v17, -v15, v16, 1.0
	v_fmac_f32_e32 v16, v17, v16
	v_div_scale_f32 v17, vcc, 1.0, v14, 1.0
	v_mul_f32_e32 v18, v17, v16
	v_fma_f32 v19, -v15, v18, v17
	v_fmac_f32_e32 v18, v19, v16
	v_fma_f32 v15, -v15, v18, v17
	v_div_fmas_f32 v15, v15, v16, v18
	v_div_fixup_f32 v14, v15, v14, 1.0
	v_mov_b32_e32 v15, 0x3d088889
	v_fmac_f32_e32 v15, 0xbcc30c31, v14
	v_fma_f32 v15, -v14, v15, s0
	v_fmac_f32_e32 v13, v14, v15
	v_div_scale_f32 v14, s[2:3], v2, v2, v13
	v_rcp_f32_e32 v15, v14
	v_fma_f32 v16, -v14, v15, 1.0
	v_fmac_f32_e32 v15, v16, v15
	v_div_scale_f32 v16, vcc, v13, v2, v13
	v_mul_f32_e32 v17, v16, v15
	v_fma_f32 v18, -v14, v17, v16
	v_fmac_f32_e32 v17, v18, v15
	v_fma_f32 v14, -v14, v17, v16
	v_div_fmas_f32 v14, v14, v15, v17
	v_div_fixup_f32 v2, v14, v2, v13
	v_add_f32_e32 v2, v12, v2
	v_mul_f32_e32 v2, v11, v2
	v_mul_f32_e32 v11, v1, v1
	v_div_scale_f32 v12, s[2:3], v11, v11, 1.0
	v_add_f32_e32 v1, 1.0, v1
	v_rcp_f32_e32 v13, v12
	v_fma_f32 v14, -v12, v13, 1.0
	v_fmac_f32_e32 v13, v14, v13
	v_div_scale_f32 v14, vcc, 1.0, v11, 1.0
	v_mul_f32_e32 v15, v14, v13
	v_fma_f32 v16, -v12, v15, v14
	v_fmac_f32_e32 v15, v16, v13
	v_fma_f32 v12, -v12, v15, v14
	v_div_fmas_f32 v12, v12, v13, v15
	v_div_fixup_f32 v11, v12, v11, 1.0
	v_add_f32_e32 v9, v9, v11
	v_mul_f32_e32 v11, v1, v1
	v_div_scale_f32 v12, s[2:3], v11, v11, 1.0
	v_add_f32_e32 v1, 1.0, v1
	v_rcp_f32_e32 v13, v12
	v_fma_f32 v14, -v12, v13, 1.0
	v_fmac_f32_e32 v13, v14, v13
	v_div_scale_f32 v14, vcc, 1.0, v11, 1.0
	v_mul_f32_e32 v15, v14, v13
	v_fma_f32 v16, -v12, v15, v14
	v_fmac_f32_e32 v15, v16, v13
	v_fma_f32 v12, -v12, v15, v14
	v_div_fmas_f32 v12, v12, v13, v15
	v_div_fixup_f32 v11, v12, v11, 1.0
	v_add_f32_e32 v9, v9, v11
	v_mul_f32_e32 v11, v1, v1
	v_div_scale_f32 v12, s[2:3], v11, v11, 1.0
	v_add_f32_e32 v1, 1.0, v1
	v_rcp_f32_e32 v13, v12
	v_fma_f32 v14, -v12, v13, 1.0
	v_fmac_f32_e32 v13, v14, v13
	v_div_scale_f32 v14, vcc, 1.0, v11, 1.0
	v_mul_f32_e32 v15, v14, v13
	v_fma_f32 v16, -v12, v15, v14
	v_fmac_f32_e32 v15, v16, v13
	v_fma_f32 v12, -v12, v15, v14
	v_div_fmas_f32 v12, v12, v13, v15
	v_div_fixup_f32 v11, v12, v11, 1.0
	v_add_f32_e32 v9, v9, v11
	v_mul_f32_e32 v11, v1, v1
	v_div_scale_f32 v12, s[2:3], v11, v11, 1.0
	v_add_f32_e32 v1, 1.0, v1
	v_rcp_f32_e32 v13, v12
	v_fma_f32 v14, -v12, v13, 1.0
	v_fmac_f32_e32 v13, v14, v13
	v_div_scale_f32 v14, vcc, 1.0, v11, 1.0
	v_mul_f32_e32 v15, v14, v13
	v_fma_f32 v16, -v12, v15, v14
	v_fmac_f32_e32 v15, v16, v13
	v_fma_f32 v12, -v12, v15, v14
	v_div_fmas_f32 v12, v12, v13, v15
	v_div_fixup_f32 v11, v12, v11, 1.0
	v_add_f32_e32 v9, v9, v11
	v_mul_f32_e32 v11, v1, v1
	v_div_scale_f32 v12, s[2:3], v11, v11, 1.0
	v_add_f32_e32 v1, 1.0, v1
	v_rcp_f32_e32 v13, v12
	v_fma_f32 v14, -v12, v13, 1.0
	v_fmac_f32_e32 v13, v14, v13
	v_div_scale_f32 v14, vcc, 1.0, v11, 1.0
	v_mul_f32_e32 v15, v14, v13
	v_fma_f32 v16, -v12, v15, v14
	v_fmac_f32_e32 v15, v16, v13
	v_fma_f32 v12, -v12, v15, v14
	v_div_fmas_f32 v12, v12, v13, v15
	v_div_fixup_f32 v11, v12, v11, 1.0
	v_add_f32_e32 v9, v9, v11
	v_mul_f32_e32 v11, v1, v1
	v_div_scale_f32 v12, s[2:3], v11, v11, 1.0
	v_add_f32_e32 v1, 1.0, v1
	v_rcp_f32_e32 v13, v12
	v_fma_f32 v14, -v12, v13, 1.0
	v_fmac_f32_e32 v13, v14, v13
	v_div_scale_f32 v14, vcc, 1.0, v11, 1.0
	v_mul_f32_e32 v15, v14, v13
	v_fma_f32 v16, -v12, v15, v14
	v_fmac_f32_e32 v15, v16, v13
	v_fma_f32 v12, -v12, v15, v14
	v_div_fmas_f32 v12, v12, v13, v15
	v_div_fixup_f32 v11, v12, v11, 1.0
	v_add_f32_e32 v9, v9, v11
	v_add_f32_e32 v11, v1, v1
	v_div_scale_f32 v12, s[2:3], v11, v11, 1.0
	v_rcp_f32_e32 v13, v12
	v_fma_f32 v14, -v12, v13, 1.0
	v_fmac_f32_e32 v13, v14, v13
	v_div_scale_f32 v14, vcc, 1.0, v11, 1.0
	v_mul_f32_e32 v15, v14, v13
	v_fma_f32 v16, -v12, v15, v14
	v_fmac_f32_e32 v15, v16, v13
	v_fma_f32 v12, -v12, v15, v14
	v_div_fmas_f32 v12, v12, v13, v15
	v_div_fixup_f32 v11, v12, v11, 1.0
	v_mul_f32_e32 v12, v1, v1
	v_div_scale_f32 v13, s[2:3], v12, v12, 1.0
	v_add_f32_e32 v11, 1.0, v11
	v_rcp_f32_e32 v14, v13
	v_fma_f32 v15, -v13, v14, 1.0
	v_fmac_f32_e32 v14, v15, v14
	v_div_scale_f32 v15, vcc, 1.0, v12, 1.0
	v_mul_f32_e32 v16, v15, v14
	v_fma_f32 v17, -v13, v16, v15
	v_fmac_f32_e32 v16, v17, v14
	v_fma_f32 v13, -v13, v16, v15
	v_div_fmas_f32 v13, v13, v14, v16
	v_div_fixup_f32 v12, v13, v12, 1.0
	v_mov_b32_e32 v13, 0x3d088889
	v_fmac_f32_e32 v13, 0xbcc30c31, v12
	v_fma_f32 v13, -v12, v13, s0
	v_fmac_f32_e32 v11, v12, v13
	v_div_scale_f32 v12, s[2:3], v1, v1, v11
	v_rcp_f32_e32 v13, v12
	v_fma_f32 v14, -v12, v13, 1.0
	v_fmac_f32_e32 v13, v14, v13
	v_div_scale_f32 v14, vcc, v11, v1, v11
	v_mul_f32_e32 v15, v14, v13
	v_fma_f32 v16, -v12, v15, v14
	v_fmac_f32_e32 v15, v16, v13
	v_fma_f32 v12, -v12, v15, v14
	v_div_fmas_f32 v12, v12, v13, v15
	v_div_fixup_f32 v1, v12, v1, v11
	v_add_f32_e32 v1, v9, v1
	v_mul_f32_e32 v1, v8, v1
	v_mul_f32_e32 v8, v4, v4
	v_div_scale_f32 v9, s[2:3], v8, v8, 1.0
	v_add_f32_e32 v4, 1.0, v4
	v_rcp_f32_e32 v11, v9
	v_fma_f32 v12, -v9, v11, 1.0
	v_fmac_f32_e32 v11, v12, v11
	v_div_scale_f32 v12, vcc, 1.0, v8, 1.0
	v_mul_f32_e32 v13, v12, v11
	v_fma_f32 v14, -v9, v13, v12
	v_fmac_f32_e32 v13, v14, v11
	v_fma_f32 v9, -v9, v13, v12
	v_div_fmas_f32 v9, v9, v11, v13
	v_div_fixup_f32 v8, v9, v8, 1.0
	v_mul_f32_e32 v9, v4, v4
	v_add_f32_e32 v8, v10, v8
	v_div_scale_f32 v10, s[2:3], v9, v9, 1.0
	v_add_f32_e32 v4, 1.0, v4
	v_rcp_f32_e32 v11, v10
	v_fma_f32 v12, -v10, v11, 1.0
	v_fmac_f32_e32 v11, v12, v11
	v_div_scale_f32 v12, vcc, 1.0, v9, 1.0
	v_mul_f32_e32 v13, v12, v11
	v_fma_f32 v14, -v10, v13, v12
	v_fmac_f32_e32 v13, v14, v11
	v_fma_f32 v10, -v10, v13, v12
	v_div_fmas_f32 v10, v10, v11, v13
	v_div_fixup_f32 v9, v10, v9, 1.0
	v_add_f32_e32 v8, v8, v9
	v_mul_f32_e32 v9, v4, v4
	v_div_scale_f32 v10, s[2:3], v9, v9, 1.0
	v_add_f32_e32 v4, 1.0, v4
	v_rcp_f32_e32 v11, v10
	v_fma_f32 v12, -v10, v11, 1.0
	v_fmac_f32_e32 v11, v12, v11
	v_div_scale_f32 v12, vcc, 1.0, v9, 1.0
	v_mul_f32_e32 v13, v12, v11
	v_fma_f32 v14, -v10, v13, v12
	v_fmac_f32_e32 v13, v14, v11
	v_fma_f32 v10, -v10, v13, v12
	v_div_fmas_f32 v10, v10, v11, v13
	v_div_fixup_f32 v9, v10, v9, 1.0
	v_add_f32_e32 v8, v8, v9
	v_mul_f32_e32 v9, v4, v4
	;; [unrolled: 14-line block ×5, first 2 shown]
	v_div_scale_f32 v10, s[2:3], v9, v9, 1.0
	v_rcp_f32_e32 v11, v10
	v_fma_f32 v12, -v10, v11, 1.0
	v_fmac_f32_e32 v11, v12, v11
	v_div_scale_f32 v12, vcc, 1.0, v9, 1.0
	v_mul_f32_e32 v13, v12, v11
	v_fma_f32 v14, -v10, v13, v12
	v_fmac_f32_e32 v13, v14, v11
	v_fma_f32 v10, -v10, v13, v12
	v_div_fmas_f32 v10, v10, v11, v13
	v_div_fixup_f32 v9, v10, v9, 1.0
	v_add_f32_e32 v10, v4, v4
	v_div_scale_f32 v11, s[2:3], v10, v10, 1.0
	v_fmac_f32_e32 v7, 0xbcc30c31, v9
	v_fma_f32 v7, -v9, v7, s0
	v_rcp_f32_e32 v12, v11
	v_fma_f32 v13, -v11, v12, 1.0
	v_fmac_f32_e32 v12, v13, v12
	v_div_scale_f32 v13, vcc, 1.0, v10, 1.0
	v_mul_f32_e32 v14, v13, v12
	v_fma_f32 v15, -v11, v14, v13
	v_fmac_f32_e32 v14, v15, v12
	v_fma_f32 v11, -v11, v14, v13
	v_div_fmas_f32 v11, v11, v12, v14
	v_div_fixup_f32 v10, v11, v10, 1.0
	v_add_f32_e32 v10, 1.0, v10
	v_fmac_f32_e32 v10, v9, v7
	v_div_scale_f32 v7, s[0:1], v4, v4, v10
	s_add_u32 s0, s8, s6
	s_addc_u32 s1, s9, s7
	v_rcp_f32_e32 v9, v7
	v_fma_f32 v11, -v7, v9, 1.0
	v_fmac_f32_e32 v9, v11, v9
	v_div_scale_f32 v11, vcc, v10, v4, v10
	v_mul_f32_e32 v12, v11, v9
	v_fma_f32 v13, -v7, v12, v11
	v_fmac_f32_e32 v12, v13, v9
	v_fma_f32 v7, -v7, v12, v11
	v_div_fmas_f32 v7, v7, v9, v12
	v_div_fixup_f32 v4, v7, v4, v10
	v_add_f32_e32 v4, v8, v4
	v_mul_f32_e32 v4, v6, v4
	global_store_dwordx4 v5, v[1:4], s[0:1]
	s_mov_b64 s[0:1], 0
.LBB52_26:
	s_and_b64 vcc, exec, s[0:1]
	s_cbranch_vccz .LBB52_65
; %bb.27:
	v_cmp_gt_i32_e64 s[0:1], s18, v0
	v_mov_b32_e32 v9, 0
	v_or_b32_e32 v1, s12, v0
	v_mov_b32_e32 v10, 0
	v_mov_b32_e32 v3, v0
	s_and_saveexec_b64 s[2:3], s[0:1]
	s_cbranch_execz .LBB52_29
; %bb.28:
	v_mov_b32_e32 v2, 0
	v_lshlrev_b64 v[2:3], 2, v[1:2]
	v_mov_b32_e32 v4, s11
	v_add_co_u32_e32 v2, vcc, s10, v2
	v_addc_co_u32_e32 v3, vcc, v4, v3, vcc
	global_load_dword v10, v[2:3], off
	v_or_b32_e32 v3, 0x100, v0
.LBB52_29:
	s_or_b64 exec, exec, s[2:3]
	v_cmp_gt_i32_e32 vcc, s18, v3
	s_and_saveexec_b64 s[2:3], vcc
	s_cbranch_execz .LBB52_31
; %bb.30:
	v_add_u32_e32 v4, s12, v3
	v_mov_b32_e32 v5, 0
	v_lshlrev_b64 v[4:5], 2, v[4:5]
	v_mov_b32_e32 v2, s11
	v_add_co_u32_e32 v4, vcc, s10, v4
	v_addc_co_u32_e32 v5, vcc, v2, v5, vcc
	global_load_dword v9, v[4:5], off
	v_add_u32_e32 v3, 0x100, v3
.LBB52_31:
	s_or_b64 exec, exec, s[2:3]
	v_cmp_gt_i32_e32 vcc, s18, v3
	v_mov_b32_e32 v2, 0
	v_mov_b32_e32 v5, 0
	s_and_saveexec_b64 s[2:3], vcc
	s_cbranch_execz .LBB52_33
; %bb.32:
	v_add_u32_e32 v4, s12, v3
	v_mov_b32_e32 v5, 0
	v_lshlrev_b64 v[4:5], 2, v[4:5]
	v_mov_b32_e32 v6, s11
	v_add_co_u32_e32 v4, vcc, s10, v4
	v_addc_co_u32_e32 v5, vcc, v6, v5, vcc
	global_load_dword v5, v[4:5], off
	v_add_u32_e32 v3, 0x100, v3
.LBB52_33:
	s_or_b64 exec, exec, s[2:3]
	v_cmp_gt_i32_e32 vcc, s18, v3
	s_and_saveexec_b64 s[2:3], vcc
	s_cbranch_execz .LBB52_35
; %bb.34:
	v_add_u32_e32 v2, s12, v3
	v_mov_b32_e32 v3, 0
	v_lshlrev_b64 v[2:3], 2, v[2:3]
	v_mov_b32_e32 v4, s11
	v_add_co_u32_e32 v2, vcc, s10, v2
	v_addc_co_u32_e32 v3, vcc, v4, v3, vcc
	global_load_dword v2, v[2:3], off
.LBB52_35:
	s_or_b64 exec, exec, s[2:3]
	v_mov_b32_e32 v3, 0
	v_mov_b32_e32 v8, v3
	;; [unrolled: 1-line block ×4, first 2 shown]
	s_and_saveexec_b64 s[10:11], s[0:1]
	s_cbranch_execz .LBB52_43
; %bb.36:
	s_waitcnt vmcnt(0)
	v_cmp_gt_f32_e32 vcc, 0.5, v10
	v_mov_b32_e32 v4, 1.0
	s_and_saveexec_b64 s[14:15], vcc
	s_cbranch_execz .LBB52_42
; %bb.37:
	v_mul_f32_e32 v3, 0x40490fdb, v10
	s_brev_b32 s2, 18
	v_and_b32_e32 v4, 0x7fffffff, v3
	v_cmp_nlt_f32_e64 s[2:3], |v3|, s2
                                        ; implicit-def: $vgpr6
                                        ; implicit-def: $vgpr7
	s_and_saveexec_b64 s[4:5], s[2:3]
	s_xor_b64 s[16:17], exec, s[4:5]
	s_cbranch_execz .LBB52_39
; %bb.38:
	v_and_b32_e32 v6, 0x7fffff, v4
	v_or_b32_e32 v17, 0x800000, v6
	s_mov_b32 s2, 0xfe5163ab
	v_mad_u64_u32 v[6:7], s[2:3], v17, s2, 0
	v_mov_b32_e32 v8, 0
	s_mov_b32 s2, 0x3c439041
	v_mad_u64_u32 v[11:12], s[2:3], v17, s2, v[7:8]
	s_mov_b32 s2, 0xdb629599
	v_not_b32_e32 v16, 63
	v_mov_b32_e32 v7, v12
	v_mad_u64_u32 v[12:13], s[2:3], v17, s2, v[7:8]
	s_mov_b32 s2, 0xf534ddc0
	v_not_b32_e32 v19, 31
	v_mov_b32_e32 v7, v13
	v_mad_u64_u32 v[13:14], s[2:3], v17, s2, v[7:8]
	v_lshrrev_b32_e32 v7, 23, v4
	v_add_u32_e32 v18, 0xffffff88, v7
	v_mov_b32_e32 v7, v14
	s_mov_b32 s2, 0xfc2757d1
	v_mad_u64_u32 v[14:15], s[2:3], v17, s2, v[7:8]
	v_cmp_lt_u32_e32 vcc, 63, v18
	v_cndmask_b32_e32 v7, 0, v16, vcc
	v_add_u32_e32 v18, v7, v18
	v_mov_b32_e32 v7, v15
	s_mov_b32 s2, 0x4e441529
	v_mad_u64_u32 v[15:16], s[2:3], v17, s2, v[7:8]
	v_cmp_lt_u32_e64 s[2:3], 31, v18
	v_cndmask_b32_e64 v7, 0, v19, s[2:3]
	v_add_u32_e32 v18, v7, v18
	v_mov_b32_e32 v7, v16
	s_mov_b32 s4, 0xa2f9836e
	v_mad_u64_u32 v[7:8], s[4:5], v17, s4, v[7:8]
	v_cmp_lt_u32_e64 s[4:5], 31, v18
	v_cndmask_b32_e64 v16, 0, v19, s[4:5]
	v_cndmask_b32_e32 v17, v15, v13, vcc
	v_cndmask_b32_e32 v7, v7, v14, vcc
	;; [unrolled: 1-line block ×3, first 2 shown]
	v_add_u32_e32 v16, v16, v18
	v_cndmask_b32_e64 v18, v7, v17, s[2:3]
	v_cndmask_b32_e64 v7, v8, v7, s[2:3]
	v_cndmask_b32_e32 v8, v14, v12, vcc
	v_cndmask_b32_e64 v14, v17, v8, s[2:3]
	v_cndmask_b32_e64 v7, v7, v18, s[4:5]
	;; [unrolled: 1-line block ×3, first 2 shown]
	v_sub_u32_e32 v17, 32, v16
	v_alignbit_b32 v18, v7, v15, v17
	v_cmp_eq_u32_e64 s[6:7], 0, v16
	v_cndmask_b32_e64 v16, v18, v7, s[6:7]
	v_cndmask_b32_e32 v7, v13, v11, vcc
	v_cndmask_b32_e64 v8, v8, v7, s[2:3]
	v_cndmask_b32_e64 v11, v14, v8, s[4:5]
	v_alignbit_b32 v13, v15, v11, v17
	v_cndmask_b32_e32 v6, v12, v6, vcc
	v_cndmask_b32_e64 v13, v13, v15, s[6:7]
	v_bfe_u32 v18, v16, 29, 1
	v_cndmask_b32_e64 v6, v7, v6, s[2:3]
	v_alignbit_b32 v14, v16, v13, 30
	v_sub_u32_e32 v19, 0, v18
	v_cndmask_b32_e64 v6, v8, v6, s[4:5]
	v_xor_b32_e32 v14, v14, v19
	v_alignbit_b32 v7, v11, v6, v17
	v_cndmask_b32_e64 v7, v7, v11, s[6:7]
	v_ffbh_u32_e32 v11, v14
	v_alignbit_b32 v8, v13, v7, 30
	v_min_u32_e32 v11, 32, v11
	v_alignbit_b32 v6, v7, v6, 30
	v_xor_b32_e32 v8, v8, v19
	v_sub_u32_e32 v12, 31, v11
	v_xor_b32_e32 v6, v6, v19
	v_alignbit_b32 v13, v14, v8, v12
	v_alignbit_b32 v6, v8, v6, v12
	;; [unrolled: 1-line block ×3, first 2 shown]
	v_ffbh_u32_e32 v8, v7
	v_min_u32_e32 v8, 32, v8
	v_lshrrev_b32_e32 v15, 29, v16
	v_not_b32_e32 v12, v8
	v_alignbit_b32 v6, v7, v6, v12
	v_lshlrev_b32_e32 v7, 31, v15
	v_or_b32_e32 v12, 0x33000000, v7
	v_add_lshl_u32 v8, v8, v11, 23
	v_lshrrev_b32_e32 v6, 9, v6
	v_sub_u32_e32 v8, v12, v8
	v_or_b32_e32 v7, 0.5, v7
	v_lshlrev_b32_e32 v11, 23, v11
	v_or_b32_e32 v6, v8, v6
	v_lshrrev_b32_e32 v8, 9, v13
	v_sub_u32_e32 v7, v7, v11
	v_or_b32_e32 v7, v8, v7
	s_mov_b32 s2, 0x3fc90fda
	v_mul_f32_e32 v8, 0x3fc90fda, v7
	v_fma_f32 v11, v7, s2, -v8
	v_fmac_f32_e32 v11, 0x33a22168, v7
	v_fmac_f32_e32 v11, 0x3fc90fda, v6
	v_lshrrev_b32_e32 v6, 30, v16
	v_add_f32_e32 v7, v8, v11
	v_add_u32_e32 v6, v18, v6
.LBB52_39:
	s_andn2_saveexec_b64 s[2:3], s[16:17]
	s_cbranch_execz .LBB52_41
; %bb.40:
	s_mov_b32 s4, 0x3f22f983
	v_mul_f32_e64 v6, |v3|, s4
	v_rndne_f32_e32 v8, v6
	s_mov_b32 s4, 0xbfc90fda
	v_cvt_i32_f32_e32 v6, v8
	v_fma_f32 v7, v8, s4, |v3|
	v_fmac_f32_e32 v7, 0xb3a22168, v8
	v_fmac_f32_e32 v7, 0xa7c234c4, v8
.LBB52_41:
	s_or_b64 exec, exec, s[2:3]
	v_mul_f32_e32 v8, v7, v7
	v_mov_b32_e32 v11, 0x3c0881c4
	v_fmac_f32_e32 v11, 0xb94c1982, v8
	v_mov_b32_e32 v12, 0xbe2aaa9d
	v_fmac_f32_e32 v12, v8, v11
	v_mul_f32_e32 v11, v8, v12
	v_fmac_f32_e32 v7, v7, v11
	v_mov_b32_e32 v11, 0xbab64f3b
	v_fmac_f32_e32 v11, 0x37d75334, v8
	v_mov_b32_e32 v12, 0x3d2aabf7
	;; [unrolled: 2-line block ×3, first 2 shown]
	v_fmac_f32_e32 v11, v8, v12
	v_fma_f32 v8, v8, v11, 1.0
	v_and_b32_e32 v11, 1, v6
	v_lshlrev_b32_e32 v6, 30, v6
	v_cmp_eq_u32_e32 vcc, 0, v11
	v_and_b32_e32 v6, 0x80000000, v6
	v_xor_b32_e32 v4, v4, v3
	v_cndmask_b32_e32 v7, v8, v7, vcc
	v_xor_b32_e32 v4, v4, v6
	s_movk_i32 s2, 0x1f8
	v_xor_b32_e32 v4, v4, v7
	v_mov_b32_e32 v6, 0x7fc00000
	v_cmp_class_f32_e64 vcc, v3, s2
	v_cndmask_b32_e32 v3, v6, v4, vcc
	v_mul_f32_e32 v3, v3, v3
	s_mov_b32 s4, 0xc11de9e7
	v_div_scale_f32 v4, s[2:3], v3, v3, s4
	v_div_scale_f32 v6, vcc, s4, v3, s4
	v_sub_f32_e32 v10, 1.0, v10
	v_rcp_f32_e32 v7, v4
	v_fma_f32 v8, -v4, v7, 1.0
	v_fmac_f32_e32 v7, v8, v7
	v_mul_f32_e32 v8, v6, v7
	v_fma_f32 v11, -v4, v8, v6
	v_fmac_f32_e32 v8, v11, v7
	v_fma_f32 v4, -v4, v8, v6
	v_div_fmas_f32 v4, v4, v7, v8
	v_div_fixup_f32 v3, v4, v3, s4
	v_add_f32_e32 v3, 0, v3
	v_mov_b32_e32 v4, -1.0
.LBB52_42:
	s_or_b64 exec, exec, s[14:15]
	v_mul_f32_e32 v6, v10, v10
	v_div_scale_f32 v7, s[2:3], v6, v6, 1.0
	v_rcp_f32_e32 v8, v7
	v_fma_f32 v11, -v7, v8, 1.0
	v_fmac_f32_e32 v8, v11, v8
	v_div_scale_f32 v11, vcc, 1.0, v6, 1.0
	v_mul_f32_e32 v12, v11, v8
	v_fma_f32 v13, -v7, v12, v11
	v_fmac_f32_e32 v12, v13, v8
	v_fma_f32 v7, -v7, v12, v11
	v_div_fmas_f32 v7, v7, v8, v12
	v_div_fixup_f32 v6, v7, v6, 1.0
	v_add_f32_e32 v3, v3, v6
	v_add_f32_e32 v6, 1.0, v10
	v_mul_f32_e32 v7, v6, v6
	v_div_scale_f32 v8, s[2:3], v7, v7, 1.0
	v_add_f32_e32 v6, 1.0, v6
	v_rcp_f32_e32 v10, v8
	v_fma_f32 v11, -v8, v10, 1.0
	v_fmac_f32_e32 v10, v11, v10
	v_div_scale_f32 v11, vcc, 1.0, v7, 1.0
	v_mul_f32_e32 v12, v11, v10
	v_fma_f32 v13, -v8, v12, v11
	v_fmac_f32_e32 v12, v13, v10
	v_fma_f32 v8, -v8, v12, v11
	v_div_fmas_f32 v8, v8, v10, v12
	v_div_fixup_f32 v7, v8, v7, 1.0
	v_add_f32_e32 v3, v3, v7
	v_mul_f32_e32 v7, v6, v6
	v_div_scale_f32 v8, s[2:3], v7, v7, 1.0
	v_add_f32_e32 v6, 1.0, v6
	v_rcp_f32_e32 v10, v8
	v_fma_f32 v11, -v8, v10, 1.0
	v_fmac_f32_e32 v10, v11, v10
	v_div_scale_f32 v11, vcc, 1.0, v7, 1.0
	v_mul_f32_e32 v12, v11, v10
	v_fma_f32 v13, -v8, v12, v11
	v_fmac_f32_e32 v12, v13, v10
	v_fma_f32 v8, -v8, v12, v11
	v_div_fmas_f32 v8, v8, v10, v12
	v_div_fixup_f32 v7, v8, v7, 1.0
	v_add_f32_e32 v3, v3, v7
	;; [unrolled: 14-line block ×5, first 2 shown]
	v_mul_f32_e32 v7, v6, v6
	v_div_scale_f32 v8, s[2:3], v7, v7, 1.0
	v_rcp_f32_e32 v10, v8
	v_fma_f32 v11, -v8, v10, 1.0
	v_fmac_f32_e32 v10, v11, v10
	v_div_scale_f32 v11, vcc, 1.0, v7, 1.0
	v_mul_f32_e32 v12, v11, v10
	v_fma_f32 v13, -v8, v12, v11
	v_fmac_f32_e32 v12, v13, v10
	v_fma_f32 v8, -v8, v12, v11
	v_div_fmas_f32 v8, v8, v10, v12
	v_div_fixup_f32 v7, v8, v7, 1.0
	v_add_f32_e32 v8, v6, v6
	v_div_scale_f32 v10, s[2:3], v8, v8, 1.0
	s_mov_b32 s2, 0x3e2aaaab
	v_rcp_f32_e32 v11, v10
	v_fma_f32 v12, -v10, v11, 1.0
	v_fmac_f32_e32 v11, v12, v11
	v_div_scale_f32 v12, vcc, 1.0, v8, 1.0
	v_mul_f32_e32 v13, v12, v11
	v_fma_f32 v14, -v10, v13, v12
	v_fmac_f32_e32 v13, v14, v11
	v_fma_f32 v10, -v10, v13, v12
	v_div_fmas_f32 v10, v10, v11, v13
	v_div_fixup_f32 v8, v10, v8, 1.0
	v_mov_b32_e32 v10, 0x3d088889
	v_fmac_f32_e32 v10, 0xbcc30c31, v7
	v_add_f32_e32 v8, 1.0, v8
	v_fma_f32 v10, -v7, v10, s2
	v_fmac_f32_e32 v8, v7, v10
	v_div_scale_f32 v7, s[2:3], v6, v6, v8
	v_rcp_f32_e32 v10, v7
	v_fma_f32 v11, -v7, v10, 1.0
	v_fmac_f32_e32 v10, v11, v10
	v_div_scale_f32 v11, vcc, v8, v6, v8
	v_mul_f32_e32 v12, v11, v10
	v_fma_f32 v13, -v7, v12, v11
	v_fmac_f32_e32 v12, v13, v10
	v_fma_f32 v7, -v7, v12, v11
	v_div_fmas_f32 v7, v7, v10, v12
	v_div_fixup_f32 v6, v7, v6, v8
	v_add_f32_e32 v3, v3, v6
	v_mov_b32_e32 v8, 0
	v_mul_f32_e32 v3, v4, v3
	v_mov_b32_e32 v7, v8
	v_mov_b32_e32 v6, v8
.LBB52_43:
	s_or_b64 exec, exec, s[10:11]
	v_or_b32_e32 v4, 0x100, v0
	v_cmp_gt_i32_e32 vcc, s18, v4
	s_and_saveexec_b64 s[10:11], vcc
	s_cbranch_execz .LBB52_51
; %bb.44:
	s_waitcnt vmcnt(0)
	v_cmp_gt_f32_e32 vcc, 0.5, v9
	v_mov_b32_e32 v10, 0
	v_mov_b32_e32 v8, 1.0
	s_and_saveexec_b64 s[14:15], vcc
	s_cbranch_execz .LBB52_50
; %bb.45:
	v_mul_f32_e32 v8, 0x40490fdb, v9
	s_brev_b32 s2, 18
	v_and_b32_e32 v10, 0x7fffffff, v8
	v_cmp_nlt_f32_e64 s[2:3], |v8|, s2
                                        ; implicit-def: $vgpr11
                                        ; implicit-def: $vgpr12
	s_and_saveexec_b64 s[4:5], s[2:3]
	s_xor_b64 s[16:17], exec, s[4:5]
	s_cbranch_execz .LBB52_47
; %bb.46:
	v_and_b32_e32 v11, 0x7fffff, v10
	v_or_b32_e32 v20, 0x800000, v11
	s_mov_b32 s2, 0xfe5163ab
	v_mad_u64_u32 v[11:12], s[2:3], v20, s2, 0
	v_mov_b32_e32 v13, 0
	s_mov_b32 s2, 0x3c439041
	v_mad_u64_u32 v[14:15], s[2:3], v20, s2, v[12:13]
	s_mov_b32 s2, 0xdb629599
	v_not_b32_e32 v19, 63
	v_mov_b32_e32 v12, v15
	v_mad_u64_u32 v[15:16], s[2:3], v20, s2, v[12:13]
	s_mov_b32 s2, 0xf534ddc0
	v_not_b32_e32 v22, 31
	v_mov_b32_e32 v12, v16
	v_mad_u64_u32 v[16:17], s[2:3], v20, s2, v[12:13]
	v_lshrrev_b32_e32 v12, 23, v10
	v_add_u32_e32 v21, 0xffffff88, v12
	v_mov_b32_e32 v12, v17
	s_mov_b32 s2, 0xfc2757d1
	v_mad_u64_u32 v[17:18], s[2:3], v20, s2, v[12:13]
	v_cmp_lt_u32_e32 vcc, 63, v21
	v_cndmask_b32_e32 v12, 0, v19, vcc
	v_add_u32_e32 v21, v12, v21
	v_mov_b32_e32 v12, v18
	s_mov_b32 s2, 0x4e441529
	v_mad_u64_u32 v[18:19], s[2:3], v20, s2, v[12:13]
	v_cmp_lt_u32_e64 s[2:3], 31, v21
	v_cndmask_b32_e64 v12, 0, v22, s[2:3]
	v_add_u32_e32 v21, v12, v21
	v_mov_b32_e32 v12, v19
	s_mov_b32 s4, 0xa2f9836e
	v_mad_u64_u32 v[12:13], s[4:5], v20, s4, v[12:13]
	v_cmp_lt_u32_e64 s[4:5], 31, v21
	v_cndmask_b32_e64 v19, 0, v22, s[4:5]
	v_cndmask_b32_e32 v20, v18, v16, vcc
	v_cndmask_b32_e32 v12, v12, v17, vcc
	;; [unrolled: 1-line block ×3, first 2 shown]
	v_add_u32_e32 v19, v19, v21
	v_cndmask_b32_e64 v21, v12, v20, s[2:3]
	v_cndmask_b32_e64 v12, v13, v12, s[2:3]
	v_cndmask_b32_e32 v13, v17, v15, vcc
	v_cndmask_b32_e64 v17, v20, v13, s[2:3]
	v_cndmask_b32_e64 v12, v12, v21, s[4:5]
	v_cndmask_b32_e64 v18, v21, v17, s[4:5]
	v_sub_u32_e32 v20, 32, v19
	v_alignbit_b32 v21, v12, v18, v20
	v_cmp_eq_u32_e64 s[6:7], 0, v19
	v_cndmask_b32_e64 v19, v21, v12, s[6:7]
	v_cndmask_b32_e32 v12, v16, v14, vcc
	v_cndmask_b32_e64 v13, v13, v12, s[2:3]
	v_cndmask_b32_e64 v14, v17, v13, s[4:5]
	v_alignbit_b32 v16, v18, v14, v20
	v_cndmask_b32_e32 v11, v15, v11, vcc
	v_cndmask_b32_e64 v16, v16, v18, s[6:7]
	v_bfe_u32 v21, v19, 29, 1
	v_cndmask_b32_e64 v11, v12, v11, s[2:3]
	v_alignbit_b32 v17, v19, v16, 30
	v_sub_u32_e32 v22, 0, v21
	v_cndmask_b32_e64 v11, v13, v11, s[4:5]
	v_xor_b32_e32 v17, v17, v22
	v_alignbit_b32 v12, v14, v11, v20
	v_cndmask_b32_e64 v12, v12, v14, s[6:7]
	v_ffbh_u32_e32 v14, v17
	v_alignbit_b32 v13, v16, v12, 30
	v_min_u32_e32 v14, 32, v14
	v_alignbit_b32 v11, v12, v11, 30
	v_xor_b32_e32 v13, v13, v22
	v_sub_u32_e32 v15, 31, v14
	v_xor_b32_e32 v11, v11, v22
	v_alignbit_b32 v16, v17, v13, v15
	v_alignbit_b32 v11, v13, v11, v15
	;; [unrolled: 1-line block ×3, first 2 shown]
	v_ffbh_u32_e32 v13, v12
	v_min_u32_e32 v13, 32, v13
	v_lshrrev_b32_e32 v18, 29, v19
	v_not_b32_e32 v15, v13
	v_alignbit_b32 v11, v12, v11, v15
	v_lshlrev_b32_e32 v12, 31, v18
	v_or_b32_e32 v15, 0x33000000, v12
	v_add_lshl_u32 v13, v13, v14, 23
	v_lshrrev_b32_e32 v11, 9, v11
	v_sub_u32_e32 v13, v15, v13
	v_or_b32_e32 v12, 0.5, v12
	v_lshlrev_b32_e32 v14, 23, v14
	v_or_b32_e32 v11, v13, v11
	v_lshrrev_b32_e32 v13, 9, v16
	v_sub_u32_e32 v12, v12, v14
	v_or_b32_e32 v12, v13, v12
	s_mov_b32 s2, 0x3fc90fda
	v_mul_f32_e32 v13, 0x3fc90fda, v12
	v_fma_f32 v14, v12, s2, -v13
	v_fmac_f32_e32 v14, 0x33a22168, v12
	v_fmac_f32_e32 v14, 0x3fc90fda, v11
	v_lshrrev_b32_e32 v11, 30, v19
	v_add_f32_e32 v12, v13, v14
	v_add_u32_e32 v11, v21, v11
.LBB52_47:
	s_andn2_saveexec_b64 s[2:3], s[16:17]
	s_cbranch_execz .LBB52_49
; %bb.48:
	s_mov_b32 s4, 0x3f22f983
	v_mul_f32_e64 v11, |v8|, s4
	v_rndne_f32_e32 v13, v11
	s_mov_b32 s4, 0xbfc90fda
	v_cvt_i32_f32_e32 v11, v13
	v_fma_f32 v12, v13, s4, |v8|
	v_fmac_f32_e32 v12, 0xb3a22168, v13
	v_fmac_f32_e32 v12, 0xa7c234c4, v13
.LBB52_49:
	s_or_b64 exec, exec, s[2:3]
	v_mul_f32_e32 v13, v12, v12
	v_mov_b32_e32 v14, 0x3c0881c4
	v_fmac_f32_e32 v14, 0xb94c1982, v13
	v_mov_b32_e32 v15, 0xbe2aaa9d
	v_fmac_f32_e32 v15, v13, v14
	v_mul_f32_e32 v14, v13, v15
	v_fmac_f32_e32 v12, v12, v14
	v_mov_b32_e32 v14, 0xbab64f3b
	v_fmac_f32_e32 v14, 0x37d75334, v13
	v_mov_b32_e32 v15, 0x3d2aabf7
	;; [unrolled: 2-line block ×3, first 2 shown]
	v_fmac_f32_e32 v14, v13, v15
	v_fma_f32 v13, v13, v14, 1.0
	v_and_b32_e32 v14, 1, v11
	v_lshlrev_b32_e32 v11, 30, v11
	v_cmp_eq_u32_e32 vcc, 0, v14
	v_and_b32_e32 v11, 0x80000000, v11
	v_xor_b32_e32 v10, v10, v8
	v_cndmask_b32_e32 v12, v13, v12, vcc
	v_xor_b32_e32 v10, v10, v11
	s_movk_i32 s2, 0x1f8
	v_xor_b32_e32 v10, v10, v12
	v_mov_b32_e32 v11, 0x7fc00000
	v_cmp_class_f32_e64 vcc, v8, s2
	v_cndmask_b32_e32 v8, v11, v10, vcc
	v_mul_f32_e32 v8, v8, v8
	s_mov_b32 s4, 0xc11de9e7
	v_div_scale_f32 v10, s[2:3], v8, v8, s4
	v_div_scale_f32 v11, vcc, s4, v8, s4
	v_sub_f32_e32 v9, 1.0, v9
	v_rcp_f32_e32 v12, v10
	v_fma_f32 v13, -v10, v12, 1.0
	v_fmac_f32_e32 v12, v13, v12
	v_mul_f32_e32 v13, v11, v12
	v_fma_f32 v14, -v10, v13, v11
	v_fmac_f32_e32 v13, v14, v12
	v_fma_f32 v10, -v10, v13, v11
	v_div_fmas_f32 v10, v10, v12, v13
	v_div_fixup_f32 v8, v10, v8, s4
	v_add_f32_e32 v10, 0, v8
	v_mov_b32_e32 v8, -1.0
.LBB52_50:
	s_or_b64 exec, exec, s[14:15]
	v_mul_f32_e32 v11, v9, v9
	v_div_scale_f32 v12, s[2:3], v11, v11, 1.0
	v_add_f32_e32 v9, 1.0, v9
	v_rcp_f32_e32 v13, v12
	v_fma_f32 v14, -v12, v13, 1.0
	v_fmac_f32_e32 v13, v14, v13
	v_div_scale_f32 v14, vcc, 1.0, v11, 1.0
	v_mul_f32_e32 v15, v14, v13
	v_fma_f32 v16, -v12, v15, v14
	v_fmac_f32_e32 v15, v16, v13
	v_fma_f32 v12, -v12, v15, v14
	v_div_fmas_f32 v12, v12, v13, v15
	v_div_fixup_f32 v11, v12, v11, 1.0
	v_add_f32_e32 v10, v10, v11
	v_mul_f32_e32 v11, v9, v9
	v_div_scale_f32 v12, s[2:3], v11, v11, 1.0
	v_add_f32_e32 v9, 1.0, v9
	v_rcp_f32_e32 v13, v12
	v_fma_f32 v14, -v12, v13, 1.0
	v_fmac_f32_e32 v13, v14, v13
	v_div_scale_f32 v14, vcc, 1.0, v11, 1.0
	v_mul_f32_e32 v15, v14, v13
	v_fma_f32 v16, -v12, v15, v14
	v_fmac_f32_e32 v15, v16, v13
	v_fma_f32 v12, -v12, v15, v14
	v_div_fmas_f32 v12, v12, v13, v15
	v_div_fixup_f32 v11, v12, v11, 1.0
	v_add_f32_e32 v10, v10, v11
	;; [unrolled: 14-line block ×6, first 2 shown]
	v_mul_f32_e32 v11, v9, v9
	v_div_scale_f32 v12, s[2:3], v11, v11, 1.0
	v_rcp_f32_e32 v13, v12
	v_fma_f32 v14, -v12, v13, 1.0
	v_fmac_f32_e32 v13, v14, v13
	v_div_scale_f32 v14, vcc, 1.0, v11, 1.0
	v_mul_f32_e32 v15, v14, v13
	v_fma_f32 v16, -v12, v15, v14
	v_fmac_f32_e32 v15, v16, v13
	v_fma_f32 v12, -v12, v15, v14
	v_div_fmas_f32 v12, v12, v13, v15
	v_div_fixup_f32 v11, v12, v11, 1.0
	v_add_f32_e32 v12, v9, v9
	v_div_scale_f32 v13, s[2:3], v12, v12, 1.0
	s_mov_b32 s2, 0x3e2aaaab
	v_rcp_f32_e32 v14, v13
	v_fma_f32 v15, -v13, v14, 1.0
	v_fmac_f32_e32 v14, v15, v14
	v_div_scale_f32 v15, vcc, 1.0, v12, 1.0
	v_mul_f32_e32 v16, v15, v14
	v_fma_f32 v17, -v13, v16, v15
	v_fmac_f32_e32 v16, v17, v14
	v_fma_f32 v13, -v13, v16, v15
	v_div_fmas_f32 v13, v13, v14, v16
	v_div_fixup_f32 v12, v13, v12, 1.0
	v_mov_b32_e32 v13, 0x3d088889
	v_fmac_f32_e32 v13, 0xbcc30c31, v11
	v_add_f32_e32 v12, 1.0, v12
	v_fma_f32 v13, -v11, v13, s2
	v_fmac_f32_e32 v12, v11, v13
	v_div_scale_f32 v11, s[2:3], v9, v9, v12
	v_rcp_f32_e32 v13, v11
	v_fma_f32 v14, -v11, v13, 1.0
	v_fmac_f32_e32 v13, v14, v13
	v_div_scale_f32 v14, vcc, v12, v9, v12
	v_mul_f32_e32 v15, v14, v13
	v_fma_f32 v16, -v11, v15, v14
	v_fmac_f32_e32 v15, v16, v13
	v_fma_f32 v11, -v11, v15, v14
	v_div_fmas_f32 v11, v11, v13, v15
	v_div_fixup_f32 v9, v11, v9, v12
	v_add_f32_e32 v9, v10, v9
	v_mul_f32_e32 v8, v8, v9
.LBB52_51:
	s_or_b64 exec, exec, s[10:11]
	s_waitcnt vmcnt(0)
	v_or_b32_e32 v9, 0x200, v0
	v_cmp_gt_i32_e32 vcc, s18, v9
	s_and_saveexec_b64 s[10:11], vcc
	s_cbranch_execz .LBB52_59
; %bb.52:
	v_cmp_gt_f32_e32 vcc, 0.5, v5
	v_mov_b32_e32 v9, 0
	v_mov_b32_e32 v7, 1.0
	s_and_saveexec_b64 s[14:15], vcc
	s_cbranch_execz .LBB52_58
; %bb.53:
	v_mul_f32_e32 v7, 0x40490fdb, v5
	s_brev_b32 s2, 18
	v_and_b32_e32 v9, 0x7fffffff, v7
	v_cmp_nlt_f32_e64 s[2:3], |v7|, s2
                                        ; implicit-def: $vgpr10
                                        ; implicit-def: $vgpr11
	s_and_saveexec_b64 s[4:5], s[2:3]
	s_xor_b64 s[16:17], exec, s[4:5]
	s_cbranch_execz .LBB52_55
; %bb.54:
	v_and_b32_e32 v10, 0x7fffff, v9
	v_or_b32_e32 v19, 0x800000, v10
	s_mov_b32 s2, 0xfe5163ab
	v_mad_u64_u32 v[10:11], s[2:3], v19, s2, 0
	v_mov_b32_e32 v12, 0
	s_mov_b32 s2, 0x3c439041
	v_mad_u64_u32 v[13:14], s[2:3], v19, s2, v[11:12]
	s_mov_b32 s2, 0xdb629599
	v_not_b32_e32 v18, 63
	v_mov_b32_e32 v11, v14
	v_mad_u64_u32 v[14:15], s[2:3], v19, s2, v[11:12]
	s_mov_b32 s2, 0xf534ddc0
	v_not_b32_e32 v21, 31
	v_mov_b32_e32 v11, v15
	v_mad_u64_u32 v[15:16], s[2:3], v19, s2, v[11:12]
	v_lshrrev_b32_e32 v11, 23, v9
	v_add_u32_e32 v20, 0xffffff88, v11
	v_mov_b32_e32 v11, v16
	s_mov_b32 s2, 0xfc2757d1
	v_mad_u64_u32 v[16:17], s[2:3], v19, s2, v[11:12]
	v_cmp_lt_u32_e32 vcc, 63, v20
	v_cndmask_b32_e32 v11, 0, v18, vcc
	v_add_u32_e32 v20, v11, v20
	v_mov_b32_e32 v11, v17
	s_mov_b32 s2, 0x4e441529
	v_mad_u64_u32 v[17:18], s[2:3], v19, s2, v[11:12]
	v_cmp_lt_u32_e64 s[2:3], 31, v20
	v_cndmask_b32_e64 v11, 0, v21, s[2:3]
	v_add_u32_e32 v20, v11, v20
	v_mov_b32_e32 v11, v18
	s_mov_b32 s4, 0xa2f9836e
	v_mad_u64_u32 v[11:12], s[4:5], v19, s4, v[11:12]
	v_cmp_lt_u32_e64 s[4:5], 31, v20
	v_cndmask_b32_e64 v18, 0, v21, s[4:5]
	v_cndmask_b32_e32 v19, v17, v15, vcc
	v_cndmask_b32_e32 v11, v11, v16, vcc
	;; [unrolled: 1-line block ×3, first 2 shown]
	v_add_u32_e32 v18, v18, v20
	v_cndmask_b32_e64 v20, v11, v19, s[2:3]
	v_cndmask_b32_e64 v11, v12, v11, s[2:3]
	v_cndmask_b32_e32 v12, v16, v14, vcc
	v_cndmask_b32_e64 v16, v19, v12, s[2:3]
	v_cndmask_b32_e64 v11, v11, v20, s[4:5]
	;; [unrolled: 1-line block ×3, first 2 shown]
	v_sub_u32_e32 v19, 32, v18
	v_alignbit_b32 v20, v11, v17, v19
	v_cmp_eq_u32_e64 s[6:7], 0, v18
	v_cndmask_b32_e64 v18, v20, v11, s[6:7]
	v_cndmask_b32_e32 v11, v15, v13, vcc
	v_cndmask_b32_e64 v12, v12, v11, s[2:3]
	v_cndmask_b32_e64 v13, v16, v12, s[4:5]
	v_alignbit_b32 v15, v17, v13, v19
	v_cndmask_b32_e32 v10, v14, v10, vcc
	v_cndmask_b32_e64 v15, v15, v17, s[6:7]
	v_bfe_u32 v20, v18, 29, 1
	v_cndmask_b32_e64 v10, v11, v10, s[2:3]
	v_alignbit_b32 v16, v18, v15, 30
	v_sub_u32_e32 v21, 0, v20
	v_cndmask_b32_e64 v10, v12, v10, s[4:5]
	v_xor_b32_e32 v16, v16, v21
	v_alignbit_b32 v11, v13, v10, v19
	v_cndmask_b32_e64 v11, v11, v13, s[6:7]
	v_ffbh_u32_e32 v13, v16
	v_alignbit_b32 v12, v15, v11, 30
	v_min_u32_e32 v13, 32, v13
	v_alignbit_b32 v10, v11, v10, 30
	v_xor_b32_e32 v12, v12, v21
	v_sub_u32_e32 v14, 31, v13
	v_xor_b32_e32 v10, v10, v21
	v_alignbit_b32 v15, v16, v12, v14
	v_alignbit_b32 v10, v12, v10, v14
	v_alignbit_b32 v11, v15, v10, 9
	v_ffbh_u32_e32 v12, v11
	v_min_u32_e32 v12, 32, v12
	v_lshrrev_b32_e32 v17, 29, v18
	v_not_b32_e32 v14, v12
	v_alignbit_b32 v10, v11, v10, v14
	v_lshlrev_b32_e32 v11, 31, v17
	v_or_b32_e32 v14, 0x33000000, v11
	v_add_lshl_u32 v12, v12, v13, 23
	v_lshrrev_b32_e32 v10, 9, v10
	v_sub_u32_e32 v12, v14, v12
	v_or_b32_e32 v11, 0.5, v11
	v_lshlrev_b32_e32 v13, 23, v13
	v_or_b32_e32 v10, v12, v10
	v_lshrrev_b32_e32 v12, 9, v15
	v_sub_u32_e32 v11, v11, v13
	v_or_b32_e32 v11, v12, v11
	s_mov_b32 s2, 0x3fc90fda
	v_mul_f32_e32 v12, 0x3fc90fda, v11
	v_fma_f32 v13, v11, s2, -v12
	v_fmac_f32_e32 v13, 0x33a22168, v11
	v_fmac_f32_e32 v13, 0x3fc90fda, v10
	v_lshrrev_b32_e32 v10, 30, v18
	v_add_f32_e32 v11, v12, v13
	v_add_u32_e32 v10, v20, v10
.LBB52_55:
	s_andn2_saveexec_b64 s[2:3], s[16:17]
	s_cbranch_execz .LBB52_57
; %bb.56:
	s_mov_b32 s4, 0x3f22f983
	v_mul_f32_e64 v10, |v7|, s4
	v_rndne_f32_e32 v12, v10
	s_mov_b32 s4, 0xbfc90fda
	v_cvt_i32_f32_e32 v10, v12
	v_fma_f32 v11, v12, s4, |v7|
	v_fmac_f32_e32 v11, 0xb3a22168, v12
	v_fmac_f32_e32 v11, 0xa7c234c4, v12
.LBB52_57:
	s_or_b64 exec, exec, s[2:3]
	v_mul_f32_e32 v12, v11, v11
	v_mov_b32_e32 v13, 0x3c0881c4
	v_fmac_f32_e32 v13, 0xb94c1982, v12
	v_mov_b32_e32 v14, 0xbe2aaa9d
	v_fmac_f32_e32 v14, v12, v13
	v_mul_f32_e32 v13, v12, v14
	v_fmac_f32_e32 v11, v11, v13
	v_mov_b32_e32 v13, 0xbab64f3b
	v_fmac_f32_e32 v13, 0x37d75334, v12
	v_mov_b32_e32 v14, 0x3d2aabf7
	;; [unrolled: 2-line block ×3, first 2 shown]
	v_fmac_f32_e32 v13, v12, v14
	v_fma_f32 v12, v12, v13, 1.0
	v_and_b32_e32 v13, 1, v10
	v_lshlrev_b32_e32 v10, 30, v10
	v_cmp_eq_u32_e32 vcc, 0, v13
	v_and_b32_e32 v10, 0x80000000, v10
	v_xor_b32_e32 v9, v9, v7
	v_cndmask_b32_e32 v11, v12, v11, vcc
	v_xor_b32_e32 v9, v9, v10
	s_movk_i32 s2, 0x1f8
	v_xor_b32_e32 v9, v9, v11
	v_mov_b32_e32 v10, 0x7fc00000
	v_cmp_class_f32_e64 vcc, v7, s2
	v_cndmask_b32_e32 v7, v10, v9, vcc
	v_mul_f32_e32 v7, v7, v7
	s_mov_b32 s4, 0xc11de9e7
	v_div_scale_f32 v9, s[2:3], v7, v7, s4
	v_div_scale_f32 v10, vcc, s4, v7, s4
	v_sub_f32_e32 v5, 1.0, v5
	v_rcp_f32_e32 v11, v9
	v_fma_f32 v12, -v9, v11, 1.0
	v_fmac_f32_e32 v11, v12, v11
	v_mul_f32_e32 v12, v10, v11
	v_fma_f32 v13, -v9, v12, v10
	v_fmac_f32_e32 v12, v13, v11
	v_fma_f32 v9, -v9, v12, v10
	v_div_fmas_f32 v9, v9, v11, v12
	v_div_fixup_f32 v7, v9, v7, s4
	v_add_f32_e32 v9, 0, v7
	v_mov_b32_e32 v7, -1.0
.LBB52_58:
	s_or_b64 exec, exec, s[14:15]
	v_mul_f32_e32 v10, v5, v5
	v_div_scale_f32 v11, s[2:3], v10, v10, 1.0
	v_add_f32_e32 v5, 1.0, v5
	v_rcp_f32_e32 v12, v11
	v_fma_f32 v13, -v11, v12, 1.0
	v_fmac_f32_e32 v12, v13, v12
	v_div_scale_f32 v13, vcc, 1.0, v10, 1.0
	v_mul_f32_e32 v14, v13, v12
	v_fma_f32 v15, -v11, v14, v13
	v_fmac_f32_e32 v14, v15, v12
	v_fma_f32 v11, -v11, v14, v13
	v_div_fmas_f32 v11, v11, v12, v14
	v_div_fixup_f32 v10, v11, v10, 1.0
	v_add_f32_e32 v9, v9, v10
	v_mul_f32_e32 v10, v5, v5
	v_div_scale_f32 v11, s[2:3], v10, v10, 1.0
	v_add_f32_e32 v5, 1.0, v5
	v_rcp_f32_e32 v12, v11
	v_fma_f32 v13, -v11, v12, 1.0
	v_fmac_f32_e32 v12, v13, v12
	v_div_scale_f32 v13, vcc, 1.0, v10, 1.0
	v_mul_f32_e32 v14, v13, v12
	v_fma_f32 v15, -v11, v14, v13
	v_fmac_f32_e32 v14, v15, v12
	v_fma_f32 v11, -v11, v14, v13
	v_div_fmas_f32 v11, v11, v12, v14
	v_div_fixup_f32 v10, v11, v10, 1.0
	v_add_f32_e32 v9, v9, v10
	;; [unrolled: 14-line block ×6, first 2 shown]
	v_mul_f32_e32 v10, v5, v5
	v_div_scale_f32 v11, s[2:3], v10, v10, 1.0
	v_rcp_f32_e32 v12, v11
	v_fma_f32 v13, -v11, v12, 1.0
	v_fmac_f32_e32 v12, v13, v12
	v_div_scale_f32 v13, vcc, 1.0, v10, 1.0
	v_mul_f32_e32 v14, v13, v12
	v_fma_f32 v15, -v11, v14, v13
	v_fmac_f32_e32 v14, v15, v12
	v_fma_f32 v11, -v11, v14, v13
	v_div_fmas_f32 v11, v11, v12, v14
	v_div_fixup_f32 v10, v11, v10, 1.0
	v_add_f32_e32 v11, v5, v5
	v_div_scale_f32 v12, s[2:3], v11, v11, 1.0
	s_mov_b32 s2, 0x3e2aaaab
	v_rcp_f32_e32 v13, v12
	v_fma_f32 v14, -v12, v13, 1.0
	v_fmac_f32_e32 v13, v14, v13
	v_div_scale_f32 v14, vcc, 1.0, v11, 1.0
	v_mul_f32_e32 v15, v14, v13
	v_fma_f32 v16, -v12, v15, v14
	v_fmac_f32_e32 v15, v16, v13
	v_fma_f32 v12, -v12, v15, v14
	v_div_fmas_f32 v12, v12, v13, v15
	v_div_fixup_f32 v11, v12, v11, 1.0
	v_mov_b32_e32 v12, 0x3d088889
	v_fmac_f32_e32 v12, 0xbcc30c31, v10
	v_add_f32_e32 v11, 1.0, v11
	v_fma_f32 v12, -v10, v12, s2
	v_fmac_f32_e32 v11, v10, v12
	v_div_scale_f32 v10, s[2:3], v5, v5, v11
	v_rcp_f32_e32 v12, v10
	v_fma_f32 v13, -v10, v12, 1.0
	v_fmac_f32_e32 v12, v13, v12
	v_div_scale_f32 v13, vcc, v11, v5, v11
	v_mul_f32_e32 v14, v13, v12
	v_fma_f32 v15, -v10, v14, v13
	v_fmac_f32_e32 v14, v15, v12
	v_fma_f32 v10, -v10, v14, v13
	v_div_fmas_f32 v10, v10, v12, v14
	v_div_fixup_f32 v5, v10, v5, v11
	v_add_f32_e32 v5, v9, v5
	v_mul_f32_e32 v7, v7, v5
.LBB52_59:
	s_or_b64 exec, exec, s[10:11]
	v_or_b32_e32 v5, 0x300, v0
	v_cmp_gt_i32_e32 vcc, s18, v5
	s_and_saveexec_b64 s[10:11], vcc
	s_cbranch_execnz .LBB52_66
; %bb.60:
	s_or_b64 exec, exec, s[10:11]
	s_and_saveexec_b64 s[2:3], s[0:1]
	s_xor_b64 s[0:1], exec, s[2:3]
	s_cbranch_execnz .LBB52_73
.LBB52_61:
	s_or_b64 exec, exec, s[0:1]
	v_cmp_gt_i32_e32 vcc, s18, v0
	s_and_saveexec_b64 s[0:1], vcc
	s_cbranch_execnz .LBB52_74
.LBB52_62:
	s_or_b64 exec, exec, s[0:1]
	v_cmp_gt_i32_e32 vcc, s18, v0
	s_and_saveexec_b64 s[0:1], vcc
	s_cbranch_execnz .LBB52_75
.LBB52_63:
	s_or_b64 exec, exec, s[0:1]
	v_cmp_gt_i32_e32 vcc, s18, v0
	s_and_saveexec_b64 s[0:1], vcc
	s_cbranch_execz .LBB52_65
.LBB52_64:
	v_add_u32_e32 v0, s12, v0
	v_mov_b32_e32 v1, 0
	v_lshlrev_b64 v[0:1], 2, v[0:1]
	v_mov_b32_e32 v2, s9
	v_add_co_u32_e32 v0, vcc, s8, v0
	v_addc_co_u32_e32 v1, vcc, v2, v1, vcc
	global_store_dword v[0:1], v6, off
.LBB52_65:
	s_endpgm
.LBB52_66:
	v_cmp_gt_f32_e32 vcc, 0.5, v2
	v_mov_b32_e32 v6, 0
	v_mov_b32_e32 v5, 1.0
	s_and_saveexec_b64 s[14:15], vcc
	s_cbranch_execz .LBB52_72
; %bb.67:
	v_mul_f32_e32 v5, 0x40490fdb, v2
	s_brev_b32 s2, 18
	v_and_b32_e32 v6, 0x7fffffff, v5
	v_cmp_nlt_f32_e64 s[2:3], |v5|, s2
                                        ; implicit-def: $vgpr9
                                        ; implicit-def: $vgpr10
	s_and_saveexec_b64 s[4:5], s[2:3]
	s_xor_b64 s[16:17], exec, s[4:5]
	s_cbranch_execz .LBB52_69
; %bb.68:
	v_and_b32_e32 v9, 0x7fffff, v6
	v_or_b32_e32 v18, 0x800000, v9
	s_mov_b32 s2, 0xfe5163ab
	v_mad_u64_u32 v[9:10], s[2:3], v18, s2, 0
	v_mov_b32_e32 v11, 0
	s_mov_b32 s2, 0x3c439041
	v_mad_u64_u32 v[12:13], s[2:3], v18, s2, v[10:11]
	s_mov_b32 s2, 0xdb629599
	v_not_b32_e32 v17, 63
	v_mov_b32_e32 v10, v13
	v_mad_u64_u32 v[13:14], s[2:3], v18, s2, v[10:11]
	s_mov_b32 s2, 0xf534ddc0
	v_not_b32_e32 v20, 31
	v_mov_b32_e32 v10, v14
	v_mad_u64_u32 v[14:15], s[2:3], v18, s2, v[10:11]
	v_lshrrev_b32_e32 v10, 23, v6
	v_add_u32_e32 v19, 0xffffff88, v10
	v_mov_b32_e32 v10, v15
	s_mov_b32 s2, 0xfc2757d1
	v_mad_u64_u32 v[15:16], s[2:3], v18, s2, v[10:11]
	v_cmp_lt_u32_e32 vcc, 63, v19
	v_cndmask_b32_e32 v10, 0, v17, vcc
	v_add_u32_e32 v19, v10, v19
	v_mov_b32_e32 v10, v16
	s_mov_b32 s2, 0x4e441529
	v_mad_u64_u32 v[16:17], s[2:3], v18, s2, v[10:11]
	v_cmp_lt_u32_e64 s[2:3], 31, v19
	v_cndmask_b32_e64 v10, 0, v20, s[2:3]
	v_add_u32_e32 v19, v10, v19
	v_mov_b32_e32 v10, v17
	s_mov_b32 s4, 0xa2f9836e
	v_mad_u64_u32 v[10:11], s[4:5], v18, s4, v[10:11]
	v_cmp_lt_u32_e64 s[4:5], 31, v19
	v_cndmask_b32_e64 v17, 0, v20, s[4:5]
	v_cndmask_b32_e32 v18, v16, v14, vcc
	v_cndmask_b32_e32 v10, v10, v15, vcc
	;; [unrolled: 1-line block ×3, first 2 shown]
	v_add_u32_e32 v17, v17, v19
	v_cndmask_b32_e64 v19, v10, v18, s[2:3]
	v_cndmask_b32_e64 v10, v11, v10, s[2:3]
	v_cndmask_b32_e32 v11, v15, v13, vcc
	v_cndmask_b32_e64 v15, v18, v11, s[2:3]
	v_cndmask_b32_e64 v10, v10, v19, s[4:5]
	;; [unrolled: 1-line block ×3, first 2 shown]
	v_sub_u32_e32 v18, 32, v17
	v_alignbit_b32 v19, v10, v16, v18
	v_cmp_eq_u32_e64 s[6:7], 0, v17
	v_cndmask_b32_e64 v17, v19, v10, s[6:7]
	v_cndmask_b32_e32 v10, v14, v12, vcc
	v_cndmask_b32_e64 v11, v11, v10, s[2:3]
	v_cndmask_b32_e64 v12, v15, v11, s[4:5]
	v_alignbit_b32 v14, v16, v12, v18
	v_cndmask_b32_e32 v9, v13, v9, vcc
	v_cndmask_b32_e64 v14, v14, v16, s[6:7]
	v_bfe_u32 v19, v17, 29, 1
	v_cndmask_b32_e64 v9, v10, v9, s[2:3]
	v_alignbit_b32 v15, v17, v14, 30
	v_sub_u32_e32 v20, 0, v19
	v_cndmask_b32_e64 v9, v11, v9, s[4:5]
	v_xor_b32_e32 v15, v15, v20
	v_alignbit_b32 v10, v12, v9, v18
	v_cndmask_b32_e64 v10, v10, v12, s[6:7]
	v_ffbh_u32_e32 v12, v15
	v_alignbit_b32 v11, v14, v10, 30
	v_min_u32_e32 v12, 32, v12
	v_alignbit_b32 v9, v10, v9, 30
	v_xor_b32_e32 v11, v11, v20
	v_sub_u32_e32 v13, 31, v12
	v_xor_b32_e32 v9, v9, v20
	v_alignbit_b32 v14, v15, v11, v13
	v_alignbit_b32 v9, v11, v9, v13
	;; [unrolled: 1-line block ×3, first 2 shown]
	v_ffbh_u32_e32 v11, v10
	v_min_u32_e32 v11, 32, v11
	v_lshrrev_b32_e32 v16, 29, v17
	v_not_b32_e32 v13, v11
	v_alignbit_b32 v9, v10, v9, v13
	v_lshlrev_b32_e32 v10, 31, v16
	v_or_b32_e32 v13, 0x33000000, v10
	v_add_lshl_u32 v11, v11, v12, 23
	v_lshrrev_b32_e32 v9, 9, v9
	v_sub_u32_e32 v11, v13, v11
	v_or_b32_e32 v10, 0.5, v10
	v_lshlrev_b32_e32 v12, 23, v12
	v_or_b32_e32 v9, v11, v9
	v_lshrrev_b32_e32 v11, 9, v14
	v_sub_u32_e32 v10, v10, v12
	v_or_b32_e32 v10, v11, v10
	s_mov_b32 s2, 0x3fc90fda
	v_mul_f32_e32 v11, 0x3fc90fda, v10
	v_fma_f32 v12, v10, s2, -v11
	v_fmac_f32_e32 v12, 0x33a22168, v10
	v_fmac_f32_e32 v12, 0x3fc90fda, v9
	v_lshrrev_b32_e32 v9, 30, v17
	v_add_f32_e32 v10, v11, v12
	v_add_u32_e32 v9, v19, v9
.LBB52_69:
	s_andn2_saveexec_b64 s[2:3], s[16:17]
	s_cbranch_execz .LBB52_71
; %bb.70:
	s_mov_b32 s4, 0x3f22f983
	v_mul_f32_e64 v9, |v5|, s4
	v_rndne_f32_e32 v11, v9
	s_mov_b32 s4, 0xbfc90fda
	v_cvt_i32_f32_e32 v9, v11
	v_fma_f32 v10, v11, s4, |v5|
	v_fmac_f32_e32 v10, 0xb3a22168, v11
	v_fmac_f32_e32 v10, 0xa7c234c4, v11
.LBB52_71:
	s_or_b64 exec, exec, s[2:3]
	v_mul_f32_e32 v11, v10, v10
	v_mov_b32_e32 v12, 0x3c0881c4
	v_fmac_f32_e32 v12, 0xb94c1982, v11
	v_mov_b32_e32 v13, 0xbe2aaa9d
	v_fmac_f32_e32 v13, v11, v12
	v_mul_f32_e32 v12, v11, v13
	v_fmac_f32_e32 v10, v10, v12
	v_mov_b32_e32 v12, 0xbab64f3b
	v_fmac_f32_e32 v12, 0x37d75334, v11
	v_mov_b32_e32 v13, 0x3d2aabf7
	;; [unrolled: 2-line block ×3, first 2 shown]
	v_fmac_f32_e32 v12, v11, v13
	v_fma_f32 v11, v11, v12, 1.0
	v_and_b32_e32 v12, 1, v9
	v_lshlrev_b32_e32 v9, 30, v9
	v_cmp_eq_u32_e32 vcc, 0, v12
	v_and_b32_e32 v9, 0x80000000, v9
	v_xor_b32_e32 v6, v6, v5
	v_cndmask_b32_e32 v10, v11, v10, vcc
	v_xor_b32_e32 v6, v6, v9
	s_movk_i32 s2, 0x1f8
	v_xor_b32_e32 v6, v6, v10
	v_mov_b32_e32 v9, 0x7fc00000
	v_cmp_class_f32_e64 vcc, v5, s2
	v_cndmask_b32_e32 v5, v9, v6, vcc
	v_mul_f32_e32 v5, v5, v5
	s_mov_b32 s4, 0xc11de9e7
	v_div_scale_f32 v6, s[2:3], v5, v5, s4
	v_div_scale_f32 v9, vcc, s4, v5, s4
	v_sub_f32_e32 v2, 1.0, v2
	v_rcp_f32_e32 v10, v6
	v_fma_f32 v11, -v6, v10, 1.0
	v_fmac_f32_e32 v10, v11, v10
	v_mul_f32_e32 v11, v9, v10
	v_fma_f32 v12, -v6, v11, v9
	v_fmac_f32_e32 v11, v12, v10
	v_fma_f32 v6, -v6, v11, v9
	v_div_fmas_f32 v6, v6, v10, v11
	v_div_fixup_f32 v5, v6, v5, s4
	v_add_f32_e32 v6, 0, v5
	v_mov_b32_e32 v5, -1.0
.LBB52_72:
	s_or_b64 exec, exec, s[14:15]
	v_mul_f32_e32 v9, v2, v2
	v_div_scale_f32 v10, s[2:3], v9, v9, 1.0
	v_add_f32_e32 v2, 1.0, v2
	v_rcp_f32_e32 v11, v10
	v_fma_f32 v12, -v10, v11, 1.0
	v_fmac_f32_e32 v11, v12, v11
	v_div_scale_f32 v12, vcc, 1.0, v9, 1.0
	v_mul_f32_e32 v13, v12, v11
	v_fma_f32 v14, -v10, v13, v12
	v_fmac_f32_e32 v13, v14, v11
	v_fma_f32 v10, -v10, v13, v12
	v_div_fmas_f32 v10, v10, v11, v13
	v_div_fixup_f32 v9, v10, v9, 1.0
	v_add_f32_e32 v6, v6, v9
	v_mul_f32_e32 v9, v2, v2
	v_div_scale_f32 v10, s[2:3], v9, v9, 1.0
	v_add_f32_e32 v2, 1.0, v2
	v_rcp_f32_e32 v11, v10
	v_fma_f32 v12, -v10, v11, 1.0
	v_fmac_f32_e32 v11, v12, v11
	v_div_scale_f32 v12, vcc, 1.0, v9, 1.0
	v_mul_f32_e32 v13, v12, v11
	v_fma_f32 v14, -v10, v13, v12
	v_fmac_f32_e32 v13, v14, v11
	v_fma_f32 v10, -v10, v13, v12
	v_div_fmas_f32 v10, v10, v11, v13
	v_div_fixup_f32 v9, v10, v9, 1.0
	v_add_f32_e32 v6, v6, v9
	;; [unrolled: 14-line block ×6, first 2 shown]
	v_mul_f32_e32 v9, v2, v2
	v_div_scale_f32 v10, s[2:3], v9, v9, 1.0
	v_rcp_f32_e32 v11, v10
	v_fma_f32 v12, -v10, v11, 1.0
	v_fmac_f32_e32 v11, v12, v11
	v_div_scale_f32 v12, vcc, 1.0, v9, 1.0
	v_mul_f32_e32 v13, v12, v11
	v_fma_f32 v14, -v10, v13, v12
	v_fmac_f32_e32 v13, v14, v11
	v_fma_f32 v10, -v10, v13, v12
	v_div_fmas_f32 v10, v10, v11, v13
	v_div_fixup_f32 v9, v10, v9, 1.0
	v_add_f32_e32 v10, v2, v2
	v_div_scale_f32 v11, s[2:3], v10, v10, 1.0
	s_mov_b32 s2, 0x3e2aaaab
	v_rcp_f32_e32 v12, v11
	v_fma_f32 v13, -v11, v12, 1.0
	v_fmac_f32_e32 v12, v13, v12
	v_div_scale_f32 v13, vcc, 1.0, v10, 1.0
	v_mul_f32_e32 v14, v13, v12
	v_fma_f32 v15, -v11, v14, v13
	v_fmac_f32_e32 v14, v15, v12
	v_fma_f32 v11, -v11, v14, v13
	v_div_fmas_f32 v11, v11, v12, v14
	v_div_fixup_f32 v10, v11, v10, 1.0
	v_mov_b32_e32 v11, 0x3d088889
	v_fmac_f32_e32 v11, 0xbcc30c31, v9
	v_add_f32_e32 v10, 1.0, v10
	v_fma_f32 v11, -v9, v11, s2
	v_fmac_f32_e32 v10, v9, v11
	v_div_scale_f32 v9, s[2:3], v2, v2, v10
	v_rcp_f32_e32 v11, v9
	v_fma_f32 v12, -v9, v11, 1.0
	v_fmac_f32_e32 v11, v12, v11
	v_div_scale_f32 v12, vcc, v10, v2, v10
	v_mul_f32_e32 v13, v12, v11
	v_fma_f32 v14, -v9, v13, v12
	v_fmac_f32_e32 v13, v14, v11
	v_fma_f32 v9, -v9, v13, v12
	v_div_fmas_f32 v9, v9, v11, v13
	v_div_fixup_f32 v2, v9, v2, v10
	v_add_f32_e32 v2, v6, v2
	v_mul_f32_e32 v6, v5, v2
	s_or_b64 exec, exec, s[10:11]
	s_and_saveexec_b64 s[2:3], s[0:1]
	s_xor_b64 s[0:1], exec, s[2:3]
	s_cbranch_execz .LBB52_61
.LBB52_73:
	v_mov_b32_e32 v2, 0
	v_lshlrev_b64 v[0:1], 2, v[1:2]
	v_mov_b32_e32 v2, s9
	v_add_co_u32_e32 v0, vcc, s8, v0
	v_addc_co_u32_e32 v1, vcc, v2, v1, vcc
	global_store_dword v[0:1], v3, off
	v_mov_b32_e32 v0, v4
	s_or_b64 exec, exec, s[0:1]
	v_cmp_gt_i32_e32 vcc, s18, v0
	s_and_saveexec_b64 s[0:1], vcc
	s_cbranch_execz .LBB52_62
.LBB52_74:
	v_add_u32_e32 v1, s12, v0
	v_mov_b32_e32 v2, 0
	v_lshlrev_b64 v[1:2], 2, v[1:2]
	v_mov_b32_e32 v3, s9
	v_add_co_u32_e32 v1, vcc, s8, v1
	v_addc_co_u32_e32 v2, vcc, v3, v2, vcc
	v_add_u32_e32 v0, 0x100, v0
	global_store_dword v[1:2], v8, off
	s_or_b64 exec, exec, s[0:1]
	v_cmp_gt_i32_e32 vcc, s18, v0
	s_and_saveexec_b64 s[0:1], vcc
	s_cbranch_execz .LBB52_63
.LBB52_75:
	v_add_u32_e32 v1, s12, v0
	v_mov_b32_e32 v2, 0
	v_lshlrev_b64 v[1:2], 2, v[1:2]
	v_mov_b32_e32 v3, s9
	v_add_co_u32_e32 v1, vcc, s8, v1
	v_addc_co_u32_e32 v2, vcc, v3, v2, vcc
	v_add_u32_e32 v0, 0x100, v0
	global_store_dword v[1:2], v7, off
	s_or_b64 exec, exec, s[0:1]
	v_cmp_gt_i32_e32 vcc, s18, v0
	s_and_saveexec_b64 s[0:1], vcc
	s_cbranch_execnz .LBB52_64
	s_branch .LBB52_65
	.section	.rodata,"a",@progbits
	.p2align	6, 0x0
	.amdhsa_kernel _ZN2at6native29vectorized_elementwise_kernelILi4EZZZNS0_20trigamma_kernel_cudaERNS_18TensorIteratorBaseEENKUlvE_clEvENKUlvE0_clEvEUlfE_St5arrayIPcLm2EEEEviT0_T1_
		.amdhsa_group_segment_fixed_size 0
		.amdhsa_private_segment_fixed_size 0
		.amdhsa_kernarg_size 24
		.amdhsa_user_sgpr_count 6
		.amdhsa_user_sgpr_private_segment_buffer 1
		.amdhsa_user_sgpr_dispatch_ptr 0
		.amdhsa_user_sgpr_queue_ptr 0
		.amdhsa_user_sgpr_kernarg_segment_ptr 1
		.amdhsa_user_sgpr_dispatch_id 0
		.amdhsa_user_sgpr_flat_scratch_init 0
		.amdhsa_user_sgpr_private_segment_size 0
		.amdhsa_uses_dynamic_stack 0
		.amdhsa_system_sgpr_private_segment_wavefront_offset 0
		.amdhsa_system_sgpr_workgroup_id_x 1
		.amdhsa_system_sgpr_workgroup_id_y 0
		.amdhsa_system_sgpr_workgroup_id_z 0
		.amdhsa_system_sgpr_workgroup_info 0
		.amdhsa_system_vgpr_workitem_id 0
		.amdhsa_next_free_vgpr 26
		.amdhsa_next_free_sgpr 19
		.amdhsa_reserve_vcc 1
		.amdhsa_reserve_flat_scratch 0
		.amdhsa_float_round_mode_32 0
		.amdhsa_float_round_mode_16_64 0
		.amdhsa_float_denorm_mode_32 3
		.amdhsa_float_denorm_mode_16_64 3
		.amdhsa_dx10_clamp 1
		.amdhsa_ieee_mode 1
		.amdhsa_fp16_overflow 0
		.amdhsa_exception_fp_ieee_invalid_op 0
		.amdhsa_exception_fp_denorm_src 0
		.amdhsa_exception_fp_ieee_div_zero 0
		.amdhsa_exception_fp_ieee_overflow 0
		.amdhsa_exception_fp_ieee_underflow 0
		.amdhsa_exception_fp_ieee_inexact 0
		.amdhsa_exception_int_div_zero 0
	.end_amdhsa_kernel
	.section	.text._ZN2at6native29vectorized_elementwise_kernelILi4EZZZNS0_20trigamma_kernel_cudaERNS_18TensorIteratorBaseEENKUlvE_clEvENKUlvE0_clEvEUlfE_St5arrayIPcLm2EEEEviT0_T1_,"axG",@progbits,_ZN2at6native29vectorized_elementwise_kernelILi4EZZZNS0_20trigamma_kernel_cudaERNS_18TensorIteratorBaseEENKUlvE_clEvENKUlvE0_clEvEUlfE_St5arrayIPcLm2EEEEviT0_T1_,comdat
.Lfunc_end52:
	.size	_ZN2at6native29vectorized_elementwise_kernelILi4EZZZNS0_20trigamma_kernel_cudaERNS_18TensorIteratorBaseEENKUlvE_clEvENKUlvE0_clEvEUlfE_St5arrayIPcLm2EEEEviT0_T1_, .Lfunc_end52-_ZN2at6native29vectorized_elementwise_kernelILi4EZZZNS0_20trigamma_kernel_cudaERNS_18TensorIteratorBaseEENKUlvE_clEvENKUlvE0_clEvEUlfE_St5arrayIPcLm2EEEEviT0_T1_
                                        ; -- End function
	.set _ZN2at6native29vectorized_elementwise_kernelILi4EZZZNS0_20trigamma_kernel_cudaERNS_18TensorIteratorBaseEENKUlvE_clEvENKUlvE0_clEvEUlfE_St5arrayIPcLm2EEEEviT0_T1_.num_vgpr, 26
	.set _ZN2at6native29vectorized_elementwise_kernelILi4EZZZNS0_20trigamma_kernel_cudaERNS_18TensorIteratorBaseEENKUlvE_clEvENKUlvE0_clEvEUlfE_St5arrayIPcLm2EEEEviT0_T1_.num_agpr, 0
	.set _ZN2at6native29vectorized_elementwise_kernelILi4EZZZNS0_20trigamma_kernel_cudaERNS_18TensorIteratorBaseEENKUlvE_clEvENKUlvE0_clEvEUlfE_St5arrayIPcLm2EEEEviT0_T1_.numbered_sgpr, 19
	.set _ZN2at6native29vectorized_elementwise_kernelILi4EZZZNS0_20trigamma_kernel_cudaERNS_18TensorIteratorBaseEENKUlvE_clEvENKUlvE0_clEvEUlfE_St5arrayIPcLm2EEEEviT0_T1_.num_named_barrier, 0
	.set _ZN2at6native29vectorized_elementwise_kernelILi4EZZZNS0_20trigamma_kernel_cudaERNS_18TensorIteratorBaseEENKUlvE_clEvENKUlvE0_clEvEUlfE_St5arrayIPcLm2EEEEviT0_T1_.private_seg_size, 0
	.set _ZN2at6native29vectorized_elementwise_kernelILi4EZZZNS0_20trigamma_kernel_cudaERNS_18TensorIteratorBaseEENKUlvE_clEvENKUlvE0_clEvEUlfE_St5arrayIPcLm2EEEEviT0_T1_.uses_vcc, 1
	.set _ZN2at6native29vectorized_elementwise_kernelILi4EZZZNS0_20trigamma_kernel_cudaERNS_18TensorIteratorBaseEENKUlvE_clEvENKUlvE0_clEvEUlfE_St5arrayIPcLm2EEEEviT0_T1_.uses_flat_scratch, 0
	.set _ZN2at6native29vectorized_elementwise_kernelILi4EZZZNS0_20trigamma_kernel_cudaERNS_18TensorIteratorBaseEENKUlvE_clEvENKUlvE0_clEvEUlfE_St5arrayIPcLm2EEEEviT0_T1_.has_dyn_sized_stack, 0
	.set _ZN2at6native29vectorized_elementwise_kernelILi4EZZZNS0_20trigamma_kernel_cudaERNS_18TensorIteratorBaseEENKUlvE_clEvENKUlvE0_clEvEUlfE_St5arrayIPcLm2EEEEviT0_T1_.has_recursion, 0
	.set _ZN2at6native29vectorized_elementwise_kernelILi4EZZZNS0_20trigamma_kernel_cudaERNS_18TensorIteratorBaseEENKUlvE_clEvENKUlvE0_clEvEUlfE_St5arrayIPcLm2EEEEviT0_T1_.has_indirect_call, 0
	.section	.AMDGPU.csdata,"",@progbits
; Kernel info:
; codeLenInByte = 14696
; TotalNumSgprs: 23
; NumVgprs: 26
; ScratchSize: 0
; MemoryBound: 0
; FloatMode: 240
; IeeeMode: 1
; LDSByteSize: 0 bytes/workgroup (compile time only)
; SGPRBlocks: 2
; VGPRBlocks: 6
; NumSGPRsForWavesPerEU: 23
; NumVGPRsForWavesPerEU: 26
; Occupancy: 9
; WaveLimiterHint : 0
; COMPUTE_PGM_RSRC2:SCRATCH_EN: 0
; COMPUTE_PGM_RSRC2:USER_SGPR: 6
; COMPUTE_PGM_RSRC2:TRAP_HANDLER: 0
; COMPUTE_PGM_RSRC2:TGID_X_EN: 1
; COMPUTE_PGM_RSRC2:TGID_Y_EN: 0
; COMPUTE_PGM_RSRC2:TGID_Z_EN: 0
; COMPUTE_PGM_RSRC2:TIDIG_COMP_CNT: 0
	.section	.text._ZN2at6native29vectorized_elementwise_kernelILi2EZZZNS0_20trigamma_kernel_cudaERNS_18TensorIteratorBaseEENKUlvE_clEvENKUlvE0_clEvEUlfE_St5arrayIPcLm2EEEEviT0_T1_,"axG",@progbits,_ZN2at6native29vectorized_elementwise_kernelILi2EZZZNS0_20trigamma_kernel_cudaERNS_18TensorIteratorBaseEENKUlvE_clEvENKUlvE0_clEvEUlfE_St5arrayIPcLm2EEEEviT0_T1_,comdat
	.globl	_ZN2at6native29vectorized_elementwise_kernelILi2EZZZNS0_20trigamma_kernel_cudaERNS_18TensorIteratorBaseEENKUlvE_clEvENKUlvE0_clEvEUlfE_St5arrayIPcLm2EEEEviT0_T1_ ; -- Begin function _ZN2at6native29vectorized_elementwise_kernelILi2EZZZNS0_20trigamma_kernel_cudaERNS_18TensorIteratorBaseEENKUlvE_clEvENKUlvE0_clEvEUlfE_St5arrayIPcLm2EEEEviT0_T1_
	.p2align	8
	.type	_ZN2at6native29vectorized_elementwise_kernelILi2EZZZNS0_20trigamma_kernel_cudaERNS_18TensorIteratorBaseEENKUlvE_clEvENKUlvE0_clEvEUlfE_St5arrayIPcLm2EEEEviT0_T1_,@function
_ZN2at6native29vectorized_elementwise_kernelILi2EZZZNS0_20trigamma_kernel_cudaERNS_18TensorIteratorBaseEENKUlvE_clEvENKUlvE0_clEvEUlfE_St5arrayIPcLm2EEEEviT0_T1_: ; @_ZN2at6native29vectorized_elementwise_kernelILi2EZZZNS0_20trigamma_kernel_cudaERNS_18TensorIteratorBaseEENKUlvE_clEvENKUlvE0_clEvEUlfE_St5arrayIPcLm2EEEEviT0_T1_
; %bb.0:
	s_load_dword s0, s[4:5], 0x0
	s_load_dwordx4 s[8:11], s[4:5], 0x8
	s_lshl_b32 s12, s6, 10
	s_waitcnt lgkmcnt(0)
	s_sub_i32 s18, s0, s12
	s_cmpk_gt_i32 s18, 0x3ff
	s_mov_b64 s[0:1], -1
	s_cbranch_scc0 .LBB53_26
; %bb.1:
	s_ashr_i32 s13, s12, 31
	s_lshl_b64 s[6:7], s[12:13], 2
	s_add_u32 s0, s10, s6
	s_addc_u32 s1, s11, s7
	v_lshlrev_b32_e32 v5, 3, v0
	global_load_dwordx2 v[3:4], v5, s[0:1]
	global_load_dwordx2 v[1:2], v5, s[0:1] offset:2048
	v_mov_b32_e32 v13, 0
	v_mov_b32_e32 v6, 1.0
	s_waitcnt vmcnt(1)
	v_cmp_gt_f32_e32 vcc, 0.5, v3
	s_and_saveexec_b64 s[14:15], vcc
	s_cbranch_execz .LBB53_7
; %bb.2:
	v_mul_f32_e32 v6, 0x40490fdb, v3
	s_brev_b32 s0, 18
	v_and_b32_e32 v7, 0x7fffffff, v6
	v_cmp_nlt_f32_e64 s[0:1], |v6|, s0
                                        ; implicit-def: $vgpr8
                                        ; implicit-def: $vgpr9
	s_and_saveexec_b64 s[2:3], s[0:1]
	s_xor_b64 s[16:17], exec, s[2:3]
	s_cbranch_execz .LBB53_4
; %bb.3:
	v_and_b32_e32 v8, 0x7fffff, v7
	v_or_b32_e32 v17, 0x800000, v8
	s_mov_b32 s0, 0xfe5163ab
	v_mad_u64_u32 v[8:9], s[0:1], v17, s0, 0
	v_mov_b32_e32 v10, 0
	s_mov_b32 s0, 0x3c439041
	v_mad_u64_u32 v[11:12], s[0:1], v17, s0, v[9:10]
	s_mov_b32 s0, 0xdb629599
	v_not_b32_e32 v16, 63
	v_mov_b32_e32 v9, v12
	v_mad_u64_u32 v[12:13], s[0:1], v17, s0, v[9:10]
	s_mov_b32 s0, 0xf534ddc0
	v_not_b32_e32 v19, 31
	v_mov_b32_e32 v9, v13
	v_mad_u64_u32 v[13:14], s[0:1], v17, s0, v[9:10]
	v_lshrrev_b32_e32 v9, 23, v7
	v_add_u32_e32 v18, 0xffffff88, v9
	v_mov_b32_e32 v9, v14
	s_mov_b32 s0, 0xfc2757d1
	v_mad_u64_u32 v[14:15], s[0:1], v17, s0, v[9:10]
	v_cmp_lt_u32_e32 vcc, 63, v18
	v_cndmask_b32_e32 v9, 0, v16, vcc
	v_add_u32_e32 v18, v9, v18
	v_mov_b32_e32 v9, v15
	s_mov_b32 s0, 0x4e441529
	v_mad_u64_u32 v[15:16], s[0:1], v17, s0, v[9:10]
	v_cmp_lt_u32_e64 s[0:1], 31, v18
	v_cndmask_b32_e64 v9, 0, v19, s[0:1]
	v_add_u32_e32 v18, v9, v18
	v_mov_b32_e32 v9, v16
	s_mov_b32 s2, 0xa2f9836e
	v_mad_u64_u32 v[9:10], s[2:3], v17, s2, v[9:10]
	v_cmp_lt_u32_e64 s[2:3], 31, v18
	v_cndmask_b32_e64 v16, 0, v19, s[2:3]
	v_cndmask_b32_e32 v17, v15, v13, vcc
	v_cndmask_b32_e32 v9, v9, v14, vcc
	;; [unrolled: 1-line block ×3, first 2 shown]
	v_add_u32_e32 v16, v16, v18
	v_cndmask_b32_e64 v18, v9, v17, s[0:1]
	v_cndmask_b32_e64 v9, v10, v9, s[0:1]
	v_cndmask_b32_e32 v10, v14, v12, vcc
	v_cndmask_b32_e64 v14, v17, v10, s[0:1]
	v_cndmask_b32_e64 v9, v9, v18, s[2:3]
	;; [unrolled: 1-line block ×3, first 2 shown]
	v_sub_u32_e32 v17, 32, v16
	v_alignbit_b32 v18, v9, v15, v17
	v_cmp_eq_u32_e64 s[4:5], 0, v16
	v_cndmask_b32_e64 v16, v18, v9, s[4:5]
	v_cndmask_b32_e32 v9, v13, v11, vcc
	v_cndmask_b32_e64 v10, v10, v9, s[0:1]
	v_cndmask_b32_e64 v11, v14, v10, s[2:3]
	v_alignbit_b32 v13, v15, v11, v17
	v_cndmask_b32_e32 v8, v12, v8, vcc
	v_cndmask_b32_e64 v13, v13, v15, s[4:5]
	v_bfe_u32 v18, v16, 29, 1
	v_cndmask_b32_e64 v8, v9, v8, s[0:1]
	v_alignbit_b32 v14, v16, v13, 30
	v_sub_u32_e32 v19, 0, v18
	v_cndmask_b32_e64 v8, v10, v8, s[2:3]
	v_xor_b32_e32 v14, v14, v19
	v_alignbit_b32 v9, v11, v8, v17
	v_cndmask_b32_e64 v9, v9, v11, s[4:5]
	v_ffbh_u32_e32 v11, v14
	v_alignbit_b32 v10, v13, v9, 30
	v_min_u32_e32 v11, 32, v11
	v_alignbit_b32 v8, v9, v8, 30
	v_xor_b32_e32 v10, v10, v19
	v_sub_u32_e32 v12, 31, v11
	v_xor_b32_e32 v8, v8, v19
	v_alignbit_b32 v13, v14, v10, v12
	v_alignbit_b32 v8, v10, v8, v12
	v_alignbit_b32 v9, v13, v8, 9
	v_ffbh_u32_e32 v10, v9
	v_min_u32_e32 v10, 32, v10
	v_lshrrev_b32_e32 v15, 29, v16
	v_not_b32_e32 v12, v10
	v_alignbit_b32 v8, v9, v8, v12
	v_lshlrev_b32_e32 v9, 31, v15
	v_or_b32_e32 v12, 0x33000000, v9
	v_add_lshl_u32 v10, v10, v11, 23
	v_lshrrev_b32_e32 v8, 9, v8
	v_sub_u32_e32 v10, v12, v10
	v_or_b32_e32 v9, 0.5, v9
	v_lshlrev_b32_e32 v11, 23, v11
	v_or_b32_e32 v8, v10, v8
	v_lshrrev_b32_e32 v10, 9, v13
	v_sub_u32_e32 v9, v9, v11
	v_or_b32_e32 v9, v10, v9
	s_mov_b32 s0, 0x3fc90fda
	v_mul_f32_e32 v10, 0x3fc90fda, v9
	v_fma_f32 v11, v9, s0, -v10
	v_fmac_f32_e32 v11, 0x33a22168, v9
	v_fmac_f32_e32 v11, 0x3fc90fda, v8
	v_lshrrev_b32_e32 v8, 30, v16
	v_add_f32_e32 v9, v10, v11
	v_add_u32_e32 v8, v18, v8
.LBB53_4:
	s_andn2_saveexec_b64 s[0:1], s[16:17]
	s_cbranch_execz .LBB53_6
; %bb.5:
	s_mov_b32 s2, 0x3f22f983
	v_mul_f32_e64 v8, |v6|, s2
	v_rndne_f32_e32 v10, v8
	s_mov_b32 s2, 0xbfc90fda
	v_cvt_i32_f32_e32 v8, v10
	v_fma_f32 v9, v10, s2, |v6|
	v_fmac_f32_e32 v9, 0xb3a22168, v10
	v_fmac_f32_e32 v9, 0xa7c234c4, v10
.LBB53_6:
	s_or_b64 exec, exec, s[0:1]
	v_mul_f32_e32 v10, v9, v9
	v_mov_b32_e32 v11, 0x3c0881c4
	v_fmac_f32_e32 v11, 0xb94c1982, v10
	v_mov_b32_e32 v12, 0xbe2aaa9d
	v_fmac_f32_e32 v12, v10, v11
	v_mul_f32_e32 v11, v10, v12
	v_fmac_f32_e32 v9, v9, v11
	v_mov_b32_e32 v11, 0xbab64f3b
	v_fmac_f32_e32 v11, 0x37d75334, v10
	v_mov_b32_e32 v12, 0x3d2aabf7
	;; [unrolled: 2-line block ×3, first 2 shown]
	v_fmac_f32_e32 v11, v10, v12
	v_fma_f32 v10, v10, v11, 1.0
	v_and_b32_e32 v11, 1, v8
	v_lshlrev_b32_e32 v8, 30, v8
	v_cmp_eq_u32_e32 vcc, 0, v11
	v_and_b32_e32 v8, 0x80000000, v8
	v_xor_b32_e32 v7, v7, v6
	v_cndmask_b32_e32 v9, v10, v9, vcc
	v_xor_b32_e32 v7, v7, v8
	s_movk_i32 s0, 0x1f8
	v_xor_b32_e32 v7, v7, v9
	v_mov_b32_e32 v8, 0x7fc00000
	v_cmp_class_f32_e64 vcc, v6, s0
	v_cndmask_b32_e32 v6, v8, v7, vcc
	v_mul_f32_e32 v6, v6, v6
	s_mov_b32 s2, 0xc11de9e7
	v_div_scale_f32 v7, s[0:1], v6, v6, s2
	v_div_scale_f32 v8, vcc, s2, v6, s2
	v_sub_f32_e32 v3, 1.0, v3
	v_rcp_f32_e32 v9, v7
	v_fma_f32 v10, -v7, v9, 1.0
	v_fmac_f32_e32 v9, v10, v9
	v_mul_f32_e32 v10, v8, v9
	v_fma_f32 v11, -v7, v10, v8
	v_fmac_f32_e32 v10, v11, v9
	v_fma_f32 v7, -v7, v10, v8
	v_div_fmas_f32 v7, v7, v9, v10
	v_div_fixup_f32 v6, v7, v6, s2
	v_add_f32_e32 v13, 0, v6
	v_mov_b32_e32 v6, -1.0
.LBB53_7:
	s_or_b64 exec, exec, s[14:15]
	v_cmp_gt_f32_e32 vcc, 0.5, v4
	v_mov_b32_e32 v10, 0
	v_mov_b32_e32 v7, 1.0
	s_and_saveexec_b64 s[14:15], vcc
	s_cbranch_execz .LBB53_13
; %bb.8:
	v_mul_f32_e32 v7, 0x40490fdb, v4
	s_brev_b32 s0, 18
	v_and_b32_e32 v8, 0x7fffffff, v7
	v_cmp_nlt_f32_e64 s[0:1], |v7|, s0
                                        ; implicit-def: $vgpr9
                                        ; implicit-def: $vgpr10
	s_and_saveexec_b64 s[2:3], s[0:1]
	s_xor_b64 s[16:17], exec, s[2:3]
	s_cbranch_execz .LBB53_10
; %bb.9:
	v_and_b32_e32 v9, 0x7fffff, v8
	v_or_b32_e32 v12, 0x800000, v9
	s_mov_b32 s0, 0xfe5163ab
	v_mad_u64_u32 v[9:10], s[0:1], v12, s0, 0
	v_mov_b32_e32 v11, 0
	s_mov_b32 s0, 0x3c439041
	v_mad_u64_u32 v[14:15], s[0:1], v12, s0, v[10:11]
	s_mov_b32 s0, 0xdb629599
	v_not_b32_e32 v19, 63
	v_mov_b32_e32 v10, v15
	v_mad_u64_u32 v[15:16], s[0:1], v12, s0, v[10:11]
	s_mov_b32 s0, 0xf534ddc0
	v_not_b32_e32 v21, 31
	v_mov_b32_e32 v10, v16
	v_mad_u64_u32 v[16:17], s[0:1], v12, s0, v[10:11]
	v_lshrrev_b32_e32 v10, 23, v8
	v_add_u32_e32 v20, 0xffffff88, v10
	v_mov_b32_e32 v10, v17
	s_mov_b32 s0, 0xfc2757d1
	v_mad_u64_u32 v[17:18], s[0:1], v12, s0, v[10:11]
	v_cmp_lt_u32_e32 vcc, 63, v20
	v_cndmask_b32_e32 v10, 0, v19, vcc
	v_add_u32_e32 v20, v10, v20
	v_mov_b32_e32 v10, v18
	s_mov_b32 s0, 0x4e441529
	v_mad_u64_u32 v[18:19], s[0:1], v12, s0, v[10:11]
	v_cmp_lt_u32_e64 s[0:1], 31, v20
	v_cndmask_b32_e64 v10, 0, v21, s[0:1]
	v_add_u32_e32 v20, v10, v20
	v_mov_b32_e32 v10, v19
	s_mov_b32 s2, 0xa2f9836e
	v_mad_u64_u32 v[10:11], s[2:3], v12, s2, v[10:11]
	v_cmp_lt_u32_e64 s[2:3], 31, v20
	v_cndmask_b32_e64 v12, 0, v21, s[2:3]
	v_cndmask_b32_e32 v19, v18, v16, vcc
	v_cndmask_b32_e32 v10, v10, v17, vcc
	;; [unrolled: 1-line block ×3, first 2 shown]
	v_add_u32_e32 v12, v12, v20
	v_cndmask_b32_e64 v20, v10, v19, s[0:1]
	v_cndmask_b32_e64 v10, v11, v10, s[0:1]
	v_cndmask_b32_e32 v11, v17, v15, vcc
	v_cndmask_b32_e64 v17, v19, v11, s[0:1]
	v_cndmask_b32_e64 v10, v10, v20, s[2:3]
	;; [unrolled: 1-line block ×3, first 2 shown]
	v_sub_u32_e32 v19, 32, v12
	v_alignbit_b32 v20, v10, v18, v19
	v_cmp_eq_u32_e64 s[4:5], 0, v12
	v_cndmask_b32_e64 v12, v20, v10, s[4:5]
	v_cndmask_b32_e32 v10, v16, v14, vcc
	v_cndmask_b32_e64 v11, v11, v10, s[0:1]
	v_cndmask_b32_e64 v14, v17, v11, s[2:3]
	v_alignbit_b32 v16, v18, v14, v19
	v_cndmask_b32_e32 v9, v15, v9, vcc
	v_cndmask_b32_e64 v16, v16, v18, s[4:5]
	v_bfe_u32 v20, v12, 29, 1
	v_cndmask_b32_e64 v9, v10, v9, s[0:1]
	v_alignbit_b32 v17, v12, v16, 30
	v_sub_u32_e32 v21, 0, v20
	v_cndmask_b32_e64 v9, v11, v9, s[2:3]
	v_xor_b32_e32 v17, v17, v21
	v_alignbit_b32 v10, v14, v9, v19
	v_cndmask_b32_e64 v10, v10, v14, s[4:5]
	v_ffbh_u32_e32 v14, v17
	v_alignbit_b32 v11, v16, v10, 30
	v_min_u32_e32 v14, 32, v14
	v_alignbit_b32 v9, v10, v9, 30
	v_xor_b32_e32 v11, v11, v21
	v_sub_u32_e32 v15, 31, v14
	v_xor_b32_e32 v9, v9, v21
	v_alignbit_b32 v16, v17, v11, v15
	v_alignbit_b32 v9, v11, v9, v15
	;; [unrolled: 1-line block ×3, first 2 shown]
	v_ffbh_u32_e32 v11, v10
	v_min_u32_e32 v11, 32, v11
	v_lshrrev_b32_e32 v18, 29, v12
	v_not_b32_e32 v15, v11
	v_alignbit_b32 v9, v10, v9, v15
	v_lshlrev_b32_e32 v10, 31, v18
	v_or_b32_e32 v15, 0x33000000, v10
	v_add_lshl_u32 v11, v11, v14, 23
	v_lshrrev_b32_e32 v9, 9, v9
	v_sub_u32_e32 v11, v15, v11
	v_or_b32_e32 v10, 0.5, v10
	v_lshlrev_b32_e32 v14, 23, v14
	v_or_b32_e32 v9, v11, v9
	v_lshrrev_b32_e32 v11, 9, v16
	v_sub_u32_e32 v10, v10, v14
	v_or_b32_e32 v10, v11, v10
	s_mov_b32 s0, 0x3fc90fda
	v_mul_f32_e32 v11, 0x3fc90fda, v10
	v_fma_f32 v14, v10, s0, -v11
	v_fmac_f32_e32 v14, 0x33a22168, v10
	v_fmac_f32_e32 v14, 0x3fc90fda, v9
	v_lshrrev_b32_e32 v9, 30, v12
	v_add_f32_e32 v10, v11, v14
	v_add_u32_e32 v9, v20, v9
.LBB53_10:
	s_andn2_saveexec_b64 s[0:1], s[16:17]
	s_cbranch_execz .LBB53_12
; %bb.11:
	s_mov_b32 s2, 0x3f22f983
	v_mul_f32_e64 v9, |v7|, s2
	v_rndne_f32_e32 v11, v9
	s_mov_b32 s2, 0xbfc90fda
	v_cvt_i32_f32_e32 v9, v11
	v_fma_f32 v10, v11, s2, |v7|
	v_fmac_f32_e32 v10, 0xb3a22168, v11
	v_fmac_f32_e32 v10, 0xa7c234c4, v11
.LBB53_12:
	s_or_b64 exec, exec, s[0:1]
	v_mul_f32_e32 v11, v10, v10
	v_mov_b32_e32 v12, 0x3c0881c4
	v_fmac_f32_e32 v12, 0xb94c1982, v11
	v_mov_b32_e32 v14, 0xbe2aaa9d
	v_fmac_f32_e32 v14, v11, v12
	v_mul_f32_e32 v12, v11, v14
	v_fmac_f32_e32 v10, v10, v12
	v_mov_b32_e32 v12, 0xbab64f3b
	v_fmac_f32_e32 v12, 0x37d75334, v11
	v_mov_b32_e32 v14, 0x3d2aabf7
	;; [unrolled: 2-line block ×3, first 2 shown]
	v_fmac_f32_e32 v12, v11, v14
	v_fma_f32 v11, v11, v12, 1.0
	v_and_b32_e32 v12, 1, v9
	v_lshlrev_b32_e32 v9, 30, v9
	v_cmp_eq_u32_e32 vcc, 0, v12
	v_and_b32_e32 v9, 0x80000000, v9
	v_xor_b32_e32 v8, v8, v7
	v_cndmask_b32_e32 v10, v11, v10, vcc
	v_xor_b32_e32 v8, v8, v9
	s_movk_i32 s0, 0x1f8
	v_xor_b32_e32 v8, v8, v10
	v_mov_b32_e32 v9, 0x7fc00000
	v_cmp_class_f32_e64 vcc, v7, s0
	v_cndmask_b32_e32 v7, v9, v8, vcc
	v_mul_f32_e32 v7, v7, v7
	s_mov_b32 s2, 0xc11de9e7
	v_div_scale_f32 v8, s[0:1], v7, v7, s2
	v_div_scale_f32 v9, vcc, s2, v7, s2
	v_sub_f32_e32 v4, 1.0, v4
	v_rcp_f32_e32 v10, v8
	v_fma_f32 v11, -v8, v10, 1.0
	v_fmac_f32_e32 v10, v11, v10
	v_mul_f32_e32 v11, v9, v10
	v_fma_f32 v12, -v8, v11, v9
	v_fmac_f32_e32 v11, v12, v10
	v_fma_f32 v8, -v8, v11, v9
	v_div_fmas_f32 v8, v8, v10, v11
	v_div_fixup_f32 v7, v8, v7, s2
	v_add_f32_e32 v10, 0, v7
	v_mov_b32_e32 v7, -1.0
.LBB53_13:
	s_or_b64 exec, exec, s[14:15]
	s_waitcnt vmcnt(0)
	v_cmp_gt_f32_e32 vcc, 0.5, v1
	v_mov_b32_e32 v11, 0
	v_mov_b32_e32 v9, 1.0
	s_and_saveexec_b64 s[14:15], vcc
	s_cbranch_execz .LBB53_19
; %bb.14:
	v_mul_f32_e32 v8, 0x40490fdb, v1
	s_brev_b32 s0, 18
	v_and_b32_e32 v9, 0x7fffffff, v8
	v_cmp_nlt_f32_e64 s[0:1], |v8|, s0
                                        ; implicit-def: $vgpr11
                                        ; implicit-def: $vgpr12
	s_and_saveexec_b64 s[2:3], s[0:1]
	s_xor_b64 s[16:17], exec, s[2:3]
	s_cbranch_execz .LBB53_16
; %bb.15:
	v_and_b32_e32 v11, 0x7fffff, v9
	v_or_b32_e32 v22, 0x800000, v11
	s_mov_b32 s0, 0xfe5163ab
	v_mad_u64_u32 v[11:12], s[0:1], v22, s0, 0
	v_mov_b32_e32 v15, 0
	s_mov_b32 s0, 0x3c439041
	v_mov_b32_e32 v14, v12
	v_mad_u64_u32 v[16:17], s[0:1], v22, s0, v[14:15]
	s_mov_b32 s0, 0xdb629599
	v_lshrrev_b32_e32 v12, 23, v9
	v_mov_b32_e32 v14, v17
	v_mad_u64_u32 v[17:18], s[0:1], v22, s0, v[14:15]
	s_mov_b32 s0, 0xf534ddc0
	v_add_u32_e32 v12, 0xffffff88, v12
	v_mov_b32_e32 v14, v18
	v_mad_u64_u32 v[18:19], s[0:1], v22, s0, v[14:15]
	s_mov_b32 s0, 0xfc2757d1
	v_not_b32_e32 v21, 63
	v_mov_b32_e32 v14, v19
	v_mad_u64_u32 v[19:20], s[0:1], v22, s0, v[14:15]
	v_cmp_lt_u32_e32 vcc, 63, v12
	v_cndmask_b32_e32 v14, 0, v21, vcc
	v_add_u32_e32 v12, v14, v12
	v_mov_b32_e32 v14, v20
	s_mov_b32 s0, 0x4e441529
	v_mad_u64_u32 v[20:21], s[0:1], v22, s0, v[14:15]
	v_not_b32_e32 v23, 31
	v_cmp_lt_u32_e64 s[0:1], 31, v12
	v_cndmask_b32_e64 v14, 0, v23, s[0:1]
	v_add_u32_e32 v12, v14, v12
	v_mov_b32_e32 v14, v21
	s_mov_b32 s2, 0xa2f9836e
	v_mad_u64_u32 v[14:15], s[2:3], v22, s2, v[14:15]
	v_cmp_lt_u32_e64 s[2:3], 31, v12
	v_cndmask_b32_e64 v21, 0, v23, s[2:3]
	v_add_u32_e32 v12, v21, v12
	v_cndmask_b32_e32 v21, v20, v18, vcc
	v_cndmask_b32_e32 v14, v14, v19, vcc
	;; [unrolled: 1-line block ×3, first 2 shown]
	v_cndmask_b32_e64 v22, v14, v21, s[0:1]
	v_cndmask_b32_e64 v14, v15, v14, s[0:1]
	v_cndmask_b32_e32 v15, v19, v17, vcc
	v_cndmask_b32_e64 v19, v21, v15, s[0:1]
	v_sub_u32_e32 v21, 32, v12
	v_cmp_eq_u32_e64 s[4:5], 0, v12
	v_cndmask_b32_e32 v12, v18, v16, vcc
	v_cndmask_b32_e64 v14, v14, v22, s[2:3]
	v_cndmask_b32_e64 v20, v22, v19, s[2:3]
	;; [unrolled: 1-line block ×3, first 2 shown]
	v_alignbit_b32 v22, v14, v20, v21
	v_cndmask_b32_e64 v16, v19, v15, s[2:3]
	v_cndmask_b32_e64 v14, v22, v14, s[4:5]
	v_alignbit_b32 v18, v20, v16, v21
	v_cndmask_b32_e32 v11, v17, v11, vcc
	v_cndmask_b32_e64 v18, v18, v20, s[4:5]
	v_bfe_u32 v22, v14, 29, 1
	v_cndmask_b32_e64 v11, v12, v11, s[0:1]
	v_alignbit_b32 v19, v14, v18, 30
	v_sub_u32_e32 v23, 0, v22
	v_cndmask_b32_e64 v11, v15, v11, s[2:3]
	v_xor_b32_e32 v19, v19, v23
	v_alignbit_b32 v12, v16, v11, v21
	v_cndmask_b32_e64 v12, v12, v16, s[4:5]
	v_ffbh_u32_e32 v16, v19
	v_alignbit_b32 v15, v18, v12, 30
	v_min_u32_e32 v16, 32, v16
	v_alignbit_b32 v11, v12, v11, 30
	v_xor_b32_e32 v15, v15, v23
	v_sub_u32_e32 v17, 31, v16
	v_xor_b32_e32 v11, v11, v23
	v_alignbit_b32 v18, v19, v15, v17
	v_alignbit_b32 v11, v15, v11, v17
	;; [unrolled: 1-line block ×3, first 2 shown]
	v_ffbh_u32_e32 v15, v12
	v_min_u32_e32 v15, 32, v15
	v_lshrrev_b32_e32 v20, 29, v14
	v_not_b32_e32 v17, v15
	v_alignbit_b32 v11, v12, v11, v17
	v_lshlrev_b32_e32 v12, 31, v20
	v_or_b32_e32 v17, 0x33000000, v12
	v_add_lshl_u32 v15, v15, v16, 23
	v_lshrrev_b32_e32 v11, 9, v11
	v_sub_u32_e32 v15, v17, v15
	v_or_b32_e32 v12, 0.5, v12
	v_lshlrev_b32_e32 v16, 23, v16
	v_or_b32_e32 v11, v15, v11
	v_lshrrev_b32_e32 v15, 9, v18
	v_sub_u32_e32 v12, v12, v16
	v_or_b32_e32 v12, v15, v12
	s_mov_b32 s0, 0x3fc90fda
	v_mul_f32_e32 v15, 0x3fc90fda, v12
	v_fma_f32 v16, v12, s0, -v15
	v_fmac_f32_e32 v16, 0x33a22168, v12
	v_fmac_f32_e32 v16, 0x3fc90fda, v11
	v_lshrrev_b32_e32 v11, 30, v14
	v_add_f32_e32 v12, v15, v16
	v_add_u32_e32 v11, v22, v11
.LBB53_16:
	s_andn2_saveexec_b64 s[0:1], s[16:17]
	s_cbranch_execz .LBB53_18
; %bb.17:
	s_mov_b32 s2, 0x3f22f983
	v_mul_f32_e64 v11, |v8|, s2
	v_rndne_f32_e32 v14, v11
	s_mov_b32 s2, 0xbfc90fda
	v_cvt_i32_f32_e32 v11, v14
	v_fma_f32 v12, v14, s2, |v8|
	v_fmac_f32_e32 v12, 0xb3a22168, v14
	v_fmac_f32_e32 v12, 0xa7c234c4, v14
.LBB53_18:
	s_or_b64 exec, exec, s[0:1]
	v_mul_f32_e32 v14, v12, v12
	v_mov_b32_e32 v15, 0x3c0881c4
	v_fmac_f32_e32 v15, 0xb94c1982, v14
	v_mov_b32_e32 v16, 0xbe2aaa9d
	v_fmac_f32_e32 v16, v14, v15
	v_mul_f32_e32 v15, v14, v16
	v_fmac_f32_e32 v12, v12, v15
	v_mov_b32_e32 v15, 0xbab64f3b
	v_fmac_f32_e32 v15, 0x37d75334, v14
	v_mov_b32_e32 v16, 0x3d2aabf7
	v_fmac_f32_e32 v16, v14, v15
	v_mov_b32_e32 v15, 0xbf000004
	v_fmac_f32_e32 v15, v14, v16
	v_fma_f32 v14, v14, v15, 1.0
	v_and_b32_e32 v15, 1, v11
	v_lshlrev_b32_e32 v11, 30, v11
	v_cmp_eq_u32_e32 vcc, 0, v15
	v_and_b32_e32 v11, 0x80000000, v11
	v_xor_b32_e32 v9, v9, v8
	v_cndmask_b32_e32 v12, v14, v12, vcc
	v_xor_b32_e32 v9, v9, v11
	s_movk_i32 s0, 0x1f8
	v_xor_b32_e32 v9, v9, v12
	v_mov_b32_e32 v11, 0x7fc00000
	v_cmp_class_f32_e64 vcc, v8, s0
	v_cndmask_b32_e32 v8, v11, v9, vcc
	v_mul_f32_e32 v8, v8, v8
	s_mov_b32 s2, 0xc11de9e7
	v_div_scale_f32 v9, s[0:1], v8, v8, s2
	v_div_scale_f32 v11, vcc, s2, v8, s2
	v_sub_f32_e32 v1, 1.0, v1
	v_rcp_f32_e32 v12, v9
	v_fma_f32 v14, -v9, v12, 1.0
	v_fmac_f32_e32 v12, v14, v12
	v_mul_f32_e32 v14, v11, v12
	v_fma_f32 v15, -v9, v14, v11
	v_fmac_f32_e32 v14, v15, v12
	v_fma_f32 v9, -v9, v14, v11
	v_div_fmas_f32 v9, v9, v12, v14
	v_div_fixup_f32 v8, v9, v8, s2
	v_add_f32_e32 v11, 0, v8
	v_mov_b32_e32 v9, -1.0
.LBB53_19:
	s_or_b64 exec, exec, s[14:15]
	v_cmp_gt_f32_e32 vcc, 0.5, v2
	v_mov_b32_e32 v12, 0
	v_mov_b32_e32 v8, 1.0
	s_and_saveexec_b64 s[14:15], vcc
	s_cbranch_execz .LBB53_25
; %bb.20:
	v_mul_f32_e32 v8, 0x40490fdb, v2
	s_brev_b32 s0, 18
	v_and_b32_e32 v12, 0x7fffffff, v8
	v_cmp_nlt_f32_e64 s[0:1], |v8|, s0
                                        ; implicit-def: $vgpr14
                                        ; implicit-def: $vgpr15
	s_and_saveexec_b64 s[2:3], s[0:1]
	s_xor_b64 s[16:17], exec, s[2:3]
	s_cbranch_execz .LBB53_22
; %bb.21:
	v_and_b32_e32 v14, 0x7fffff, v12
	v_or_b32_e32 v23, 0x800000, v14
	s_mov_b32 s0, 0xfe5163ab
	v_mad_u64_u32 v[14:15], s[0:1], v23, s0, 0
	v_mov_b32_e32 v16, 0
	s_mov_b32 s0, 0x3c439041
	v_mad_u64_u32 v[17:18], s[0:1], v23, s0, v[15:16]
	s_mov_b32 s0, 0xdb629599
	v_not_b32_e32 v22, 63
	v_mov_b32_e32 v15, v18
	v_mad_u64_u32 v[18:19], s[0:1], v23, s0, v[15:16]
	s_mov_b32 s0, 0xf534ddc0
	v_not_b32_e32 v25, 31
	v_mov_b32_e32 v15, v19
	v_mad_u64_u32 v[19:20], s[0:1], v23, s0, v[15:16]
	v_lshrrev_b32_e32 v15, 23, v12
	v_add_u32_e32 v24, 0xffffff88, v15
	v_mov_b32_e32 v15, v20
	s_mov_b32 s0, 0xfc2757d1
	v_mad_u64_u32 v[20:21], s[0:1], v23, s0, v[15:16]
	v_cmp_lt_u32_e32 vcc, 63, v24
	v_cndmask_b32_e32 v15, 0, v22, vcc
	v_add_u32_e32 v24, v15, v24
	v_mov_b32_e32 v15, v21
	s_mov_b32 s0, 0x4e441529
	v_mad_u64_u32 v[21:22], s[0:1], v23, s0, v[15:16]
	v_cmp_lt_u32_e64 s[0:1], 31, v24
	v_cndmask_b32_e64 v15, 0, v25, s[0:1]
	v_add_u32_e32 v24, v15, v24
	v_mov_b32_e32 v15, v22
	s_mov_b32 s2, 0xa2f9836e
	v_mad_u64_u32 v[15:16], s[2:3], v23, s2, v[15:16]
	v_cmp_lt_u32_e64 s[2:3], 31, v24
	v_cndmask_b32_e64 v22, 0, v25, s[2:3]
	v_cndmask_b32_e32 v23, v21, v19, vcc
	v_cndmask_b32_e32 v15, v15, v20, vcc
	;; [unrolled: 1-line block ×3, first 2 shown]
	v_add_u32_e32 v22, v22, v24
	v_cndmask_b32_e64 v24, v15, v23, s[0:1]
	v_cndmask_b32_e64 v15, v16, v15, s[0:1]
	v_cndmask_b32_e32 v16, v20, v18, vcc
	v_cndmask_b32_e64 v20, v23, v16, s[0:1]
	v_cndmask_b32_e64 v15, v15, v24, s[2:3]
	;; [unrolled: 1-line block ×3, first 2 shown]
	v_sub_u32_e32 v23, 32, v22
	v_alignbit_b32 v24, v15, v21, v23
	v_cmp_eq_u32_e64 s[4:5], 0, v22
	v_cndmask_b32_e64 v22, v24, v15, s[4:5]
	v_cndmask_b32_e32 v15, v19, v17, vcc
	v_cndmask_b32_e64 v16, v16, v15, s[0:1]
	v_cndmask_b32_e64 v17, v20, v16, s[2:3]
	v_alignbit_b32 v19, v21, v17, v23
	v_cndmask_b32_e32 v14, v18, v14, vcc
	v_cndmask_b32_e64 v19, v19, v21, s[4:5]
	v_bfe_u32 v24, v22, 29, 1
	v_cndmask_b32_e64 v14, v15, v14, s[0:1]
	v_alignbit_b32 v20, v22, v19, 30
	v_sub_u32_e32 v25, 0, v24
	v_cndmask_b32_e64 v14, v16, v14, s[2:3]
	v_xor_b32_e32 v20, v20, v25
	v_alignbit_b32 v15, v17, v14, v23
	v_cndmask_b32_e64 v15, v15, v17, s[4:5]
	v_ffbh_u32_e32 v17, v20
	v_alignbit_b32 v16, v19, v15, 30
	v_min_u32_e32 v17, 32, v17
	v_alignbit_b32 v14, v15, v14, 30
	v_xor_b32_e32 v16, v16, v25
	v_sub_u32_e32 v18, 31, v17
	v_xor_b32_e32 v14, v14, v25
	v_alignbit_b32 v19, v20, v16, v18
	v_alignbit_b32 v14, v16, v14, v18
	;; [unrolled: 1-line block ×3, first 2 shown]
	v_ffbh_u32_e32 v16, v15
	v_min_u32_e32 v16, 32, v16
	v_lshrrev_b32_e32 v21, 29, v22
	v_not_b32_e32 v18, v16
	v_alignbit_b32 v14, v15, v14, v18
	v_lshlrev_b32_e32 v15, 31, v21
	v_or_b32_e32 v18, 0x33000000, v15
	v_add_lshl_u32 v16, v16, v17, 23
	v_lshrrev_b32_e32 v14, 9, v14
	v_sub_u32_e32 v16, v18, v16
	v_or_b32_e32 v15, 0.5, v15
	v_lshlrev_b32_e32 v17, 23, v17
	v_or_b32_e32 v14, v16, v14
	v_lshrrev_b32_e32 v16, 9, v19
	v_sub_u32_e32 v15, v15, v17
	v_or_b32_e32 v15, v16, v15
	s_mov_b32 s0, 0x3fc90fda
	v_mul_f32_e32 v16, 0x3fc90fda, v15
	v_fma_f32 v17, v15, s0, -v16
	v_fmac_f32_e32 v17, 0x33a22168, v15
	v_fmac_f32_e32 v17, 0x3fc90fda, v14
	v_lshrrev_b32_e32 v14, 30, v22
	v_add_f32_e32 v15, v16, v17
	v_add_u32_e32 v14, v24, v14
.LBB53_22:
	s_andn2_saveexec_b64 s[0:1], s[16:17]
	s_cbranch_execz .LBB53_24
; %bb.23:
	s_mov_b32 s2, 0x3f22f983
	v_mul_f32_e64 v14, |v8|, s2
	v_rndne_f32_e32 v16, v14
	s_mov_b32 s2, 0xbfc90fda
	v_cvt_i32_f32_e32 v14, v16
	v_fma_f32 v15, v16, s2, |v8|
	v_fmac_f32_e32 v15, 0xb3a22168, v16
	v_fmac_f32_e32 v15, 0xa7c234c4, v16
.LBB53_24:
	s_or_b64 exec, exec, s[0:1]
	v_mul_f32_e32 v16, v15, v15
	v_mov_b32_e32 v17, 0x3c0881c4
	v_fmac_f32_e32 v17, 0xb94c1982, v16
	v_mov_b32_e32 v18, 0xbe2aaa9d
	v_fmac_f32_e32 v18, v16, v17
	v_mul_f32_e32 v17, v16, v18
	v_fmac_f32_e32 v15, v15, v17
	v_mov_b32_e32 v17, 0xbab64f3b
	v_fmac_f32_e32 v17, 0x37d75334, v16
	v_mov_b32_e32 v18, 0x3d2aabf7
	;; [unrolled: 2-line block ×3, first 2 shown]
	v_fmac_f32_e32 v17, v16, v18
	v_fma_f32 v16, v16, v17, 1.0
	v_and_b32_e32 v17, 1, v14
	v_lshlrev_b32_e32 v14, 30, v14
	v_cmp_eq_u32_e32 vcc, 0, v17
	v_and_b32_e32 v14, 0x80000000, v14
	v_xor_b32_e32 v12, v12, v8
	v_cndmask_b32_e32 v15, v16, v15, vcc
	v_xor_b32_e32 v12, v12, v14
	s_movk_i32 s0, 0x1f8
	v_xor_b32_e32 v12, v12, v15
	v_mov_b32_e32 v14, 0x7fc00000
	v_cmp_class_f32_e64 vcc, v8, s0
	v_cndmask_b32_e32 v8, v14, v12, vcc
	v_mul_f32_e32 v8, v8, v8
	s_mov_b32 s2, 0xc11de9e7
	v_div_scale_f32 v12, s[0:1], v8, v8, s2
	v_div_scale_f32 v14, vcc, s2, v8, s2
	v_sub_f32_e32 v2, 1.0, v2
	v_rcp_f32_e32 v15, v12
	v_fma_f32 v16, -v12, v15, 1.0
	v_fmac_f32_e32 v15, v16, v15
	v_mul_f32_e32 v16, v14, v15
	v_fma_f32 v17, -v12, v16, v14
	v_fmac_f32_e32 v16, v17, v15
	v_fma_f32 v12, -v12, v16, v14
	v_div_fmas_f32 v12, v12, v15, v16
	v_div_fixup_f32 v8, v12, v8, s2
	v_add_f32_e32 v12, 0, v8
	v_mov_b32_e32 v8, -1.0
.LBB53_25:
	s_or_b64 exec, exec, s[14:15]
	v_mul_f32_e32 v14, v3, v3
	v_div_scale_f32 v15, s[0:1], v14, v14, 1.0
	v_add_f32_e32 v3, 1.0, v3
	v_rcp_f32_e32 v16, v15
	v_fma_f32 v17, -v15, v16, 1.0
	v_fmac_f32_e32 v16, v17, v16
	v_div_scale_f32 v17, vcc, 1.0, v14, 1.0
	v_mul_f32_e32 v18, v17, v16
	v_fma_f32 v19, -v15, v18, v17
	v_fmac_f32_e32 v18, v19, v16
	v_fma_f32 v15, -v15, v18, v17
	v_div_fmas_f32 v15, v15, v16, v18
	v_div_fixup_f32 v14, v15, v14, 1.0
	v_add_f32_e32 v13, v13, v14
	v_mul_f32_e32 v14, v3, v3
	v_div_scale_f32 v15, s[0:1], v14, v14, 1.0
	v_add_f32_e32 v3, 1.0, v3
	v_rcp_f32_e32 v16, v15
	v_fma_f32 v17, -v15, v16, 1.0
	v_fmac_f32_e32 v16, v17, v16
	v_div_scale_f32 v17, vcc, 1.0, v14, 1.0
	v_mul_f32_e32 v18, v17, v16
	v_fma_f32 v19, -v15, v18, v17
	v_fmac_f32_e32 v18, v19, v16
	v_fma_f32 v15, -v15, v18, v17
	v_div_fmas_f32 v15, v15, v16, v18
	v_div_fixup_f32 v14, v15, v14, 1.0
	v_add_f32_e32 v13, v13, v14
	;; [unrolled: 14-line block ×6, first 2 shown]
	v_add_f32_e32 v13, v3, v3
	v_div_scale_f32 v15, s[0:1], v13, v13, 1.0
	v_rcp_f32_e32 v16, v15
	v_fma_f32 v17, -v15, v16, 1.0
	v_fmac_f32_e32 v16, v17, v16
	v_div_scale_f32 v17, vcc, 1.0, v13, 1.0
	v_mul_f32_e32 v18, v17, v16
	v_fma_f32 v19, -v15, v18, v17
	v_fmac_f32_e32 v18, v19, v16
	v_fma_f32 v15, -v15, v18, v17
	v_div_fmas_f32 v15, v15, v16, v18
	v_div_fixup_f32 v13, v15, v13, 1.0
	v_add_f32_e32 v15, 1.0, v13
	v_mul_f32_e32 v13, v3, v3
	v_div_scale_f32 v16, s[0:1], v13, v13, 1.0
	s_mov_b32 s0, 0x3e2aaaab
	v_rcp_f32_e32 v17, v16
	v_fma_f32 v18, -v16, v17, 1.0
	v_fmac_f32_e32 v17, v18, v17
	v_div_scale_f32 v18, vcc, 1.0, v13, 1.0
	v_mul_f32_e32 v19, v18, v17
	v_fma_f32 v20, -v16, v19, v18
	v_fmac_f32_e32 v19, v20, v17
	v_fma_f32 v16, -v16, v19, v18
	v_div_fmas_f32 v16, v16, v17, v19
	v_mov_b32_e32 v17, 0x3d088889
	v_div_fixup_f32 v16, v16, v13, 1.0
	v_fmac_f32_e32 v17, 0xbcc30c31, v16
	v_fma_f32 v17, -v16, v17, s0
	v_fmac_f32_e32 v15, v16, v17
	v_div_scale_f32 v16, s[2:3], v3, v3, v15
	v_mov_b32_e32 v13, 0x3d088889
	v_rcp_f32_e32 v17, v16
	v_fma_f32 v18, -v16, v17, 1.0
	v_fmac_f32_e32 v17, v18, v17
	v_div_scale_f32 v18, vcc, v15, v3, v15
	v_mul_f32_e32 v19, v18, v17
	v_fma_f32 v20, -v16, v19, v18
	v_fmac_f32_e32 v19, v20, v17
	v_fma_f32 v16, -v16, v19, v18
	v_div_fmas_f32 v16, v16, v17, v19
	v_div_fixup_f32 v3, v16, v3, v15
	v_add_f32_e32 v3, v14, v3
	v_mul_f32_e32 v3, v6, v3
	v_mul_f32_e32 v6, v4, v4
	v_div_scale_f32 v14, s[2:3], v6, v6, 1.0
	v_add_f32_e32 v4, 1.0, v4
	v_rcp_f32_e32 v15, v14
	v_fma_f32 v16, -v14, v15, 1.0
	v_fmac_f32_e32 v15, v16, v15
	v_div_scale_f32 v16, vcc, 1.0, v6, 1.0
	v_mul_f32_e32 v17, v16, v15
	v_fma_f32 v18, -v14, v17, v16
	v_fmac_f32_e32 v17, v18, v15
	v_fma_f32 v14, -v14, v17, v16
	v_div_fmas_f32 v14, v14, v15, v17
	v_div_fixup_f32 v6, v14, v6, 1.0
	v_add_f32_e32 v6, v10, v6
	v_mul_f32_e32 v10, v4, v4
	v_div_scale_f32 v14, s[2:3], v10, v10, 1.0
	v_add_f32_e32 v4, 1.0, v4
	v_rcp_f32_e32 v15, v14
	v_fma_f32 v16, -v14, v15, 1.0
	v_fmac_f32_e32 v15, v16, v15
	v_div_scale_f32 v16, vcc, 1.0, v10, 1.0
	v_mul_f32_e32 v17, v16, v15
	v_fma_f32 v18, -v14, v17, v16
	v_fmac_f32_e32 v17, v18, v15
	v_fma_f32 v14, -v14, v17, v16
	v_div_fmas_f32 v14, v14, v15, v17
	v_div_fixup_f32 v10, v14, v10, 1.0
	v_add_f32_e32 v6, v6, v10
	;; [unrolled: 14-line block ×6, first 2 shown]
	v_add_f32_e32 v10, v4, v4
	v_div_scale_f32 v14, s[2:3], v10, v10, 1.0
	v_rcp_f32_e32 v15, v14
	v_fma_f32 v16, -v14, v15, 1.0
	v_fmac_f32_e32 v15, v16, v15
	v_div_scale_f32 v16, vcc, 1.0, v10, 1.0
	v_mul_f32_e32 v17, v16, v15
	v_fma_f32 v18, -v14, v17, v16
	v_fmac_f32_e32 v17, v18, v15
	v_fma_f32 v14, -v14, v17, v16
	v_div_fmas_f32 v14, v14, v15, v17
	v_div_fixup_f32 v10, v14, v10, 1.0
	v_mul_f32_e32 v14, v4, v4
	v_div_scale_f32 v15, s[2:3], v14, v14, 1.0
	v_add_f32_e32 v10, 1.0, v10
	v_rcp_f32_e32 v16, v15
	v_fma_f32 v17, -v15, v16, 1.0
	v_fmac_f32_e32 v16, v17, v16
	v_div_scale_f32 v17, vcc, 1.0, v14, 1.0
	v_mul_f32_e32 v18, v17, v16
	v_fma_f32 v19, -v15, v18, v17
	v_fmac_f32_e32 v18, v19, v16
	v_fma_f32 v15, -v15, v18, v17
	v_div_fmas_f32 v15, v15, v16, v18
	v_div_fixup_f32 v14, v15, v14, 1.0
	v_mov_b32_e32 v15, 0x3d088889
	v_fmac_f32_e32 v15, 0xbcc30c31, v14
	v_fma_f32 v15, -v14, v15, s0
	v_fmac_f32_e32 v10, v14, v15
	v_div_scale_f32 v14, s[2:3], v4, v4, v10
	v_rcp_f32_e32 v15, v14
	v_fma_f32 v16, -v14, v15, 1.0
	v_fmac_f32_e32 v15, v16, v15
	v_div_scale_f32 v16, vcc, v10, v4, v10
	v_mul_f32_e32 v17, v16, v15
	v_fma_f32 v18, -v14, v17, v16
	v_fmac_f32_e32 v17, v18, v15
	v_fma_f32 v14, -v14, v17, v16
	v_div_fmas_f32 v14, v14, v15, v17
	v_div_fixup_f32 v4, v14, v4, v10
	v_add_f32_e32 v4, v6, v4
	v_mul_f32_e32 v6, v1, v1
	v_mul_f32_e32 v4, v7, v4
	v_div_scale_f32 v7, s[2:3], v6, v6, 1.0
	v_add_f32_e32 v1, 1.0, v1
	v_rcp_f32_e32 v10, v7
	v_fma_f32 v14, -v7, v10, 1.0
	v_fmac_f32_e32 v10, v14, v10
	v_div_scale_f32 v14, vcc, 1.0, v6, 1.0
	v_mul_f32_e32 v15, v14, v10
	v_fma_f32 v16, -v7, v15, v14
	v_fmac_f32_e32 v15, v16, v10
	v_fma_f32 v7, -v7, v15, v14
	v_div_fmas_f32 v7, v7, v10, v15
	v_div_fixup_f32 v6, v7, v6, 1.0
	v_mul_f32_e32 v7, v1, v1
	v_div_scale_f32 v10, s[2:3], v7, v7, 1.0
	v_add_f32_e32 v6, v11, v6
	v_add_f32_e32 v1, 1.0, v1
	v_rcp_f32_e32 v11, v10
	v_fma_f32 v14, -v10, v11, 1.0
	v_fmac_f32_e32 v11, v14, v11
	v_div_scale_f32 v14, vcc, 1.0, v7, 1.0
	v_mul_f32_e32 v15, v14, v11
	v_fma_f32 v16, -v10, v15, v14
	v_fmac_f32_e32 v15, v16, v11
	v_fma_f32 v10, -v10, v15, v14
	v_div_fmas_f32 v10, v10, v11, v15
	v_div_fixup_f32 v7, v10, v7, 1.0
	v_add_f32_e32 v6, v6, v7
	v_mul_f32_e32 v7, v1, v1
	v_div_scale_f32 v10, s[2:3], v7, v7, 1.0
	v_add_f32_e32 v1, 1.0, v1
	v_rcp_f32_e32 v11, v10
	v_fma_f32 v14, -v10, v11, 1.0
	v_fmac_f32_e32 v11, v14, v11
	v_div_scale_f32 v14, vcc, 1.0, v7, 1.0
	v_mul_f32_e32 v15, v14, v11
	v_fma_f32 v16, -v10, v15, v14
	v_fmac_f32_e32 v15, v16, v11
	v_fma_f32 v10, -v10, v15, v14
	v_div_fmas_f32 v10, v10, v11, v15
	v_div_fixup_f32 v7, v10, v7, 1.0
	v_add_f32_e32 v6, v6, v7
	v_mul_f32_e32 v7, v1, v1
	v_div_scale_f32 v10, s[2:3], v7, v7, 1.0
	;; [unrolled: 14-line block ×4, first 2 shown]
	v_add_f32_e32 v1, 1.0, v1
	v_rcp_f32_e32 v11, v10
	v_fma_f32 v14, -v10, v11, 1.0
	v_fmac_f32_e32 v11, v14, v11
	v_div_scale_f32 v14, vcc, 1.0, v7, 1.0
	v_mul_f32_e32 v15, v14, v11
	v_fma_f32 v16, -v10, v15, v14
	v_fmac_f32_e32 v15, v16, v11
	v_fma_f32 v10, -v10, v15, v14
	v_div_fmas_f32 v10, v10, v11, v15
	v_div_fixup_f32 v7, v10, v7, 1.0
	v_add_f32_e32 v6, v6, v7
	v_add_f32_e32 v7, v1, v1
	v_div_scale_f32 v10, s[2:3], v7, v7, 1.0
	v_rcp_f32_e32 v11, v10
	v_fma_f32 v14, -v10, v11, 1.0
	v_fmac_f32_e32 v11, v14, v11
	v_div_scale_f32 v14, vcc, 1.0, v7, 1.0
	v_mul_f32_e32 v15, v14, v11
	v_fma_f32 v16, -v10, v15, v14
	v_fmac_f32_e32 v15, v16, v11
	v_fma_f32 v10, -v10, v15, v14
	v_div_fmas_f32 v10, v10, v11, v15
	v_div_fixup_f32 v7, v10, v7, 1.0
	v_mul_f32_e32 v10, v1, v1
	v_div_scale_f32 v11, s[2:3], v10, v10, 1.0
	v_add_f32_e32 v7, 1.0, v7
	v_rcp_f32_e32 v14, v11
	v_fma_f32 v15, -v11, v14, 1.0
	v_fmac_f32_e32 v14, v15, v14
	v_div_scale_f32 v15, vcc, 1.0, v10, 1.0
	v_mul_f32_e32 v16, v15, v14
	v_fma_f32 v17, -v11, v16, v15
	v_fmac_f32_e32 v16, v17, v14
	v_fma_f32 v11, -v11, v16, v15
	v_div_fmas_f32 v11, v11, v14, v16
	v_div_fixup_f32 v10, v11, v10, 1.0
	v_mov_b32_e32 v11, 0x3d088889
	v_fmac_f32_e32 v11, 0xbcc30c31, v10
	v_fma_f32 v11, -v10, v11, s0
	v_fmac_f32_e32 v7, v10, v11
	v_div_scale_f32 v10, s[2:3], v1, v1, v7
	v_rcp_f32_e32 v11, v10
	v_fma_f32 v14, -v10, v11, 1.0
	v_fmac_f32_e32 v11, v14, v11
	v_div_scale_f32 v14, vcc, v7, v1, v7
	v_mul_f32_e32 v15, v14, v11
	v_fma_f32 v16, -v10, v15, v14
	v_fmac_f32_e32 v15, v16, v11
	v_fma_f32 v10, -v10, v15, v14
	v_div_fmas_f32 v10, v10, v11, v15
	v_div_fixup_f32 v1, v10, v1, v7
	v_add_f32_e32 v1, v6, v1
	v_mul_f32_e32 v6, v2, v2
	v_div_scale_f32 v7, s[2:3], v6, v6, 1.0
	v_mul_f32_e32 v1, v9, v1
	v_add_f32_e32 v2, 1.0, v2
	v_rcp_f32_e32 v9, v7
	v_fma_f32 v10, -v7, v9, 1.0
	v_fmac_f32_e32 v9, v10, v9
	v_div_scale_f32 v10, vcc, 1.0, v6, 1.0
	v_mul_f32_e32 v11, v10, v9
	v_fma_f32 v14, -v7, v11, v10
	v_fmac_f32_e32 v11, v14, v9
	v_fma_f32 v7, -v7, v11, v10
	v_div_fmas_f32 v7, v7, v9, v11
	v_div_fixup_f32 v6, v7, v6, 1.0
	v_mul_f32_e32 v7, v2, v2
	v_div_scale_f32 v9, s[2:3], v7, v7, 1.0
	v_add_f32_e32 v6, v12, v6
	v_add_f32_e32 v2, 1.0, v2
	v_rcp_f32_e32 v10, v9
	v_fma_f32 v11, -v9, v10, 1.0
	v_fmac_f32_e32 v10, v11, v10
	v_div_scale_f32 v11, vcc, 1.0, v7, 1.0
	v_mul_f32_e32 v12, v11, v10
	v_fma_f32 v14, -v9, v12, v11
	v_fmac_f32_e32 v12, v14, v10
	v_fma_f32 v9, -v9, v12, v11
	v_div_fmas_f32 v9, v9, v10, v12
	v_div_fixup_f32 v7, v9, v7, 1.0
	v_add_f32_e32 v6, v6, v7
	v_mul_f32_e32 v7, v2, v2
	v_div_scale_f32 v9, s[2:3], v7, v7, 1.0
	v_add_f32_e32 v2, 1.0, v2
	v_rcp_f32_e32 v10, v9
	v_fma_f32 v11, -v9, v10, 1.0
	v_fmac_f32_e32 v10, v11, v10
	v_div_scale_f32 v11, vcc, 1.0, v7, 1.0
	v_mul_f32_e32 v12, v11, v10
	v_fma_f32 v14, -v9, v12, v11
	v_fmac_f32_e32 v12, v14, v10
	v_fma_f32 v9, -v9, v12, v11
	v_div_fmas_f32 v9, v9, v10, v12
	v_div_fixup_f32 v7, v9, v7, 1.0
	v_add_f32_e32 v6, v6, v7
	v_mul_f32_e32 v7, v2, v2
	v_div_scale_f32 v9, s[2:3], v7, v7, 1.0
	;; [unrolled: 14-line block ×5, first 2 shown]
	v_rcp_f32_e32 v10, v9
	v_fma_f32 v11, -v9, v10, 1.0
	v_fmac_f32_e32 v10, v11, v10
	v_div_scale_f32 v11, vcc, 1.0, v7, 1.0
	v_mul_f32_e32 v12, v11, v10
	v_fma_f32 v14, -v9, v12, v11
	v_fmac_f32_e32 v12, v14, v10
	v_fma_f32 v9, -v9, v12, v11
	v_div_fmas_f32 v9, v9, v10, v12
	v_div_fixup_f32 v7, v9, v7, 1.0
	v_add_f32_e32 v9, v2, v2
	v_div_scale_f32 v10, s[2:3], v9, v9, 1.0
	v_fmac_f32_e32 v13, 0xbcc30c31, v7
	v_rcp_f32_e32 v11, v10
	v_fma_f32 v12, -v10, v11, 1.0
	v_fmac_f32_e32 v11, v12, v11
	v_div_scale_f32 v12, vcc, 1.0, v9, 1.0
	v_mul_f32_e32 v14, v12, v11
	v_fma_f32 v15, -v10, v14, v12
	v_fmac_f32_e32 v14, v15, v11
	v_fma_f32 v10, -v10, v14, v12
	v_div_fmas_f32 v10, v10, v11, v14
	v_div_fixup_f32 v9, v10, v9, 1.0
	v_add_f32_e32 v9, 1.0, v9
	v_fma_f32 v10, -v7, v13, s0
	v_fmac_f32_e32 v9, v7, v10
	v_div_scale_f32 v7, s[0:1], v2, v2, v9
	s_add_u32 s0, s8, s6
	s_addc_u32 s1, s9, s7
	v_rcp_f32_e32 v10, v7
	v_fma_f32 v11, -v7, v10, 1.0
	v_fmac_f32_e32 v10, v11, v10
	v_div_scale_f32 v11, vcc, v9, v2, v9
	v_mul_f32_e32 v12, v11, v10
	v_fma_f32 v13, -v7, v12, v11
	v_fmac_f32_e32 v12, v13, v10
	v_fma_f32 v7, -v7, v12, v11
	v_div_fmas_f32 v7, v7, v10, v12
	v_div_fixup_f32 v2, v7, v2, v9
	v_add_f32_e32 v2, v6, v2
	v_mul_f32_e32 v2, v8, v2
	global_store_dwordx2 v5, v[3:4], s[0:1]
	global_store_dwordx2 v5, v[1:2], s[0:1] offset:2048
	s_mov_b64 s[0:1], 0
.LBB53_26:
	s_and_b64 vcc, exec, s[0:1]
	s_cbranch_vccz .LBB53_65
; %bb.27:
	v_cmp_gt_i32_e64 s[0:1], s18, v0
	v_mov_b32_e32 v9, 0
	v_or_b32_e32 v1, s12, v0
	v_mov_b32_e32 v4, 0
	v_mov_b32_e32 v3, v0
	s_and_saveexec_b64 s[2:3], s[0:1]
	s_cbranch_execz .LBB53_29
; %bb.28:
	v_mov_b32_e32 v2, 0
	v_lshlrev_b64 v[2:3], 2, v[1:2]
	v_mov_b32_e32 v4, s11
	v_add_co_u32_e32 v2, vcc, s10, v2
	v_addc_co_u32_e32 v3, vcc, v4, v3, vcc
	global_load_dword v4, v[2:3], off
	v_or_b32_e32 v3, 0x100, v0
.LBB53_29:
	s_or_b64 exec, exec, s[2:3]
	v_cmp_gt_i32_e32 vcc, s18, v3
	s_and_saveexec_b64 s[2:3], vcc
	s_cbranch_execz .LBB53_31
; %bb.30:
	v_add_u32_e32 v5, s12, v3
	v_mov_b32_e32 v6, 0
	v_lshlrev_b64 v[5:6], 2, v[5:6]
	v_mov_b32_e32 v2, s11
	v_add_co_u32_e32 v5, vcc, s10, v5
	v_addc_co_u32_e32 v6, vcc, v2, v6, vcc
	global_load_dword v9, v[5:6], off
	v_add_u32_e32 v3, 0x100, v3
.LBB53_31:
	s_or_b64 exec, exec, s[2:3]
	v_cmp_gt_i32_e32 vcc, s18, v3
	v_mov_b32_e32 v2, 0
	v_mov_b32_e32 v5, 0
	s_and_saveexec_b64 s[2:3], vcc
	s_cbranch_execz .LBB53_33
; %bb.32:
	v_add_u32_e32 v5, s12, v3
	v_mov_b32_e32 v6, 0
	v_lshlrev_b64 v[5:6], 2, v[5:6]
	v_mov_b32_e32 v7, s11
	v_add_co_u32_e32 v5, vcc, s10, v5
	v_addc_co_u32_e32 v6, vcc, v7, v6, vcc
	global_load_dword v5, v[5:6], off
	v_add_u32_e32 v3, 0x100, v3
.LBB53_33:
	s_or_b64 exec, exec, s[2:3]
	v_cmp_gt_i32_e32 vcc, s18, v3
	s_and_saveexec_b64 s[2:3], vcc
	s_cbranch_execz .LBB53_35
; %bb.34:
	v_add_u32_e32 v2, s12, v3
	v_mov_b32_e32 v3, 0
	v_lshlrev_b64 v[2:3], 2, v[2:3]
	v_mov_b32_e32 v6, s11
	v_add_co_u32_e32 v2, vcc, s10, v2
	v_addc_co_u32_e32 v3, vcc, v6, v3, vcc
	global_load_dword v2, v[2:3], off
.LBB53_35:
	s_or_b64 exec, exec, s[2:3]
	v_mov_b32_e32 v3, 0
	v_mov_b32_e32 v8, v3
	;; [unrolled: 1-line block ×4, first 2 shown]
	s_and_saveexec_b64 s[10:11], s[0:1]
	s_cbranch_execz .LBB53_43
; %bb.36:
	s_waitcnt vmcnt(0)
	v_cmp_gt_f32_e32 vcc, 0.5, v4
	v_mov_b32_e32 v6, 1.0
	s_and_saveexec_b64 s[14:15], vcc
	s_cbranch_execz .LBB53_42
; %bb.37:
	v_mul_f32_e32 v3, 0x40490fdb, v4
	s_brev_b32 s2, 18
	v_and_b32_e32 v6, 0x7fffffff, v3
	v_cmp_nlt_f32_e64 s[2:3], |v3|, s2
                                        ; implicit-def: $vgpr7
                                        ; implicit-def: $vgpr8
	s_and_saveexec_b64 s[4:5], s[2:3]
	s_xor_b64 s[16:17], exec, s[4:5]
	s_cbranch_execz .LBB53_39
; %bb.38:
	v_and_b32_e32 v7, 0x7fffff, v6
	v_or_b32_e32 v18, 0x800000, v7
	s_mov_b32 s2, 0xfe5163ab
	v_mad_u64_u32 v[7:8], s[2:3], v18, s2, 0
	v_mov_b32_e32 v11, 0
	s_mov_b32 s2, 0x3c439041
	v_mov_b32_e32 v10, v8
	v_mad_u64_u32 v[12:13], s[2:3], v18, s2, v[10:11]
	s_mov_b32 s2, 0xdb629599
	v_lshrrev_b32_e32 v8, 23, v6
	v_mov_b32_e32 v10, v13
	v_mad_u64_u32 v[13:14], s[2:3], v18, s2, v[10:11]
	s_mov_b32 s2, 0xf534ddc0
	v_add_u32_e32 v8, 0xffffff88, v8
	v_mov_b32_e32 v10, v14
	v_mad_u64_u32 v[14:15], s[2:3], v18, s2, v[10:11]
	s_mov_b32 s2, 0xfc2757d1
	v_not_b32_e32 v17, 63
	v_mov_b32_e32 v10, v15
	v_mad_u64_u32 v[15:16], s[2:3], v18, s2, v[10:11]
	v_cmp_lt_u32_e32 vcc, 63, v8
	v_cndmask_b32_e32 v10, 0, v17, vcc
	v_add_u32_e32 v8, v10, v8
	v_mov_b32_e32 v10, v16
	s_mov_b32 s2, 0x4e441529
	v_mad_u64_u32 v[16:17], s[2:3], v18, s2, v[10:11]
	v_not_b32_e32 v19, 31
	v_cmp_lt_u32_e64 s[2:3], 31, v8
	v_cndmask_b32_e64 v10, 0, v19, s[2:3]
	v_add_u32_e32 v8, v10, v8
	v_mov_b32_e32 v10, v17
	s_mov_b32 s4, 0xa2f9836e
	v_mad_u64_u32 v[10:11], s[4:5], v18, s4, v[10:11]
	v_cmp_lt_u32_e64 s[4:5], 31, v8
	v_cndmask_b32_e64 v17, 0, v19, s[4:5]
	v_add_u32_e32 v8, v17, v8
	v_cndmask_b32_e32 v17, v16, v14, vcc
	v_cndmask_b32_e32 v10, v10, v15, vcc
	;; [unrolled: 1-line block ×3, first 2 shown]
	v_cndmask_b32_e64 v18, v10, v17, s[2:3]
	v_cndmask_b32_e64 v10, v11, v10, s[2:3]
	v_cndmask_b32_e32 v11, v15, v13, vcc
	v_cndmask_b32_e64 v15, v17, v11, s[2:3]
	v_sub_u32_e32 v17, 32, v8
	v_cmp_eq_u32_e64 s[6:7], 0, v8
	v_cndmask_b32_e32 v8, v14, v12, vcc
	v_cndmask_b32_e64 v10, v10, v18, s[4:5]
	v_cndmask_b32_e64 v16, v18, v15, s[4:5]
	;; [unrolled: 1-line block ×3, first 2 shown]
	v_alignbit_b32 v18, v10, v16, v17
	v_cndmask_b32_e64 v12, v15, v11, s[4:5]
	v_cndmask_b32_e64 v10, v18, v10, s[6:7]
	v_alignbit_b32 v14, v16, v12, v17
	v_cndmask_b32_e32 v7, v13, v7, vcc
	v_cndmask_b32_e64 v14, v14, v16, s[6:7]
	v_bfe_u32 v18, v10, 29, 1
	v_cndmask_b32_e64 v7, v8, v7, s[2:3]
	v_alignbit_b32 v15, v10, v14, 30
	v_sub_u32_e32 v19, 0, v18
	v_cndmask_b32_e64 v7, v11, v7, s[4:5]
	v_xor_b32_e32 v15, v15, v19
	v_alignbit_b32 v8, v12, v7, v17
	v_cndmask_b32_e64 v8, v8, v12, s[6:7]
	v_ffbh_u32_e32 v12, v15
	v_alignbit_b32 v11, v14, v8, 30
	v_min_u32_e32 v12, 32, v12
	v_alignbit_b32 v7, v8, v7, 30
	v_xor_b32_e32 v11, v11, v19
	v_sub_u32_e32 v13, 31, v12
	v_xor_b32_e32 v7, v7, v19
	v_alignbit_b32 v14, v15, v11, v13
	v_alignbit_b32 v7, v11, v7, v13
	;; [unrolled: 1-line block ×3, first 2 shown]
	v_ffbh_u32_e32 v11, v8
	v_min_u32_e32 v11, 32, v11
	v_lshrrev_b32_e32 v16, 29, v10
	v_not_b32_e32 v13, v11
	v_alignbit_b32 v7, v8, v7, v13
	v_lshlrev_b32_e32 v8, 31, v16
	v_or_b32_e32 v13, 0x33000000, v8
	v_add_lshl_u32 v11, v11, v12, 23
	v_lshrrev_b32_e32 v7, 9, v7
	v_sub_u32_e32 v11, v13, v11
	v_or_b32_e32 v8, 0.5, v8
	v_lshlrev_b32_e32 v12, 23, v12
	v_or_b32_e32 v7, v11, v7
	v_lshrrev_b32_e32 v11, 9, v14
	v_sub_u32_e32 v8, v8, v12
	v_or_b32_e32 v8, v11, v8
	s_mov_b32 s2, 0x3fc90fda
	v_mul_f32_e32 v11, 0x3fc90fda, v8
	v_fma_f32 v12, v8, s2, -v11
	v_fmac_f32_e32 v12, 0x33a22168, v8
	v_fmac_f32_e32 v12, 0x3fc90fda, v7
	v_lshrrev_b32_e32 v7, 30, v10
	v_add_f32_e32 v8, v11, v12
	v_add_u32_e32 v7, v18, v7
.LBB53_39:
	s_andn2_saveexec_b64 s[2:3], s[16:17]
	s_cbranch_execz .LBB53_41
; %bb.40:
	s_mov_b32 s4, 0x3f22f983
	v_mul_f32_e64 v7, |v3|, s4
	v_rndne_f32_e32 v10, v7
	s_mov_b32 s4, 0xbfc90fda
	v_cvt_i32_f32_e32 v7, v10
	v_fma_f32 v8, v10, s4, |v3|
	v_fmac_f32_e32 v8, 0xb3a22168, v10
	v_fmac_f32_e32 v8, 0xa7c234c4, v10
.LBB53_41:
	s_or_b64 exec, exec, s[2:3]
	v_mul_f32_e32 v10, v8, v8
	v_mov_b32_e32 v11, 0x3c0881c4
	v_fmac_f32_e32 v11, 0xb94c1982, v10
	v_mov_b32_e32 v12, 0xbe2aaa9d
	v_fmac_f32_e32 v12, v10, v11
	v_mul_f32_e32 v11, v10, v12
	v_fmac_f32_e32 v8, v8, v11
	v_mov_b32_e32 v11, 0xbab64f3b
	v_fmac_f32_e32 v11, 0x37d75334, v10
	v_mov_b32_e32 v12, 0x3d2aabf7
	;; [unrolled: 2-line block ×3, first 2 shown]
	v_fmac_f32_e32 v11, v10, v12
	v_fma_f32 v10, v10, v11, 1.0
	v_and_b32_e32 v11, 1, v7
	v_lshlrev_b32_e32 v7, 30, v7
	v_cmp_eq_u32_e32 vcc, 0, v11
	v_and_b32_e32 v7, 0x80000000, v7
	v_xor_b32_e32 v6, v6, v3
	v_cndmask_b32_e32 v8, v10, v8, vcc
	v_xor_b32_e32 v6, v6, v7
	s_movk_i32 s2, 0x1f8
	v_xor_b32_e32 v6, v6, v8
	v_mov_b32_e32 v7, 0x7fc00000
	v_cmp_class_f32_e64 vcc, v3, s2
	v_cndmask_b32_e32 v3, v7, v6, vcc
	v_mul_f32_e32 v3, v3, v3
	s_mov_b32 s4, 0xc11de9e7
	v_div_scale_f32 v6, s[2:3], v3, v3, s4
	v_div_scale_f32 v7, vcc, s4, v3, s4
	v_sub_f32_e32 v4, 1.0, v4
	v_rcp_f32_e32 v8, v6
	v_fma_f32 v10, -v6, v8, 1.0
	v_fmac_f32_e32 v8, v10, v8
	v_mul_f32_e32 v10, v7, v8
	v_fma_f32 v11, -v6, v10, v7
	v_fmac_f32_e32 v10, v11, v8
	v_fma_f32 v6, -v6, v10, v7
	v_div_fmas_f32 v6, v6, v8, v10
	v_div_fixup_f32 v3, v6, v3, s4
	v_add_f32_e32 v3, 0, v3
	v_mov_b32_e32 v6, -1.0
.LBB53_42:
	s_or_b64 exec, exec, s[14:15]
	v_mul_f32_e32 v7, v4, v4
	v_div_scale_f32 v8, s[2:3], v7, v7, 1.0
	v_add_f32_e32 v4, 1.0, v4
	v_mul_f32_e32 v10, v4, v4
	v_div_scale_f32 v11, s[2:3], v10, v10, 1.0
	v_div_scale_f32 v12, vcc, 1.0, v7, 1.0
	v_add_f32_e32 v4, 1.0, v4
	v_div_scale_f32 v13, s[2:3], 1.0, v10, 1.0
	v_mul_f32_e32 v14, v4, v4
	v_div_scale_f32 v15, s[4:5], v14, v14, 1.0
	v_div_scale_f32 v18, s[4:5], 1.0, v14, 1.0
	v_rcp_f32_e32 v16, v8
	v_add_f32_e32 v4, 1.0, v4
	v_rcp_f32_e32 v17, v11
	v_fma_f32 v19, -v8, v16, 1.0
	v_fmac_f32_e32 v16, v19, v16
	v_mul_f32_e32 v20, v12, v16
	v_fma_f32 v19, -v11, v17, 1.0
	v_fma_f32 v21, -v8, v20, v12
	v_fmac_f32_e32 v20, v21, v16
	v_fmac_f32_e32 v17, v19, v17
	v_fma_f32 v8, -v8, v20, v12
	v_mul_f32_e32 v19, v13, v17
	v_div_fmas_f32 v8, v8, v16, v20
	v_fma_f32 v20, -v11, v19, v13
	v_fmac_f32_e32 v19, v20, v17
	v_rcp_f32_e32 v20, v15
	v_mul_f32_e32 v12, v4, v4
	v_div_scale_f32 v16, s[6:7], v12, v12, 1.0
	v_fma_f32 v11, -v11, v19, v13
	v_fma_f32 v13, -v15, v20, 1.0
	v_fmac_f32_e32 v20, v13, v20
	s_mov_b64 vcc, s[2:3]
	v_mul_f32_e32 v13, v18, v20
	v_div_fmas_f32 v11, v11, v17, v19
	v_fma_f32 v17, -v15, v13, v18
	v_fmac_f32_e32 v13, v17, v20
	v_div_scale_f32 v17, s[2:3], 1.0, v12, 1.0
	v_add_f32_e32 v4, 1.0, v4
	v_mul_f32_e32 v21, v4, v4
	v_div_scale_f32 v22, s[6:7], v21, v21, 1.0
	v_fma_f32 v15, -v15, v13, v18
	s_mov_b64 vcc, s[4:5]
	v_div_scale_f32 v18, s[4:5], 1.0, v21, 1.0
	v_rcp_f32_e32 v19, v16
	v_add_f32_e32 v4, 1.0, v4
	v_div_fmas_f32 v13, v15, v20, v13
	v_mul_f32_e32 v20, v4, v4
	v_div_scale_f32 v23, s[6:7], v20, v20, 1.0
	v_fma_f32 v15, -v16, v19, 1.0
	v_fmac_f32_e32 v19, v15, v19
	v_mul_f32_e32 v15, v17, v19
	v_fma_f32 v24, -v16, v15, v17
	v_fmac_f32_e32 v15, v24, v19
	v_fma_f32 v16, -v16, v15, v17
	v_rcp_f32_e32 v17, v22
	v_div_scale_f32 v24, s[6:7], 1.0, v20, 1.0
	v_add_f32_e32 v4, 1.0, v4
	s_mov_b64 vcc, s[2:3]
	v_mul_f32_e32 v25, v4, v4
	v_div_fmas_f32 v15, v16, v19, v15
	v_fma_f32 v16, -v22, v17, 1.0
	v_div_scale_f32 v26, s[2:3], v25, v25, 1.0
	v_fmac_f32_e32 v17, v16, v17
	v_mul_f32_e32 v16, v18, v17
	v_fma_f32 v19, -v22, v16, v18
	v_fmac_f32_e32 v16, v19, v17
	v_fma_f32 v18, -v22, v16, v18
	s_mov_b64 vcc, s[4:5]
	v_rcp_f32_e32 v19, v23
	v_div_fmas_f32 v16, v18, v17, v16
	v_div_scale_f32 v18, s[2:3], 1.0, v25, 1.0
	v_add_f32_e32 v22, v4, v4
	v_div_scale_f32 v27, s[4:5], v22, v22, 1.0
	v_fma_f32 v17, -v23, v19, 1.0
	v_fmac_f32_e32 v19, v17, v19
	v_mul_f32_e32 v17, v24, v19
	v_fma_f32 v28, -v23, v17, v24
	v_fmac_f32_e32 v17, v28, v19
	v_div_scale_f32 v28, s[4:5], 1.0, v22, 1.0
	v_rcp_f32_e32 v29, v26
	v_fma_f32 v23, -v23, v17, v24
	s_mov_b64 vcc, s[6:7]
	v_div_fmas_f32 v17, v23, v19, v17
	v_fma_f32 v19, -v26, v29, 1.0
	v_fmac_f32_e32 v29, v19, v29
	v_mul_f32_e32 v19, v18, v29
	v_fma_f32 v23, -v26, v19, v18
	v_fmac_f32_e32 v19, v23, v29
	v_rcp_f32_e32 v23, v27
	v_fma_f32 v18, -v26, v19, v18
	s_mov_b64 vcc, s[2:3]
	v_div_fmas_f32 v18, v18, v29, v19
	v_fma_f32 v19, -v27, v23, 1.0
	v_fmac_f32_e32 v23, v19, v23
	v_mul_f32_e32 v19, v28, v23
	v_fma_f32 v24, -v27, v19, v28
	v_fmac_f32_e32 v19, v24, v23
	v_fma_f32 v24, -v27, v19, v28
	s_mov_b64 vcc, s[4:5]
	v_div_fmas_f32 v19, v24, v23, v19
	s_mov_b32 s2, 0x3e2aaaab
	v_div_fixup_f32 v7, v8, v7, 1.0
	v_add_f32_e32 v3, v3, v7
	v_div_fixup_f32 v7, v11, v10, 1.0
	v_add_f32_e32 v3, v3, v7
	;; [unrolled: 2-line block ×3, first 2 shown]
	v_div_fixup_f32 v18, v18, v25, 1.0
	v_div_fixup_f32 v7, v15, v12, 1.0
	v_add_f32_e32 v3, v3, v7
	v_div_fixup_f32 v7, v16, v21, 1.0
	v_add_f32_e32 v3, v3, v7
	;; [unrolled: 2-line block ×3, first 2 shown]
	v_mov_b32_e32 v8, 0
	v_div_fixup_f32 v19, v19, v22, 1.0
	v_mov_b32_e32 v22, 0x3d088889
	v_fmac_f32_e32 v22, 0xbcc30c31, v18
	v_add_f32_e32 v19, 1.0, v19
	v_fma_f32 v22, -v18, v22, s2
	v_fmac_f32_e32 v19, v18, v22
	v_div_scale_f32 v18, s[2:3], v4, v4, v19
	v_div_scale_f32 v22, vcc, v19, v4, v19
	v_mov_b32_e32 v7, v8
	v_rcp_f32_e32 v23, v18
	v_fma_f32 v24, -v18, v23, 1.0
	v_fmac_f32_e32 v23, v24, v23
	v_mul_f32_e32 v24, v22, v23
	v_fma_f32 v25, -v18, v24, v22
	v_fmac_f32_e32 v24, v25, v23
	v_fma_f32 v18, -v18, v24, v22
	v_div_fmas_f32 v18, v18, v23, v24
	v_div_fixup_f32 v4, v18, v4, v19
	v_add_f32_e32 v3, v3, v4
	v_mul_f32_e32 v3, v6, v3
	v_mov_b32_e32 v6, v8
.LBB53_43:
	s_or_b64 exec, exec, s[10:11]
	s_waitcnt vmcnt(0)
	v_or_b32_e32 v4, 0x100, v0
	v_cmp_gt_i32_e32 vcc, s18, v4
	s_and_saveexec_b64 s[10:11], vcc
	s_cbranch_execz .LBB53_51
; %bb.44:
	v_cmp_gt_f32_e32 vcc, 0.5, v9
	v_mov_b32_e32 v10, 0
	v_mov_b32_e32 v8, 1.0
	s_and_saveexec_b64 s[14:15], vcc
	s_cbranch_execz .LBB53_50
; %bb.45:
	v_mul_f32_e32 v8, 0x40490fdb, v9
	s_brev_b32 s2, 18
	v_and_b32_e32 v10, 0x7fffffff, v8
	v_cmp_nlt_f32_e64 s[2:3], |v8|, s2
                                        ; implicit-def: $vgpr11
                                        ; implicit-def: $vgpr12
	s_and_saveexec_b64 s[4:5], s[2:3]
	s_xor_b64 s[16:17], exec, s[4:5]
	s_cbranch_execz .LBB53_47
; %bb.46:
	v_and_b32_e32 v11, 0x7fffff, v10
	v_or_b32_e32 v20, 0x800000, v11
	s_mov_b32 s2, 0xfe5163ab
	v_mad_u64_u32 v[11:12], s[2:3], v20, s2, 0
	v_mov_b32_e32 v13, 0
	s_mov_b32 s2, 0x3c439041
	v_mad_u64_u32 v[14:15], s[2:3], v20, s2, v[12:13]
	s_mov_b32 s2, 0xdb629599
	v_not_b32_e32 v19, 63
	v_mov_b32_e32 v12, v15
	v_mad_u64_u32 v[15:16], s[2:3], v20, s2, v[12:13]
	s_mov_b32 s2, 0xf534ddc0
	v_not_b32_e32 v22, 31
	v_mov_b32_e32 v12, v16
	v_mad_u64_u32 v[16:17], s[2:3], v20, s2, v[12:13]
	v_lshrrev_b32_e32 v12, 23, v10
	v_add_u32_e32 v21, 0xffffff88, v12
	v_mov_b32_e32 v12, v17
	s_mov_b32 s2, 0xfc2757d1
	v_mad_u64_u32 v[17:18], s[2:3], v20, s2, v[12:13]
	v_cmp_lt_u32_e32 vcc, 63, v21
	v_cndmask_b32_e32 v12, 0, v19, vcc
	v_add_u32_e32 v21, v12, v21
	v_mov_b32_e32 v12, v18
	s_mov_b32 s2, 0x4e441529
	v_mad_u64_u32 v[18:19], s[2:3], v20, s2, v[12:13]
	v_cmp_lt_u32_e64 s[2:3], 31, v21
	v_cndmask_b32_e64 v12, 0, v22, s[2:3]
	v_add_u32_e32 v21, v12, v21
	v_mov_b32_e32 v12, v19
	s_mov_b32 s4, 0xa2f9836e
	v_mad_u64_u32 v[12:13], s[4:5], v20, s4, v[12:13]
	v_cmp_lt_u32_e64 s[4:5], 31, v21
	v_cndmask_b32_e64 v19, 0, v22, s[4:5]
	v_cndmask_b32_e32 v20, v18, v16, vcc
	v_cndmask_b32_e32 v12, v12, v17, vcc
	;; [unrolled: 1-line block ×3, first 2 shown]
	v_add_u32_e32 v19, v19, v21
	v_cndmask_b32_e64 v21, v12, v20, s[2:3]
	v_cndmask_b32_e64 v12, v13, v12, s[2:3]
	v_cndmask_b32_e32 v13, v17, v15, vcc
	v_cndmask_b32_e64 v17, v20, v13, s[2:3]
	v_cndmask_b32_e64 v12, v12, v21, s[4:5]
	;; [unrolled: 1-line block ×3, first 2 shown]
	v_sub_u32_e32 v20, 32, v19
	v_alignbit_b32 v21, v12, v18, v20
	v_cmp_eq_u32_e64 s[6:7], 0, v19
	v_cndmask_b32_e64 v19, v21, v12, s[6:7]
	v_cndmask_b32_e32 v12, v16, v14, vcc
	v_cndmask_b32_e64 v13, v13, v12, s[2:3]
	v_cndmask_b32_e64 v14, v17, v13, s[4:5]
	v_alignbit_b32 v16, v18, v14, v20
	v_cndmask_b32_e32 v11, v15, v11, vcc
	v_cndmask_b32_e64 v16, v16, v18, s[6:7]
	v_bfe_u32 v21, v19, 29, 1
	v_cndmask_b32_e64 v11, v12, v11, s[2:3]
	v_alignbit_b32 v17, v19, v16, 30
	v_sub_u32_e32 v22, 0, v21
	v_cndmask_b32_e64 v11, v13, v11, s[4:5]
	v_xor_b32_e32 v17, v17, v22
	v_alignbit_b32 v12, v14, v11, v20
	v_cndmask_b32_e64 v12, v12, v14, s[6:7]
	v_ffbh_u32_e32 v14, v17
	v_alignbit_b32 v13, v16, v12, 30
	v_min_u32_e32 v14, 32, v14
	v_alignbit_b32 v11, v12, v11, 30
	v_xor_b32_e32 v13, v13, v22
	v_sub_u32_e32 v15, 31, v14
	v_xor_b32_e32 v11, v11, v22
	v_alignbit_b32 v16, v17, v13, v15
	v_alignbit_b32 v11, v13, v11, v15
	;; [unrolled: 1-line block ×3, first 2 shown]
	v_ffbh_u32_e32 v13, v12
	v_min_u32_e32 v13, 32, v13
	v_lshrrev_b32_e32 v18, 29, v19
	v_not_b32_e32 v15, v13
	v_alignbit_b32 v11, v12, v11, v15
	v_lshlrev_b32_e32 v12, 31, v18
	v_or_b32_e32 v15, 0x33000000, v12
	v_add_lshl_u32 v13, v13, v14, 23
	v_lshrrev_b32_e32 v11, 9, v11
	v_sub_u32_e32 v13, v15, v13
	v_or_b32_e32 v12, 0.5, v12
	v_lshlrev_b32_e32 v14, 23, v14
	v_or_b32_e32 v11, v13, v11
	v_lshrrev_b32_e32 v13, 9, v16
	v_sub_u32_e32 v12, v12, v14
	v_or_b32_e32 v12, v13, v12
	s_mov_b32 s2, 0x3fc90fda
	v_mul_f32_e32 v13, 0x3fc90fda, v12
	v_fma_f32 v14, v12, s2, -v13
	v_fmac_f32_e32 v14, 0x33a22168, v12
	v_fmac_f32_e32 v14, 0x3fc90fda, v11
	v_lshrrev_b32_e32 v11, 30, v19
	v_add_f32_e32 v12, v13, v14
	v_add_u32_e32 v11, v21, v11
.LBB53_47:
	s_andn2_saveexec_b64 s[2:3], s[16:17]
	s_cbranch_execz .LBB53_49
; %bb.48:
	s_mov_b32 s4, 0x3f22f983
	v_mul_f32_e64 v11, |v8|, s4
	v_rndne_f32_e32 v13, v11
	s_mov_b32 s4, 0xbfc90fda
	v_cvt_i32_f32_e32 v11, v13
	v_fma_f32 v12, v13, s4, |v8|
	v_fmac_f32_e32 v12, 0xb3a22168, v13
	v_fmac_f32_e32 v12, 0xa7c234c4, v13
.LBB53_49:
	s_or_b64 exec, exec, s[2:3]
	v_mul_f32_e32 v13, v12, v12
	v_mov_b32_e32 v14, 0x3c0881c4
	v_fmac_f32_e32 v14, 0xb94c1982, v13
	v_mov_b32_e32 v15, 0xbe2aaa9d
	v_fmac_f32_e32 v15, v13, v14
	v_mul_f32_e32 v14, v13, v15
	v_fmac_f32_e32 v12, v12, v14
	v_mov_b32_e32 v14, 0xbab64f3b
	v_fmac_f32_e32 v14, 0x37d75334, v13
	v_mov_b32_e32 v15, 0x3d2aabf7
	;; [unrolled: 2-line block ×3, first 2 shown]
	v_fmac_f32_e32 v14, v13, v15
	v_fma_f32 v13, v13, v14, 1.0
	v_and_b32_e32 v14, 1, v11
	v_lshlrev_b32_e32 v11, 30, v11
	v_cmp_eq_u32_e32 vcc, 0, v14
	v_and_b32_e32 v11, 0x80000000, v11
	v_xor_b32_e32 v10, v10, v8
	v_cndmask_b32_e32 v12, v13, v12, vcc
	v_xor_b32_e32 v10, v10, v11
	s_movk_i32 s2, 0x1f8
	v_xor_b32_e32 v10, v10, v12
	v_mov_b32_e32 v11, 0x7fc00000
	v_cmp_class_f32_e64 vcc, v8, s2
	v_cndmask_b32_e32 v8, v11, v10, vcc
	v_mul_f32_e32 v8, v8, v8
	s_mov_b32 s4, 0xc11de9e7
	v_div_scale_f32 v10, s[2:3], v8, v8, s4
	v_div_scale_f32 v11, vcc, s4, v8, s4
	v_sub_f32_e32 v9, 1.0, v9
	v_rcp_f32_e32 v12, v10
	v_fma_f32 v13, -v10, v12, 1.0
	v_fmac_f32_e32 v12, v13, v12
	v_mul_f32_e32 v13, v11, v12
	v_fma_f32 v14, -v10, v13, v11
	v_fmac_f32_e32 v13, v14, v12
	v_fma_f32 v10, -v10, v13, v11
	v_div_fmas_f32 v10, v10, v12, v13
	v_div_fixup_f32 v8, v10, v8, s4
	v_add_f32_e32 v10, 0, v8
	v_mov_b32_e32 v8, -1.0
.LBB53_50:
	s_or_b64 exec, exec, s[14:15]
	v_mul_f32_e32 v11, v9, v9
	v_div_scale_f32 v12, s[2:3], v11, v11, 1.0
	v_add_f32_e32 v9, 1.0, v9
	v_mul_f32_e32 v13, v9, v9
	v_div_scale_f32 v14, s[2:3], v13, v13, 1.0
	v_div_scale_f32 v15, vcc, 1.0, v11, 1.0
	v_add_f32_e32 v9, 1.0, v9
	v_div_scale_f32 v16, s[2:3], 1.0, v13, 1.0
	v_mul_f32_e32 v17, v9, v9
	v_div_scale_f32 v18, s[4:5], v17, v17, 1.0
	v_div_scale_f32 v21, s[4:5], 1.0, v17, 1.0
	v_rcp_f32_e32 v19, v12
	v_add_f32_e32 v9, 1.0, v9
	v_rcp_f32_e32 v20, v14
	v_fma_f32 v22, -v12, v19, 1.0
	v_fmac_f32_e32 v19, v22, v19
	v_mul_f32_e32 v23, v15, v19
	v_fma_f32 v22, -v14, v20, 1.0
	v_fma_f32 v24, -v12, v23, v15
	v_fmac_f32_e32 v23, v24, v19
	v_fmac_f32_e32 v20, v22, v20
	v_fma_f32 v12, -v12, v23, v15
	v_mul_f32_e32 v15, v16, v20
	v_div_fmas_f32 v12, v12, v19, v23
	v_fma_f32 v19, -v14, v15, v16
	v_fmac_f32_e32 v15, v19, v20
	v_rcp_f32_e32 v19, v18
	v_mul_f32_e32 v22, v9, v9
	v_div_scale_f32 v23, s[6:7], v22, v22, 1.0
	v_fma_f32 v14, -v14, v15, v16
	s_mov_b64 vcc, s[2:3]
	v_div_fmas_f32 v14, v14, v20, v15
	v_fma_f32 v15, -v18, v19, 1.0
	v_fmac_f32_e32 v19, v15, v19
	v_mul_f32_e32 v15, v21, v19
	v_fma_f32 v16, -v18, v15, v21
	v_fmac_f32_e32 v15, v16, v19
	v_div_scale_f32 v16, s[2:3], 1.0, v22, 1.0
	v_add_f32_e32 v9, 1.0, v9
	v_mul_f32_e32 v20, v9, v9
	v_div_scale_f32 v24, s[6:7], v20, v20, 1.0
	v_fma_f32 v18, -v18, v15, v21
	v_rcp_f32_e32 v21, v23
	s_mov_b64 vcc, s[4:5]
	v_div_fmas_f32 v15, v18, v19, v15
	v_div_scale_f32 v18, s[4:5], 1.0, v20, 1.0
	v_add_f32_e32 v9, 1.0, v9
	v_mul_f32_e32 v25, v9, v9
	v_fma_f32 v19, -v23, v21, 1.0
	v_div_scale_f32 v26, s[6:7], v25, v25, 1.0
	v_fmac_f32_e32 v21, v19, v21
	v_mul_f32_e32 v19, v16, v21
	v_fma_f32 v27, -v23, v19, v16
	v_fmac_f32_e32 v19, v27, v21
	v_fma_f32 v16, -v23, v19, v16
	s_mov_b64 vcc, s[2:3]
	v_div_fmas_f32 v16, v16, v21, v19
	v_div_scale_f32 v19, s[2:3], 1.0, v25, 1.0
	v_rcp_f32_e32 v27, v24
	v_add_f32_e32 v9, 1.0, v9
	v_mul_f32_e32 v28, v9, v9
	v_div_scale_f32 v29, s[6:7], v28, v28, 1.0
	v_fma_f32 v21, -v24, v27, 1.0
	v_fmac_f32_e32 v27, v21, v27
	v_mul_f32_e32 v21, v18, v27
	v_fma_f32 v23, -v24, v21, v18
	v_fmac_f32_e32 v21, v23, v27
	v_rcp_f32_e32 v23, v26
	v_fma_f32 v18, -v24, v21, v18
	s_mov_b64 vcc, s[4:5]
	v_div_scale_f32 v24, s[4:5], 1.0, v28, 1.0
	v_div_fmas_f32 v18, v18, v27, v21
	v_add_f32_e32 v27, v9, v9
	v_div_scale_f32 v30, s[6:7], v27, v27, 1.0
	v_fma_f32 v21, -v26, v23, 1.0
	v_fmac_f32_e32 v23, v21, v23
	v_mul_f32_e32 v21, v19, v23
	v_fma_f32 v31, -v26, v21, v19
	v_fmac_f32_e32 v21, v31, v23
	v_div_scale_f32 v31, s[6:7], 1.0, v27, 1.0
	v_rcp_f32_e32 v32, v29
	v_fma_f32 v19, -v26, v21, v19
	s_mov_b64 vcc, s[2:3]
	v_div_fmas_f32 v19, v19, v23, v21
	v_fma_f32 v21, -v29, v32, 1.0
	v_fmac_f32_e32 v32, v21, v32
	v_mul_f32_e32 v21, v24, v32
	v_fma_f32 v23, -v29, v21, v24
	v_fmac_f32_e32 v21, v23, v32
	v_rcp_f32_e32 v23, v30
	v_fma_f32 v24, -v29, v21, v24
	s_mov_b64 vcc, s[4:5]
	v_div_fmas_f32 v21, v24, v32, v21
	v_fma_f32 v24, -v30, v23, 1.0
	v_fmac_f32_e32 v23, v24, v23
	v_mul_f32_e32 v24, v31, v23
	v_fma_f32 v26, -v30, v24, v31
	v_fmac_f32_e32 v24, v26, v23
	v_fma_f32 v26, -v30, v24, v31
	s_mov_b64 vcc, s[6:7]
	v_div_fmas_f32 v23, v26, v23, v24
	v_mov_b32_e32 v24, 0x3d088889
	s_mov_b32 s2, 0x3e2aaaab
	v_div_fixup_f32 v11, v12, v11, 1.0
	v_add_f32_e32 v10, v10, v11
	v_div_fixup_f32 v11, v14, v13, 1.0
	v_add_f32_e32 v10, v10, v11
	v_div_fixup_f32 v11, v15, v17, 1.0
	v_div_fixup_f32 v21, v21, v28, 1.0
	v_fmac_f32_e32 v24, 0xbcc30c31, v21
	v_fma_f32 v24, -v21, v24, s2
	v_add_f32_e32 v10, v10, v11
	v_div_fixup_f32 v11, v16, v22, 1.0
	v_add_f32_e32 v10, v10, v11
	v_div_fixup_f32 v11, v18, v20, 1.0
	;; [unrolled: 2-line block ×3, first 2 shown]
	v_add_f32_e32 v23, 1.0, v23
	v_fmac_f32_e32 v23, v21, v24
	v_div_scale_f32 v21, s[2:3], v9, v9, v23
	v_div_scale_f32 v24, vcc, v23, v9, v23
	v_div_fixup_f32 v11, v19, v25, 1.0
	v_add_f32_e32 v10, v10, v11
	v_rcp_f32_e32 v26, v21
	v_fma_f32 v27, -v21, v26, 1.0
	v_fmac_f32_e32 v26, v27, v26
	v_mul_f32_e32 v27, v24, v26
	v_fma_f32 v28, -v21, v27, v24
	v_fmac_f32_e32 v27, v28, v26
	v_fma_f32 v21, -v21, v27, v24
	v_div_fmas_f32 v21, v21, v26, v27
	v_div_fixup_f32 v9, v21, v9, v23
	v_add_f32_e32 v9, v10, v9
	v_mul_f32_e32 v8, v8, v9
.LBB53_51:
	s_or_b64 exec, exec, s[10:11]
	v_or_b32_e32 v9, 0x200, v0
	v_cmp_gt_i32_e32 vcc, s18, v9
	s_and_saveexec_b64 s[10:11], vcc
	s_cbranch_execz .LBB53_59
; %bb.52:
	v_cmp_gt_f32_e32 vcc, 0.5, v5
	v_mov_b32_e32 v9, 0
	v_mov_b32_e32 v7, 1.0
	s_and_saveexec_b64 s[14:15], vcc
	s_cbranch_execz .LBB53_58
; %bb.53:
	v_mul_f32_e32 v7, 0x40490fdb, v5
	s_brev_b32 s2, 18
	v_and_b32_e32 v9, 0x7fffffff, v7
	v_cmp_nlt_f32_e64 s[2:3], |v7|, s2
                                        ; implicit-def: $vgpr10
                                        ; implicit-def: $vgpr11
	s_and_saveexec_b64 s[4:5], s[2:3]
	s_xor_b64 s[16:17], exec, s[4:5]
	s_cbranch_execz .LBB53_55
; %bb.54:
	v_and_b32_e32 v10, 0x7fffff, v9
	v_or_b32_e32 v19, 0x800000, v10
	s_mov_b32 s2, 0xfe5163ab
	v_mad_u64_u32 v[10:11], s[2:3], v19, s2, 0
	v_mov_b32_e32 v12, 0
	s_mov_b32 s2, 0x3c439041
	v_mad_u64_u32 v[13:14], s[2:3], v19, s2, v[11:12]
	s_mov_b32 s2, 0xdb629599
	v_not_b32_e32 v18, 63
	v_mov_b32_e32 v11, v14
	v_mad_u64_u32 v[14:15], s[2:3], v19, s2, v[11:12]
	s_mov_b32 s2, 0xf534ddc0
	v_not_b32_e32 v21, 31
	v_mov_b32_e32 v11, v15
	v_mad_u64_u32 v[15:16], s[2:3], v19, s2, v[11:12]
	v_lshrrev_b32_e32 v11, 23, v9
	v_add_u32_e32 v20, 0xffffff88, v11
	v_mov_b32_e32 v11, v16
	s_mov_b32 s2, 0xfc2757d1
	v_mad_u64_u32 v[16:17], s[2:3], v19, s2, v[11:12]
	v_cmp_lt_u32_e32 vcc, 63, v20
	v_cndmask_b32_e32 v11, 0, v18, vcc
	v_add_u32_e32 v20, v11, v20
	v_mov_b32_e32 v11, v17
	s_mov_b32 s2, 0x4e441529
	v_mad_u64_u32 v[17:18], s[2:3], v19, s2, v[11:12]
	v_cmp_lt_u32_e64 s[2:3], 31, v20
	v_cndmask_b32_e64 v11, 0, v21, s[2:3]
	v_add_u32_e32 v20, v11, v20
	v_mov_b32_e32 v11, v18
	s_mov_b32 s4, 0xa2f9836e
	v_mad_u64_u32 v[11:12], s[4:5], v19, s4, v[11:12]
	v_cmp_lt_u32_e64 s[4:5], 31, v20
	v_cndmask_b32_e64 v18, 0, v21, s[4:5]
	v_cndmask_b32_e32 v19, v17, v15, vcc
	v_cndmask_b32_e32 v11, v11, v16, vcc
	;; [unrolled: 1-line block ×3, first 2 shown]
	v_add_u32_e32 v18, v18, v20
	v_cndmask_b32_e64 v20, v11, v19, s[2:3]
	v_cndmask_b32_e64 v11, v12, v11, s[2:3]
	v_cndmask_b32_e32 v12, v16, v14, vcc
	v_cndmask_b32_e64 v16, v19, v12, s[2:3]
	v_cndmask_b32_e64 v11, v11, v20, s[4:5]
	;; [unrolled: 1-line block ×3, first 2 shown]
	v_sub_u32_e32 v19, 32, v18
	v_alignbit_b32 v20, v11, v17, v19
	v_cmp_eq_u32_e64 s[6:7], 0, v18
	v_cndmask_b32_e64 v18, v20, v11, s[6:7]
	v_cndmask_b32_e32 v11, v15, v13, vcc
	v_cndmask_b32_e64 v12, v12, v11, s[2:3]
	v_cndmask_b32_e64 v13, v16, v12, s[4:5]
	v_alignbit_b32 v15, v17, v13, v19
	v_cndmask_b32_e32 v10, v14, v10, vcc
	v_cndmask_b32_e64 v15, v15, v17, s[6:7]
	v_bfe_u32 v20, v18, 29, 1
	v_cndmask_b32_e64 v10, v11, v10, s[2:3]
	v_alignbit_b32 v16, v18, v15, 30
	v_sub_u32_e32 v21, 0, v20
	v_cndmask_b32_e64 v10, v12, v10, s[4:5]
	v_xor_b32_e32 v16, v16, v21
	v_alignbit_b32 v11, v13, v10, v19
	v_cndmask_b32_e64 v11, v11, v13, s[6:7]
	v_ffbh_u32_e32 v13, v16
	v_alignbit_b32 v12, v15, v11, 30
	v_min_u32_e32 v13, 32, v13
	v_alignbit_b32 v10, v11, v10, 30
	v_xor_b32_e32 v12, v12, v21
	v_sub_u32_e32 v14, 31, v13
	v_xor_b32_e32 v10, v10, v21
	v_alignbit_b32 v15, v16, v12, v14
	v_alignbit_b32 v10, v12, v10, v14
	;; [unrolled: 1-line block ×3, first 2 shown]
	v_ffbh_u32_e32 v12, v11
	v_min_u32_e32 v12, 32, v12
	v_lshrrev_b32_e32 v17, 29, v18
	v_not_b32_e32 v14, v12
	v_alignbit_b32 v10, v11, v10, v14
	v_lshlrev_b32_e32 v11, 31, v17
	v_or_b32_e32 v14, 0x33000000, v11
	v_add_lshl_u32 v12, v12, v13, 23
	v_lshrrev_b32_e32 v10, 9, v10
	v_sub_u32_e32 v12, v14, v12
	v_or_b32_e32 v11, 0.5, v11
	v_lshlrev_b32_e32 v13, 23, v13
	v_or_b32_e32 v10, v12, v10
	v_lshrrev_b32_e32 v12, 9, v15
	v_sub_u32_e32 v11, v11, v13
	v_or_b32_e32 v11, v12, v11
	s_mov_b32 s2, 0x3fc90fda
	v_mul_f32_e32 v12, 0x3fc90fda, v11
	v_fma_f32 v13, v11, s2, -v12
	v_fmac_f32_e32 v13, 0x33a22168, v11
	v_fmac_f32_e32 v13, 0x3fc90fda, v10
	v_lshrrev_b32_e32 v10, 30, v18
	v_add_f32_e32 v11, v12, v13
	v_add_u32_e32 v10, v20, v10
.LBB53_55:
	s_andn2_saveexec_b64 s[2:3], s[16:17]
	s_cbranch_execz .LBB53_57
; %bb.56:
	s_mov_b32 s4, 0x3f22f983
	v_mul_f32_e64 v10, |v7|, s4
	v_rndne_f32_e32 v12, v10
	s_mov_b32 s4, 0xbfc90fda
	v_cvt_i32_f32_e32 v10, v12
	v_fma_f32 v11, v12, s4, |v7|
	v_fmac_f32_e32 v11, 0xb3a22168, v12
	v_fmac_f32_e32 v11, 0xa7c234c4, v12
.LBB53_57:
	s_or_b64 exec, exec, s[2:3]
	v_mul_f32_e32 v12, v11, v11
	v_mov_b32_e32 v13, 0x3c0881c4
	v_fmac_f32_e32 v13, 0xb94c1982, v12
	v_mov_b32_e32 v14, 0xbe2aaa9d
	v_fmac_f32_e32 v14, v12, v13
	v_mul_f32_e32 v13, v12, v14
	v_fmac_f32_e32 v11, v11, v13
	v_mov_b32_e32 v13, 0xbab64f3b
	v_fmac_f32_e32 v13, 0x37d75334, v12
	v_mov_b32_e32 v14, 0x3d2aabf7
	;; [unrolled: 2-line block ×3, first 2 shown]
	v_fmac_f32_e32 v13, v12, v14
	v_fma_f32 v12, v12, v13, 1.0
	v_and_b32_e32 v13, 1, v10
	v_lshlrev_b32_e32 v10, 30, v10
	v_cmp_eq_u32_e32 vcc, 0, v13
	v_and_b32_e32 v10, 0x80000000, v10
	v_xor_b32_e32 v9, v9, v7
	v_cndmask_b32_e32 v11, v12, v11, vcc
	v_xor_b32_e32 v9, v9, v10
	s_movk_i32 s2, 0x1f8
	v_xor_b32_e32 v9, v9, v11
	v_mov_b32_e32 v10, 0x7fc00000
	v_cmp_class_f32_e64 vcc, v7, s2
	v_cndmask_b32_e32 v7, v10, v9, vcc
	v_mul_f32_e32 v7, v7, v7
	s_mov_b32 s4, 0xc11de9e7
	v_div_scale_f32 v9, s[2:3], v7, v7, s4
	v_div_scale_f32 v10, vcc, s4, v7, s4
	v_sub_f32_e32 v5, 1.0, v5
	v_rcp_f32_e32 v11, v9
	v_fma_f32 v12, -v9, v11, 1.0
	v_fmac_f32_e32 v11, v12, v11
	v_mul_f32_e32 v12, v10, v11
	v_fma_f32 v13, -v9, v12, v10
	v_fmac_f32_e32 v12, v13, v11
	v_fma_f32 v9, -v9, v12, v10
	v_div_fmas_f32 v9, v9, v11, v12
	v_div_fixup_f32 v7, v9, v7, s4
	v_add_f32_e32 v9, 0, v7
	v_mov_b32_e32 v7, -1.0
.LBB53_58:
	s_or_b64 exec, exec, s[14:15]
	v_mul_f32_e32 v10, v5, v5
	v_div_scale_f32 v11, s[2:3], v10, v10, 1.0
	v_add_f32_e32 v5, 1.0, v5
	v_mul_f32_e32 v12, v5, v5
	v_div_scale_f32 v13, s[2:3], v12, v12, 1.0
	v_div_scale_f32 v14, vcc, 1.0, v10, 1.0
	v_add_f32_e32 v5, 1.0, v5
	v_div_scale_f32 v15, s[2:3], 1.0, v12, 1.0
	v_mul_f32_e32 v16, v5, v5
	v_div_scale_f32 v17, s[4:5], v16, v16, 1.0
	v_div_scale_f32 v20, s[4:5], 1.0, v16, 1.0
	v_rcp_f32_e32 v18, v11
	v_add_f32_e32 v5, 1.0, v5
	v_rcp_f32_e32 v19, v13
	v_fma_f32 v21, -v11, v18, 1.0
	v_fmac_f32_e32 v18, v21, v18
	v_mul_f32_e32 v22, v14, v18
	v_fma_f32 v21, -v13, v19, 1.0
	v_fma_f32 v23, -v11, v22, v14
	v_fmac_f32_e32 v22, v23, v18
	v_fmac_f32_e32 v19, v21, v19
	v_fma_f32 v11, -v11, v22, v14
	v_mul_f32_e32 v14, v15, v19
	v_div_fmas_f32 v11, v11, v18, v22
	v_fma_f32 v18, -v13, v14, v15
	v_fmac_f32_e32 v14, v18, v19
	v_rcp_f32_e32 v18, v17
	v_mul_f32_e32 v21, v5, v5
	v_div_scale_f32 v22, s[6:7], v21, v21, 1.0
	v_fma_f32 v13, -v13, v14, v15
	s_mov_b64 vcc, s[2:3]
	v_div_fmas_f32 v13, v13, v19, v14
	v_fma_f32 v14, -v17, v18, 1.0
	v_fmac_f32_e32 v18, v14, v18
	v_mul_f32_e32 v14, v20, v18
	v_fma_f32 v15, -v17, v14, v20
	v_fmac_f32_e32 v14, v15, v18
	v_div_scale_f32 v15, s[2:3], 1.0, v21, 1.0
	v_add_f32_e32 v5, 1.0, v5
	v_mul_f32_e32 v19, v5, v5
	v_div_scale_f32 v23, s[6:7], v19, v19, 1.0
	v_fma_f32 v17, -v17, v14, v20
	v_rcp_f32_e32 v20, v22
	s_mov_b64 vcc, s[4:5]
	v_div_fmas_f32 v14, v17, v18, v14
	v_div_scale_f32 v17, s[4:5], 1.0, v19, 1.0
	v_add_f32_e32 v5, 1.0, v5
	v_mul_f32_e32 v24, v5, v5
	v_fma_f32 v18, -v22, v20, 1.0
	v_div_scale_f32 v25, s[6:7], v24, v24, 1.0
	v_fmac_f32_e32 v20, v18, v20
	v_mul_f32_e32 v18, v15, v20
	v_fma_f32 v26, -v22, v18, v15
	v_fmac_f32_e32 v18, v26, v20
	v_fma_f32 v15, -v22, v18, v15
	s_mov_b64 vcc, s[2:3]
	v_div_fmas_f32 v15, v15, v20, v18
	v_div_scale_f32 v18, s[2:3], 1.0, v24, 1.0
	v_rcp_f32_e32 v26, v23
	v_add_f32_e32 v5, 1.0, v5
	v_mul_f32_e32 v27, v5, v5
	v_div_scale_f32 v28, s[6:7], v27, v27, 1.0
	v_fma_f32 v20, -v23, v26, 1.0
	v_fmac_f32_e32 v26, v20, v26
	v_mul_f32_e32 v20, v17, v26
	v_fma_f32 v22, -v23, v20, v17
	v_fmac_f32_e32 v20, v22, v26
	v_rcp_f32_e32 v22, v25
	v_fma_f32 v17, -v23, v20, v17
	s_mov_b64 vcc, s[4:5]
	v_div_scale_f32 v23, s[4:5], 1.0, v27, 1.0
	v_div_fmas_f32 v17, v17, v26, v20
	v_add_f32_e32 v26, v5, v5
	v_div_scale_f32 v29, s[6:7], v26, v26, 1.0
	v_fma_f32 v20, -v25, v22, 1.0
	v_fmac_f32_e32 v22, v20, v22
	v_mul_f32_e32 v20, v18, v22
	v_fma_f32 v30, -v25, v20, v18
	v_fmac_f32_e32 v20, v30, v22
	v_div_scale_f32 v30, s[6:7], 1.0, v26, 1.0
	v_rcp_f32_e32 v31, v28
	v_fma_f32 v18, -v25, v20, v18
	s_mov_b64 vcc, s[2:3]
	v_div_fmas_f32 v18, v18, v22, v20
	v_fma_f32 v20, -v28, v31, 1.0
	v_fmac_f32_e32 v31, v20, v31
	v_mul_f32_e32 v20, v23, v31
	v_fma_f32 v22, -v28, v20, v23
	v_fmac_f32_e32 v20, v22, v31
	v_rcp_f32_e32 v22, v29
	v_fma_f32 v23, -v28, v20, v23
	s_mov_b64 vcc, s[4:5]
	v_div_fmas_f32 v20, v23, v31, v20
	v_fma_f32 v23, -v29, v22, 1.0
	v_fmac_f32_e32 v22, v23, v22
	v_mul_f32_e32 v23, v30, v22
	v_fma_f32 v25, -v29, v23, v30
	v_fmac_f32_e32 v23, v25, v22
	v_fma_f32 v25, -v29, v23, v30
	s_mov_b64 vcc, s[6:7]
	v_div_fmas_f32 v22, v25, v22, v23
	v_mov_b32_e32 v23, 0x3d088889
	s_mov_b32 s2, 0x3e2aaaab
	v_div_fixup_f32 v10, v11, v10, 1.0
	v_add_f32_e32 v9, v9, v10
	v_div_fixup_f32 v10, v13, v12, 1.0
	v_add_f32_e32 v9, v9, v10
	v_div_fixup_f32 v10, v14, v16, 1.0
	v_div_fixup_f32 v20, v20, v27, 1.0
	v_fmac_f32_e32 v23, 0xbcc30c31, v20
	v_fma_f32 v23, -v20, v23, s2
	v_add_f32_e32 v9, v9, v10
	v_div_fixup_f32 v10, v15, v21, 1.0
	v_add_f32_e32 v9, v9, v10
	v_div_fixup_f32 v10, v17, v19, 1.0
	;; [unrolled: 2-line block ×3, first 2 shown]
	v_add_f32_e32 v22, 1.0, v22
	v_fmac_f32_e32 v22, v20, v23
	v_div_scale_f32 v20, s[2:3], v5, v5, v22
	v_div_scale_f32 v23, vcc, v22, v5, v22
	v_div_fixup_f32 v10, v18, v24, 1.0
	v_add_f32_e32 v9, v9, v10
	v_rcp_f32_e32 v25, v20
	v_fma_f32 v26, -v20, v25, 1.0
	v_fmac_f32_e32 v25, v26, v25
	v_mul_f32_e32 v26, v23, v25
	v_fma_f32 v27, -v20, v26, v23
	v_fmac_f32_e32 v26, v27, v25
	v_fma_f32 v20, -v20, v26, v23
	v_div_fmas_f32 v20, v20, v25, v26
	v_div_fixup_f32 v5, v20, v5, v22
	v_add_f32_e32 v5, v9, v5
	v_mul_f32_e32 v7, v7, v5
.LBB53_59:
	s_or_b64 exec, exec, s[10:11]
	v_or_b32_e32 v5, 0x300, v0
	v_cmp_gt_i32_e32 vcc, s18, v5
	s_and_saveexec_b64 s[10:11], vcc
	s_cbranch_execnz .LBB53_66
; %bb.60:
	s_or_b64 exec, exec, s[10:11]
	s_and_saveexec_b64 s[2:3], s[0:1]
	s_xor_b64 s[0:1], exec, s[2:3]
	s_cbranch_execnz .LBB53_73
.LBB53_61:
	s_or_b64 exec, exec, s[0:1]
	v_cmp_gt_i32_e32 vcc, s18, v0
	s_and_saveexec_b64 s[0:1], vcc
	s_cbranch_execnz .LBB53_74
.LBB53_62:
	s_or_b64 exec, exec, s[0:1]
	v_cmp_gt_i32_e32 vcc, s18, v0
	s_and_saveexec_b64 s[0:1], vcc
	s_cbranch_execnz .LBB53_75
.LBB53_63:
	s_or_b64 exec, exec, s[0:1]
	v_cmp_gt_i32_e32 vcc, s18, v0
	s_and_saveexec_b64 s[0:1], vcc
	s_cbranch_execz .LBB53_65
.LBB53_64:
	v_add_u32_e32 v0, s12, v0
	v_mov_b32_e32 v1, 0
	v_lshlrev_b64 v[0:1], 2, v[0:1]
	v_mov_b32_e32 v2, s9
	v_add_co_u32_e32 v0, vcc, s8, v0
	v_addc_co_u32_e32 v1, vcc, v2, v1, vcc
	global_store_dword v[0:1], v6, off
.LBB53_65:
	s_endpgm
.LBB53_66:
	v_cmp_gt_f32_e32 vcc, 0.5, v2
	v_mov_b32_e32 v6, 0
	v_mov_b32_e32 v5, 1.0
	s_and_saveexec_b64 s[14:15], vcc
	s_cbranch_execz .LBB53_72
; %bb.67:
	v_mul_f32_e32 v5, 0x40490fdb, v2
	s_brev_b32 s2, 18
	v_and_b32_e32 v6, 0x7fffffff, v5
	v_cmp_nlt_f32_e64 s[2:3], |v5|, s2
                                        ; implicit-def: $vgpr9
                                        ; implicit-def: $vgpr10
	s_and_saveexec_b64 s[4:5], s[2:3]
	s_xor_b64 s[16:17], exec, s[4:5]
	s_cbranch_execz .LBB53_69
; %bb.68:
	v_and_b32_e32 v9, 0x7fffff, v6
	v_or_b32_e32 v18, 0x800000, v9
	s_mov_b32 s2, 0xfe5163ab
	v_mad_u64_u32 v[9:10], s[2:3], v18, s2, 0
	v_mov_b32_e32 v11, 0
	s_mov_b32 s2, 0x3c439041
	v_mad_u64_u32 v[12:13], s[2:3], v18, s2, v[10:11]
	s_mov_b32 s2, 0xdb629599
	v_not_b32_e32 v17, 63
	v_mov_b32_e32 v10, v13
	v_mad_u64_u32 v[13:14], s[2:3], v18, s2, v[10:11]
	s_mov_b32 s2, 0xf534ddc0
	v_not_b32_e32 v20, 31
	v_mov_b32_e32 v10, v14
	v_mad_u64_u32 v[14:15], s[2:3], v18, s2, v[10:11]
	v_lshrrev_b32_e32 v10, 23, v6
	v_add_u32_e32 v19, 0xffffff88, v10
	v_mov_b32_e32 v10, v15
	s_mov_b32 s2, 0xfc2757d1
	v_mad_u64_u32 v[15:16], s[2:3], v18, s2, v[10:11]
	v_cmp_lt_u32_e32 vcc, 63, v19
	v_cndmask_b32_e32 v10, 0, v17, vcc
	v_add_u32_e32 v19, v10, v19
	v_mov_b32_e32 v10, v16
	s_mov_b32 s2, 0x4e441529
	v_mad_u64_u32 v[16:17], s[2:3], v18, s2, v[10:11]
	v_cmp_lt_u32_e64 s[2:3], 31, v19
	v_cndmask_b32_e64 v10, 0, v20, s[2:3]
	v_add_u32_e32 v19, v10, v19
	v_mov_b32_e32 v10, v17
	s_mov_b32 s4, 0xa2f9836e
	v_mad_u64_u32 v[10:11], s[4:5], v18, s4, v[10:11]
	v_cmp_lt_u32_e64 s[4:5], 31, v19
	v_cndmask_b32_e64 v17, 0, v20, s[4:5]
	v_cndmask_b32_e32 v18, v16, v14, vcc
	v_cndmask_b32_e32 v10, v10, v15, vcc
	;; [unrolled: 1-line block ×3, first 2 shown]
	v_add_u32_e32 v17, v17, v19
	v_cndmask_b32_e64 v19, v10, v18, s[2:3]
	v_cndmask_b32_e64 v10, v11, v10, s[2:3]
	v_cndmask_b32_e32 v11, v15, v13, vcc
	v_cndmask_b32_e64 v15, v18, v11, s[2:3]
	v_cndmask_b32_e64 v10, v10, v19, s[4:5]
	;; [unrolled: 1-line block ×3, first 2 shown]
	v_sub_u32_e32 v18, 32, v17
	v_alignbit_b32 v19, v10, v16, v18
	v_cmp_eq_u32_e64 s[6:7], 0, v17
	v_cndmask_b32_e64 v17, v19, v10, s[6:7]
	v_cndmask_b32_e32 v10, v14, v12, vcc
	v_cndmask_b32_e64 v11, v11, v10, s[2:3]
	v_cndmask_b32_e64 v12, v15, v11, s[4:5]
	v_alignbit_b32 v14, v16, v12, v18
	v_cndmask_b32_e32 v9, v13, v9, vcc
	v_cndmask_b32_e64 v14, v14, v16, s[6:7]
	v_bfe_u32 v19, v17, 29, 1
	v_cndmask_b32_e64 v9, v10, v9, s[2:3]
	v_alignbit_b32 v15, v17, v14, 30
	v_sub_u32_e32 v20, 0, v19
	v_cndmask_b32_e64 v9, v11, v9, s[4:5]
	v_xor_b32_e32 v15, v15, v20
	v_alignbit_b32 v10, v12, v9, v18
	v_cndmask_b32_e64 v10, v10, v12, s[6:7]
	v_ffbh_u32_e32 v12, v15
	v_alignbit_b32 v11, v14, v10, 30
	v_min_u32_e32 v12, 32, v12
	v_alignbit_b32 v9, v10, v9, 30
	v_xor_b32_e32 v11, v11, v20
	v_sub_u32_e32 v13, 31, v12
	v_xor_b32_e32 v9, v9, v20
	v_alignbit_b32 v14, v15, v11, v13
	v_alignbit_b32 v9, v11, v9, v13
	;; [unrolled: 1-line block ×3, first 2 shown]
	v_ffbh_u32_e32 v11, v10
	v_min_u32_e32 v11, 32, v11
	v_lshrrev_b32_e32 v16, 29, v17
	v_not_b32_e32 v13, v11
	v_alignbit_b32 v9, v10, v9, v13
	v_lshlrev_b32_e32 v10, 31, v16
	v_or_b32_e32 v13, 0x33000000, v10
	v_add_lshl_u32 v11, v11, v12, 23
	v_lshrrev_b32_e32 v9, 9, v9
	v_sub_u32_e32 v11, v13, v11
	v_or_b32_e32 v10, 0.5, v10
	v_lshlrev_b32_e32 v12, 23, v12
	v_or_b32_e32 v9, v11, v9
	v_lshrrev_b32_e32 v11, 9, v14
	v_sub_u32_e32 v10, v10, v12
	v_or_b32_e32 v10, v11, v10
	s_mov_b32 s2, 0x3fc90fda
	v_mul_f32_e32 v11, 0x3fc90fda, v10
	v_fma_f32 v12, v10, s2, -v11
	v_fmac_f32_e32 v12, 0x33a22168, v10
	v_fmac_f32_e32 v12, 0x3fc90fda, v9
	v_lshrrev_b32_e32 v9, 30, v17
	v_add_f32_e32 v10, v11, v12
	v_add_u32_e32 v9, v19, v9
.LBB53_69:
	s_andn2_saveexec_b64 s[2:3], s[16:17]
	s_cbranch_execz .LBB53_71
; %bb.70:
	s_mov_b32 s4, 0x3f22f983
	v_mul_f32_e64 v9, |v5|, s4
	v_rndne_f32_e32 v11, v9
	s_mov_b32 s4, 0xbfc90fda
	v_cvt_i32_f32_e32 v9, v11
	v_fma_f32 v10, v11, s4, |v5|
	v_fmac_f32_e32 v10, 0xb3a22168, v11
	v_fmac_f32_e32 v10, 0xa7c234c4, v11
.LBB53_71:
	s_or_b64 exec, exec, s[2:3]
	v_mul_f32_e32 v11, v10, v10
	v_mov_b32_e32 v12, 0x3c0881c4
	v_fmac_f32_e32 v12, 0xb94c1982, v11
	v_mov_b32_e32 v13, 0xbe2aaa9d
	v_fmac_f32_e32 v13, v11, v12
	v_mul_f32_e32 v12, v11, v13
	v_fmac_f32_e32 v10, v10, v12
	v_mov_b32_e32 v12, 0xbab64f3b
	v_fmac_f32_e32 v12, 0x37d75334, v11
	v_mov_b32_e32 v13, 0x3d2aabf7
	;; [unrolled: 2-line block ×3, first 2 shown]
	v_fmac_f32_e32 v12, v11, v13
	v_fma_f32 v11, v11, v12, 1.0
	v_and_b32_e32 v12, 1, v9
	v_lshlrev_b32_e32 v9, 30, v9
	v_cmp_eq_u32_e32 vcc, 0, v12
	v_and_b32_e32 v9, 0x80000000, v9
	v_xor_b32_e32 v6, v6, v5
	v_cndmask_b32_e32 v10, v11, v10, vcc
	v_xor_b32_e32 v6, v6, v9
	s_movk_i32 s2, 0x1f8
	v_xor_b32_e32 v6, v6, v10
	v_mov_b32_e32 v9, 0x7fc00000
	v_cmp_class_f32_e64 vcc, v5, s2
	v_cndmask_b32_e32 v5, v9, v6, vcc
	v_mul_f32_e32 v5, v5, v5
	s_mov_b32 s4, 0xc11de9e7
	v_div_scale_f32 v6, s[2:3], v5, v5, s4
	v_div_scale_f32 v9, vcc, s4, v5, s4
	v_sub_f32_e32 v2, 1.0, v2
	v_rcp_f32_e32 v10, v6
	v_fma_f32 v11, -v6, v10, 1.0
	v_fmac_f32_e32 v10, v11, v10
	v_mul_f32_e32 v11, v9, v10
	v_fma_f32 v12, -v6, v11, v9
	v_fmac_f32_e32 v11, v12, v10
	v_fma_f32 v6, -v6, v11, v9
	v_div_fmas_f32 v6, v6, v10, v11
	v_div_fixup_f32 v5, v6, v5, s4
	v_add_f32_e32 v6, 0, v5
	v_mov_b32_e32 v5, -1.0
.LBB53_72:
	s_or_b64 exec, exec, s[14:15]
	v_mul_f32_e32 v9, v2, v2
	v_div_scale_f32 v10, s[2:3], v9, v9, 1.0
	v_add_f32_e32 v2, 1.0, v2
	v_mul_f32_e32 v11, v2, v2
	v_div_scale_f32 v12, s[2:3], v11, v11, 1.0
	v_div_scale_f32 v13, vcc, 1.0, v9, 1.0
	v_add_f32_e32 v2, 1.0, v2
	v_div_scale_f32 v14, s[2:3], 1.0, v11, 1.0
	v_mul_f32_e32 v15, v2, v2
	v_div_scale_f32 v16, s[4:5], v15, v15, 1.0
	v_div_scale_f32 v19, s[4:5], 1.0, v15, 1.0
	v_rcp_f32_e32 v17, v10
	v_add_f32_e32 v2, 1.0, v2
	v_rcp_f32_e32 v18, v12
	v_fma_f32 v20, -v10, v17, 1.0
	v_fmac_f32_e32 v17, v20, v17
	v_mul_f32_e32 v21, v13, v17
	v_fma_f32 v20, -v12, v18, 1.0
	v_fma_f32 v22, -v10, v21, v13
	v_fmac_f32_e32 v21, v22, v17
	v_fmac_f32_e32 v18, v20, v18
	v_fma_f32 v10, -v10, v21, v13
	v_mul_f32_e32 v13, v14, v18
	v_div_fmas_f32 v10, v10, v17, v21
	v_fma_f32 v17, -v12, v13, v14
	v_fmac_f32_e32 v13, v17, v18
	v_rcp_f32_e32 v17, v16
	v_mul_f32_e32 v20, v2, v2
	v_div_scale_f32 v21, s[6:7], v20, v20, 1.0
	v_fma_f32 v12, -v12, v13, v14
	s_mov_b64 vcc, s[2:3]
	v_div_fmas_f32 v12, v12, v18, v13
	v_fma_f32 v13, -v16, v17, 1.0
	v_fmac_f32_e32 v17, v13, v17
	v_mul_f32_e32 v13, v19, v17
	v_fma_f32 v14, -v16, v13, v19
	v_fmac_f32_e32 v13, v14, v17
	v_div_scale_f32 v14, s[2:3], 1.0, v20, 1.0
	v_add_f32_e32 v2, 1.0, v2
	v_mul_f32_e32 v18, v2, v2
	v_div_scale_f32 v22, s[6:7], v18, v18, 1.0
	v_fma_f32 v16, -v16, v13, v19
	s_mov_b64 vcc, s[4:5]
	v_div_fmas_f32 v13, v16, v17, v13
	v_div_scale_f32 v16, s[4:5], 1.0, v18, 1.0
	v_rcp_f32_e32 v19, v21
	v_add_f32_e32 v2, 1.0, v2
	v_mul_f32_e32 v23, v2, v2
	v_div_scale_f32 v24, s[6:7], v23, v23, 1.0
	v_fma_f32 v17, -v21, v19, 1.0
	v_fmac_f32_e32 v19, v17, v19
	v_mul_f32_e32 v17, v14, v19
	v_fma_f32 v25, -v21, v17, v14
	v_fmac_f32_e32 v17, v25, v19
	v_rcp_f32_e32 v25, v22
	v_fma_f32 v14, -v21, v17, v14
	s_mov_b64 vcc, s[2:3]
	v_div_fmas_f32 v14, v14, v19, v17
	v_fma_f32 v17, -v22, v25, 1.0
	v_fmac_f32_e32 v25, v17, v25
	v_mul_f32_e32 v17, v16, v25
	v_fma_f32 v19, -v22, v17, v16
	v_fmac_f32_e32 v17, v19, v25
	v_div_scale_f32 v19, s[2:3], 1.0, v23, 1.0
	v_add_f32_e32 v2, 1.0, v2
	v_mul_f32_e32 v26, v2, v2
	v_div_scale_f32 v27, s[6:7], v26, v26, 1.0
	v_rcp_f32_e32 v21, v24
	v_fma_f32 v16, -v22, v17, v16
	s_mov_b64 vcc, s[4:5]
	v_div_scale_f32 v22, s[4:5], 1.0, v26, 1.0
	v_div_fmas_f32 v16, v16, v25, v17
	v_add_f32_e32 v25, v2, v2
	v_div_scale_f32 v28, s[6:7], v25, v25, 1.0
	v_fma_f32 v17, -v24, v21, 1.0
	v_fmac_f32_e32 v21, v17, v21
	v_mul_f32_e32 v17, v19, v21
	v_fma_f32 v29, -v24, v17, v19
	v_fmac_f32_e32 v17, v29, v21
	v_div_scale_f32 v29, s[6:7], 1.0, v25, 1.0
	v_rcp_f32_e32 v30, v27
	v_fma_f32 v19, -v24, v17, v19
	s_mov_b64 vcc, s[2:3]
	v_div_fmas_f32 v17, v19, v21, v17
	v_fma_f32 v19, -v27, v30, 1.0
	v_fmac_f32_e32 v30, v19, v30
	v_mul_f32_e32 v19, v22, v30
	v_fma_f32 v21, -v27, v19, v22
	v_fmac_f32_e32 v19, v21, v30
	v_rcp_f32_e32 v21, v28
	v_fma_f32 v22, -v27, v19, v22
	s_mov_b64 vcc, s[4:5]
	v_div_fmas_f32 v19, v22, v30, v19
	v_fma_f32 v22, -v28, v21, 1.0
	v_fmac_f32_e32 v21, v22, v21
	v_mul_f32_e32 v22, v29, v21
	v_fma_f32 v24, -v28, v22, v29
	v_fmac_f32_e32 v22, v24, v21
	v_fma_f32 v24, -v28, v22, v29
	s_mov_b64 vcc, s[6:7]
	v_div_fmas_f32 v21, v24, v21, v22
	v_mov_b32_e32 v22, 0x3d088889
	s_mov_b32 s2, 0x3e2aaaab
	v_div_fixup_f32 v9, v10, v9, 1.0
	v_add_f32_e32 v6, v6, v9
	v_div_fixup_f32 v9, v12, v11, 1.0
	v_add_f32_e32 v6, v6, v9
	v_div_fixup_f32 v9, v13, v15, 1.0
	v_div_fixup_f32 v19, v19, v26, 1.0
	v_fmac_f32_e32 v22, 0xbcc30c31, v19
	v_fma_f32 v22, -v19, v22, s2
	v_add_f32_e32 v6, v6, v9
	v_div_fixup_f32 v9, v14, v20, 1.0
	v_add_f32_e32 v6, v6, v9
	v_div_fixup_f32 v9, v16, v18, 1.0
	;; [unrolled: 2-line block ×3, first 2 shown]
	v_add_f32_e32 v21, 1.0, v21
	v_fmac_f32_e32 v21, v19, v22
	v_div_scale_f32 v19, s[2:3], v2, v2, v21
	v_div_scale_f32 v22, vcc, v21, v2, v21
	v_div_fixup_f32 v9, v17, v23, 1.0
	v_add_f32_e32 v6, v6, v9
	v_rcp_f32_e32 v24, v19
	v_fma_f32 v25, -v19, v24, 1.0
	v_fmac_f32_e32 v24, v25, v24
	v_mul_f32_e32 v25, v22, v24
	v_fma_f32 v26, -v19, v25, v22
	v_fmac_f32_e32 v25, v26, v24
	v_fma_f32 v19, -v19, v25, v22
	v_div_fmas_f32 v19, v19, v24, v25
	v_div_fixup_f32 v2, v19, v2, v21
	v_add_f32_e32 v2, v6, v2
	v_mul_f32_e32 v6, v5, v2
	s_or_b64 exec, exec, s[10:11]
	s_and_saveexec_b64 s[2:3], s[0:1]
	s_xor_b64 s[0:1], exec, s[2:3]
	s_cbranch_execz .LBB53_61
.LBB53_73:
	v_mov_b32_e32 v2, 0
	v_lshlrev_b64 v[0:1], 2, v[1:2]
	v_mov_b32_e32 v2, s9
	v_add_co_u32_e32 v0, vcc, s8, v0
	v_addc_co_u32_e32 v1, vcc, v2, v1, vcc
	global_store_dword v[0:1], v3, off
	v_mov_b32_e32 v0, v4
	s_or_b64 exec, exec, s[0:1]
	v_cmp_gt_i32_e32 vcc, s18, v0
	s_and_saveexec_b64 s[0:1], vcc
	s_cbranch_execz .LBB53_62
.LBB53_74:
	v_add_u32_e32 v1, s12, v0
	v_mov_b32_e32 v2, 0
	v_lshlrev_b64 v[1:2], 2, v[1:2]
	v_mov_b32_e32 v3, s9
	v_add_co_u32_e32 v1, vcc, s8, v1
	v_addc_co_u32_e32 v2, vcc, v3, v2, vcc
	v_add_u32_e32 v0, 0x100, v0
	global_store_dword v[1:2], v8, off
	s_or_b64 exec, exec, s[0:1]
	v_cmp_gt_i32_e32 vcc, s18, v0
	s_and_saveexec_b64 s[0:1], vcc
	s_cbranch_execz .LBB53_63
.LBB53_75:
	v_add_u32_e32 v1, s12, v0
	v_mov_b32_e32 v2, 0
	v_lshlrev_b64 v[1:2], 2, v[1:2]
	v_mov_b32_e32 v3, s9
	v_add_co_u32_e32 v1, vcc, s8, v1
	v_addc_co_u32_e32 v2, vcc, v3, v2, vcc
	v_add_u32_e32 v0, 0x100, v0
	global_store_dword v[1:2], v7, off
	s_or_b64 exec, exec, s[0:1]
	v_cmp_gt_i32_e32 vcc, s18, v0
	s_and_saveexec_b64 s[0:1], vcc
	s_cbranch_execnz .LBB53_64
	s_branch .LBB53_65
	.section	.rodata,"a",@progbits
	.p2align	6, 0x0
	.amdhsa_kernel _ZN2at6native29vectorized_elementwise_kernelILi2EZZZNS0_20trigamma_kernel_cudaERNS_18TensorIteratorBaseEENKUlvE_clEvENKUlvE0_clEvEUlfE_St5arrayIPcLm2EEEEviT0_T1_
		.amdhsa_group_segment_fixed_size 0
		.amdhsa_private_segment_fixed_size 0
		.amdhsa_kernarg_size 24
		.amdhsa_user_sgpr_count 6
		.amdhsa_user_sgpr_private_segment_buffer 1
		.amdhsa_user_sgpr_dispatch_ptr 0
		.amdhsa_user_sgpr_queue_ptr 0
		.amdhsa_user_sgpr_kernarg_segment_ptr 1
		.amdhsa_user_sgpr_dispatch_id 0
		.amdhsa_user_sgpr_flat_scratch_init 0
		.amdhsa_user_sgpr_private_segment_size 0
		.amdhsa_uses_dynamic_stack 0
		.amdhsa_system_sgpr_private_segment_wavefront_offset 0
		.amdhsa_system_sgpr_workgroup_id_x 1
		.amdhsa_system_sgpr_workgroup_id_y 0
		.amdhsa_system_sgpr_workgroup_id_z 0
		.amdhsa_system_sgpr_workgroup_info 0
		.amdhsa_system_vgpr_workitem_id 0
		.amdhsa_next_free_vgpr 33
		.amdhsa_next_free_sgpr 19
		.amdhsa_reserve_vcc 1
		.amdhsa_reserve_flat_scratch 0
		.amdhsa_float_round_mode_32 0
		.amdhsa_float_round_mode_16_64 0
		.amdhsa_float_denorm_mode_32 3
		.amdhsa_float_denorm_mode_16_64 3
		.amdhsa_dx10_clamp 1
		.amdhsa_ieee_mode 1
		.amdhsa_fp16_overflow 0
		.amdhsa_exception_fp_ieee_invalid_op 0
		.amdhsa_exception_fp_denorm_src 0
		.amdhsa_exception_fp_ieee_div_zero 0
		.amdhsa_exception_fp_ieee_overflow 0
		.amdhsa_exception_fp_ieee_underflow 0
		.amdhsa_exception_fp_ieee_inexact 0
		.amdhsa_exception_int_div_zero 0
	.end_amdhsa_kernel
	.section	.text._ZN2at6native29vectorized_elementwise_kernelILi2EZZZNS0_20trigamma_kernel_cudaERNS_18TensorIteratorBaseEENKUlvE_clEvENKUlvE0_clEvEUlfE_St5arrayIPcLm2EEEEviT0_T1_,"axG",@progbits,_ZN2at6native29vectorized_elementwise_kernelILi2EZZZNS0_20trigamma_kernel_cudaERNS_18TensorIteratorBaseEENKUlvE_clEvENKUlvE0_clEvEUlfE_St5arrayIPcLm2EEEEviT0_T1_,comdat
.Lfunc_end53:
	.size	_ZN2at6native29vectorized_elementwise_kernelILi2EZZZNS0_20trigamma_kernel_cudaERNS_18TensorIteratorBaseEENKUlvE_clEvENKUlvE0_clEvEUlfE_St5arrayIPcLm2EEEEviT0_T1_, .Lfunc_end53-_ZN2at6native29vectorized_elementwise_kernelILi2EZZZNS0_20trigamma_kernel_cudaERNS_18TensorIteratorBaseEENKUlvE_clEvENKUlvE0_clEvEUlfE_St5arrayIPcLm2EEEEviT0_T1_
                                        ; -- End function
	.set _ZN2at6native29vectorized_elementwise_kernelILi2EZZZNS0_20trigamma_kernel_cudaERNS_18TensorIteratorBaseEENKUlvE_clEvENKUlvE0_clEvEUlfE_St5arrayIPcLm2EEEEviT0_T1_.num_vgpr, 33
	.set _ZN2at6native29vectorized_elementwise_kernelILi2EZZZNS0_20trigamma_kernel_cudaERNS_18TensorIteratorBaseEENKUlvE_clEvENKUlvE0_clEvEUlfE_St5arrayIPcLm2EEEEviT0_T1_.num_agpr, 0
	.set _ZN2at6native29vectorized_elementwise_kernelILi2EZZZNS0_20trigamma_kernel_cudaERNS_18TensorIteratorBaseEENKUlvE_clEvENKUlvE0_clEvEUlfE_St5arrayIPcLm2EEEEviT0_T1_.numbered_sgpr, 19
	.set _ZN2at6native29vectorized_elementwise_kernelILi2EZZZNS0_20trigamma_kernel_cudaERNS_18TensorIteratorBaseEENKUlvE_clEvENKUlvE0_clEvEUlfE_St5arrayIPcLm2EEEEviT0_T1_.num_named_barrier, 0
	.set _ZN2at6native29vectorized_elementwise_kernelILi2EZZZNS0_20trigamma_kernel_cudaERNS_18TensorIteratorBaseEENKUlvE_clEvENKUlvE0_clEvEUlfE_St5arrayIPcLm2EEEEviT0_T1_.private_seg_size, 0
	.set _ZN2at6native29vectorized_elementwise_kernelILi2EZZZNS0_20trigamma_kernel_cudaERNS_18TensorIteratorBaseEENKUlvE_clEvENKUlvE0_clEvEUlfE_St5arrayIPcLm2EEEEviT0_T1_.uses_vcc, 1
	.set _ZN2at6native29vectorized_elementwise_kernelILi2EZZZNS0_20trigamma_kernel_cudaERNS_18TensorIteratorBaseEENKUlvE_clEvENKUlvE0_clEvEUlfE_St5arrayIPcLm2EEEEviT0_T1_.uses_flat_scratch, 0
	.set _ZN2at6native29vectorized_elementwise_kernelILi2EZZZNS0_20trigamma_kernel_cudaERNS_18TensorIteratorBaseEENKUlvE_clEvENKUlvE0_clEvEUlfE_St5arrayIPcLm2EEEEviT0_T1_.has_dyn_sized_stack, 0
	.set _ZN2at6native29vectorized_elementwise_kernelILi2EZZZNS0_20trigamma_kernel_cudaERNS_18TensorIteratorBaseEENKUlvE_clEvENKUlvE0_clEvEUlfE_St5arrayIPcLm2EEEEviT0_T1_.has_recursion, 0
	.set _ZN2at6native29vectorized_elementwise_kernelILi2EZZZNS0_20trigamma_kernel_cudaERNS_18TensorIteratorBaseEENKUlvE_clEvENKUlvE0_clEvEUlfE_St5arrayIPcLm2EEEEviT0_T1_.has_indirect_call, 0
	.section	.AMDGPU.csdata,"",@progbits
; Kernel info:
; codeLenInByte = 14832
; TotalNumSgprs: 23
; NumVgprs: 33
; ScratchSize: 0
; MemoryBound: 0
; FloatMode: 240
; IeeeMode: 1
; LDSByteSize: 0 bytes/workgroup (compile time only)
; SGPRBlocks: 2
; VGPRBlocks: 8
; NumSGPRsForWavesPerEU: 23
; NumVGPRsForWavesPerEU: 33
; Occupancy: 7
; WaveLimiterHint : 1
; COMPUTE_PGM_RSRC2:SCRATCH_EN: 0
; COMPUTE_PGM_RSRC2:USER_SGPR: 6
; COMPUTE_PGM_RSRC2:TRAP_HANDLER: 0
; COMPUTE_PGM_RSRC2:TGID_X_EN: 1
; COMPUTE_PGM_RSRC2:TGID_Y_EN: 0
; COMPUTE_PGM_RSRC2:TGID_Z_EN: 0
; COMPUTE_PGM_RSRC2:TIDIG_COMP_CNT: 0
	.section	.text._ZN2at6native27unrolled_elementwise_kernelIZZZNS0_20trigamma_kernel_cudaERNS_18TensorIteratorBaseEENKUlvE_clEvENKUlvE0_clEvEUlfE_St5arrayIPcLm2EELi4E23TrivialOffsetCalculatorILi1EjESB_NS0_6memory15LoadWithoutCastENSC_16StoreWithoutCastEEEviT_T0_T2_T3_T4_T5_,"axG",@progbits,_ZN2at6native27unrolled_elementwise_kernelIZZZNS0_20trigamma_kernel_cudaERNS_18TensorIteratorBaseEENKUlvE_clEvENKUlvE0_clEvEUlfE_St5arrayIPcLm2EELi4E23TrivialOffsetCalculatorILi1EjESB_NS0_6memory15LoadWithoutCastENSC_16StoreWithoutCastEEEviT_T0_T2_T3_T4_T5_,comdat
	.globl	_ZN2at6native27unrolled_elementwise_kernelIZZZNS0_20trigamma_kernel_cudaERNS_18TensorIteratorBaseEENKUlvE_clEvENKUlvE0_clEvEUlfE_St5arrayIPcLm2EELi4E23TrivialOffsetCalculatorILi1EjESB_NS0_6memory15LoadWithoutCastENSC_16StoreWithoutCastEEEviT_T0_T2_T3_T4_T5_ ; -- Begin function _ZN2at6native27unrolled_elementwise_kernelIZZZNS0_20trigamma_kernel_cudaERNS_18TensorIteratorBaseEENKUlvE_clEvENKUlvE0_clEvEUlfE_St5arrayIPcLm2EELi4E23TrivialOffsetCalculatorILi1EjESB_NS0_6memory15LoadWithoutCastENSC_16StoreWithoutCastEEEviT_T0_T2_T3_T4_T5_
	.p2align	8
	.type	_ZN2at6native27unrolled_elementwise_kernelIZZZNS0_20trigamma_kernel_cudaERNS_18TensorIteratorBaseEENKUlvE_clEvENKUlvE0_clEvEUlfE_St5arrayIPcLm2EELi4E23TrivialOffsetCalculatorILi1EjESB_NS0_6memory15LoadWithoutCastENSC_16StoreWithoutCastEEEviT_T0_T2_T3_T4_T5_,@function
_ZN2at6native27unrolled_elementwise_kernelIZZZNS0_20trigamma_kernel_cudaERNS_18TensorIteratorBaseEENKUlvE_clEvENKUlvE0_clEvEUlfE_St5arrayIPcLm2EELi4E23TrivialOffsetCalculatorILi1EjESB_NS0_6memory15LoadWithoutCastENSC_16StoreWithoutCastEEEviT_T0_T2_T3_T4_T5_: ; @_ZN2at6native27unrolled_elementwise_kernelIZZZNS0_20trigamma_kernel_cudaERNS_18TensorIteratorBaseEENKUlvE_clEvENKUlvE0_clEvEUlfE_St5arrayIPcLm2EELi4E23TrivialOffsetCalculatorILi1EjESB_NS0_6memory15LoadWithoutCastENSC_16StoreWithoutCastEEEviT_T0_T2_T3_T4_T5_
; %bb.0:
	s_load_dword s0, s[4:5], 0x0
	s_load_dwordx4 s[8:11], s[4:5], 0x8
	s_lshl_b32 s16, s6, 10
	v_mov_b32_e32 v9, 0
	v_or_b32_e32 v1, s16, v0
	s_waitcnt lgkmcnt(0)
	s_sub_i32 s17, s0, s16
	v_cmp_gt_i32_e64 s[0:1], s17, v0
	v_mov_b32_e32 v4, 0
	v_mov_b32_e32 v3, v0
	s_and_saveexec_b64 s[2:3], s[0:1]
	s_cbranch_execz .LBB54_2
; %bb.1:
	v_mov_b32_e32 v2, 0
	v_lshlrev_b64 v[2:3], 2, v[1:2]
	v_mov_b32_e32 v4, s11
	v_add_co_u32_e32 v2, vcc, s10, v2
	v_addc_co_u32_e32 v3, vcc, v4, v3, vcc
	global_load_dword v4, v[2:3], off
	v_or_b32_e32 v3, 0x100, v0
.LBB54_2:
	s_or_b64 exec, exec, s[2:3]
	v_cmp_gt_i32_e32 vcc, s17, v3
	s_and_saveexec_b64 s[2:3], vcc
	s_cbranch_execz .LBB54_4
; %bb.3:
	v_add_u32_e32 v5, s16, v3
	v_mov_b32_e32 v6, 0
	v_lshlrev_b64 v[5:6], 2, v[5:6]
	v_mov_b32_e32 v2, s11
	v_add_co_u32_e32 v5, vcc, s10, v5
	v_addc_co_u32_e32 v6, vcc, v2, v6, vcc
	global_load_dword v9, v[5:6], off
	v_add_u32_e32 v3, 0x100, v3
.LBB54_4:
	s_or_b64 exec, exec, s[2:3]
	v_cmp_gt_i32_e32 vcc, s17, v3
	v_mov_b32_e32 v2, 0
	v_mov_b32_e32 v5, 0
	s_and_saveexec_b64 s[2:3], vcc
	s_cbranch_execz .LBB54_6
; %bb.5:
	v_add_u32_e32 v5, s16, v3
	v_mov_b32_e32 v6, 0
	v_lshlrev_b64 v[5:6], 2, v[5:6]
	v_mov_b32_e32 v7, s11
	v_add_co_u32_e32 v5, vcc, s10, v5
	v_addc_co_u32_e32 v6, vcc, v7, v6, vcc
	global_load_dword v5, v[5:6], off
	v_add_u32_e32 v3, 0x100, v3
.LBB54_6:
	s_or_b64 exec, exec, s[2:3]
	v_cmp_gt_i32_e32 vcc, s17, v3
	s_and_saveexec_b64 s[2:3], vcc
	s_cbranch_execz .LBB54_8
; %bb.7:
	v_add_u32_e32 v2, s16, v3
	v_mov_b32_e32 v3, 0
	v_lshlrev_b64 v[2:3], 2, v[2:3]
	v_mov_b32_e32 v6, s11
	v_add_co_u32_e32 v2, vcc, s10, v2
	v_addc_co_u32_e32 v3, vcc, v6, v3, vcc
	global_load_dword v2, v[2:3], off
.LBB54_8:
	s_or_b64 exec, exec, s[2:3]
	v_mov_b32_e32 v3, 0
	v_mov_b32_e32 v8, v3
	;; [unrolled: 1-line block ×4, first 2 shown]
	s_and_saveexec_b64 s[10:11], s[0:1]
	s_cbranch_execz .LBB54_16
; %bb.9:
	s_waitcnt vmcnt(0)
	v_cmp_gt_f32_e32 vcc, 0.5, v4
	v_mov_b32_e32 v6, 1.0
	s_and_saveexec_b64 s[12:13], vcc
	s_cbranch_execz .LBB54_15
; %bb.10:
	v_mul_f32_e32 v3, 0x40490fdb, v4
	s_brev_b32 s2, 18
	v_and_b32_e32 v6, 0x7fffffff, v3
	v_cmp_nlt_f32_e64 s[2:3], |v3|, s2
                                        ; implicit-def: $vgpr7
                                        ; implicit-def: $vgpr8
	s_and_saveexec_b64 s[4:5], s[2:3]
	s_xor_b64 s[14:15], exec, s[4:5]
	s_cbranch_execz .LBB54_12
; %bb.11:
	v_and_b32_e32 v7, 0x7fffff, v6
	v_or_b32_e32 v18, 0x800000, v7
	s_mov_b32 s2, 0xfe5163ab
	v_mad_u64_u32 v[7:8], s[2:3], v18, s2, 0
	v_mov_b32_e32 v11, 0
	s_mov_b32 s2, 0x3c439041
	v_mov_b32_e32 v10, v8
	v_mad_u64_u32 v[12:13], s[2:3], v18, s2, v[10:11]
	s_mov_b32 s2, 0xdb629599
	v_lshrrev_b32_e32 v8, 23, v6
	v_mov_b32_e32 v10, v13
	v_mad_u64_u32 v[13:14], s[2:3], v18, s2, v[10:11]
	s_mov_b32 s2, 0xf534ddc0
	v_add_u32_e32 v8, 0xffffff88, v8
	v_mov_b32_e32 v10, v14
	v_mad_u64_u32 v[14:15], s[2:3], v18, s2, v[10:11]
	s_mov_b32 s2, 0xfc2757d1
	v_not_b32_e32 v17, 63
	v_mov_b32_e32 v10, v15
	v_mad_u64_u32 v[15:16], s[2:3], v18, s2, v[10:11]
	v_cmp_lt_u32_e32 vcc, 63, v8
	v_cndmask_b32_e32 v10, 0, v17, vcc
	v_add_u32_e32 v8, v10, v8
	v_mov_b32_e32 v10, v16
	s_mov_b32 s2, 0x4e441529
	v_mad_u64_u32 v[16:17], s[2:3], v18, s2, v[10:11]
	v_not_b32_e32 v19, 31
	v_cmp_lt_u32_e64 s[2:3], 31, v8
	v_cndmask_b32_e64 v10, 0, v19, s[2:3]
	v_add_u32_e32 v8, v10, v8
	v_mov_b32_e32 v10, v17
	s_mov_b32 s4, 0xa2f9836e
	v_mad_u64_u32 v[10:11], s[4:5], v18, s4, v[10:11]
	v_cmp_lt_u32_e64 s[4:5], 31, v8
	v_cndmask_b32_e64 v17, 0, v19, s[4:5]
	v_add_u32_e32 v8, v17, v8
	v_cndmask_b32_e32 v17, v16, v14, vcc
	v_cndmask_b32_e32 v10, v10, v15, vcc
	;; [unrolled: 1-line block ×3, first 2 shown]
	v_cndmask_b32_e64 v18, v10, v17, s[2:3]
	v_cndmask_b32_e64 v10, v11, v10, s[2:3]
	v_cndmask_b32_e32 v11, v15, v13, vcc
	v_cndmask_b32_e64 v15, v17, v11, s[2:3]
	v_sub_u32_e32 v17, 32, v8
	v_cmp_eq_u32_e64 s[6:7], 0, v8
	v_cndmask_b32_e32 v8, v14, v12, vcc
	v_cndmask_b32_e64 v10, v10, v18, s[4:5]
	v_cndmask_b32_e64 v16, v18, v15, s[4:5]
	;; [unrolled: 1-line block ×3, first 2 shown]
	v_alignbit_b32 v18, v10, v16, v17
	v_cndmask_b32_e64 v12, v15, v11, s[4:5]
	v_cndmask_b32_e64 v10, v18, v10, s[6:7]
	v_alignbit_b32 v14, v16, v12, v17
	v_cndmask_b32_e32 v7, v13, v7, vcc
	v_cndmask_b32_e64 v14, v14, v16, s[6:7]
	v_bfe_u32 v18, v10, 29, 1
	v_cndmask_b32_e64 v7, v8, v7, s[2:3]
	v_alignbit_b32 v15, v10, v14, 30
	v_sub_u32_e32 v19, 0, v18
	v_cndmask_b32_e64 v7, v11, v7, s[4:5]
	v_xor_b32_e32 v15, v15, v19
	v_alignbit_b32 v8, v12, v7, v17
	v_cndmask_b32_e64 v8, v8, v12, s[6:7]
	v_ffbh_u32_e32 v12, v15
	v_alignbit_b32 v11, v14, v8, 30
	v_min_u32_e32 v12, 32, v12
	v_alignbit_b32 v7, v8, v7, 30
	v_xor_b32_e32 v11, v11, v19
	v_sub_u32_e32 v13, 31, v12
	v_xor_b32_e32 v7, v7, v19
	v_alignbit_b32 v14, v15, v11, v13
	v_alignbit_b32 v7, v11, v7, v13
	;; [unrolled: 1-line block ×3, first 2 shown]
	v_ffbh_u32_e32 v11, v8
	v_min_u32_e32 v11, 32, v11
	v_lshrrev_b32_e32 v16, 29, v10
	v_not_b32_e32 v13, v11
	v_alignbit_b32 v7, v8, v7, v13
	v_lshlrev_b32_e32 v8, 31, v16
	v_or_b32_e32 v13, 0x33000000, v8
	v_add_lshl_u32 v11, v11, v12, 23
	v_lshrrev_b32_e32 v7, 9, v7
	v_sub_u32_e32 v11, v13, v11
	v_or_b32_e32 v8, 0.5, v8
	v_lshlrev_b32_e32 v12, 23, v12
	v_or_b32_e32 v7, v11, v7
	v_lshrrev_b32_e32 v11, 9, v14
	v_sub_u32_e32 v8, v8, v12
	v_or_b32_e32 v8, v11, v8
	s_mov_b32 s2, 0x3fc90fda
	v_mul_f32_e32 v11, 0x3fc90fda, v8
	v_fma_f32 v12, v8, s2, -v11
	v_fmac_f32_e32 v12, 0x33a22168, v8
	v_fmac_f32_e32 v12, 0x3fc90fda, v7
	v_lshrrev_b32_e32 v7, 30, v10
	v_add_f32_e32 v8, v11, v12
	v_add_u32_e32 v7, v18, v7
.LBB54_12:
	s_andn2_saveexec_b64 s[2:3], s[14:15]
	s_cbranch_execz .LBB54_14
; %bb.13:
	s_mov_b32 s4, 0x3f22f983
	v_mul_f32_e64 v7, |v3|, s4
	v_rndne_f32_e32 v10, v7
	s_mov_b32 s4, 0xbfc90fda
	v_cvt_i32_f32_e32 v7, v10
	v_fma_f32 v8, v10, s4, |v3|
	v_fmac_f32_e32 v8, 0xb3a22168, v10
	v_fmac_f32_e32 v8, 0xa7c234c4, v10
.LBB54_14:
	s_or_b64 exec, exec, s[2:3]
	v_mul_f32_e32 v10, v8, v8
	v_mov_b32_e32 v11, 0x3c0881c4
	v_fmac_f32_e32 v11, 0xb94c1982, v10
	v_mov_b32_e32 v12, 0xbe2aaa9d
	v_fmac_f32_e32 v12, v10, v11
	v_mul_f32_e32 v11, v10, v12
	v_fmac_f32_e32 v8, v8, v11
	v_mov_b32_e32 v11, 0xbab64f3b
	v_fmac_f32_e32 v11, 0x37d75334, v10
	v_mov_b32_e32 v12, 0x3d2aabf7
	;; [unrolled: 2-line block ×3, first 2 shown]
	v_fmac_f32_e32 v11, v10, v12
	v_fma_f32 v10, v10, v11, 1.0
	v_and_b32_e32 v11, 1, v7
	v_lshlrev_b32_e32 v7, 30, v7
	v_cmp_eq_u32_e32 vcc, 0, v11
	v_and_b32_e32 v7, 0x80000000, v7
	v_xor_b32_e32 v6, v6, v3
	v_cndmask_b32_e32 v8, v10, v8, vcc
	v_xor_b32_e32 v6, v6, v7
	s_movk_i32 s2, 0x1f8
	v_xor_b32_e32 v6, v6, v8
	v_mov_b32_e32 v7, 0x7fc00000
	v_cmp_class_f32_e64 vcc, v3, s2
	v_cndmask_b32_e32 v3, v7, v6, vcc
	v_mul_f32_e32 v3, v3, v3
	s_mov_b32 s4, 0xc11de9e7
	v_div_scale_f32 v6, s[2:3], v3, v3, s4
	v_div_scale_f32 v7, vcc, s4, v3, s4
	v_sub_f32_e32 v4, 1.0, v4
	v_rcp_f32_e32 v8, v6
	v_fma_f32 v10, -v6, v8, 1.0
	v_fmac_f32_e32 v8, v10, v8
	v_mul_f32_e32 v10, v7, v8
	v_fma_f32 v11, -v6, v10, v7
	v_fmac_f32_e32 v10, v11, v8
	v_fma_f32 v6, -v6, v10, v7
	v_div_fmas_f32 v6, v6, v8, v10
	v_div_fixup_f32 v3, v6, v3, s4
	v_add_f32_e32 v3, 0, v3
	v_mov_b32_e32 v6, -1.0
.LBB54_15:
	s_or_b64 exec, exec, s[12:13]
	v_mul_f32_e32 v7, v4, v4
	v_div_scale_f32 v8, s[2:3], v7, v7, 1.0
	v_add_f32_e32 v4, 1.0, v4
	v_rcp_f32_e32 v10, v8
	v_fma_f32 v11, -v8, v10, 1.0
	v_fmac_f32_e32 v10, v11, v10
	v_div_scale_f32 v11, vcc, 1.0, v7, 1.0
	v_mul_f32_e32 v12, v11, v10
	v_fma_f32 v13, -v8, v12, v11
	v_fmac_f32_e32 v12, v13, v10
	v_fma_f32 v8, -v8, v12, v11
	v_div_fmas_f32 v8, v8, v10, v12
	v_div_fixup_f32 v7, v8, v7, 1.0
	v_add_f32_e32 v3, v3, v7
	v_mul_f32_e32 v7, v4, v4
	v_div_scale_f32 v8, s[2:3], v7, v7, 1.0
	v_add_f32_e32 v4, 1.0, v4
	v_rcp_f32_e32 v10, v8
	v_fma_f32 v11, -v8, v10, 1.0
	v_fmac_f32_e32 v10, v11, v10
	v_div_scale_f32 v11, vcc, 1.0, v7, 1.0
	v_mul_f32_e32 v12, v11, v10
	v_fma_f32 v13, -v8, v12, v11
	v_fmac_f32_e32 v12, v13, v10
	v_fma_f32 v8, -v8, v12, v11
	v_div_fmas_f32 v8, v8, v10, v12
	v_div_fixup_f32 v7, v8, v7, 1.0
	v_add_f32_e32 v3, v3, v7
	;; [unrolled: 14-line block ×6, first 2 shown]
	v_mul_f32_e32 v7, v4, v4
	v_div_scale_f32 v8, s[2:3], v7, v7, 1.0
	v_rcp_f32_e32 v10, v8
	v_fma_f32 v11, -v8, v10, 1.0
	v_fmac_f32_e32 v10, v11, v10
	v_div_scale_f32 v11, vcc, 1.0, v7, 1.0
	v_mul_f32_e32 v12, v11, v10
	v_fma_f32 v13, -v8, v12, v11
	v_fmac_f32_e32 v12, v13, v10
	v_fma_f32 v8, -v8, v12, v11
	v_div_fmas_f32 v8, v8, v10, v12
	v_div_fixup_f32 v7, v8, v7, 1.0
	v_add_f32_e32 v8, v4, v4
	v_div_scale_f32 v10, s[2:3], v8, v8, 1.0
	s_mov_b32 s2, 0x3e2aaaab
	v_rcp_f32_e32 v11, v10
	v_fma_f32 v12, -v10, v11, 1.0
	v_fmac_f32_e32 v11, v12, v11
	v_div_scale_f32 v12, vcc, 1.0, v8, 1.0
	v_mul_f32_e32 v13, v12, v11
	v_fma_f32 v14, -v10, v13, v12
	v_fmac_f32_e32 v13, v14, v11
	v_fma_f32 v10, -v10, v13, v12
	v_div_fmas_f32 v10, v10, v11, v13
	v_div_fixup_f32 v8, v10, v8, 1.0
	v_mov_b32_e32 v10, 0x3d088889
	v_fmac_f32_e32 v10, 0xbcc30c31, v7
	v_add_f32_e32 v8, 1.0, v8
	v_fma_f32 v10, -v7, v10, s2
	v_fmac_f32_e32 v8, v7, v10
	v_div_scale_f32 v7, s[2:3], v4, v4, v8
	v_rcp_f32_e32 v10, v7
	v_fma_f32 v11, -v7, v10, 1.0
	v_fmac_f32_e32 v10, v11, v10
	v_div_scale_f32 v11, vcc, v8, v4, v8
	v_mul_f32_e32 v12, v11, v10
	v_fma_f32 v13, -v7, v12, v11
	v_fmac_f32_e32 v12, v13, v10
	v_fma_f32 v7, -v7, v12, v11
	v_div_fmas_f32 v7, v7, v10, v12
	v_div_fixup_f32 v4, v7, v4, v8
	v_add_f32_e32 v3, v3, v4
	v_mov_b32_e32 v8, 0
	v_mul_f32_e32 v3, v6, v3
	v_mov_b32_e32 v7, v8
	v_mov_b32_e32 v6, v8
.LBB54_16:
	s_or_b64 exec, exec, s[10:11]
	s_waitcnt vmcnt(0)
	v_or_b32_e32 v4, 0x100, v0
	v_cmp_gt_i32_e32 vcc, s17, v4
	s_and_saveexec_b64 s[10:11], vcc
	s_cbranch_execz .LBB54_24
; %bb.17:
	v_cmp_gt_f32_e32 vcc, 0.5, v9
	v_mov_b32_e32 v10, 0
	v_mov_b32_e32 v8, 1.0
	s_and_saveexec_b64 s[12:13], vcc
	s_cbranch_execz .LBB54_23
; %bb.18:
	v_mul_f32_e32 v8, 0x40490fdb, v9
	s_brev_b32 s2, 18
	v_and_b32_e32 v10, 0x7fffffff, v8
	v_cmp_nlt_f32_e64 s[2:3], |v8|, s2
                                        ; implicit-def: $vgpr11
                                        ; implicit-def: $vgpr12
	s_and_saveexec_b64 s[4:5], s[2:3]
	s_xor_b64 s[14:15], exec, s[4:5]
	s_cbranch_execz .LBB54_20
; %bb.19:
	v_and_b32_e32 v11, 0x7fffff, v10
	v_or_b32_e32 v20, 0x800000, v11
	s_mov_b32 s2, 0xfe5163ab
	v_mad_u64_u32 v[11:12], s[2:3], v20, s2, 0
	v_mov_b32_e32 v13, 0
	s_mov_b32 s2, 0x3c439041
	v_mad_u64_u32 v[14:15], s[2:3], v20, s2, v[12:13]
	s_mov_b32 s2, 0xdb629599
	v_not_b32_e32 v19, 63
	v_mov_b32_e32 v12, v15
	v_mad_u64_u32 v[15:16], s[2:3], v20, s2, v[12:13]
	s_mov_b32 s2, 0xf534ddc0
	v_not_b32_e32 v22, 31
	v_mov_b32_e32 v12, v16
	v_mad_u64_u32 v[16:17], s[2:3], v20, s2, v[12:13]
	v_lshrrev_b32_e32 v12, 23, v10
	v_add_u32_e32 v21, 0xffffff88, v12
	v_mov_b32_e32 v12, v17
	s_mov_b32 s2, 0xfc2757d1
	v_mad_u64_u32 v[17:18], s[2:3], v20, s2, v[12:13]
	v_cmp_lt_u32_e32 vcc, 63, v21
	v_cndmask_b32_e32 v12, 0, v19, vcc
	v_add_u32_e32 v21, v12, v21
	v_mov_b32_e32 v12, v18
	s_mov_b32 s2, 0x4e441529
	v_mad_u64_u32 v[18:19], s[2:3], v20, s2, v[12:13]
	v_cmp_lt_u32_e64 s[2:3], 31, v21
	v_cndmask_b32_e64 v12, 0, v22, s[2:3]
	v_add_u32_e32 v21, v12, v21
	v_mov_b32_e32 v12, v19
	s_mov_b32 s4, 0xa2f9836e
	v_mad_u64_u32 v[12:13], s[4:5], v20, s4, v[12:13]
	v_cmp_lt_u32_e64 s[4:5], 31, v21
	v_cndmask_b32_e64 v19, 0, v22, s[4:5]
	v_cndmask_b32_e32 v20, v18, v16, vcc
	v_cndmask_b32_e32 v12, v12, v17, vcc
	;; [unrolled: 1-line block ×3, first 2 shown]
	v_add_u32_e32 v19, v19, v21
	v_cndmask_b32_e64 v21, v12, v20, s[2:3]
	v_cndmask_b32_e64 v12, v13, v12, s[2:3]
	v_cndmask_b32_e32 v13, v17, v15, vcc
	v_cndmask_b32_e64 v17, v20, v13, s[2:3]
	v_cndmask_b32_e64 v12, v12, v21, s[4:5]
	;; [unrolled: 1-line block ×3, first 2 shown]
	v_sub_u32_e32 v20, 32, v19
	v_alignbit_b32 v21, v12, v18, v20
	v_cmp_eq_u32_e64 s[6:7], 0, v19
	v_cndmask_b32_e64 v19, v21, v12, s[6:7]
	v_cndmask_b32_e32 v12, v16, v14, vcc
	v_cndmask_b32_e64 v13, v13, v12, s[2:3]
	v_cndmask_b32_e64 v14, v17, v13, s[4:5]
	v_alignbit_b32 v16, v18, v14, v20
	v_cndmask_b32_e32 v11, v15, v11, vcc
	v_cndmask_b32_e64 v16, v16, v18, s[6:7]
	v_bfe_u32 v21, v19, 29, 1
	v_cndmask_b32_e64 v11, v12, v11, s[2:3]
	v_alignbit_b32 v17, v19, v16, 30
	v_sub_u32_e32 v22, 0, v21
	v_cndmask_b32_e64 v11, v13, v11, s[4:5]
	v_xor_b32_e32 v17, v17, v22
	v_alignbit_b32 v12, v14, v11, v20
	v_cndmask_b32_e64 v12, v12, v14, s[6:7]
	v_ffbh_u32_e32 v14, v17
	v_alignbit_b32 v13, v16, v12, 30
	v_min_u32_e32 v14, 32, v14
	v_alignbit_b32 v11, v12, v11, 30
	v_xor_b32_e32 v13, v13, v22
	v_sub_u32_e32 v15, 31, v14
	v_xor_b32_e32 v11, v11, v22
	v_alignbit_b32 v16, v17, v13, v15
	v_alignbit_b32 v11, v13, v11, v15
	;; [unrolled: 1-line block ×3, first 2 shown]
	v_ffbh_u32_e32 v13, v12
	v_min_u32_e32 v13, 32, v13
	v_lshrrev_b32_e32 v18, 29, v19
	v_not_b32_e32 v15, v13
	v_alignbit_b32 v11, v12, v11, v15
	v_lshlrev_b32_e32 v12, 31, v18
	v_or_b32_e32 v15, 0x33000000, v12
	v_add_lshl_u32 v13, v13, v14, 23
	v_lshrrev_b32_e32 v11, 9, v11
	v_sub_u32_e32 v13, v15, v13
	v_or_b32_e32 v12, 0.5, v12
	v_lshlrev_b32_e32 v14, 23, v14
	v_or_b32_e32 v11, v13, v11
	v_lshrrev_b32_e32 v13, 9, v16
	v_sub_u32_e32 v12, v12, v14
	v_or_b32_e32 v12, v13, v12
	s_mov_b32 s2, 0x3fc90fda
	v_mul_f32_e32 v13, 0x3fc90fda, v12
	v_fma_f32 v14, v12, s2, -v13
	v_fmac_f32_e32 v14, 0x33a22168, v12
	v_fmac_f32_e32 v14, 0x3fc90fda, v11
	v_lshrrev_b32_e32 v11, 30, v19
	v_add_f32_e32 v12, v13, v14
	v_add_u32_e32 v11, v21, v11
.LBB54_20:
	s_andn2_saveexec_b64 s[2:3], s[14:15]
	s_cbranch_execz .LBB54_22
; %bb.21:
	s_mov_b32 s4, 0x3f22f983
	v_mul_f32_e64 v11, |v8|, s4
	v_rndne_f32_e32 v13, v11
	s_mov_b32 s4, 0xbfc90fda
	v_cvt_i32_f32_e32 v11, v13
	v_fma_f32 v12, v13, s4, |v8|
	v_fmac_f32_e32 v12, 0xb3a22168, v13
	v_fmac_f32_e32 v12, 0xa7c234c4, v13
.LBB54_22:
	s_or_b64 exec, exec, s[2:3]
	v_mul_f32_e32 v13, v12, v12
	v_mov_b32_e32 v14, 0x3c0881c4
	v_fmac_f32_e32 v14, 0xb94c1982, v13
	v_mov_b32_e32 v15, 0xbe2aaa9d
	v_fmac_f32_e32 v15, v13, v14
	v_mul_f32_e32 v14, v13, v15
	v_fmac_f32_e32 v12, v12, v14
	v_mov_b32_e32 v14, 0xbab64f3b
	v_fmac_f32_e32 v14, 0x37d75334, v13
	v_mov_b32_e32 v15, 0x3d2aabf7
	;; [unrolled: 2-line block ×3, first 2 shown]
	v_fmac_f32_e32 v14, v13, v15
	v_fma_f32 v13, v13, v14, 1.0
	v_and_b32_e32 v14, 1, v11
	v_lshlrev_b32_e32 v11, 30, v11
	v_cmp_eq_u32_e32 vcc, 0, v14
	v_and_b32_e32 v11, 0x80000000, v11
	v_xor_b32_e32 v10, v10, v8
	v_cndmask_b32_e32 v12, v13, v12, vcc
	v_xor_b32_e32 v10, v10, v11
	s_movk_i32 s2, 0x1f8
	v_xor_b32_e32 v10, v10, v12
	v_mov_b32_e32 v11, 0x7fc00000
	v_cmp_class_f32_e64 vcc, v8, s2
	v_cndmask_b32_e32 v8, v11, v10, vcc
	v_mul_f32_e32 v8, v8, v8
	s_mov_b32 s4, 0xc11de9e7
	v_div_scale_f32 v10, s[2:3], v8, v8, s4
	v_div_scale_f32 v11, vcc, s4, v8, s4
	v_sub_f32_e32 v9, 1.0, v9
	v_rcp_f32_e32 v12, v10
	v_fma_f32 v13, -v10, v12, 1.0
	v_fmac_f32_e32 v12, v13, v12
	v_mul_f32_e32 v13, v11, v12
	v_fma_f32 v14, -v10, v13, v11
	v_fmac_f32_e32 v13, v14, v12
	v_fma_f32 v10, -v10, v13, v11
	v_div_fmas_f32 v10, v10, v12, v13
	v_div_fixup_f32 v8, v10, v8, s4
	v_add_f32_e32 v10, 0, v8
	v_mov_b32_e32 v8, -1.0
.LBB54_23:
	s_or_b64 exec, exec, s[12:13]
	v_mul_f32_e32 v11, v9, v9
	v_div_scale_f32 v12, s[2:3], v11, v11, 1.0
	v_add_f32_e32 v9, 1.0, v9
	v_rcp_f32_e32 v13, v12
	v_fma_f32 v14, -v12, v13, 1.0
	v_fmac_f32_e32 v13, v14, v13
	v_div_scale_f32 v14, vcc, 1.0, v11, 1.0
	v_mul_f32_e32 v15, v14, v13
	v_fma_f32 v16, -v12, v15, v14
	v_fmac_f32_e32 v15, v16, v13
	v_fma_f32 v12, -v12, v15, v14
	v_div_fmas_f32 v12, v12, v13, v15
	v_div_fixup_f32 v11, v12, v11, 1.0
	v_add_f32_e32 v10, v10, v11
	v_mul_f32_e32 v11, v9, v9
	v_div_scale_f32 v12, s[2:3], v11, v11, 1.0
	v_add_f32_e32 v9, 1.0, v9
	v_rcp_f32_e32 v13, v12
	v_fma_f32 v14, -v12, v13, 1.0
	v_fmac_f32_e32 v13, v14, v13
	v_div_scale_f32 v14, vcc, 1.0, v11, 1.0
	v_mul_f32_e32 v15, v14, v13
	v_fma_f32 v16, -v12, v15, v14
	v_fmac_f32_e32 v15, v16, v13
	v_fma_f32 v12, -v12, v15, v14
	v_div_fmas_f32 v12, v12, v13, v15
	v_div_fixup_f32 v11, v12, v11, 1.0
	v_add_f32_e32 v10, v10, v11
	;; [unrolled: 14-line block ×6, first 2 shown]
	v_mul_f32_e32 v11, v9, v9
	v_div_scale_f32 v12, s[2:3], v11, v11, 1.0
	v_rcp_f32_e32 v13, v12
	v_fma_f32 v14, -v12, v13, 1.0
	v_fmac_f32_e32 v13, v14, v13
	v_div_scale_f32 v14, vcc, 1.0, v11, 1.0
	v_mul_f32_e32 v15, v14, v13
	v_fma_f32 v16, -v12, v15, v14
	v_fmac_f32_e32 v15, v16, v13
	v_fma_f32 v12, -v12, v15, v14
	v_div_fmas_f32 v12, v12, v13, v15
	v_div_fixup_f32 v11, v12, v11, 1.0
	v_add_f32_e32 v12, v9, v9
	v_div_scale_f32 v13, s[2:3], v12, v12, 1.0
	s_mov_b32 s2, 0x3e2aaaab
	v_rcp_f32_e32 v14, v13
	v_fma_f32 v15, -v13, v14, 1.0
	v_fmac_f32_e32 v14, v15, v14
	v_div_scale_f32 v15, vcc, 1.0, v12, 1.0
	v_mul_f32_e32 v16, v15, v14
	v_fma_f32 v17, -v13, v16, v15
	v_fmac_f32_e32 v16, v17, v14
	v_fma_f32 v13, -v13, v16, v15
	v_div_fmas_f32 v13, v13, v14, v16
	v_div_fixup_f32 v12, v13, v12, 1.0
	v_mov_b32_e32 v13, 0x3d088889
	v_fmac_f32_e32 v13, 0xbcc30c31, v11
	v_add_f32_e32 v12, 1.0, v12
	v_fma_f32 v13, -v11, v13, s2
	v_fmac_f32_e32 v12, v11, v13
	v_div_scale_f32 v11, s[2:3], v9, v9, v12
	v_rcp_f32_e32 v13, v11
	v_fma_f32 v14, -v11, v13, 1.0
	v_fmac_f32_e32 v13, v14, v13
	v_div_scale_f32 v14, vcc, v12, v9, v12
	v_mul_f32_e32 v15, v14, v13
	v_fma_f32 v16, -v11, v15, v14
	v_fmac_f32_e32 v15, v16, v13
	v_fma_f32 v11, -v11, v15, v14
	v_div_fmas_f32 v11, v11, v13, v15
	v_div_fixup_f32 v9, v11, v9, v12
	v_add_f32_e32 v9, v10, v9
	v_mul_f32_e32 v8, v8, v9
.LBB54_24:
	s_or_b64 exec, exec, s[10:11]
	v_or_b32_e32 v9, 0x200, v0
	v_cmp_gt_i32_e32 vcc, s17, v9
	s_and_saveexec_b64 s[10:11], vcc
	s_cbranch_execz .LBB54_32
; %bb.25:
	v_cmp_gt_f32_e32 vcc, 0.5, v5
	v_mov_b32_e32 v9, 0
	v_mov_b32_e32 v7, 1.0
	s_and_saveexec_b64 s[12:13], vcc
	s_cbranch_execz .LBB54_31
; %bb.26:
	v_mul_f32_e32 v7, 0x40490fdb, v5
	s_brev_b32 s2, 18
	v_and_b32_e32 v9, 0x7fffffff, v7
	v_cmp_nlt_f32_e64 s[2:3], |v7|, s2
                                        ; implicit-def: $vgpr10
                                        ; implicit-def: $vgpr11
	s_and_saveexec_b64 s[4:5], s[2:3]
	s_xor_b64 s[14:15], exec, s[4:5]
	s_cbranch_execz .LBB54_28
; %bb.27:
	v_and_b32_e32 v10, 0x7fffff, v9
	v_or_b32_e32 v19, 0x800000, v10
	s_mov_b32 s2, 0xfe5163ab
	v_mad_u64_u32 v[10:11], s[2:3], v19, s2, 0
	v_mov_b32_e32 v12, 0
	s_mov_b32 s2, 0x3c439041
	v_mad_u64_u32 v[13:14], s[2:3], v19, s2, v[11:12]
	s_mov_b32 s2, 0xdb629599
	v_not_b32_e32 v18, 63
	v_mov_b32_e32 v11, v14
	v_mad_u64_u32 v[14:15], s[2:3], v19, s2, v[11:12]
	s_mov_b32 s2, 0xf534ddc0
	v_not_b32_e32 v21, 31
	v_mov_b32_e32 v11, v15
	v_mad_u64_u32 v[15:16], s[2:3], v19, s2, v[11:12]
	v_lshrrev_b32_e32 v11, 23, v9
	v_add_u32_e32 v20, 0xffffff88, v11
	v_mov_b32_e32 v11, v16
	s_mov_b32 s2, 0xfc2757d1
	v_mad_u64_u32 v[16:17], s[2:3], v19, s2, v[11:12]
	v_cmp_lt_u32_e32 vcc, 63, v20
	v_cndmask_b32_e32 v11, 0, v18, vcc
	v_add_u32_e32 v20, v11, v20
	v_mov_b32_e32 v11, v17
	s_mov_b32 s2, 0x4e441529
	v_mad_u64_u32 v[17:18], s[2:3], v19, s2, v[11:12]
	v_cmp_lt_u32_e64 s[2:3], 31, v20
	v_cndmask_b32_e64 v11, 0, v21, s[2:3]
	v_add_u32_e32 v20, v11, v20
	v_mov_b32_e32 v11, v18
	s_mov_b32 s4, 0xa2f9836e
	v_mad_u64_u32 v[11:12], s[4:5], v19, s4, v[11:12]
	v_cmp_lt_u32_e64 s[4:5], 31, v20
	v_cndmask_b32_e64 v18, 0, v21, s[4:5]
	v_cndmask_b32_e32 v19, v17, v15, vcc
	v_cndmask_b32_e32 v11, v11, v16, vcc
	;; [unrolled: 1-line block ×3, first 2 shown]
	v_add_u32_e32 v18, v18, v20
	v_cndmask_b32_e64 v20, v11, v19, s[2:3]
	v_cndmask_b32_e64 v11, v12, v11, s[2:3]
	v_cndmask_b32_e32 v12, v16, v14, vcc
	v_cndmask_b32_e64 v16, v19, v12, s[2:3]
	v_cndmask_b32_e64 v11, v11, v20, s[4:5]
	;; [unrolled: 1-line block ×3, first 2 shown]
	v_sub_u32_e32 v19, 32, v18
	v_alignbit_b32 v20, v11, v17, v19
	v_cmp_eq_u32_e64 s[6:7], 0, v18
	v_cndmask_b32_e64 v18, v20, v11, s[6:7]
	v_cndmask_b32_e32 v11, v15, v13, vcc
	v_cndmask_b32_e64 v12, v12, v11, s[2:3]
	v_cndmask_b32_e64 v13, v16, v12, s[4:5]
	v_alignbit_b32 v15, v17, v13, v19
	v_cndmask_b32_e32 v10, v14, v10, vcc
	v_cndmask_b32_e64 v15, v15, v17, s[6:7]
	v_bfe_u32 v20, v18, 29, 1
	v_cndmask_b32_e64 v10, v11, v10, s[2:3]
	v_alignbit_b32 v16, v18, v15, 30
	v_sub_u32_e32 v21, 0, v20
	v_cndmask_b32_e64 v10, v12, v10, s[4:5]
	v_xor_b32_e32 v16, v16, v21
	v_alignbit_b32 v11, v13, v10, v19
	v_cndmask_b32_e64 v11, v11, v13, s[6:7]
	v_ffbh_u32_e32 v13, v16
	v_alignbit_b32 v12, v15, v11, 30
	v_min_u32_e32 v13, 32, v13
	v_alignbit_b32 v10, v11, v10, 30
	v_xor_b32_e32 v12, v12, v21
	v_sub_u32_e32 v14, 31, v13
	v_xor_b32_e32 v10, v10, v21
	v_alignbit_b32 v15, v16, v12, v14
	v_alignbit_b32 v10, v12, v10, v14
	v_alignbit_b32 v11, v15, v10, 9
	v_ffbh_u32_e32 v12, v11
	v_min_u32_e32 v12, 32, v12
	v_lshrrev_b32_e32 v17, 29, v18
	v_not_b32_e32 v14, v12
	v_alignbit_b32 v10, v11, v10, v14
	v_lshlrev_b32_e32 v11, 31, v17
	v_or_b32_e32 v14, 0x33000000, v11
	v_add_lshl_u32 v12, v12, v13, 23
	v_lshrrev_b32_e32 v10, 9, v10
	v_sub_u32_e32 v12, v14, v12
	v_or_b32_e32 v11, 0.5, v11
	v_lshlrev_b32_e32 v13, 23, v13
	v_or_b32_e32 v10, v12, v10
	v_lshrrev_b32_e32 v12, 9, v15
	v_sub_u32_e32 v11, v11, v13
	v_or_b32_e32 v11, v12, v11
	s_mov_b32 s2, 0x3fc90fda
	v_mul_f32_e32 v12, 0x3fc90fda, v11
	v_fma_f32 v13, v11, s2, -v12
	v_fmac_f32_e32 v13, 0x33a22168, v11
	v_fmac_f32_e32 v13, 0x3fc90fda, v10
	v_lshrrev_b32_e32 v10, 30, v18
	v_add_f32_e32 v11, v12, v13
	v_add_u32_e32 v10, v20, v10
.LBB54_28:
	s_andn2_saveexec_b64 s[2:3], s[14:15]
	s_cbranch_execz .LBB54_30
; %bb.29:
	s_mov_b32 s4, 0x3f22f983
	v_mul_f32_e64 v10, |v7|, s4
	v_rndne_f32_e32 v12, v10
	s_mov_b32 s4, 0xbfc90fda
	v_cvt_i32_f32_e32 v10, v12
	v_fma_f32 v11, v12, s4, |v7|
	v_fmac_f32_e32 v11, 0xb3a22168, v12
	v_fmac_f32_e32 v11, 0xa7c234c4, v12
.LBB54_30:
	s_or_b64 exec, exec, s[2:3]
	v_mul_f32_e32 v12, v11, v11
	v_mov_b32_e32 v13, 0x3c0881c4
	v_fmac_f32_e32 v13, 0xb94c1982, v12
	v_mov_b32_e32 v14, 0xbe2aaa9d
	v_fmac_f32_e32 v14, v12, v13
	v_mul_f32_e32 v13, v12, v14
	v_fmac_f32_e32 v11, v11, v13
	v_mov_b32_e32 v13, 0xbab64f3b
	v_fmac_f32_e32 v13, 0x37d75334, v12
	v_mov_b32_e32 v14, 0x3d2aabf7
	v_fmac_f32_e32 v14, v12, v13
	v_mov_b32_e32 v13, 0xbf000004
	v_fmac_f32_e32 v13, v12, v14
	v_fma_f32 v12, v12, v13, 1.0
	v_and_b32_e32 v13, 1, v10
	v_lshlrev_b32_e32 v10, 30, v10
	v_cmp_eq_u32_e32 vcc, 0, v13
	v_and_b32_e32 v10, 0x80000000, v10
	v_xor_b32_e32 v9, v9, v7
	v_cndmask_b32_e32 v11, v12, v11, vcc
	v_xor_b32_e32 v9, v9, v10
	s_movk_i32 s2, 0x1f8
	v_xor_b32_e32 v9, v9, v11
	v_mov_b32_e32 v10, 0x7fc00000
	v_cmp_class_f32_e64 vcc, v7, s2
	v_cndmask_b32_e32 v7, v10, v9, vcc
	v_mul_f32_e32 v7, v7, v7
	s_mov_b32 s4, 0xc11de9e7
	v_div_scale_f32 v9, s[2:3], v7, v7, s4
	v_div_scale_f32 v10, vcc, s4, v7, s4
	v_sub_f32_e32 v5, 1.0, v5
	v_rcp_f32_e32 v11, v9
	v_fma_f32 v12, -v9, v11, 1.0
	v_fmac_f32_e32 v11, v12, v11
	v_mul_f32_e32 v12, v10, v11
	v_fma_f32 v13, -v9, v12, v10
	v_fmac_f32_e32 v12, v13, v11
	v_fma_f32 v9, -v9, v12, v10
	v_div_fmas_f32 v9, v9, v11, v12
	v_div_fixup_f32 v7, v9, v7, s4
	v_add_f32_e32 v9, 0, v7
	v_mov_b32_e32 v7, -1.0
.LBB54_31:
	s_or_b64 exec, exec, s[12:13]
	v_mul_f32_e32 v10, v5, v5
	v_div_scale_f32 v11, s[2:3], v10, v10, 1.0
	v_add_f32_e32 v5, 1.0, v5
	v_rcp_f32_e32 v12, v11
	v_fma_f32 v13, -v11, v12, 1.0
	v_fmac_f32_e32 v12, v13, v12
	v_div_scale_f32 v13, vcc, 1.0, v10, 1.0
	v_mul_f32_e32 v14, v13, v12
	v_fma_f32 v15, -v11, v14, v13
	v_fmac_f32_e32 v14, v15, v12
	v_fma_f32 v11, -v11, v14, v13
	v_div_fmas_f32 v11, v11, v12, v14
	v_div_fixup_f32 v10, v11, v10, 1.0
	v_add_f32_e32 v9, v9, v10
	v_mul_f32_e32 v10, v5, v5
	v_div_scale_f32 v11, s[2:3], v10, v10, 1.0
	v_add_f32_e32 v5, 1.0, v5
	v_rcp_f32_e32 v12, v11
	v_fma_f32 v13, -v11, v12, 1.0
	v_fmac_f32_e32 v12, v13, v12
	v_div_scale_f32 v13, vcc, 1.0, v10, 1.0
	v_mul_f32_e32 v14, v13, v12
	v_fma_f32 v15, -v11, v14, v13
	v_fmac_f32_e32 v14, v15, v12
	v_fma_f32 v11, -v11, v14, v13
	v_div_fmas_f32 v11, v11, v12, v14
	v_div_fixup_f32 v10, v11, v10, 1.0
	v_add_f32_e32 v9, v9, v10
	;; [unrolled: 14-line block ×6, first 2 shown]
	v_mul_f32_e32 v10, v5, v5
	v_div_scale_f32 v11, s[2:3], v10, v10, 1.0
	v_rcp_f32_e32 v12, v11
	v_fma_f32 v13, -v11, v12, 1.0
	v_fmac_f32_e32 v12, v13, v12
	v_div_scale_f32 v13, vcc, 1.0, v10, 1.0
	v_mul_f32_e32 v14, v13, v12
	v_fma_f32 v15, -v11, v14, v13
	v_fmac_f32_e32 v14, v15, v12
	v_fma_f32 v11, -v11, v14, v13
	v_div_fmas_f32 v11, v11, v12, v14
	v_div_fixup_f32 v10, v11, v10, 1.0
	v_add_f32_e32 v11, v5, v5
	v_div_scale_f32 v12, s[2:3], v11, v11, 1.0
	s_mov_b32 s2, 0x3e2aaaab
	v_rcp_f32_e32 v13, v12
	v_fma_f32 v14, -v12, v13, 1.0
	v_fmac_f32_e32 v13, v14, v13
	v_div_scale_f32 v14, vcc, 1.0, v11, 1.0
	v_mul_f32_e32 v15, v14, v13
	v_fma_f32 v16, -v12, v15, v14
	v_fmac_f32_e32 v15, v16, v13
	v_fma_f32 v12, -v12, v15, v14
	v_div_fmas_f32 v12, v12, v13, v15
	v_div_fixup_f32 v11, v12, v11, 1.0
	v_mov_b32_e32 v12, 0x3d088889
	v_fmac_f32_e32 v12, 0xbcc30c31, v10
	v_add_f32_e32 v11, 1.0, v11
	v_fma_f32 v12, -v10, v12, s2
	v_fmac_f32_e32 v11, v10, v12
	v_div_scale_f32 v10, s[2:3], v5, v5, v11
	v_rcp_f32_e32 v12, v10
	v_fma_f32 v13, -v10, v12, 1.0
	v_fmac_f32_e32 v12, v13, v12
	v_div_scale_f32 v13, vcc, v11, v5, v11
	v_mul_f32_e32 v14, v13, v12
	v_fma_f32 v15, -v10, v14, v13
	v_fmac_f32_e32 v14, v15, v12
	v_fma_f32 v10, -v10, v14, v13
	v_div_fmas_f32 v10, v10, v12, v14
	v_div_fixup_f32 v5, v10, v5, v11
	v_add_f32_e32 v5, v9, v5
	v_mul_f32_e32 v7, v7, v5
.LBB54_32:
	s_or_b64 exec, exec, s[10:11]
	v_or_b32_e32 v5, 0x300, v0
	v_cmp_gt_i32_e32 vcc, s17, v5
	s_and_saveexec_b64 s[10:11], vcc
	s_cbranch_execnz .LBB54_38
; %bb.33:
	s_or_b64 exec, exec, s[10:11]
	s_and_saveexec_b64 s[2:3], s[0:1]
	s_xor_b64 s[0:1], exec, s[2:3]
	s_cbranch_execnz .LBB54_45
.LBB54_34:
	s_or_b64 exec, exec, s[0:1]
	v_cmp_gt_i32_e32 vcc, s17, v0
	s_and_saveexec_b64 s[0:1], vcc
	s_cbranch_execnz .LBB54_46
.LBB54_35:
	s_or_b64 exec, exec, s[0:1]
	v_cmp_gt_i32_e32 vcc, s17, v0
	s_and_saveexec_b64 s[0:1], vcc
	s_cbranch_execnz .LBB54_47
.LBB54_36:
	s_or_b64 exec, exec, s[0:1]
	v_cmp_gt_i32_e32 vcc, s17, v0
	s_and_saveexec_b64 s[0:1], vcc
	s_cbranch_execnz .LBB54_48
.LBB54_37:
	s_endpgm
.LBB54_38:
	v_cmp_gt_f32_e32 vcc, 0.5, v2
	v_mov_b32_e32 v6, 0
	v_mov_b32_e32 v5, 1.0
	s_and_saveexec_b64 s[12:13], vcc
	s_cbranch_execz .LBB54_44
; %bb.39:
	v_mul_f32_e32 v5, 0x40490fdb, v2
	s_brev_b32 s2, 18
	v_and_b32_e32 v6, 0x7fffffff, v5
	v_cmp_nlt_f32_e64 s[2:3], |v5|, s2
                                        ; implicit-def: $vgpr9
                                        ; implicit-def: $vgpr10
	s_and_saveexec_b64 s[4:5], s[2:3]
	s_xor_b64 s[14:15], exec, s[4:5]
	s_cbranch_execz .LBB54_41
; %bb.40:
	v_and_b32_e32 v9, 0x7fffff, v6
	v_or_b32_e32 v18, 0x800000, v9
	s_mov_b32 s2, 0xfe5163ab
	v_mad_u64_u32 v[9:10], s[2:3], v18, s2, 0
	v_mov_b32_e32 v11, 0
	s_mov_b32 s2, 0x3c439041
	v_mad_u64_u32 v[12:13], s[2:3], v18, s2, v[10:11]
	s_mov_b32 s2, 0xdb629599
	v_not_b32_e32 v17, 63
	v_mov_b32_e32 v10, v13
	v_mad_u64_u32 v[13:14], s[2:3], v18, s2, v[10:11]
	s_mov_b32 s2, 0xf534ddc0
	v_not_b32_e32 v20, 31
	v_mov_b32_e32 v10, v14
	v_mad_u64_u32 v[14:15], s[2:3], v18, s2, v[10:11]
	v_lshrrev_b32_e32 v10, 23, v6
	v_add_u32_e32 v19, 0xffffff88, v10
	v_mov_b32_e32 v10, v15
	s_mov_b32 s2, 0xfc2757d1
	v_mad_u64_u32 v[15:16], s[2:3], v18, s2, v[10:11]
	v_cmp_lt_u32_e32 vcc, 63, v19
	v_cndmask_b32_e32 v10, 0, v17, vcc
	v_add_u32_e32 v19, v10, v19
	v_mov_b32_e32 v10, v16
	s_mov_b32 s2, 0x4e441529
	v_mad_u64_u32 v[16:17], s[2:3], v18, s2, v[10:11]
	v_cmp_lt_u32_e64 s[2:3], 31, v19
	v_cndmask_b32_e64 v10, 0, v20, s[2:3]
	v_add_u32_e32 v19, v10, v19
	v_mov_b32_e32 v10, v17
	s_mov_b32 s4, 0xa2f9836e
	v_mad_u64_u32 v[10:11], s[4:5], v18, s4, v[10:11]
	v_cmp_lt_u32_e64 s[4:5], 31, v19
	v_cndmask_b32_e64 v17, 0, v20, s[4:5]
	v_cndmask_b32_e32 v18, v16, v14, vcc
	v_cndmask_b32_e32 v10, v10, v15, vcc
	;; [unrolled: 1-line block ×3, first 2 shown]
	v_add_u32_e32 v17, v17, v19
	v_cndmask_b32_e64 v19, v10, v18, s[2:3]
	v_cndmask_b32_e64 v10, v11, v10, s[2:3]
	v_cndmask_b32_e32 v11, v15, v13, vcc
	v_cndmask_b32_e64 v15, v18, v11, s[2:3]
	v_cndmask_b32_e64 v10, v10, v19, s[4:5]
	;; [unrolled: 1-line block ×3, first 2 shown]
	v_sub_u32_e32 v18, 32, v17
	v_alignbit_b32 v19, v10, v16, v18
	v_cmp_eq_u32_e64 s[6:7], 0, v17
	v_cndmask_b32_e64 v17, v19, v10, s[6:7]
	v_cndmask_b32_e32 v10, v14, v12, vcc
	v_cndmask_b32_e64 v11, v11, v10, s[2:3]
	v_cndmask_b32_e64 v12, v15, v11, s[4:5]
	v_alignbit_b32 v14, v16, v12, v18
	v_cndmask_b32_e32 v9, v13, v9, vcc
	v_cndmask_b32_e64 v14, v14, v16, s[6:7]
	v_bfe_u32 v19, v17, 29, 1
	v_cndmask_b32_e64 v9, v10, v9, s[2:3]
	v_alignbit_b32 v15, v17, v14, 30
	v_sub_u32_e32 v20, 0, v19
	v_cndmask_b32_e64 v9, v11, v9, s[4:5]
	v_xor_b32_e32 v15, v15, v20
	v_alignbit_b32 v10, v12, v9, v18
	v_cndmask_b32_e64 v10, v10, v12, s[6:7]
	v_ffbh_u32_e32 v12, v15
	v_alignbit_b32 v11, v14, v10, 30
	v_min_u32_e32 v12, 32, v12
	v_alignbit_b32 v9, v10, v9, 30
	v_xor_b32_e32 v11, v11, v20
	v_sub_u32_e32 v13, 31, v12
	v_xor_b32_e32 v9, v9, v20
	v_alignbit_b32 v14, v15, v11, v13
	v_alignbit_b32 v9, v11, v9, v13
	;; [unrolled: 1-line block ×3, first 2 shown]
	v_ffbh_u32_e32 v11, v10
	v_min_u32_e32 v11, 32, v11
	v_lshrrev_b32_e32 v16, 29, v17
	v_not_b32_e32 v13, v11
	v_alignbit_b32 v9, v10, v9, v13
	v_lshlrev_b32_e32 v10, 31, v16
	v_or_b32_e32 v13, 0x33000000, v10
	v_add_lshl_u32 v11, v11, v12, 23
	v_lshrrev_b32_e32 v9, 9, v9
	v_sub_u32_e32 v11, v13, v11
	v_or_b32_e32 v10, 0.5, v10
	v_lshlrev_b32_e32 v12, 23, v12
	v_or_b32_e32 v9, v11, v9
	v_lshrrev_b32_e32 v11, 9, v14
	v_sub_u32_e32 v10, v10, v12
	v_or_b32_e32 v10, v11, v10
	s_mov_b32 s2, 0x3fc90fda
	v_mul_f32_e32 v11, 0x3fc90fda, v10
	v_fma_f32 v12, v10, s2, -v11
	v_fmac_f32_e32 v12, 0x33a22168, v10
	v_fmac_f32_e32 v12, 0x3fc90fda, v9
	v_lshrrev_b32_e32 v9, 30, v17
	v_add_f32_e32 v10, v11, v12
	v_add_u32_e32 v9, v19, v9
.LBB54_41:
	s_andn2_saveexec_b64 s[2:3], s[14:15]
	s_cbranch_execz .LBB54_43
; %bb.42:
	s_mov_b32 s4, 0x3f22f983
	v_mul_f32_e64 v9, |v5|, s4
	v_rndne_f32_e32 v11, v9
	s_mov_b32 s4, 0xbfc90fda
	v_cvt_i32_f32_e32 v9, v11
	v_fma_f32 v10, v11, s4, |v5|
	v_fmac_f32_e32 v10, 0xb3a22168, v11
	v_fmac_f32_e32 v10, 0xa7c234c4, v11
.LBB54_43:
	s_or_b64 exec, exec, s[2:3]
	v_mul_f32_e32 v11, v10, v10
	v_mov_b32_e32 v12, 0x3c0881c4
	v_fmac_f32_e32 v12, 0xb94c1982, v11
	v_mov_b32_e32 v13, 0xbe2aaa9d
	v_fmac_f32_e32 v13, v11, v12
	v_mul_f32_e32 v12, v11, v13
	v_fmac_f32_e32 v10, v10, v12
	v_mov_b32_e32 v12, 0xbab64f3b
	v_fmac_f32_e32 v12, 0x37d75334, v11
	v_mov_b32_e32 v13, 0x3d2aabf7
	;; [unrolled: 2-line block ×3, first 2 shown]
	v_fmac_f32_e32 v12, v11, v13
	v_fma_f32 v11, v11, v12, 1.0
	v_and_b32_e32 v12, 1, v9
	v_lshlrev_b32_e32 v9, 30, v9
	v_cmp_eq_u32_e32 vcc, 0, v12
	v_and_b32_e32 v9, 0x80000000, v9
	v_xor_b32_e32 v6, v6, v5
	v_cndmask_b32_e32 v10, v11, v10, vcc
	v_xor_b32_e32 v6, v6, v9
	s_movk_i32 s2, 0x1f8
	v_xor_b32_e32 v6, v6, v10
	v_mov_b32_e32 v9, 0x7fc00000
	v_cmp_class_f32_e64 vcc, v5, s2
	v_cndmask_b32_e32 v5, v9, v6, vcc
	v_mul_f32_e32 v5, v5, v5
	s_mov_b32 s4, 0xc11de9e7
	v_div_scale_f32 v6, s[2:3], v5, v5, s4
	v_div_scale_f32 v9, vcc, s4, v5, s4
	v_sub_f32_e32 v2, 1.0, v2
	v_rcp_f32_e32 v10, v6
	v_fma_f32 v11, -v6, v10, 1.0
	v_fmac_f32_e32 v10, v11, v10
	v_mul_f32_e32 v11, v9, v10
	v_fma_f32 v12, -v6, v11, v9
	v_fmac_f32_e32 v11, v12, v10
	v_fma_f32 v6, -v6, v11, v9
	v_div_fmas_f32 v6, v6, v10, v11
	v_div_fixup_f32 v5, v6, v5, s4
	v_add_f32_e32 v6, 0, v5
	v_mov_b32_e32 v5, -1.0
.LBB54_44:
	s_or_b64 exec, exec, s[12:13]
	v_mul_f32_e32 v9, v2, v2
	v_div_scale_f32 v10, s[2:3], v9, v9, 1.0
	v_add_f32_e32 v2, 1.0, v2
	v_rcp_f32_e32 v11, v10
	v_fma_f32 v12, -v10, v11, 1.0
	v_fmac_f32_e32 v11, v12, v11
	v_div_scale_f32 v12, vcc, 1.0, v9, 1.0
	v_mul_f32_e32 v13, v12, v11
	v_fma_f32 v14, -v10, v13, v12
	v_fmac_f32_e32 v13, v14, v11
	v_fma_f32 v10, -v10, v13, v12
	v_div_fmas_f32 v10, v10, v11, v13
	v_div_fixup_f32 v9, v10, v9, 1.0
	v_add_f32_e32 v6, v6, v9
	v_mul_f32_e32 v9, v2, v2
	v_div_scale_f32 v10, s[2:3], v9, v9, 1.0
	v_add_f32_e32 v2, 1.0, v2
	v_rcp_f32_e32 v11, v10
	v_fma_f32 v12, -v10, v11, 1.0
	v_fmac_f32_e32 v11, v12, v11
	v_div_scale_f32 v12, vcc, 1.0, v9, 1.0
	v_mul_f32_e32 v13, v12, v11
	v_fma_f32 v14, -v10, v13, v12
	v_fmac_f32_e32 v13, v14, v11
	v_fma_f32 v10, -v10, v13, v12
	v_div_fmas_f32 v10, v10, v11, v13
	v_div_fixup_f32 v9, v10, v9, 1.0
	v_add_f32_e32 v6, v6, v9
	;; [unrolled: 14-line block ×6, first 2 shown]
	v_mul_f32_e32 v9, v2, v2
	v_div_scale_f32 v10, s[2:3], v9, v9, 1.0
	v_rcp_f32_e32 v11, v10
	v_fma_f32 v12, -v10, v11, 1.0
	v_fmac_f32_e32 v11, v12, v11
	v_div_scale_f32 v12, vcc, 1.0, v9, 1.0
	v_mul_f32_e32 v13, v12, v11
	v_fma_f32 v14, -v10, v13, v12
	v_fmac_f32_e32 v13, v14, v11
	v_fma_f32 v10, -v10, v13, v12
	v_div_fmas_f32 v10, v10, v11, v13
	v_div_fixup_f32 v9, v10, v9, 1.0
	v_add_f32_e32 v10, v2, v2
	v_div_scale_f32 v11, s[2:3], v10, v10, 1.0
	s_mov_b32 s2, 0x3e2aaaab
	v_rcp_f32_e32 v12, v11
	v_fma_f32 v13, -v11, v12, 1.0
	v_fmac_f32_e32 v12, v13, v12
	v_div_scale_f32 v13, vcc, 1.0, v10, 1.0
	v_mul_f32_e32 v14, v13, v12
	v_fma_f32 v15, -v11, v14, v13
	v_fmac_f32_e32 v14, v15, v12
	v_fma_f32 v11, -v11, v14, v13
	v_div_fmas_f32 v11, v11, v12, v14
	v_div_fixup_f32 v10, v11, v10, 1.0
	v_mov_b32_e32 v11, 0x3d088889
	v_fmac_f32_e32 v11, 0xbcc30c31, v9
	v_add_f32_e32 v10, 1.0, v10
	v_fma_f32 v11, -v9, v11, s2
	v_fmac_f32_e32 v10, v9, v11
	v_div_scale_f32 v9, s[2:3], v2, v2, v10
	v_rcp_f32_e32 v11, v9
	v_fma_f32 v12, -v9, v11, 1.0
	v_fmac_f32_e32 v11, v12, v11
	v_div_scale_f32 v12, vcc, v10, v2, v10
	v_mul_f32_e32 v13, v12, v11
	v_fma_f32 v14, -v9, v13, v12
	v_fmac_f32_e32 v13, v14, v11
	v_fma_f32 v9, -v9, v13, v12
	v_div_fmas_f32 v9, v9, v11, v13
	v_div_fixup_f32 v2, v9, v2, v10
	v_add_f32_e32 v2, v6, v2
	v_mul_f32_e32 v6, v5, v2
	s_or_b64 exec, exec, s[10:11]
	s_and_saveexec_b64 s[2:3], s[0:1]
	s_xor_b64 s[0:1], exec, s[2:3]
	s_cbranch_execz .LBB54_34
.LBB54_45:
	v_mov_b32_e32 v2, 0
	v_lshlrev_b64 v[0:1], 2, v[1:2]
	v_mov_b32_e32 v2, s9
	v_add_co_u32_e32 v0, vcc, s8, v0
	v_addc_co_u32_e32 v1, vcc, v2, v1, vcc
	global_store_dword v[0:1], v3, off
	v_mov_b32_e32 v0, v4
	s_or_b64 exec, exec, s[0:1]
	v_cmp_gt_i32_e32 vcc, s17, v0
	s_and_saveexec_b64 s[0:1], vcc
	s_cbranch_execz .LBB54_35
.LBB54_46:
	v_add_u32_e32 v2, 0x100, v0
	v_add_u32_e32 v0, s16, v0
	v_mov_b32_e32 v1, 0
	v_lshlrev_b64 v[0:1], 2, v[0:1]
	v_mov_b32_e32 v3, s9
	v_add_co_u32_e32 v0, vcc, s8, v0
	v_addc_co_u32_e32 v1, vcc, v3, v1, vcc
	global_store_dword v[0:1], v8, off
	v_mov_b32_e32 v0, v2
	s_or_b64 exec, exec, s[0:1]
	v_cmp_gt_i32_e32 vcc, s17, v0
	s_and_saveexec_b64 s[0:1], vcc
	s_cbranch_execz .LBB54_36
.LBB54_47:
	v_add_u32_e32 v2, 0x100, v0
	v_add_u32_e32 v0, s16, v0
	v_mov_b32_e32 v1, 0
	v_lshlrev_b64 v[0:1], 2, v[0:1]
	v_mov_b32_e32 v3, s9
	v_add_co_u32_e32 v0, vcc, s8, v0
	v_addc_co_u32_e32 v1, vcc, v3, v1, vcc
	global_store_dword v[0:1], v7, off
	v_mov_b32_e32 v0, v2
	s_or_b64 exec, exec, s[0:1]
	v_cmp_gt_i32_e32 vcc, s17, v0
	s_and_saveexec_b64 s[0:1], vcc
	s_cbranch_execz .LBB54_37
.LBB54_48:
	v_add_u32_e32 v0, s16, v0
	v_mov_b32_e32 v1, 0
	v_lshlrev_b64 v[0:1], 2, v[0:1]
	v_mov_b32_e32 v2, s9
	v_add_co_u32_e32 v0, vcc, s8, v0
	v_addc_co_u32_e32 v1, vcc, v2, v1, vcc
	global_store_dword v[0:1], v6, off
	s_endpgm
	.section	.rodata,"a",@progbits
	.p2align	6, 0x0
	.amdhsa_kernel _ZN2at6native27unrolled_elementwise_kernelIZZZNS0_20trigamma_kernel_cudaERNS_18TensorIteratorBaseEENKUlvE_clEvENKUlvE0_clEvEUlfE_St5arrayIPcLm2EELi4E23TrivialOffsetCalculatorILi1EjESB_NS0_6memory15LoadWithoutCastENSC_16StoreWithoutCastEEEviT_T0_T2_T3_T4_T5_
		.amdhsa_group_segment_fixed_size 0
		.amdhsa_private_segment_fixed_size 0
		.amdhsa_kernarg_size 28
		.amdhsa_user_sgpr_count 6
		.amdhsa_user_sgpr_private_segment_buffer 1
		.amdhsa_user_sgpr_dispatch_ptr 0
		.amdhsa_user_sgpr_queue_ptr 0
		.amdhsa_user_sgpr_kernarg_segment_ptr 1
		.amdhsa_user_sgpr_dispatch_id 0
		.amdhsa_user_sgpr_flat_scratch_init 0
		.amdhsa_user_sgpr_private_segment_size 0
		.amdhsa_uses_dynamic_stack 0
		.amdhsa_system_sgpr_private_segment_wavefront_offset 0
		.amdhsa_system_sgpr_workgroup_id_x 1
		.amdhsa_system_sgpr_workgroup_id_y 0
		.amdhsa_system_sgpr_workgroup_id_z 0
		.amdhsa_system_sgpr_workgroup_info 0
		.amdhsa_system_vgpr_workitem_id 0
		.amdhsa_next_free_vgpr 23
		.amdhsa_next_free_sgpr 18
		.amdhsa_reserve_vcc 1
		.amdhsa_reserve_flat_scratch 0
		.amdhsa_float_round_mode_32 0
		.amdhsa_float_round_mode_16_64 0
		.amdhsa_float_denorm_mode_32 3
		.amdhsa_float_denorm_mode_16_64 3
		.amdhsa_dx10_clamp 1
		.amdhsa_ieee_mode 1
		.amdhsa_fp16_overflow 0
		.amdhsa_exception_fp_ieee_invalid_op 0
		.amdhsa_exception_fp_denorm_src 0
		.amdhsa_exception_fp_ieee_div_zero 0
		.amdhsa_exception_fp_ieee_overflow 0
		.amdhsa_exception_fp_ieee_underflow 0
		.amdhsa_exception_fp_ieee_inexact 0
		.amdhsa_exception_int_div_zero 0
	.end_amdhsa_kernel
	.section	.text._ZN2at6native27unrolled_elementwise_kernelIZZZNS0_20trigamma_kernel_cudaERNS_18TensorIteratorBaseEENKUlvE_clEvENKUlvE0_clEvEUlfE_St5arrayIPcLm2EELi4E23TrivialOffsetCalculatorILi1EjESB_NS0_6memory15LoadWithoutCastENSC_16StoreWithoutCastEEEviT_T0_T2_T3_T4_T5_,"axG",@progbits,_ZN2at6native27unrolled_elementwise_kernelIZZZNS0_20trigamma_kernel_cudaERNS_18TensorIteratorBaseEENKUlvE_clEvENKUlvE0_clEvEUlfE_St5arrayIPcLm2EELi4E23TrivialOffsetCalculatorILi1EjESB_NS0_6memory15LoadWithoutCastENSC_16StoreWithoutCastEEEviT_T0_T2_T3_T4_T5_,comdat
.Lfunc_end54:
	.size	_ZN2at6native27unrolled_elementwise_kernelIZZZNS0_20trigamma_kernel_cudaERNS_18TensorIteratorBaseEENKUlvE_clEvENKUlvE0_clEvEUlfE_St5arrayIPcLm2EELi4E23TrivialOffsetCalculatorILi1EjESB_NS0_6memory15LoadWithoutCastENSC_16StoreWithoutCastEEEviT_T0_T2_T3_T4_T5_, .Lfunc_end54-_ZN2at6native27unrolled_elementwise_kernelIZZZNS0_20trigamma_kernel_cudaERNS_18TensorIteratorBaseEENKUlvE_clEvENKUlvE0_clEvEUlfE_St5arrayIPcLm2EELi4E23TrivialOffsetCalculatorILi1EjESB_NS0_6memory15LoadWithoutCastENSC_16StoreWithoutCastEEEviT_T0_T2_T3_T4_T5_
                                        ; -- End function
	.set _ZN2at6native27unrolled_elementwise_kernelIZZZNS0_20trigamma_kernel_cudaERNS_18TensorIteratorBaseEENKUlvE_clEvENKUlvE0_clEvEUlfE_St5arrayIPcLm2EELi4E23TrivialOffsetCalculatorILi1EjESB_NS0_6memory15LoadWithoutCastENSC_16StoreWithoutCastEEEviT_T0_T2_T3_T4_T5_.num_vgpr, 23
	.set _ZN2at6native27unrolled_elementwise_kernelIZZZNS0_20trigamma_kernel_cudaERNS_18TensorIteratorBaseEENKUlvE_clEvENKUlvE0_clEvEUlfE_St5arrayIPcLm2EELi4E23TrivialOffsetCalculatorILi1EjESB_NS0_6memory15LoadWithoutCastENSC_16StoreWithoutCastEEEviT_T0_T2_T3_T4_T5_.num_agpr, 0
	.set _ZN2at6native27unrolled_elementwise_kernelIZZZNS0_20trigamma_kernel_cudaERNS_18TensorIteratorBaseEENKUlvE_clEvENKUlvE0_clEvEUlfE_St5arrayIPcLm2EELi4E23TrivialOffsetCalculatorILi1EjESB_NS0_6memory15LoadWithoutCastENSC_16StoreWithoutCastEEEviT_T0_T2_T3_T4_T5_.numbered_sgpr, 18
	.set _ZN2at6native27unrolled_elementwise_kernelIZZZNS0_20trigamma_kernel_cudaERNS_18TensorIteratorBaseEENKUlvE_clEvENKUlvE0_clEvEUlfE_St5arrayIPcLm2EELi4E23TrivialOffsetCalculatorILi1EjESB_NS0_6memory15LoadWithoutCastENSC_16StoreWithoutCastEEEviT_T0_T2_T3_T4_T5_.num_named_barrier, 0
	.set _ZN2at6native27unrolled_elementwise_kernelIZZZNS0_20trigamma_kernel_cudaERNS_18TensorIteratorBaseEENKUlvE_clEvENKUlvE0_clEvEUlfE_St5arrayIPcLm2EELi4E23TrivialOffsetCalculatorILi1EjESB_NS0_6memory15LoadWithoutCastENSC_16StoreWithoutCastEEEviT_T0_T2_T3_T4_T5_.private_seg_size, 0
	.set _ZN2at6native27unrolled_elementwise_kernelIZZZNS0_20trigamma_kernel_cudaERNS_18TensorIteratorBaseEENKUlvE_clEvENKUlvE0_clEvEUlfE_St5arrayIPcLm2EELi4E23TrivialOffsetCalculatorILi1EjESB_NS0_6memory15LoadWithoutCastENSC_16StoreWithoutCastEEEviT_T0_T2_T3_T4_T5_.uses_vcc, 1
	.set _ZN2at6native27unrolled_elementwise_kernelIZZZNS0_20trigamma_kernel_cudaERNS_18TensorIteratorBaseEENKUlvE_clEvENKUlvE0_clEvEUlfE_St5arrayIPcLm2EELi4E23TrivialOffsetCalculatorILi1EjESB_NS0_6memory15LoadWithoutCastENSC_16StoreWithoutCastEEEviT_T0_T2_T3_T4_T5_.uses_flat_scratch, 0
	.set _ZN2at6native27unrolled_elementwise_kernelIZZZNS0_20trigamma_kernel_cudaERNS_18TensorIteratorBaseEENKUlvE_clEvENKUlvE0_clEvEUlfE_St5arrayIPcLm2EELi4E23TrivialOffsetCalculatorILi1EjESB_NS0_6memory15LoadWithoutCastENSC_16StoreWithoutCastEEEviT_T0_T2_T3_T4_T5_.has_dyn_sized_stack, 0
	.set _ZN2at6native27unrolled_elementwise_kernelIZZZNS0_20trigamma_kernel_cudaERNS_18TensorIteratorBaseEENKUlvE_clEvENKUlvE0_clEvEUlfE_St5arrayIPcLm2EELi4E23TrivialOffsetCalculatorILi1EjESB_NS0_6memory15LoadWithoutCastENSC_16StoreWithoutCastEEEviT_T0_T2_T3_T4_T5_.has_recursion, 0
	.set _ZN2at6native27unrolled_elementwise_kernelIZZZNS0_20trigamma_kernel_cudaERNS_18TensorIteratorBaseEENKUlvE_clEvENKUlvE0_clEvEUlfE_St5arrayIPcLm2EELi4E23TrivialOffsetCalculatorILi1EjESB_NS0_6memory15LoadWithoutCastENSC_16StoreWithoutCastEEEviT_T0_T2_T3_T4_T5_.has_indirect_call, 0
	.section	.AMDGPU.csdata,"",@progbits
; Kernel info:
; codeLenInByte = 7680
; TotalNumSgprs: 22
; NumVgprs: 23
; ScratchSize: 0
; MemoryBound: 0
; FloatMode: 240
; IeeeMode: 1
; LDSByteSize: 0 bytes/workgroup (compile time only)
; SGPRBlocks: 2
; VGPRBlocks: 5
; NumSGPRsForWavesPerEU: 22
; NumVGPRsForWavesPerEU: 23
; Occupancy: 10
; WaveLimiterHint : 0
; COMPUTE_PGM_RSRC2:SCRATCH_EN: 0
; COMPUTE_PGM_RSRC2:USER_SGPR: 6
; COMPUTE_PGM_RSRC2:TRAP_HANDLER: 0
; COMPUTE_PGM_RSRC2:TGID_X_EN: 1
; COMPUTE_PGM_RSRC2:TGID_Y_EN: 0
; COMPUTE_PGM_RSRC2:TGID_Z_EN: 0
; COMPUTE_PGM_RSRC2:TIDIG_COMP_CNT: 0
	.section	.text._ZN2at6native32elementwise_kernel_manual_unrollILi128ELi4EZNS0_22gpu_kernel_impl_nocastIZZZNS0_20trigamma_kernel_cudaERNS_18TensorIteratorBaseEENKUlvE_clEvENKUlvE0_clEvEUlfE_EEvS4_RKT_EUlibE_EEviT1_,"axG",@progbits,_ZN2at6native32elementwise_kernel_manual_unrollILi128ELi4EZNS0_22gpu_kernel_impl_nocastIZZZNS0_20trigamma_kernel_cudaERNS_18TensorIteratorBaseEENKUlvE_clEvENKUlvE0_clEvEUlfE_EEvS4_RKT_EUlibE_EEviT1_,comdat
	.globl	_ZN2at6native32elementwise_kernel_manual_unrollILi128ELi4EZNS0_22gpu_kernel_impl_nocastIZZZNS0_20trigamma_kernel_cudaERNS_18TensorIteratorBaseEENKUlvE_clEvENKUlvE0_clEvEUlfE_EEvS4_RKT_EUlibE_EEviT1_ ; -- Begin function _ZN2at6native32elementwise_kernel_manual_unrollILi128ELi4EZNS0_22gpu_kernel_impl_nocastIZZZNS0_20trigamma_kernel_cudaERNS_18TensorIteratorBaseEENKUlvE_clEvENKUlvE0_clEvEUlfE_EEvS4_RKT_EUlibE_EEviT1_
	.p2align	8
	.type	_ZN2at6native32elementwise_kernel_manual_unrollILi128ELi4EZNS0_22gpu_kernel_impl_nocastIZZZNS0_20trigamma_kernel_cudaERNS_18TensorIteratorBaseEENKUlvE_clEvENKUlvE0_clEvEUlfE_EEvS4_RKT_EUlibE_EEviT1_,@function
_ZN2at6native32elementwise_kernel_manual_unrollILi128ELi4EZNS0_22gpu_kernel_impl_nocastIZZZNS0_20trigamma_kernel_cudaERNS_18TensorIteratorBaseEENKUlvE_clEvENKUlvE0_clEvEUlfE_EEvS4_RKT_EUlibE_EEviT1_: ; @_ZN2at6native32elementwise_kernel_manual_unrollILi128ELi4EZNS0_22gpu_kernel_impl_nocastIZZZNS0_20trigamma_kernel_cudaERNS_18TensorIteratorBaseEENKUlvE_clEvENKUlvE0_clEvEUlfE_EEvS4_RKT_EUlibE_EEviT1_
; %bb.0:
	s_load_dword s55, s[4:5], 0x0
	s_load_dword s33, s[4:5], 0x8
	s_add_u32 s34, s4, 8
	s_addc_u32 s35, s5, 0
	v_lshl_or_b32 v4, s6, 9, v0
	v_or_b32_e32 v10, 0x180, v4
	s_waitcnt lgkmcnt(0)
	s_add_i32 s54, s33, -1
	s_cmp_gt_u32 s54, 1
	v_cmp_le_i32_e32 vcc, s55, v10
	s_cselect_b64 s[36:37], -1, 0
	s_and_saveexec_b64 s[0:1], vcc
	s_xor_b64 s[38:39], exec, s[0:1]
	s_cbranch_execz .LBB55_7
; %bb.1:
	s_load_dwordx4 s[24:27], s[34:35], 0x4
	s_load_dwordx2 s[40:41], s[34:35], 0x14
	s_load_dwordx4 s[20:23], s[34:35], 0xc4
	s_load_dwordx4 s[16:19], s[34:35], 0x148
	s_cmp_lg_u32 s33, 0
	s_cselect_b64 s[46:47], -1, 0
	s_add_u32 s44, s34, 0xc4
	s_addc_u32 s45, s35, 0
	s_min_u32 s56, s54, 15
	s_cmp_gt_u32 s33, 1
	s_cselect_b64 s[42:43], -1, 0
	v_cmp_gt_i32_e32 vcc, s55, v4
	s_and_saveexec_b64 s[48:49], vcc
	s_cbranch_execz .LBB55_14
; %bb.2:
	s_andn2_b64 vcc, exec, s[36:37]
	s_cbranch_vccnz .LBB55_21
; %bb.3:
	s_andn2_b64 vcc, exec, s[46:47]
	s_cbranch_vccnz .LBB55_97
; %bb.4:
	s_add_i32 s58, s56, 1
	s_cmp_eq_u32 s54, 2
	s_cbranch_scc1 .LBB55_99
; %bb.5:
	s_and_b32 s57, s58, 28
	v_mov_b32_e32 v2, 0
	s_mov_b32 s59, 0
	s_mov_b64 s[50:51], s[34:35]
	s_mov_b64 s[52:53], s[44:45]
	v_mov_b32_e32 v0, 0
	v_mov_b32_e32 v1, v4
.LBB55_6:                               ; =>This Inner Loop Header: Depth=1
	s_load_dwordx8 s[8:15], s[50:51], 0x4
	s_load_dwordx4 s[28:31], s[50:51], 0x24
	s_load_dwordx8 s[0:7], s[52:53], 0x0
	s_add_u32 s50, s50, 48
	s_addc_u32 s51, s51, 0
	s_waitcnt lgkmcnt(0)
	v_mul_hi_u32 v3, s9, v1
	s_add_i32 s59, s59, 4
	s_add_u32 s52, s52, 32
	s_addc_u32 s53, s53, 0
	v_add_u32_e32 v3, v1, v3
	v_lshrrev_b32_e32 v3, s10, v3
	v_mul_lo_u32 v5, v3, s8
	v_mul_hi_u32 v6, s12, v3
	s_cmp_lg_u32 s57, s59
	v_sub_u32_e32 v1, v1, v5
	v_add_u32_e32 v5, v3, v6
	v_mul_lo_u32 v6, v1, s0
	v_mul_lo_u32 v7, v1, s1
	v_lshrrev_b32_e32 v1, s13, v5
	v_mul_lo_u32 v5, v1, s11
	v_mul_hi_u32 v8, s15, v1
	v_sub_u32_e32 v3, v3, v5
	v_add_u32_e32 v5, v1, v8
	v_lshrrev_b32_e32 v5, s28, v5
	v_mul_hi_u32 v9, s30, v5
	v_mul_lo_u32 v10, v5, s14
	v_mul_lo_u32 v8, v3, s2
	;; [unrolled: 1-line block ×3, first 2 shown]
	v_sub_u32_e32 v10, v1, v10
	v_add_u32_e32 v1, v5, v9
	v_lshrrev_b32_e32 v1, s31, v1
	v_mul_lo_u32 v9, v1, s29
	v_mul_lo_u32 v11, v10, s4
	;; [unrolled: 1-line block ×3, first 2 shown]
	v_add3_u32 v0, v6, v0, v8
	v_sub_u32_e32 v5, v5, v9
	v_mul_lo_u32 v9, v5, s6
	v_mul_lo_u32 v5, v5, s7
	v_add3_u32 v2, v7, v2, v3
	v_add3_u32 v0, v11, v0, v9
	;; [unrolled: 1-line block ×3, first 2 shown]
	s_cbranch_scc1 .LBB55_6
	s_branch .LBB55_100
.LBB55_7:
	s_andn2_saveexec_b64 s[0:1], s[38:39]
	s_cbranch_execz .LBB55_137
.LBB55_8:
	v_cndmask_b32_e64 v0, 0, 1, s[36:37]
	v_cmp_ne_u32_e64 s[0:1], 1, v0
	s_andn2_b64 vcc, exec, s[36:37]
	s_cbranch_vccnz .LBB55_20
; %bb.9:
	s_cmp_lg_u32 s33, 0
	s_waitcnt lgkmcnt(0)
	s_mov_b32 s26, 0
	s_cbranch_scc0 .LBB55_23
; %bb.10:
	s_min_u32 s27, s54, 15
	s_add_i32 s27, s27, 1
	s_cmp_eq_u32 s54, 2
	s_cbranch_scc1 .LBB55_24
; %bb.11:
	s_and_b32 s26, s27, 28
	s_add_u32 s2, s34, 0xc4
	s_addc_u32 s3, s35, 0
	v_mov_b32_e32 v5, 0
	s_mov_b32 s28, 0
	s_mov_b64 s[24:25], s[34:35]
	v_mov_b32_e32 v0, 0
	v_mov_b32_e32 v1, v4
.LBB55_12:                              ; =>This Inner Loop Header: Depth=1
	s_load_dwordx8 s[12:19], s[24:25], 0x4
	s_load_dwordx4 s[20:23], s[24:25], 0x24
	s_load_dwordx8 s[4:11], s[2:3], 0x0
	s_add_u32 s24, s24, 48
	s_addc_u32 s25, s25, 0
	s_waitcnt lgkmcnt(0)
	v_mul_hi_u32 v2, s13, v1
	s_add_i32 s28, s28, 4
	s_add_u32 s2, s2, 32
	s_addc_u32 s3, s3, 0
	v_add_u32_e32 v2, v1, v2
	v_lshrrev_b32_e32 v2, s14, v2
	v_mul_lo_u32 v3, v2, s12
	v_mul_hi_u32 v6, s16, v2
	s_cmp_lg_u32 s26, s28
	v_sub_u32_e32 v1, v1, v3
	v_add_u32_e32 v3, v2, v6
	v_mul_lo_u32 v6, v1, s4
	v_mul_lo_u32 v7, v1, s5
	v_lshrrev_b32_e32 v1, s17, v3
	v_mul_lo_u32 v3, v1, s15
	v_mul_hi_u32 v8, s19, v1
	v_sub_u32_e32 v2, v2, v3
	v_add_u32_e32 v3, v1, v8
	v_lshrrev_b32_e32 v3, s20, v3
	v_mul_hi_u32 v9, s22, v3
	v_mul_lo_u32 v11, v3, s18
	v_mul_lo_u32 v8, v2, s6
	;; [unrolled: 1-line block ×3, first 2 shown]
	v_sub_u32_e32 v11, v1, v11
	v_add_u32_e32 v1, v3, v9
	v_lshrrev_b32_e32 v1, s23, v1
	v_mul_lo_u32 v9, v1, s21
	v_mul_lo_u32 v12, v11, s8
	;; [unrolled: 1-line block ×3, first 2 shown]
	v_add3_u32 v0, v6, v0, v8
	v_sub_u32_e32 v3, v3, v9
	v_mul_lo_u32 v9, v3, s10
	v_mul_lo_u32 v3, v3, s11
	v_add3_u32 v2, v7, v5, v2
	v_add3_u32 v0, v12, v0, v9
	v_add3_u32 v5, v11, v2, v3
	s_cbranch_scc1 .LBB55_12
; %bb.13:
	s_and_b32 s6, s27, 3
	s_cmp_eq_u32 s6, 0
	s_cbranch_scc0 .LBB55_25
	s_branch .LBB55_27
.LBB55_14:
	s_or_b64 exec, exec, s[48:49]
	v_cmp_gt_i32_e32 vcc, s55, v4
	s_and_saveexec_b64 s[48:49], vcc
	s_cbranch_execz .LBB55_113
.LBB55_15:
	s_andn2_b64 vcc, exec, s[36:37]
	s_cbranch_vccnz .LBB55_22
; %bb.16:
	s_andn2_b64 vcc, exec, s[46:47]
	s_cbranch_vccnz .LBB55_98
; %bb.17:
	s_add_i32 s58, s56, 1
	s_cmp_eq_u32 s54, 2
	s_cbranch_scc1 .LBB55_121
; %bb.18:
	s_and_b32 s57, s58, 28
	v_mov_b32_e32 v2, 0
	s_mov_b32 s59, 0
	s_mov_b64 s[50:51], s[34:35]
	s_mov_b64 s[52:53], s[44:45]
	v_mov_b32_e32 v0, 0
	v_mov_b32_e32 v1, v4
.LBB55_19:                              ; =>This Inner Loop Header: Depth=1
	s_load_dwordx8 s[8:15], s[50:51], 0x4
	s_load_dwordx4 s[28:31], s[50:51], 0x24
	s_load_dwordx8 s[0:7], s[52:53], 0x0
	s_add_u32 s50, s50, 48
	s_addc_u32 s51, s51, 0
	s_waitcnt lgkmcnt(0)
	v_mul_hi_u32 v3, s9, v1
	s_add_i32 s59, s59, 4
	s_add_u32 s52, s52, 32
	s_addc_u32 s53, s53, 0
	v_add_u32_e32 v3, v1, v3
	v_lshrrev_b32_e32 v3, s10, v3
	v_mul_lo_u32 v5, v3, s8
	v_mul_hi_u32 v6, s12, v3
	s_cmp_eq_u32 s57, s59
	v_sub_u32_e32 v1, v1, v5
	v_add_u32_e32 v5, v3, v6
	v_mul_lo_u32 v6, v1, s0
	v_mul_lo_u32 v7, v1, s1
	v_lshrrev_b32_e32 v1, s13, v5
	v_mul_lo_u32 v5, v1, s11
	v_mul_hi_u32 v8, s15, v1
	v_sub_u32_e32 v3, v3, v5
	v_add_u32_e32 v5, v1, v8
	v_lshrrev_b32_e32 v5, s28, v5
	v_mul_hi_u32 v9, s30, v5
	v_mul_lo_u32 v10, v5, s14
	v_mul_lo_u32 v8, v3, s2
	;; [unrolled: 1-line block ×3, first 2 shown]
	v_sub_u32_e32 v10, v1, v10
	v_add_u32_e32 v1, v5, v9
	v_lshrrev_b32_e32 v1, s31, v1
	v_mul_lo_u32 v9, v1, s29
	v_mul_lo_u32 v11, v10, s4
	;; [unrolled: 1-line block ×3, first 2 shown]
	v_add3_u32 v0, v6, v0, v8
	v_sub_u32_e32 v5, v5, v9
	v_mul_lo_u32 v9, v5, s6
	v_mul_lo_u32 v5, v5, s7
	v_add3_u32 v2, v7, v2, v3
	v_add3_u32 v0, v11, v0, v9
	v_add3_u32 v2, v10, v2, v5
	s_cbranch_scc0 .LBB55_19
	s_branch .LBB55_122
.LBB55_20:
                                        ; implicit-def: $vgpr0
                                        ; implicit-def: $vgpr5
	s_branch .LBB55_28
.LBB55_21:
                                        ; implicit-def: $vgpr0
                                        ; implicit-def: $vgpr2
	s_branch .LBB55_104
.LBB55_22:
                                        ; implicit-def: $vgpr0
                                        ; implicit-def: $vgpr2
	s_branch .LBB55_126
.LBB55_23:
	v_mov_b32_e32 v0, 0
	v_mov_b32_e32 v5, 0
	s_branch .LBB55_27
.LBB55_24:
	v_mov_b32_e32 v0, 0
	v_mov_b32_e32 v5, 0
	;; [unrolled: 1-line block ×3, first 2 shown]
	s_and_b32 s6, s27, 3
	s_cmp_eq_u32 s6, 0
	s_cbranch_scc1 .LBB55_27
.LBB55_25:
	s_lshl_b32 s2, s26, 3
	s_add_u32 s2, s34, s2
	s_addc_u32 s3, s35, 0
	s_add_u32 s2, s2, 0xc4
	s_addc_u32 s3, s3, 0
	s_mul_i32 s4, s26, 12
	s_add_u32 s4, s34, s4
	s_addc_u32 s5, s35, 0
.LBB55_26:                              ; =>This Inner Loop Header: Depth=1
	s_load_dwordx2 s[8:9], s[4:5], 0x4
	s_load_dword s7, s[4:5], 0xc
	s_load_dwordx2 s[10:11], s[2:3], 0x0
	s_add_u32 s4, s4, 12
	s_addc_u32 s5, s5, 0
	s_waitcnt lgkmcnt(0)
	v_mul_hi_u32 v2, s9, v1
	s_add_u32 s2, s2, 8
	s_addc_u32 s3, s3, 0
	s_add_i32 s6, s6, -1
	v_add_u32_e32 v2, v1, v2
	v_lshrrev_b32_e32 v2, s7, v2
	v_mul_lo_u32 v3, v2, s8
	s_cmp_lg_u32 s6, 0
	v_sub_u32_e32 v3, v1, v3
	v_mad_u64_u32 v[0:1], s[8:9], v3, s10, v[0:1]
	v_mad_u64_u32 v[5:6], s[8:9], v3, s11, v[5:6]
	v_mov_b32_e32 v1, v2
	s_cbranch_scc1 .LBB55_26
.LBB55_27:
	s_cbranch_execnz .LBB55_30
.LBB55_28:
	s_load_dwordx4 s[4:7], s[34:35], 0x4
	s_load_dwordx2 s[2:3], s[34:35], 0xc4
	s_cmp_lt_u32 s33, 2
	s_waitcnt lgkmcnt(0)
	v_mul_hi_u32 v0, s5, v4
	v_add_u32_e32 v0, v4, v0
	v_lshrrev_b32_e32 v1, s6, v0
	v_mul_lo_u32 v0, v1, s4
	v_sub_u32_e32 v2, v4, v0
	v_mul_lo_u32 v0, v2, s2
	v_mul_lo_u32 v5, v2, s3
	s_cbranch_scc1 .LBB55_30
; %bb.29:
	s_load_dwordx4 s[4:7], s[34:35], 0x10
	s_load_dwordx2 s[2:3], s[34:35], 0xcc
	s_waitcnt lgkmcnt(0)
	v_mul_hi_u32 v2, s5, v1
	v_add_u32_e32 v2, v1, v2
	v_lshrrev_b32_e32 v2, s6, v2
	v_mul_lo_u32 v2, v2, s4
	v_sub_u32_e32 v2, v1, v2
	v_mad_u64_u32 v[0:1], s[4:5], v2, s2, v[0:1]
	v_mad_u64_u32 v[5:6], s[2:3], v2, s3, v[5:6]
.LBB55_30:
	s_and_b64 vcc, exec, s[0:1]
	v_add_u32_e32 v3, 0x80, v4
	s_cbranch_vccnz .LBB55_36
; %bb.31:
	s_cmp_lg_u32 s33, 0
	s_waitcnt lgkmcnt(0)
	s_mov_b32 s26, 0
	s_cbranch_scc0 .LBB55_37
; %bb.32:
	s_min_u32 s27, s54, 15
	s_add_i32 s27, s27, 1
	s_cmp_eq_u32 s54, 2
	s_cbranch_scc1 .LBB55_38
; %bb.33:
	s_and_b32 s26, s27, 28
	s_add_u32 s2, s34, 0xc4
	s_addc_u32 s3, s35, 0
	v_mov_b32_e32 v6, 0
	s_mov_b32 s28, 0
	s_mov_b64 s[24:25], s[34:35]
	v_mov_b32_e32 v1, 0
	v_mov_b32_e32 v2, v3
.LBB55_34:                              ; =>This Inner Loop Header: Depth=1
	s_load_dwordx8 s[12:19], s[24:25], 0x4
	s_load_dwordx4 s[20:23], s[24:25], 0x24
	s_load_dwordx8 s[4:11], s[2:3], 0x0
	s_add_u32 s24, s24, 48
	s_addc_u32 s25, s25, 0
	s_waitcnt lgkmcnt(0)
	v_mul_hi_u32 v7, s13, v2
	s_add_i32 s28, s28, 4
	s_add_u32 s2, s2, 32
	s_addc_u32 s3, s3, 0
	v_add_u32_e32 v7, v2, v7
	v_lshrrev_b32_e32 v7, s14, v7
	v_mul_lo_u32 v8, v7, s12
	v_mul_hi_u32 v9, s16, v7
	s_cmp_lg_u32 s26, s28
	v_sub_u32_e32 v2, v2, v8
	v_add_u32_e32 v8, v7, v9
	v_mul_lo_u32 v9, v2, s4
	v_mul_lo_u32 v11, v2, s5
	v_lshrrev_b32_e32 v2, s17, v8
	v_mul_lo_u32 v8, v2, s15
	v_mul_hi_u32 v12, s19, v2
	v_sub_u32_e32 v7, v7, v8
	v_add_u32_e32 v8, v2, v12
	v_lshrrev_b32_e32 v8, s20, v8
	v_mul_hi_u32 v13, s22, v8
	v_mul_lo_u32 v14, v8, s18
	v_mul_lo_u32 v12, v7, s6
	;; [unrolled: 1-line block ×3, first 2 shown]
	v_sub_u32_e32 v14, v2, v14
	v_add_u32_e32 v2, v8, v13
	v_lshrrev_b32_e32 v2, s23, v2
	v_mul_lo_u32 v13, v2, s21
	v_mul_lo_u32 v15, v14, s8
	;; [unrolled: 1-line block ×3, first 2 shown]
	v_add3_u32 v1, v9, v1, v12
	v_sub_u32_e32 v8, v8, v13
	v_mul_lo_u32 v13, v8, s10
	v_mul_lo_u32 v8, v8, s11
	v_add3_u32 v6, v11, v6, v7
	v_add3_u32 v1, v15, v1, v13
	;; [unrolled: 1-line block ×3, first 2 shown]
	s_cbranch_scc1 .LBB55_34
; %bb.35:
	s_and_b32 s6, s27, 3
	s_cmp_eq_u32 s6, 0
	s_cbranch_scc0 .LBB55_39
	s_branch .LBB55_41
.LBB55_36:
                                        ; implicit-def: $vgpr1
                                        ; implicit-def: $vgpr6
	s_branch .LBB55_42
.LBB55_37:
	v_mov_b32_e32 v1, 0
	v_mov_b32_e32 v6, 0
	s_branch .LBB55_41
.LBB55_38:
	v_mov_b32_e32 v1, 0
	v_mov_b32_e32 v6, 0
	;; [unrolled: 1-line block ×3, first 2 shown]
	s_and_b32 s6, s27, 3
	s_cmp_eq_u32 s6, 0
	s_cbranch_scc1 .LBB55_41
.LBB55_39:
	s_lshl_b32 s2, s26, 3
	s_add_u32 s2, s34, s2
	s_addc_u32 s3, s35, 0
	s_add_u32 s2, s2, 0xc4
	s_addc_u32 s3, s3, 0
	s_mul_i32 s4, s26, 12
	s_add_u32 s4, s34, s4
	s_addc_u32 s5, s35, 0
.LBB55_40:                              ; =>This Inner Loop Header: Depth=1
	s_load_dwordx2 s[8:9], s[4:5], 0x4
	s_load_dword s7, s[4:5], 0xc
	s_load_dwordx2 s[10:11], s[2:3], 0x0
	s_add_u32 s4, s4, 12
	s_addc_u32 s5, s5, 0
	s_waitcnt lgkmcnt(0)
	v_mul_hi_u32 v7, s9, v2
	s_add_u32 s2, s2, 8
	s_addc_u32 s3, s3, 0
	s_add_i32 s6, s6, -1
	v_add_u32_e32 v7, v2, v7
	v_lshrrev_b32_e32 v8, s7, v7
	v_mul_lo_u32 v7, v8, s8
	s_cmp_lg_u32 s6, 0
	v_sub_u32_e32 v7, v2, v7
	v_mad_u64_u32 v[1:2], s[8:9], v7, s10, v[1:2]
	v_mad_u64_u32 v[6:7], s[8:9], v7, s11, v[6:7]
	v_mov_b32_e32 v2, v8
	s_cbranch_scc1 .LBB55_40
.LBB55_41:
	s_cbranch_execnz .LBB55_44
.LBB55_42:
	s_load_dwordx4 s[4:7], s[34:35], 0x4
	s_load_dwordx2 s[2:3], s[34:35], 0xc4
	s_cmp_lt_u32 s33, 2
	s_waitcnt lgkmcnt(0)
	v_mul_hi_u32 v1, s5, v3
	v_add_u32_e32 v1, v3, v1
	v_lshrrev_b32_e32 v2, s6, v1
	v_mul_lo_u32 v1, v2, s4
	v_sub_u32_e32 v3, v3, v1
	v_mul_lo_u32 v1, v3, s2
	v_mul_lo_u32 v6, v3, s3
	s_cbranch_scc1 .LBB55_44
; %bb.43:
	s_load_dwordx4 s[4:7], s[34:35], 0x10
	s_load_dwordx2 s[2:3], s[34:35], 0xcc
	s_waitcnt lgkmcnt(0)
	v_mul_hi_u32 v3, s5, v2
	v_add_u32_e32 v3, v2, v3
	v_lshrrev_b32_e32 v3, s6, v3
	v_mul_lo_u32 v3, v3, s4
	v_sub_u32_e32 v3, v2, v3
	v_mad_u64_u32 v[1:2], s[4:5], v3, s2, v[1:2]
	v_mad_u64_u32 v[6:7], s[2:3], v3, s3, v[6:7]
.LBB55_44:
	s_and_b64 vcc, exec, s[0:1]
	v_add_u32_e32 v4, 0x100, v4
	s_cbranch_vccnz .LBB55_50
; %bb.45:
	s_cmp_lg_u32 s33, 0
	s_waitcnt lgkmcnt(0)
	s_mov_b32 s26, 0
	s_cbranch_scc0 .LBB55_51
; %bb.46:
	s_min_u32 s27, s54, 15
	s_add_i32 s27, s27, 1
	s_cmp_eq_u32 s54, 2
	s_cbranch_scc1 .LBB55_52
; %bb.47:
	s_and_b32 s26, s27, 28
	s_add_u32 s2, s34, 0xc4
	s_addc_u32 s3, s35, 0
	v_mov_b32_e32 v7, 0
	s_mov_b32 s28, 0
	s_mov_b64 s[24:25], s[34:35]
	v_mov_b32_e32 v2, 0
	v_mov_b32_e32 v3, v4
.LBB55_48:                              ; =>This Inner Loop Header: Depth=1
	s_load_dwordx8 s[12:19], s[24:25], 0x4
	s_load_dwordx4 s[20:23], s[24:25], 0x24
	s_load_dwordx8 s[4:11], s[2:3], 0x0
	s_add_u32 s24, s24, 48
	s_addc_u32 s25, s25, 0
	s_waitcnt lgkmcnt(0)
	v_mul_hi_u32 v8, s13, v3
	s_add_i32 s28, s28, 4
	s_add_u32 s2, s2, 32
	s_addc_u32 s3, s3, 0
	v_add_u32_e32 v8, v3, v8
	v_lshrrev_b32_e32 v8, s14, v8
	v_mul_lo_u32 v9, v8, s12
	v_mul_hi_u32 v11, s16, v8
	s_cmp_lg_u32 s26, s28
	v_sub_u32_e32 v3, v3, v9
	v_add_u32_e32 v9, v8, v11
	v_mul_lo_u32 v11, v3, s4
	v_mul_lo_u32 v12, v3, s5
	v_lshrrev_b32_e32 v3, s17, v9
	v_mul_lo_u32 v9, v3, s15
	v_mul_hi_u32 v13, s19, v3
	v_sub_u32_e32 v8, v8, v9
	v_add_u32_e32 v9, v3, v13
	v_lshrrev_b32_e32 v9, s20, v9
	v_mul_hi_u32 v14, s22, v9
	v_mul_lo_u32 v15, v9, s18
	v_mul_lo_u32 v13, v8, s6
	v_mul_lo_u32 v8, v8, s7
	v_sub_u32_e32 v15, v3, v15
	v_add_u32_e32 v3, v9, v14
	v_lshrrev_b32_e32 v3, s23, v3
	v_mul_lo_u32 v14, v3, s21
	v_mul_lo_u32 v16, v15, s8
	;; [unrolled: 1-line block ×3, first 2 shown]
	v_add3_u32 v2, v11, v2, v13
	v_sub_u32_e32 v9, v9, v14
	v_mul_lo_u32 v14, v9, s10
	v_mul_lo_u32 v9, v9, s11
	v_add3_u32 v7, v12, v7, v8
	v_add3_u32 v2, v16, v2, v14
	;; [unrolled: 1-line block ×3, first 2 shown]
	s_cbranch_scc1 .LBB55_48
; %bb.49:
	s_and_b32 s6, s27, 3
	s_cmp_eq_u32 s6, 0
	s_cbranch_scc0 .LBB55_53
	s_branch .LBB55_55
.LBB55_50:
                                        ; implicit-def: $vgpr2
                                        ; implicit-def: $vgpr7
	s_branch .LBB55_56
.LBB55_51:
	v_mov_b32_e32 v2, 0
	v_mov_b32_e32 v7, 0
	s_branch .LBB55_55
.LBB55_52:
	v_mov_b32_e32 v2, 0
	v_mov_b32_e32 v7, 0
	;; [unrolled: 1-line block ×3, first 2 shown]
	s_and_b32 s6, s27, 3
	s_cmp_eq_u32 s6, 0
	s_cbranch_scc1 .LBB55_55
.LBB55_53:
	s_lshl_b32 s2, s26, 3
	s_add_u32 s2, s34, s2
	s_addc_u32 s3, s35, 0
	s_add_u32 s2, s2, 0xc4
	s_addc_u32 s3, s3, 0
	s_mul_i32 s4, s26, 12
	s_add_u32 s4, s34, s4
	s_addc_u32 s5, s35, 0
.LBB55_54:                              ; =>This Inner Loop Header: Depth=1
	s_load_dwordx2 s[8:9], s[4:5], 0x4
	s_load_dword s7, s[4:5], 0xc
	s_load_dwordx2 s[10:11], s[2:3], 0x0
	s_add_u32 s4, s4, 12
	s_addc_u32 s5, s5, 0
	s_waitcnt lgkmcnt(0)
	v_mul_hi_u32 v8, s9, v3
	s_add_u32 s2, s2, 8
	s_addc_u32 s3, s3, 0
	s_add_i32 s6, s6, -1
	v_add_u32_e32 v8, v3, v8
	v_lshrrev_b32_e32 v9, s7, v8
	v_mul_lo_u32 v8, v9, s8
	s_cmp_lg_u32 s6, 0
	v_sub_u32_e32 v8, v3, v8
	v_mad_u64_u32 v[2:3], s[8:9], v8, s10, v[2:3]
	v_mad_u64_u32 v[7:8], s[8:9], v8, s11, v[7:8]
	v_mov_b32_e32 v3, v9
	s_cbranch_scc1 .LBB55_54
.LBB55_55:
	s_cbranch_execnz .LBB55_58
.LBB55_56:
	s_load_dwordx4 s[4:7], s[34:35], 0x4
	s_load_dwordx2 s[2:3], s[34:35], 0xc4
	s_cmp_lt_u32 s33, 2
	s_waitcnt lgkmcnt(0)
	v_mul_hi_u32 v2, s5, v4
	v_add_u32_e32 v2, v4, v2
	v_lshrrev_b32_e32 v3, s6, v2
	v_mul_lo_u32 v2, v3, s4
	v_sub_u32_e32 v4, v4, v2
	v_mul_lo_u32 v2, v4, s2
	v_mul_lo_u32 v7, v4, s3
	s_cbranch_scc1 .LBB55_58
; %bb.57:
	s_load_dwordx4 s[4:7], s[34:35], 0x10
	s_load_dwordx2 s[2:3], s[34:35], 0xcc
	s_waitcnt lgkmcnt(0)
	v_mul_hi_u32 v4, s5, v3
	v_add_u32_e32 v4, v3, v4
	v_lshrrev_b32_e32 v4, s6, v4
	v_mul_lo_u32 v4, v4, s4
	v_sub_u32_e32 v4, v3, v4
	v_mad_u64_u32 v[2:3], s[4:5], v4, s2, v[2:3]
	v_mad_u64_u32 v[7:8], s[2:3], v4, s3, v[7:8]
.LBB55_58:
	s_and_b64 vcc, exec, s[0:1]
	s_cbranch_vccnz .LBB55_64
; %bb.59:
	s_cmp_lg_u32 s33, 0
	s_waitcnt lgkmcnt(0)
	s_mov_b32 s24, 0
	s_cbranch_scc0 .LBB55_65
; %bb.60:
	s_min_u32 s25, s54, 15
	s_add_i32 s25, s25, 1
	s_cmp_eq_u32 s54, 2
	s_cbranch_scc1 .LBB55_66
; %bb.61:
	s_and_b32 s24, s25, 28
	s_add_u32 s20, s34, 0xc4
	s_addc_u32 s21, s35, 0
	v_mov_b32_e32 v8, 0
	s_mov_b32 s26, 0
	s_mov_b64 s[22:23], s[34:35]
	v_mov_b32_e32 v3, 0
	v_mov_b32_e32 v4, v10
.LBB55_62:                              ; =>This Inner Loop Header: Depth=1
	s_load_dwordx8 s[8:15], s[22:23], 0x4
	s_load_dwordx4 s[16:19], s[22:23], 0x24
	s_load_dwordx8 s[0:7], s[20:21], 0x0
	s_add_u32 s22, s22, 48
	s_addc_u32 s23, s23, 0
	s_waitcnt lgkmcnt(0)
	v_mul_hi_u32 v9, s9, v4
	s_add_i32 s26, s26, 4
	s_add_u32 s20, s20, 32
	s_addc_u32 s21, s21, 0
	v_add_u32_e32 v9, v4, v9
	v_lshrrev_b32_e32 v9, s10, v9
	v_mul_lo_u32 v11, v9, s8
	v_mul_hi_u32 v12, s12, v9
	s_cmp_lg_u32 s24, s26
	v_sub_u32_e32 v4, v4, v11
	v_add_u32_e32 v11, v9, v12
	v_mul_lo_u32 v12, v4, s0
	v_mul_lo_u32 v13, v4, s1
	v_lshrrev_b32_e32 v4, s13, v11
	v_mul_lo_u32 v11, v4, s11
	v_mul_hi_u32 v14, s15, v4
	v_sub_u32_e32 v9, v9, v11
	v_add_u32_e32 v11, v4, v14
	v_lshrrev_b32_e32 v11, s16, v11
	v_mul_hi_u32 v15, s18, v11
	v_mul_lo_u32 v16, v11, s14
	v_mul_lo_u32 v14, v9, s2
	;; [unrolled: 1-line block ×3, first 2 shown]
	v_sub_u32_e32 v16, v4, v16
	v_add_u32_e32 v4, v11, v15
	v_lshrrev_b32_e32 v4, s19, v4
	v_mul_lo_u32 v15, v4, s17
	v_mul_lo_u32 v17, v16, s4
	;; [unrolled: 1-line block ×3, first 2 shown]
	v_add3_u32 v3, v12, v3, v14
	v_sub_u32_e32 v11, v11, v15
	v_mul_lo_u32 v15, v11, s6
	v_mul_lo_u32 v11, v11, s7
	v_add3_u32 v8, v13, v8, v9
	v_add3_u32 v3, v17, v3, v15
	;; [unrolled: 1-line block ×3, first 2 shown]
	s_cbranch_scc1 .LBB55_62
; %bb.63:
	s_and_b32 s4, s25, 3
	s_cmp_eq_u32 s4, 0
	s_cbranch_scc0 .LBB55_67
	s_branch .LBB55_69
.LBB55_64:
                                        ; implicit-def: $vgpr3
                                        ; implicit-def: $vgpr8
	s_branch .LBB55_70
.LBB55_65:
	v_mov_b32_e32 v3, 0
	v_mov_b32_e32 v8, 0
	s_branch .LBB55_69
.LBB55_66:
	v_mov_b32_e32 v3, 0
	v_mov_b32_e32 v8, 0
	;; [unrolled: 1-line block ×3, first 2 shown]
	s_and_b32 s4, s25, 3
	s_cmp_eq_u32 s4, 0
	s_cbranch_scc1 .LBB55_69
.LBB55_67:
	s_lshl_b32 s0, s24, 3
	s_add_u32 s0, s34, s0
	s_addc_u32 s1, s35, 0
	s_add_u32 s0, s0, 0xc4
	s_addc_u32 s1, s1, 0
	s_mul_i32 s2, s24, 12
	s_add_u32 s2, s34, s2
	s_addc_u32 s3, s35, 0
.LBB55_68:                              ; =>This Inner Loop Header: Depth=1
	s_load_dwordx2 s[6:7], s[2:3], 0x4
	s_load_dword s5, s[2:3], 0xc
	s_load_dwordx2 s[8:9], s[0:1], 0x0
	s_add_u32 s2, s2, 12
	s_addc_u32 s3, s3, 0
	s_waitcnt lgkmcnt(0)
	v_mul_hi_u32 v9, s7, v4
	s_add_u32 s0, s0, 8
	s_addc_u32 s1, s1, 0
	s_add_i32 s4, s4, -1
	v_add_u32_e32 v9, v4, v9
	v_lshrrev_b32_e32 v11, s5, v9
	v_mul_lo_u32 v9, v11, s6
	s_cmp_lg_u32 s4, 0
	v_sub_u32_e32 v9, v4, v9
	v_mad_u64_u32 v[3:4], s[6:7], v9, s8, v[3:4]
	v_mad_u64_u32 v[8:9], s[6:7], v9, s9, v[8:9]
	v_mov_b32_e32 v4, v11
	s_cbranch_scc1 .LBB55_68
.LBB55_69:
	s_cbranch_execnz .LBB55_72
.LBB55_70:
	s_load_dwordx4 s[0:3], s[34:35], 0x4
	s_load_dwordx2 s[4:5], s[34:35], 0xc4
	s_cmp_lt_u32 s33, 2
	s_waitcnt lgkmcnt(0)
	v_mul_hi_u32 v3, s1, v10
	v_add_u32_e32 v3, v10, v3
	v_lshrrev_b32_e32 v4, s2, v3
	v_mul_lo_u32 v3, v4, s0
	v_sub_u32_e32 v8, v10, v3
	v_mul_lo_u32 v3, v8, s4
	v_mul_lo_u32 v8, v8, s5
	s_cbranch_scc1 .LBB55_72
; %bb.71:
	s_load_dwordx4 s[0:3], s[34:35], 0x10
	s_load_dwordx2 s[4:5], s[34:35], 0xcc
	s_waitcnt lgkmcnt(0)
	v_mul_hi_u32 v9, s1, v4
	v_add_u32_e32 v9, v4, v9
	v_lshrrev_b32_e32 v9, s2, v9
	v_mul_lo_u32 v9, v9, s0
	v_sub_u32_e32 v9, v4, v9
	v_mad_u64_u32 v[3:4], s[0:1], v9, s4, v[3:4]
	v_mad_u64_u32 v[8:9], s[0:1], v9, s5, v[8:9]
.LBB55_72:
	s_load_dwordx4 s[8:11], s[34:35], 0x148
	v_mov_b32_e32 v9, 0
	s_waitcnt lgkmcnt(0)
	global_load_dword v4, v5, s[10:11]
	v_mov_b32_e32 v5, 1.0
	s_waitcnt vmcnt(0)
	v_cmp_gt_f32_e32 vcc, 0.5, v4
	s_and_saveexec_b64 s[6:7], vcc
	s_cbranch_execz .LBB55_78
; %bb.73:
	v_mul_f32_e32 v5, 0x40490fdb, v4
	s_brev_b32 s0, 18
	v_and_b32_e32 v9, 0x7fffffff, v5
	v_cmp_nlt_f32_e64 s[0:1], |v5|, s0
                                        ; implicit-def: $vgpr10
                                        ; implicit-def: $vgpr11
	s_and_saveexec_b64 s[2:3], s[0:1]
	s_xor_b64 s[12:13], exec, s[2:3]
	s_cbranch_execz .LBB55_75
; %bb.74:
	v_and_b32_e32 v10, 0x7fffff, v9
	v_or_b32_e32 v19, 0x800000, v10
	s_mov_b32 s0, 0xfe5163ab
	v_mad_u64_u32 v[10:11], s[0:1], v19, s0, 0
	v_mov_b32_e32 v12, 0
	s_mov_b32 s0, 0x3c439041
	v_mad_u64_u32 v[13:14], s[0:1], v19, s0, v[11:12]
	s_mov_b32 s0, 0xdb629599
	v_not_b32_e32 v18, 63
	v_mov_b32_e32 v11, v14
	v_mad_u64_u32 v[14:15], s[0:1], v19, s0, v[11:12]
	s_mov_b32 s0, 0xf534ddc0
	v_not_b32_e32 v21, 31
	v_mov_b32_e32 v11, v15
	v_mad_u64_u32 v[15:16], s[0:1], v19, s0, v[11:12]
	v_lshrrev_b32_e32 v11, 23, v9
	v_add_u32_e32 v20, 0xffffff88, v11
	v_mov_b32_e32 v11, v16
	s_mov_b32 s0, 0xfc2757d1
	v_mad_u64_u32 v[16:17], s[0:1], v19, s0, v[11:12]
	v_cmp_lt_u32_e32 vcc, 63, v20
	v_cndmask_b32_e32 v11, 0, v18, vcc
	v_add_u32_e32 v20, v11, v20
	v_mov_b32_e32 v11, v17
	s_mov_b32 s0, 0x4e441529
	v_mad_u64_u32 v[17:18], s[0:1], v19, s0, v[11:12]
	v_cmp_lt_u32_e64 s[0:1], 31, v20
	v_cndmask_b32_e64 v11, 0, v21, s[0:1]
	v_add_u32_e32 v20, v11, v20
	v_mov_b32_e32 v11, v18
	s_mov_b32 s2, 0xa2f9836e
	v_mad_u64_u32 v[11:12], s[2:3], v19, s2, v[11:12]
	v_cmp_lt_u32_e64 s[2:3], 31, v20
	v_cndmask_b32_e64 v18, 0, v21, s[2:3]
	v_cndmask_b32_e32 v19, v17, v15, vcc
	v_cndmask_b32_e32 v11, v11, v16, vcc
	;; [unrolled: 1-line block ×3, first 2 shown]
	v_add_u32_e32 v18, v18, v20
	v_cndmask_b32_e64 v20, v11, v19, s[0:1]
	v_cndmask_b32_e64 v11, v12, v11, s[0:1]
	v_cndmask_b32_e32 v12, v16, v14, vcc
	v_cndmask_b32_e64 v16, v19, v12, s[0:1]
	v_cndmask_b32_e64 v11, v11, v20, s[2:3]
	;; [unrolled: 1-line block ×3, first 2 shown]
	v_sub_u32_e32 v19, 32, v18
	v_alignbit_b32 v20, v11, v17, v19
	v_cmp_eq_u32_e64 s[4:5], 0, v18
	v_cndmask_b32_e64 v18, v20, v11, s[4:5]
	v_cndmask_b32_e32 v11, v15, v13, vcc
	v_cndmask_b32_e64 v12, v12, v11, s[0:1]
	v_cndmask_b32_e64 v13, v16, v12, s[2:3]
	v_alignbit_b32 v15, v17, v13, v19
	v_cndmask_b32_e32 v10, v14, v10, vcc
	v_cndmask_b32_e64 v15, v15, v17, s[4:5]
	v_bfe_u32 v20, v18, 29, 1
	v_cndmask_b32_e64 v10, v11, v10, s[0:1]
	v_alignbit_b32 v16, v18, v15, 30
	v_sub_u32_e32 v21, 0, v20
	v_cndmask_b32_e64 v10, v12, v10, s[2:3]
	v_xor_b32_e32 v16, v16, v21
	v_alignbit_b32 v11, v13, v10, v19
	v_cndmask_b32_e64 v11, v11, v13, s[4:5]
	v_ffbh_u32_e32 v13, v16
	v_alignbit_b32 v12, v15, v11, 30
	v_min_u32_e32 v13, 32, v13
	v_alignbit_b32 v10, v11, v10, 30
	v_xor_b32_e32 v12, v12, v21
	v_sub_u32_e32 v14, 31, v13
	v_xor_b32_e32 v10, v10, v21
	v_alignbit_b32 v15, v16, v12, v14
	v_alignbit_b32 v10, v12, v10, v14
	;; [unrolled: 1-line block ×3, first 2 shown]
	v_ffbh_u32_e32 v12, v11
	v_min_u32_e32 v12, 32, v12
	v_lshrrev_b32_e32 v17, 29, v18
	v_not_b32_e32 v14, v12
	v_alignbit_b32 v10, v11, v10, v14
	v_lshlrev_b32_e32 v11, 31, v17
	v_or_b32_e32 v14, 0x33000000, v11
	v_add_lshl_u32 v12, v12, v13, 23
	v_lshrrev_b32_e32 v10, 9, v10
	v_sub_u32_e32 v12, v14, v12
	v_or_b32_e32 v11, 0.5, v11
	v_lshlrev_b32_e32 v13, 23, v13
	v_or_b32_e32 v10, v12, v10
	v_lshrrev_b32_e32 v12, 9, v15
	v_sub_u32_e32 v11, v11, v13
	v_or_b32_e32 v11, v12, v11
	s_mov_b32 s0, 0x3fc90fda
	v_mul_f32_e32 v12, 0x3fc90fda, v11
	v_fma_f32 v13, v11, s0, -v12
	v_fmac_f32_e32 v13, 0x33a22168, v11
	v_fmac_f32_e32 v13, 0x3fc90fda, v10
	v_lshrrev_b32_e32 v10, 30, v18
	v_add_f32_e32 v11, v12, v13
	v_add_u32_e32 v10, v20, v10
.LBB55_75:
	s_andn2_saveexec_b64 s[0:1], s[12:13]
	s_cbranch_execz .LBB55_77
; %bb.76:
	s_mov_b32 s2, 0x3f22f983
	v_mul_f32_e64 v10, |v5|, s2
	v_rndne_f32_e32 v12, v10
	s_mov_b32 s2, 0xbfc90fda
	v_cvt_i32_f32_e32 v10, v12
	v_fma_f32 v11, v12, s2, |v5|
	v_fmac_f32_e32 v11, 0xb3a22168, v12
	v_fmac_f32_e32 v11, 0xa7c234c4, v12
.LBB55_77:
	s_or_b64 exec, exec, s[0:1]
	v_mul_f32_e32 v12, v11, v11
	v_mov_b32_e32 v13, 0x3c0881c4
	v_fmac_f32_e32 v13, 0xb94c1982, v12
	v_mov_b32_e32 v14, 0xbe2aaa9d
	v_fmac_f32_e32 v14, v12, v13
	v_mul_f32_e32 v13, v12, v14
	v_fmac_f32_e32 v11, v11, v13
	v_mov_b32_e32 v13, 0xbab64f3b
	v_fmac_f32_e32 v13, 0x37d75334, v12
	v_mov_b32_e32 v14, 0x3d2aabf7
	;; [unrolled: 2-line block ×3, first 2 shown]
	v_fmac_f32_e32 v13, v12, v14
	v_fma_f32 v12, v12, v13, 1.0
	v_and_b32_e32 v13, 1, v10
	v_lshlrev_b32_e32 v10, 30, v10
	v_cmp_eq_u32_e32 vcc, 0, v13
	v_and_b32_e32 v10, 0x80000000, v10
	v_xor_b32_e32 v9, v9, v5
	v_cndmask_b32_e32 v11, v12, v11, vcc
	v_xor_b32_e32 v9, v9, v10
	s_movk_i32 s0, 0x1f8
	v_xor_b32_e32 v9, v9, v11
	v_mov_b32_e32 v10, 0x7fc00000
	v_cmp_class_f32_e64 vcc, v5, s0
	v_cndmask_b32_e32 v5, v10, v9, vcc
	v_mul_f32_e32 v5, v5, v5
	s_mov_b32 s2, 0xc11de9e7
	v_div_scale_f32 v9, s[0:1], v5, v5, s2
	v_div_scale_f32 v10, vcc, s2, v5, s2
	v_sub_f32_e32 v4, 1.0, v4
	v_rcp_f32_e32 v11, v9
	v_fma_f32 v12, -v9, v11, 1.0
	v_fmac_f32_e32 v11, v12, v11
	v_mul_f32_e32 v12, v10, v11
	v_fma_f32 v13, -v9, v12, v10
	v_fmac_f32_e32 v12, v13, v11
	v_fma_f32 v9, -v9, v12, v10
	v_div_fmas_f32 v9, v9, v11, v12
	v_div_fixup_f32 v5, v9, v5, s2
	v_add_f32_e32 v9, 0, v5
	v_mov_b32_e32 v5, -1.0
.LBB55_78:
	s_or_b64 exec, exec, s[6:7]
	global_load_dword v6, v6, s[10:11]
	v_mov_b32_e32 v11, 0
	v_mov_b32_e32 v10, 1.0
	s_waitcnt vmcnt(0)
	v_cmp_gt_f32_e32 vcc, 0.5, v6
	s_and_saveexec_b64 s[6:7], vcc
	s_cbranch_execz .LBB55_84
; %bb.79:
	v_mul_f32_e32 v10, 0x40490fdb, v6
	s_brev_b32 s0, 18
	v_and_b32_e32 v11, 0x7fffffff, v10
	v_cmp_nlt_f32_e64 s[0:1], |v10|, s0
                                        ; implicit-def: $vgpr12
                                        ; implicit-def: $vgpr13
	s_and_saveexec_b64 s[2:3], s[0:1]
	s_xor_b64 s[12:13], exec, s[2:3]
	s_cbranch_execz .LBB55_81
; %bb.80:
	v_and_b32_e32 v12, 0x7fffff, v11
	v_or_b32_e32 v21, 0x800000, v12
	s_mov_b32 s0, 0xfe5163ab
	v_mad_u64_u32 v[12:13], s[0:1], v21, s0, 0
	v_mov_b32_e32 v14, 0
	s_mov_b32 s0, 0x3c439041
	v_mad_u64_u32 v[15:16], s[0:1], v21, s0, v[13:14]
	s_mov_b32 s0, 0xdb629599
	v_not_b32_e32 v20, 63
	v_mov_b32_e32 v13, v16
	v_mad_u64_u32 v[16:17], s[0:1], v21, s0, v[13:14]
	s_mov_b32 s0, 0xf534ddc0
	v_not_b32_e32 v23, 31
	v_mov_b32_e32 v13, v17
	v_mad_u64_u32 v[17:18], s[0:1], v21, s0, v[13:14]
	v_lshrrev_b32_e32 v13, 23, v11
	v_add_u32_e32 v22, 0xffffff88, v13
	v_mov_b32_e32 v13, v18
	s_mov_b32 s0, 0xfc2757d1
	v_mad_u64_u32 v[18:19], s[0:1], v21, s0, v[13:14]
	v_cmp_lt_u32_e32 vcc, 63, v22
	v_cndmask_b32_e32 v13, 0, v20, vcc
	v_add_u32_e32 v22, v13, v22
	v_mov_b32_e32 v13, v19
	s_mov_b32 s0, 0x4e441529
	v_mad_u64_u32 v[19:20], s[0:1], v21, s0, v[13:14]
	v_cmp_lt_u32_e64 s[0:1], 31, v22
	v_cndmask_b32_e64 v13, 0, v23, s[0:1]
	v_add_u32_e32 v22, v13, v22
	v_mov_b32_e32 v13, v20
	s_mov_b32 s2, 0xa2f9836e
	v_mad_u64_u32 v[13:14], s[2:3], v21, s2, v[13:14]
	v_cmp_lt_u32_e64 s[2:3], 31, v22
	v_cndmask_b32_e64 v20, 0, v23, s[2:3]
	v_cndmask_b32_e32 v21, v19, v17, vcc
	v_cndmask_b32_e32 v13, v13, v18, vcc
	;; [unrolled: 1-line block ×3, first 2 shown]
	v_add_u32_e32 v20, v20, v22
	v_cndmask_b32_e64 v22, v13, v21, s[0:1]
	v_cndmask_b32_e64 v13, v14, v13, s[0:1]
	v_cndmask_b32_e32 v14, v18, v16, vcc
	v_cndmask_b32_e64 v18, v21, v14, s[0:1]
	v_cndmask_b32_e64 v13, v13, v22, s[2:3]
	;; [unrolled: 1-line block ×3, first 2 shown]
	v_sub_u32_e32 v21, 32, v20
	v_alignbit_b32 v22, v13, v19, v21
	v_cmp_eq_u32_e64 s[4:5], 0, v20
	v_cndmask_b32_e64 v20, v22, v13, s[4:5]
	v_cndmask_b32_e32 v13, v17, v15, vcc
	v_cndmask_b32_e64 v14, v14, v13, s[0:1]
	v_cndmask_b32_e64 v15, v18, v14, s[2:3]
	v_alignbit_b32 v17, v19, v15, v21
	v_cndmask_b32_e32 v12, v16, v12, vcc
	v_cndmask_b32_e64 v17, v17, v19, s[4:5]
	v_bfe_u32 v22, v20, 29, 1
	v_cndmask_b32_e64 v12, v13, v12, s[0:1]
	v_alignbit_b32 v18, v20, v17, 30
	v_sub_u32_e32 v23, 0, v22
	v_cndmask_b32_e64 v12, v14, v12, s[2:3]
	v_xor_b32_e32 v18, v18, v23
	v_alignbit_b32 v13, v15, v12, v21
	v_cndmask_b32_e64 v13, v13, v15, s[4:5]
	v_ffbh_u32_e32 v15, v18
	v_alignbit_b32 v14, v17, v13, 30
	v_min_u32_e32 v15, 32, v15
	v_alignbit_b32 v12, v13, v12, 30
	v_xor_b32_e32 v14, v14, v23
	v_sub_u32_e32 v16, 31, v15
	v_xor_b32_e32 v12, v12, v23
	v_alignbit_b32 v17, v18, v14, v16
	v_alignbit_b32 v12, v14, v12, v16
	;; [unrolled: 1-line block ×3, first 2 shown]
	v_ffbh_u32_e32 v14, v13
	v_min_u32_e32 v14, 32, v14
	v_lshrrev_b32_e32 v19, 29, v20
	v_not_b32_e32 v16, v14
	v_alignbit_b32 v12, v13, v12, v16
	v_lshlrev_b32_e32 v13, 31, v19
	v_or_b32_e32 v16, 0x33000000, v13
	v_add_lshl_u32 v14, v14, v15, 23
	v_lshrrev_b32_e32 v12, 9, v12
	v_sub_u32_e32 v14, v16, v14
	v_or_b32_e32 v13, 0.5, v13
	v_lshlrev_b32_e32 v15, 23, v15
	v_or_b32_e32 v12, v14, v12
	v_lshrrev_b32_e32 v14, 9, v17
	v_sub_u32_e32 v13, v13, v15
	v_or_b32_e32 v13, v14, v13
	s_mov_b32 s0, 0x3fc90fda
	v_mul_f32_e32 v14, 0x3fc90fda, v13
	v_fma_f32 v15, v13, s0, -v14
	v_fmac_f32_e32 v15, 0x33a22168, v13
	v_fmac_f32_e32 v15, 0x3fc90fda, v12
	v_lshrrev_b32_e32 v12, 30, v20
	v_add_f32_e32 v13, v14, v15
	v_add_u32_e32 v12, v22, v12
.LBB55_81:
	s_andn2_saveexec_b64 s[0:1], s[12:13]
	s_cbranch_execz .LBB55_83
; %bb.82:
	s_mov_b32 s2, 0x3f22f983
	v_mul_f32_e64 v12, |v10|, s2
	v_rndne_f32_e32 v14, v12
	s_mov_b32 s2, 0xbfc90fda
	v_cvt_i32_f32_e32 v12, v14
	v_fma_f32 v13, v14, s2, |v10|
	v_fmac_f32_e32 v13, 0xb3a22168, v14
	v_fmac_f32_e32 v13, 0xa7c234c4, v14
.LBB55_83:
	s_or_b64 exec, exec, s[0:1]
	v_mul_f32_e32 v14, v13, v13
	v_mov_b32_e32 v15, 0x3c0881c4
	v_fmac_f32_e32 v15, 0xb94c1982, v14
	v_mov_b32_e32 v16, 0xbe2aaa9d
	v_fmac_f32_e32 v16, v14, v15
	v_mul_f32_e32 v15, v14, v16
	v_fmac_f32_e32 v13, v13, v15
	v_mov_b32_e32 v15, 0xbab64f3b
	v_fmac_f32_e32 v15, 0x37d75334, v14
	v_mov_b32_e32 v16, 0x3d2aabf7
	;; [unrolled: 2-line block ×3, first 2 shown]
	v_fmac_f32_e32 v15, v14, v16
	v_fma_f32 v14, v14, v15, 1.0
	v_and_b32_e32 v15, 1, v12
	v_lshlrev_b32_e32 v12, 30, v12
	v_cmp_eq_u32_e32 vcc, 0, v15
	v_and_b32_e32 v12, 0x80000000, v12
	v_xor_b32_e32 v11, v11, v10
	v_cndmask_b32_e32 v13, v14, v13, vcc
	v_xor_b32_e32 v11, v11, v12
	s_movk_i32 s0, 0x1f8
	v_xor_b32_e32 v11, v11, v13
	v_mov_b32_e32 v12, 0x7fc00000
	v_cmp_class_f32_e64 vcc, v10, s0
	v_cndmask_b32_e32 v10, v12, v11, vcc
	v_mul_f32_e32 v10, v10, v10
	s_mov_b32 s2, 0xc11de9e7
	v_div_scale_f32 v11, s[0:1], v10, v10, s2
	v_div_scale_f32 v12, vcc, s2, v10, s2
	v_sub_f32_e32 v6, 1.0, v6
	v_rcp_f32_e32 v13, v11
	v_fma_f32 v14, -v11, v13, 1.0
	v_fmac_f32_e32 v13, v14, v13
	v_mul_f32_e32 v14, v12, v13
	v_fma_f32 v15, -v11, v14, v12
	v_fmac_f32_e32 v14, v15, v13
	v_fma_f32 v11, -v11, v14, v12
	v_div_fmas_f32 v11, v11, v13, v14
	v_div_fixup_f32 v10, v11, v10, s2
	v_add_f32_e32 v11, 0, v10
	v_mov_b32_e32 v10, -1.0
.LBB55_84:
	s_or_b64 exec, exec, s[6:7]
	global_load_dword v12, v7, s[10:11]
	v_mov_b32_e32 v14, 0
	v_mov_b32_e32 v15, 1.0
	s_waitcnt vmcnt(0)
	v_cmp_gt_f32_e32 vcc, 0.5, v12
	s_and_saveexec_b64 s[6:7], vcc
	s_cbranch_execz .LBB55_90
; %bb.85:
	v_mul_f32_e32 v7, 0x40490fdb, v12
	s_brev_b32 s0, 18
	v_and_b32_e32 v13, 0x7fffffff, v7
	v_cmp_nlt_f32_e64 s[0:1], |v7|, s0
                                        ; implicit-def: $vgpr14
                                        ; implicit-def: $vgpr15
	s_and_saveexec_b64 s[2:3], s[0:1]
	s_xor_b64 s[12:13], exec, s[2:3]
	s_cbranch_execz .LBB55_87
; %bb.86:
	v_and_b32_e32 v14, 0x7fffff, v13
	v_or_b32_e32 v23, 0x800000, v14
	s_mov_b32 s0, 0xfe5163ab
	v_mad_u64_u32 v[14:15], s[0:1], v23, s0, 0
	v_mov_b32_e32 v16, 0
	s_mov_b32 s0, 0x3c439041
	v_mad_u64_u32 v[17:18], s[0:1], v23, s0, v[15:16]
	s_mov_b32 s0, 0xdb629599
	v_not_b32_e32 v22, 63
	v_mov_b32_e32 v15, v18
	v_mad_u64_u32 v[18:19], s[0:1], v23, s0, v[15:16]
	s_mov_b32 s0, 0xf534ddc0
	v_not_b32_e32 v25, 31
	v_mov_b32_e32 v15, v19
	v_mad_u64_u32 v[19:20], s[0:1], v23, s0, v[15:16]
	v_lshrrev_b32_e32 v15, 23, v13
	v_add_u32_e32 v24, 0xffffff88, v15
	v_mov_b32_e32 v15, v20
	s_mov_b32 s0, 0xfc2757d1
	v_mad_u64_u32 v[20:21], s[0:1], v23, s0, v[15:16]
	v_cmp_lt_u32_e32 vcc, 63, v24
	v_cndmask_b32_e32 v15, 0, v22, vcc
	v_add_u32_e32 v24, v15, v24
	v_mov_b32_e32 v15, v21
	s_mov_b32 s0, 0x4e441529
	v_mad_u64_u32 v[21:22], s[0:1], v23, s0, v[15:16]
	v_cmp_lt_u32_e64 s[0:1], 31, v24
	v_cndmask_b32_e64 v15, 0, v25, s[0:1]
	v_add_u32_e32 v24, v15, v24
	v_mov_b32_e32 v15, v22
	s_mov_b32 s2, 0xa2f9836e
	v_mad_u64_u32 v[15:16], s[2:3], v23, s2, v[15:16]
	v_cmp_lt_u32_e64 s[2:3], 31, v24
	v_cndmask_b32_e64 v22, 0, v25, s[2:3]
	v_cndmask_b32_e32 v23, v21, v19, vcc
	v_cndmask_b32_e32 v15, v15, v20, vcc
	;; [unrolled: 1-line block ×3, first 2 shown]
	v_add_u32_e32 v22, v22, v24
	v_cndmask_b32_e64 v24, v15, v23, s[0:1]
	v_cndmask_b32_e64 v15, v16, v15, s[0:1]
	v_cndmask_b32_e32 v16, v20, v18, vcc
	v_cndmask_b32_e64 v20, v23, v16, s[0:1]
	v_cndmask_b32_e64 v15, v15, v24, s[2:3]
	;; [unrolled: 1-line block ×3, first 2 shown]
	v_sub_u32_e32 v23, 32, v22
	v_alignbit_b32 v24, v15, v21, v23
	v_cmp_eq_u32_e64 s[4:5], 0, v22
	v_cndmask_b32_e64 v22, v24, v15, s[4:5]
	v_cndmask_b32_e32 v15, v19, v17, vcc
	v_cndmask_b32_e64 v16, v16, v15, s[0:1]
	v_cndmask_b32_e64 v17, v20, v16, s[2:3]
	v_alignbit_b32 v19, v21, v17, v23
	v_cndmask_b32_e32 v14, v18, v14, vcc
	v_cndmask_b32_e64 v19, v19, v21, s[4:5]
	v_bfe_u32 v24, v22, 29, 1
	v_cndmask_b32_e64 v14, v15, v14, s[0:1]
	v_alignbit_b32 v20, v22, v19, 30
	v_sub_u32_e32 v25, 0, v24
	v_cndmask_b32_e64 v14, v16, v14, s[2:3]
	v_xor_b32_e32 v20, v20, v25
	v_alignbit_b32 v15, v17, v14, v23
	v_cndmask_b32_e64 v15, v15, v17, s[4:5]
	v_ffbh_u32_e32 v17, v20
	v_alignbit_b32 v16, v19, v15, 30
	v_min_u32_e32 v17, 32, v17
	v_alignbit_b32 v14, v15, v14, 30
	v_xor_b32_e32 v16, v16, v25
	v_sub_u32_e32 v18, 31, v17
	v_xor_b32_e32 v14, v14, v25
	v_alignbit_b32 v19, v20, v16, v18
	v_alignbit_b32 v14, v16, v14, v18
	;; [unrolled: 1-line block ×3, first 2 shown]
	v_ffbh_u32_e32 v16, v15
	v_min_u32_e32 v16, 32, v16
	v_lshrrev_b32_e32 v21, 29, v22
	v_not_b32_e32 v18, v16
	v_alignbit_b32 v14, v15, v14, v18
	v_lshlrev_b32_e32 v15, 31, v21
	v_or_b32_e32 v18, 0x33000000, v15
	v_add_lshl_u32 v16, v16, v17, 23
	v_lshrrev_b32_e32 v14, 9, v14
	v_sub_u32_e32 v16, v18, v16
	v_or_b32_e32 v15, 0.5, v15
	v_lshlrev_b32_e32 v17, 23, v17
	v_or_b32_e32 v14, v16, v14
	v_lshrrev_b32_e32 v16, 9, v19
	v_sub_u32_e32 v15, v15, v17
	v_or_b32_e32 v15, v16, v15
	s_mov_b32 s0, 0x3fc90fda
	v_mul_f32_e32 v16, 0x3fc90fda, v15
	v_fma_f32 v17, v15, s0, -v16
	v_fmac_f32_e32 v17, 0x33a22168, v15
	v_fmac_f32_e32 v17, 0x3fc90fda, v14
	v_lshrrev_b32_e32 v14, 30, v22
	v_add_f32_e32 v15, v16, v17
	v_add_u32_e32 v14, v24, v14
.LBB55_87:
	s_andn2_saveexec_b64 s[0:1], s[12:13]
	s_cbranch_execz .LBB55_89
; %bb.88:
	s_mov_b32 s2, 0x3f22f983
	v_mul_f32_e64 v14, |v7|, s2
	v_rndne_f32_e32 v16, v14
	s_mov_b32 s2, 0xbfc90fda
	v_cvt_i32_f32_e32 v14, v16
	v_fma_f32 v15, v16, s2, |v7|
	v_fmac_f32_e32 v15, 0xb3a22168, v16
	v_fmac_f32_e32 v15, 0xa7c234c4, v16
.LBB55_89:
	s_or_b64 exec, exec, s[0:1]
	v_mul_f32_e32 v16, v15, v15
	v_mov_b32_e32 v17, 0x3c0881c4
	v_fmac_f32_e32 v17, 0xb94c1982, v16
	v_mov_b32_e32 v18, 0xbe2aaa9d
	v_fmac_f32_e32 v18, v16, v17
	v_mul_f32_e32 v17, v16, v18
	v_fmac_f32_e32 v15, v15, v17
	v_mov_b32_e32 v17, 0xbab64f3b
	v_fmac_f32_e32 v17, 0x37d75334, v16
	v_mov_b32_e32 v18, 0x3d2aabf7
	;; [unrolled: 2-line block ×3, first 2 shown]
	v_fmac_f32_e32 v17, v16, v18
	v_fma_f32 v16, v16, v17, 1.0
	v_and_b32_e32 v17, 1, v14
	v_lshlrev_b32_e32 v14, 30, v14
	v_cmp_eq_u32_e32 vcc, 0, v17
	v_and_b32_e32 v14, 0x80000000, v14
	v_xor_b32_e32 v13, v13, v7
	v_cndmask_b32_e32 v15, v16, v15, vcc
	v_xor_b32_e32 v13, v13, v14
	s_movk_i32 s0, 0x1f8
	v_xor_b32_e32 v13, v13, v15
	v_mov_b32_e32 v14, 0x7fc00000
	v_cmp_class_f32_e64 vcc, v7, s0
	v_cndmask_b32_e32 v7, v14, v13, vcc
	v_mul_f32_e32 v7, v7, v7
	s_mov_b32 s2, 0xc11de9e7
	v_div_scale_f32 v13, s[0:1], v7, v7, s2
	v_div_scale_f32 v14, vcc, s2, v7, s2
	v_sub_f32_e32 v12, 1.0, v12
	v_rcp_f32_e32 v15, v13
	v_fma_f32 v16, -v13, v15, 1.0
	v_fmac_f32_e32 v15, v16, v15
	v_mul_f32_e32 v16, v14, v15
	v_fma_f32 v17, -v13, v16, v14
	v_fmac_f32_e32 v16, v17, v15
	v_fma_f32 v13, -v13, v16, v14
	v_div_fmas_f32 v13, v13, v15, v16
	v_mov_b32_e32 v15, -1.0
	v_div_fixup_f32 v7, v13, v7, s2
	v_add_f32_e32 v14, 0, v7
.LBB55_90:
	s_or_b64 exec, exec, s[6:7]
	global_load_dword v8, v8, s[10:11]
	v_mov_b32_e32 v13, 0
	v_mov_b32_e32 v7, 1.0
	s_waitcnt vmcnt(0)
	v_cmp_gt_f32_e32 vcc, 0.5, v8
	s_and_saveexec_b64 s[6:7], vcc
	s_cbranch_execz .LBB55_96
; %bb.91:
	v_mul_f32_e32 v7, 0x40490fdb, v8
	s_brev_b32 s0, 18
	v_and_b32_e32 v13, 0x7fffffff, v7
	v_cmp_nlt_f32_e64 s[0:1], |v7|, s0
                                        ; implicit-def: $vgpr16
                                        ; implicit-def: $vgpr17
	s_and_saveexec_b64 s[2:3], s[0:1]
	s_xor_b64 s[10:11], exec, s[2:3]
	s_cbranch_execz .LBB55_93
; %bb.92:
	v_and_b32_e32 v16, 0x7fffff, v13
	v_or_b32_e32 v25, 0x800000, v16
	s_mov_b32 s0, 0xfe5163ab
	v_mad_u64_u32 v[16:17], s[0:1], v25, s0, 0
	v_mov_b32_e32 v18, 0
	s_mov_b32 s0, 0x3c439041
	v_mad_u64_u32 v[19:20], s[0:1], v25, s0, v[17:18]
	s_mov_b32 s0, 0xdb629599
	v_not_b32_e32 v24, 63
	v_mov_b32_e32 v17, v20
	v_mad_u64_u32 v[20:21], s[0:1], v25, s0, v[17:18]
	s_mov_b32 s0, 0xf534ddc0
	v_not_b32_e32 v27, 31
	v_mov_b32_e32 v17, v21
	v_mad_u64_u32 v[21:22], s[0:1], v25, s0, v[17:18]
	v_lshrrev_b32_e32 v17, 23, v13
	v_add_u32_e32 v26, 0xffffff88, v17
	v_mov_b32_e32 v17, v22
	s_mov_b32 s0, 0xfc2757d1
	v_mad_u64_u32 v[22:23], s[0:1], v25, s0, v[17:18]
	v_cmp_lt_u32_e32 vcc, 63, v26
	v_cndmask_b32_e32 v17, 0, v24, vcc
	v_add_u32_e32 v26, v17, v26
	v_mov_b32_e32 v17, v23
	s_mov_b32 s0, 0x4e441529
	v_mad_u64_u32 v[23:24], s[0:1], v25, s0, v[17:18]
	v_cmp_lt_u32_e64 s[0:1], 31, v26
	v_cndmask_b32_e64 v17, 0, v27, s[0:1]
	v_add_u32_e32 v26, v17, v26
	v_mov_b32_e32 v17, v24
	s_mov_b32 s2, 0xa2f9836e
	v_mad_u64_u32 v[17:18], s[2:3], v25, s2, v[17:18]
	v_cmp_lt_u32_e64 s[2:3], 31, v26
	v_cndmask_b32_e32 v25, v23, v21, vcc
	v_cndmask_b32_e32 v18, v18, v23, vcc
	;; [unrolled: 1-line block ×3, first 2 shown]
	v_cndmask_b32_e64 v24, 0, v27, s[2:3]
	v_cndmask_b32_e64 v23, v17, v25, s[0:1]
	;; [unrolled: 1-line block ×3, first 2 shown]
	v_cndmask_b32_e32 v18, v22, v20, vcc
	v_add_u32_e32 v24, v24, v26
	v_cndmask_b32_e64 v22, v25, v18, s[0:1]
	v_cndmask_b32_e64 v17, v17, v23, s[2:3]
	;; [unrolled: 1-line block ×3, first 2 shown]
	v_sub_u32_e32 v25, 32, v24
	v_alignbit_b32 v26, v17, v23, v25
	v_cmp_eq_u32_e64 s[4:5], 0, v24
	v_cndmask_b32_e64 v24, v26, v17, s[4:5]
	v_cndmask_b32_e32 v17, v21, v19, vcc
	v_cndmask_b32_e64 v18, v18, v17, s[0:1]
	v_cndmask_b32_e64 v19, v22, v18, s[2:3]
	v_alignbit_b32 v21, v23, v19, v25
	v_cndmask_b32_e32 v16, v20, v16, vcc
	v_cndmask_b32_e64 v21, v21, v23, s[4:5]
	v_bfe_u32 v26, v24, 29, 1
	v_cndmask_b32_e64 v16, v17, v16, s[0:1]
	v_alignbit_b32 v22, v24, v21, 30
	v_sub_u32_e32 v27, 0, v26
	v_cndmask_b32_e64 v16, v18, v16, s[2:3]
	v_xor_b32_e32 v22, v22, v27
	v_alignbit_b32 v17, v19, v16, v25
	v_cndmask_b32_e64 v17, v17, v19, s[4:5]
	v_ffbh_u32_e32 v19, v22
	v_alignbit_b32 v18, v21, v17, 30
	v_min_u32_e32 v19, 32, v19
	v_alignbit_b32 v16, v17, v16, 30
	v_xor_b32_e32 v18, v18, v27
	v_sub_u32_e32 v20, 31, v19
	v_xor_b32_e32 v16, v16, v27
	v_alignbit_b32 v21, v22, v18, v20
	v_alignbit_b32 v16, v18, v16, v20
	;; [unrolled: 1-line block ×3, first 2 shown]
	v_ffbh_u32_e32 v18, v17
	v_min_u32_e32 v18, 32, v18
	v_lshrrev_b32_e32 v23, 29, v24
	v_not_b32_e32 v20, v18
	v_alignbit_b32 v16, v17, v16, v20
	v_lshlrev_b32_e32 v17, 31, v23
	v_or_b32_e32 v20, 0x33000000, v17
	v_add_lshl_u32 v18, v18, v19, 23
	v_lshrrev_b32_e32 v16, 9, v16
	v_sub_u32_e32 v18, v20, v18
	v_or_b32_e32 v17, 0.5, v17
	v_lshlrev_b32_e32 v19, 23, v19
	v_or_b32_e32 v16, v18, v16
	v_lshrrev_b32_e32 v18, 9, v21
	v_sub_u32_e32 v17, v17, v19
	v_or_b32_e32 v17, v18, v17
	s_mov_b32 s0, 0x3fc90fda
	v_mul_f32_e32 v18, 0x3fc90fda, v17
	v_fma_f32 v19, v17, s0, -v18
	v_fmac_f32_e32 v19, 0x33a22168, v17
	v_fmac_f32_e32 v19, 0x3fc90fda, v16
	v_lshrrev_b32_e32 v16, 30, v24
	v_add_f32_e32 v17, v18, v19
	v_add_u32_e32 v16, v26, v16
.LBB55_93:
	s_andn2_saveexec_b64 s[0:1], s[10:11]
	s_cbranch_execz .LBB55_95
; %bb.94:
	s_mov_b32 s2, 0x3f22f983
	v_mul_f32_e64 v16, |v7|, s2
	v_rndne_f32_e32 v18, v16
	s_mov_b32 s2, 0xbfc90fda
	v_cvt_i32_f32_e32 v16, v18
	v_fma_f32 v17, v18, s2, |v7|
	v_fmac_f32_e32 v17, 0xb3a22168, v18
	v_fmac_f32_e32 v17, 0xa7c234c4, v18
.LBB55_95:
	s_or_b64 exec, exec, s[0:1]
	v_mul_f32_e32 v18, v17, v17
	v_mov_b32_e32 v19, 0x3c0881c4
	v_fmac_f32_e32 v19, 0xb94c1982, v18
	v_mov_b32_e32 v20, 0xbe2aaa9d
	v_fmac_f32_e32 v20, v18, v19
	v_mul_f32_e32 v19, v18, v20
	v_fmac_f32_e32 v17, v17, v19
	v_mov_b32_e32 v19, 0xbab64f3b
	v_fmac_f32_e32 v19, 0x37d75334, v18
	v_mov_b32_e32 v20, 0x3d2aabf7
	;; [unrolled: 2-line block ×3, first 2 shown]
	v_fmac_f32_e32 v19, v18, v20
	v_fma_f32 v18, v18, v19, 1.0
	v_and_b32_e32 v19, 1, v16
	v_lshlrev_b32_e32 v16, 30, v16
	v_cmp_eq_u32_e32 vcc, 0, v19
	v_and_b32_e32 v16, 0x80000000, v16
	v_xor_b32_e32 v13, v13, v7
	v_cndmask_b32_e32 v17, v18, v17, vcc
	v_xor_b32_e32 v13, v13, v16
	s_movk_i32 s0, 0x1f8
	v_xor_b32_e32 v13, v13, v17
	v_mov_b32_e32 v16, 0x7fc00000
	v_cmp_class_f32_e64 vcc, v7, s0
	v_cndmask_b32_e32 v7, v16, v13, vcc
	v_mul_f32_e32 v7, v7, v7
	s_mov_b32 s2, 0xc11de9e7
	v_div_scale_f32 v13, s[0:1], v7, v7, s2
	v_div_scale_f32 v16, vcc, s2, v7, s2
	v_sub_f32_e32 v8, 1.0, v8
	v_rcp_f32_e32 v17, v13
	v_fma_f32 v18, -v13, v17, 1.0
	v_fmac_f32_e32 v17, v18, v17
	v_mul_f32_e32 v18, v16, v17
	v_fma_f32 v19, -v13, v18, v16
	v_fmac_f32_e32 v18, v19, v17
	v_fma_f32 v13, -v13, v18, v16
	v_div_fmas_f32 v13, v13, v17, v18
	v_div_fixup_f32 v7, v13, v7, s2
	v_add_f32_e32 v13, 0, v7
	v_mov_b32_e32 v7, -1.0
.LBB55_96:
	s_or_b64 exec, exec, s[6:7]
	v_mul_f32_e32 v16, v12, v12
	v_div_scale_f32 v17, s[0:1], v16, v16, 1.0
	v_add_f32_e32 v12, 1.0, v12
	v_rcp_f32_e32 v18, v17
	v_fma_f32 v19, -v17, v18, 1.0
	v_fmac_f32_e32 v18, v19, v18
	v_div_scale_f32 v19, vcc, 1.0, v16, 1.0
	v_mul_f32_e32 v20, v19, v18
	v_fma_f32 v21, -v17, v20, v19
	v_fmac_f32_e32 v20, v21, v18
	v_fma_f32 v17, -v17, v20, v19
	v_div_fmas_f32 v17, v17, v18, v20
	v_div_fixup_f32 v16, v17, v16, 1.0
	v_add_f32_e32 v14, v14, v16
	v_mul_f32_e32 v16, v12, v12
	v_div_scale_f32 v17, s[0:1], v16, v16, 1.0
	v_add_f32_e32 v12, 1.0, v12
	v_rcp_f32_e32 v18, v17
	v_fma_f32 v19, -v17, v18, 1.0
	v_fmac_f32_e32 v18, v19, v18
	v_div_scale_f32 v19, vcc, 1.0, v16, 1.0
	v_mul_f32_e32 v20, v19, v18
	v_fma_f32 v21, -v17, v20, v19
	v_fmac_f32_e32 v20, v21, v18
	v_fma_f32 v17, -v17, v20, v19
	v_div_fmas_f32 v17, v17, v18, v20
	v_div_fixup_f32 v16, v17, v16, 1.0
	v_add_f32_e32 v14, v14, v16
	;; [unrolled: 14-line block ×6, first 2 shown]
	v_mul_f32_e32 v14, v12, v12
	v_div_scale_f32 v17, s[0:1], v14, v14, 1.0
	v_rcp_f32_e32 v18, v17
	v_fma_f32 v19, -v17, v18, 1.0
	v_fmac_f32_e32 v18, v19, v18
	v_div_scale_f32 v19, vcc, 1.0, v14, 1.0
	v_mul_f32_e32 v20, v19, v18
	v_fma_f32 v21, -v17, v20, v19
	v_fmac_f32_e32 v20, v21, v18
	v_fma_f32 v17, -v17, v20, v19
	v_div_fmas_f32 v17, v17, v18, v20
	v_div_fixup_f32 v17, v17, v14, 1.0
	v_add_f32_e32 v14, v12, v12
	v_div_scale_f32 v18, s[0:1], v14, v14, 1.0
	s_mov_b32 s0, 0x3e2aaaab
	v_rcp_f32_e32 v19, v18
	v_fma_f32 v20, -v18, v19, 1.0
	v_fmac_f32_e32 v19, v20, v19
	v_div_scale_f32 v20, vcc, 1.0, v14, 1.0
	v_mul_f32_e32 v21, v20, v19
	v_fma_f32 v22, -v18, v21, v20
	v_fmac_f32_e32 v21, v22, v19
	v_fma_f32 v18, -v18, v21, v20
	v_div_fmas_f32 v18, v18, v19, v21
	v_mov_b32_e32 v19, 0x3d088889
	v_fmac_f32_e32 v19, 0xbcc30c31, v17
	v_fma_f32 v19, -v17, v19, s0
	v_div_fixup_f32 v14, v18, v14, 1.0
	v_add_f32_e32 v18, 1.0, v14
	v_fmac_f32_e32 v18, v17, v19
	v_div_scale_f32 v17, s[2:3], v12, v12, v18
	v_mov_b32_e32 v14, 0x3d088889
	v_rcp_f32_e32 v19, v17
	v_fma_f32 v20, -v17, v19, 1.0
	v_fmac_f32_e32 v19, v20, v19
	v_div_scale_f32 v20, vcc, v18, v12, v18
	v_mul_f32_e32 v21, v20, v19
	v_fma_f32 v22, -v17, v21, v20
	v_fmac_f32_e32 v21, v22, v19
	v_fma_f32 v17, -v17, v21, v20
	v_div_fmas_f32 v17, v17, v19, v21
	v_div_fixup_f32 v12, v17, v12, v18
	v_add_f32_e32 v12, v16, v12
	v_mul_f32_e32 v12, v15, v12
	v_mul_f32_e32 v15, v6, v6
	v_div_scale_f32 v16, s[2:3], v15, v15, 1.0
	v_add_f32_e32 v6, 1.0, v6
	v_rcp_f32_e32 v17, v16
	v_fma_f32 v18, -v16, v17, 1.0
	v_fmac_f32_e32 v17, v18, v17
	v_div_scale_f32 v18, vcc, 1.0, v15, 1.0
	v_mul_f32_e32 v19, v18, v17
	v_fma_f32 v20, -v16, v19, v18
	v_fmac_f32_e32 v19, v20, v17
	v_fma_f32 v16, -v16, v19, v18
	v_div_fmas_f32 v16, v16, v17, v19
	v_div_fixup_f32 v15, v16, v15, 1.0
	v_add_f32_e32 v11, v11, v15
	v_mul_f32_e32 v15, v6, v6
	v_div_scale_f32 v16, s[2:3], v15, v15, 1.0
	v_add_f32_e32 v6, 1.0, v6
	v_rcp_f32_e32 v17, v16
	v_fma_f32 v18, -v16, v17, 1.0
	v_fmac_f32_e32 v17, v18, v17
	v_div_scale_f32 v18, vcc, 1.0, v15, 1.0
	v_mul_f32_e32 v19, v18, v17
	v_fma_f32 v20, -v16, v19, v18
	v_fmac_f32_e32 v19, v20, v17
	v_fma_f32 v16, -v16, v19, v18
	v_div_fmas_f32 v16, v16, v17, v19
	v_div_fixup_f32 v15, v16, v15, 1.0
	v_add_f32_e32 v11, v11, v15
	;; [unrolled: 14-line block ×6, first 2 shown]
	v_mul_f32_e32 v15, v6, v6
	v_div_scale_f32 v16, s[2:3], v15, v15, 1.0
	v_rcp_f32_e32 v17, v16
	v_fma_f32 v18, -v16, v17, 1.0
	v_fmac_f32_e32 v17, v18, v17
	v_div_scale_f32 v18, vcc, 1.0, v15, 1.0
	v_mul_f32_e32 v19, v18, v17
	v_fma_f32 v20, -v16, v19, v18
	v_fmac_f32_e32 v19, v20, v17
	v_fma_f32 v16, -v16, v19, v18
	v_div_fmas_f32 v16, v16, v17, v19
	v_div_fixup_f32 v15, v16, v15, 1.0
	v_add_f32_e32 v16, v6, v6
	v_div_scale_f32 v17, s[2:3], v16, v16, 1.0
	v_rcp_f32_e32 v18, v17
	v_fma_f32 v19, -v17, v18, 1.0
	v_fmac_f32_e32 v18, v19, v18
	v_div_scale_f32 v19, vcc, 1.0, v16, 1.0
	v_mul_f32_e32 v20, v19, v18
	v_fma_f32 v21, -v17, v20, v19
	v_fmac_f32_e32 v20, v21, v18
	v_fma_f32 v17, -v17, v20, v19
	v_div_fmas_f32 v17, v17, v18, v20
	v_div_fixup_f32 v16, v17, v16, 1.0
	v_mov_b32_e32 v17, 0x3d088889
	v_fmac_f32_e32 v17, 0xbcc30c31, v15
	v_add_f32_e32 v16, 1.0, v16
	v_fma_f32 v17, -v15, v17, s0
	v_fmac_f32_e32 v16, v15, v17
	v_div_scale_f32 v15, s[2:3], v6, v6, v16
	v_rcp_f32_e32 v17, v15
	v_fma_f32 v18, -v15, v17, 1.0
	v_fmac_f32_e32 v17, v18, v17
	v_div_scale_f32 v18, vcc, v16, v6, v16
	v_mul_f32_e32 v19, v18, v17
	v_fma_f32 v20, -v15, v19, v18
	v_fmac_f32_e32 v19, v20, v17
	v_fma_f32 v15, -v15, v19, v18
	v_div_fmas_f32 v15, v15, v17, v19
	v_div_fixup_f32 v6, v15, v6, v16
	v_add_f32_e32 v6, v11, v6
	v_mul_f32_e32 v6, v10, v6
	v_mul_f32_e32 v10, v4, v4
	v_div_scale_f32 v11, s[2:3], v10, v10, 1.0
	v_add_f32_e32 v4, 1.0, v4
	v_rcp_f32_e32 v15, v11
	v_fma_f32 v16, -v11, v15, 1.0
	v_fmac_f32_e32 v15, v16, v15
	v_div_scale_f32 v16, vcc, 1.0, v10, 1.0
	v_mul_f32_e32 v17, v16, v15
	v_fma_f32 v18, -v11, v17, v16
	v_fmac_f32_e32 v17, v18, v15
	v_fma_f32 v11, -v11, v17, v16
	v_div_fmas_f32 v11, v11, v15, v17
	v_div_fixup_f32 v10, v11, v10, 1.0
	v_add_f32_e32 v9, v9, v10
	v_mul_f32_e32 v10, v4, v4
	v_div_scale_f32 v11, s[2:3], v10, v10, 1.0
	v_add_f32_e32 v4, 1.0, v4
	v_rcp_f32_e32 v15, v11
	v_fma_f32 v16, -v11, v15, 1.0
	v_fmac_f32_e32 v15, v16, v15
	v_div_scale_f32 v16, vcc, 1.0, v10, 1.0
	v_mul_f32_e32 v17, v16, v15
	v_fma_f32 v18, -v11, v17, v16
	v_fmac_f32_e32 v17, v18, v15
	v_fma_f32 v11, -v11, v17, v16
	v_div_fmas_f32 v11, v11, v15, v17
	v_div_fixup_f32 v10, v11, v10, 1.0
	v_add_f32_e32 v9, v9, v10
	;; [unrolled: 14-line block ×6, first 2 shown]
	v_mul_f32_e32 v10, v4, v4
	v_div_scale_f32 v11, s[2:3], v10, v10, 1.0
	v_rcp_f32_e32 v15, v11
	v_fma_f32 v16, -v11, v15, 1.0
	v_fmac_f32_e32 v15, v16, v15
	v_div_scale_f32 v16, vcc, 1.0, v10, 1.0
	v_mul_f32_e32 v17, v16, v15
	v_fma_f32 v18, -v11, v17, v16
	v_fmac_f32_e32 v17, v18, v15
	v_fma_f32 v11, -v11, v17, v16
	v_div_fmas_f32 v11, v11, v15, v17
	v_div_fixup_f32 v10, v11, v10, 1.0
	v_add_f32_e32 v11, v4, v4
	v_div_scale_f32 v15, s[2:3], v11, v11, 1.0
	v_rcp_f32_e32 v16, v15
	v_fma_f32 v17, -v15, v16, 1.0
	v_fmac_f32_e32 v16, v17, v16
	v_div_scale_f32 v17, vcc, 1.0, v11, 1.0
	v_mul_f32_e32 v18, v17, v16
	v_fma_f32 v19, -v15, v18, v17
	v_fmac_f32_e32 v18, v19, v16
	v_fma_f32 v15, -v15, v18, v17
	v_div_fmas_f32 v15, v15, v16, v18
	v_div_fixup_f32 v11, v15, v11, 1.0
	v_mov_b32_e32 v15, 0x3d088889
	v_fmac_f32_e32 v15, 0xbcc30c31, v10
	v_add_f32_e32 v11, 1.0, v11
	v_fma_f32 v15, -v10, v15, s0
	v_fmac_f32_e32 v11, v10, v15
	v_div_scale_f32 v10, s[2:3], v4, v4, v11
	v_rcp_f32_e32 v15, v10
	v_fma_f32 v16, -v10, v15, 1.0
	v_fmac_f32_e32 v15, v16, v15
	v_div_scale_f32 v16, vcc, v11, v4, v11
	v_mul_f32_e32 v17, v16, v15
	v_fma_f32 v18, -v10, v17, v16
	v_fmac_f32_e32 v17, v18, v15
	v_fma_f32 v10, -v10, v17, v16
	v_div_fmas_f32 v10, v10, v15, v17
	v_div_fixup_f32 v4, v10, v4, v11
	v_add_f32_e32 v4, v9, v4
	v_mul_f32_e32 v4, v5, v4
	v_mul_f32_e32 v5, v8, v8
	v_div_scale_f32 v9, s[2:3], v5, v5, 1.0
	v_add_f32_e32 v8, 1.0, v8
	v_rcp_f32_e32 v10, v9
	v_fma_f32 v11, -v9, v10, 1.0
	v_fmac_f32_e32 v10, v11, v10
	v_div_scale_f32 v11, vcc, 1.0, v5, 1.0
	v_mul_f32_e32 v15, v11, v10
	v_fma_f32 v16, -v9, v15, v11
	v_fmac_f32_e32 v15, v16, v10
	v_fma_f32 v9, -v9, v15, v11
	v_div_fmas_f32 v9, v9, v10, v15
	v_div_fixup_f32 v5, v9, v5, 1.0
	v_mul_f32_e32 v9, v8, v8
	v_div_scale_f32 v10, s[2:3], v9, v9, 1.0
	v_add_f32_e32 v5, v13, v5
	v_add_f32_e32 v8, 1.0, v8
	v_rcp_f32_e32 v11, v10
	v_fma_f32 v13, -v10, v11, 1.0
	v_fmac_f32_e32 v11, v13, v11
	v_div_scale_f32 v13, vcc, 1.0, v9, 1.0
	v_mul_f32_e32 v15, v13, v11
	v_fma_f32 v16, -v10, v15, v13
	v_fmac_f32_e32 v15, v16, v11
	v_fma_f32 v10, -v10, v15, v13
	v_div_fmas_f32 v10, v10, v11, v15
	v_div_fixup_f32 v9, v10, v9, 1.0
	v_add_f32_e32 v5, v5, v9
	v_mul_f32_e32 v9, v8, v8
	v_div_scale_f32 v10, s[2:3], v9, v9, 1.0
	v_add_f32_e32 v8, 1.0, v8
	v_rcp_f32_e32 v11, v10
	v_fma_f32 v13, -v10, v11, 1.0
	v_fmac_f32_e32 v11, v13, v11
	v_div_scale_f32 v13, vcc, 1.0, v9, 1.0
	v_mul_f32_e32 v15, v13, v11
	v_fma_f32 v16, -v10, v15, v13
	v_fmac_f32_e32 v15, v16, v11
	v_fma_f32 v10, -v10, v15, v13
	v_div_fmas_f32 v10, v10, v11, v15
	v_div_fixup_f32 v9, v10, v9, 1.0
	v_add_f32_e32 v5, v5, v9
	v_mul_f32_e32 v9, v8, v8
	v_div_scale_f32 v10, s[2:3], v9, v9, 1.0
	v_add_f32_e32 v8, 1.0, v8
	v_rcp_f32_e32 v11, v10
	v_fma_f32 v13, -v10, v11, 1.0
	v_fmac_f32_e32 v11, v13, v11
	v_div_scale_f32 v13, vcc, 1.0, v9, 1.0
	v_mul_f32_e32 v15, v13, v11
	v_fma_f32 v16, -v10, v15, v13
	v_fmac_f32_e32 v15, v16, v11
	v_fma_f32 v10, -v10, v15, v13
	v_div_fmas_f32 v10, v10, v11, v15
	v_div_fixup_f32 v9, v10, v9, 1.0
	v_add_f32_e32 v5, v5, v9
	v_mul_f32_e32 v9, v8, v8
	v_div_scale_f32 v10, s[2:3], v9, v9, 1.0
	v_add_f32_e32 v8, 1.0, v8
	v_rcp_f32_e32 v11, v10
	v_fma_f32 v13, -v10, v11, 1.0
	v_fmac_f32_e32 v11, v13, v11
	v_div_scale_f32 v13, vcc, 1.0, v9, 1.0
	v_mul_f32_e32 v15, v13, v11
	v_fma_f32 v16, -v10, v15, v13
	v_fmac_f32_e32 v15, v16, v11
	v_fma_f32 v10, -v10, v15, v13
	v_div_fmas_f32 v10, v10, v11, v15
	v_div_fixup_f32 v9, v10, v9, 1.0
	v_add_f32_e32 v5, v5, v9
	v_mul_f32_e32 v9, v8, v8
	v_div_scale_f32 v10, s[2:3], v9, v9, 1.0
	v_add_f32_e32 v8, 1.0, v8
	v_rcp_f32_e32 v11, v10
	v_fma_f32 v13, -v10, v11, 1.0
	v_fmac_f32_e32 v11, v13, v11
	v_div_scale_f32 v13, vcc, 1.0, v9, 1.0
	v_mul_f32_e32 v15, v13, v11
	v_fma_f32 v16, -v10, v15, v13
	v_fmac_f32_e32 v15, v16, v11
	v_fma_f32 v10, -v10, v15, v13
	v_div_fmas_f32 v10, v10, v11, v15
	v_div_fixup_f32 v9, v10, v9, 1.0
	v_add_f32_e32 v5, v5, v9
	v_mul_f32_e32 v9, v8, v8
	v_div_scale_f32 v10, s[2:3], v9, v9, 1.0
	v_rcp_f32_e32 v11, v10
	v_fma_f32 v13, -v10, v11, 1.0
	v_fmac_f32_e32 v11, v13, v11
	v_div_scale_f32 v13, vcc, 1.0, v9, 1.0
	v_mul_f32_e32 v15, v13, v11
	v_fma_f32 v16, -v10, v15, v13
	v_fmac_f32_e32 v15, v16, v11
	v_fma_f32 v10, -v10, v15, v13
	v_div_fmas_f32 v10, v10, v11, v15
	v_div_fixup_f32 v10, v10, v9, 1.0
	v_add_f32_e32 v9, v8, v8
	v_div_scale_f32 v11, s[2:3], v9, v9, 1.0
	v_fmac_f32_e32 v14, 0xbcc30c31, v10
	v_rcp_f32_e32 v13, v11
	v_fma_f32 v15, -v11, v13, 1.0
	v_fmac_f32_e32 v13, v15, v13
	v_div_scale_f32 v15, vcc, 1.0, v9, 1.0
	v_mul_f32_e32 v16, v15, v13
	v_fma_f32 v17, -v11, v16, v15
	v_fmac_f32_e32 v16, v17, v13
	v_fma_f32 v11, -v11, v16, v15
	v_div_fmas_f32 v11, v11, v13, v16
	v_div_fixup_f32 v9, v11, v9, 1.0
	v_add_f32_e32 v9, 1.0, v9
	v_fma_f32 v11, -v10, v14, s0
	v_fmac_f32_e32 v9, v10, v11
	v_div_scale_f32 v10, s[0:1], v8, v8, v9
	v_rcp_f32_e32 v11, v10
	v_fma_f32 v13, -v10, v11, 1.0
	v_fmac_f32_e32 v11, v13, v11
	v_div_scale_f32 v13, vcc, v9, v8, v9
	v_mul_f32_e32 v14, v13, v11
	v_fma_f32 v15, -v10, v14, v13
	v_fmac_f32_e32 v14, v15, v11
	v_fma_f32 v10, -v10, v14, v13
	v_div_fmas_f32 v10, v10, v11, v14
	v_div_fixup_f32 v8, v10, v8, v9
	v_add_f32_e32 v5, v5, v8
	v_mul_f32_e32 v5, v7, v5
	global_store_dword v0, v4, s[8:9]
	global_store_dword v1, v6, s[8:9]
	;; [unrolled: 1-line block ×4, first 2 shown]
	s_endpgm
.LBB55_97:
	v_mov_b32_e32 v0, 0
	v_mov_b32_e32 v2, 0
	s_branch .LBB55_103
.LBB55_98:
	v_mov_b32_e32 v0, 0
	v_mov_b32_e32 v2, 0
	s_branch .LBB55_125
.LBB55_99:
	s_mov_b32 s57, 0
	v_mov_b32_e32 v0, 0
	v_mov_b32_e32 v2, 0
	;; [unrolled: 1-line block ×3, first 2 shown]
.LBB55_100:
	s_and_b32 s4, s58, 3
	s_cmp_eq_u32 s4, 0
	s_cbranch_scc1 .LBB55_103
; %bb.101:
	s_lshl_b32 s0, s57, 3
	s_add_u32 s0, s34, s0
	s_addc_u32 s1, s35, 0
	s_add_u32 s0, s0, 0xc4
	s_addc_u32 s1, s1, 0
	s_mul_i32 s2, s57, 12
	s_add_u32 s2, s34, s2
	s_addc_u32 s3, s35, 0
.LBB55_102:                             ; =>This Inner Loop Header: Depth=1
	s_load_dwordx2 s[6:7], s[2:3], 0x4
	s_load_dword s5, s[2:3], 0xc
	s_load_dwordx2 s[8:9], s[0:1], 0x0
	s_add_u32 s2, s2, 12
	s_addc_u32 s3, s3, 0
	s_waitcnt lgkmcnt(0)
	v_mul_hi_u32 v3, s7, v1
	s_add_u32 s0, s0, 8
	s_addc_u32 s1, s1, 0
	s_add_i32 s4, s4, -1
	v_add_u32_e32 v3, v1, v3
	v_lshrrev_b32_e32 v5, s5, v3
	v_mul_lo_u32 v3, v5, s6
	s_cmp_lg_u32 s4, 0
	v_sub_u32_e32 v3, v1, v3
	v_mad_u64_u32 v[0:1], s[6:7], v3, s8, v[0:1]
	v_mad_u64_u32 v[2:3], s[6:7], v3, s9, v[2:3]
	v_mov_b32_e32 v1, v5
	s_cbranch_scc1 .LBB55_102
.LBB55_103:
	s_cbranch_execnz .LBB55_106
.LBB55_104:
	s_waitcnt lgkmcnt(0)
	v_mul_hi_u32 v0, s25, v4
	s_andn2_b64 vcc, exec, s[42:43]
	v_add_u32_e32 v0, v4, v0
	v_lshrrev_b32_e32 v1, s26, v0
	v_mul_lo_u32 v0, v1, s24
	v_sub_u32_e32 v2, v4, v0
	v_mul_lo_u32 v0, v2, s20
	v_mul_lo_u32 v2, v2, s21
	s_cbranch_vccnz .LBB55_106
; %bb.105:
	v_mul_hi_u32 v3, s40, v1
	v_add_u32_e32 v3, v1, v3
	v_lshrrev_b32_e32 v3, s41, v3
	v_mul_lo_u32 v3, v3, s27
	v_sub_u32_e32 v3, v1, v3
	v_mad_u64_u32 v[0:1], s[0:1], v3, s22, v[0:1]
	v_mad_u64_u32 v[2:3], s[0:1], v3, s23, v[2:3]
.LBB55_106:
	s_waitcnt lgkmcnt(0)
	global_load_dword v1, v2, s[18:19]
	v_mov_b32_e32 v3, 0
	v_mov_b32_e32 v2, 1.0
	s_waitcnt vmcnt(0)
	v_cmp_gt_f32_e32 vcc, 0.5, v1
	s_and_saveexec_b64 s[6:7], vcc
	s_cbranch_execz .LBB55_112
; %bb.107:
	v_mul_f32_e32 v2, 0x40490fdb, v1
	s_brev_b32 s0, 18
	v_and_b32_e32 v3, 0x7fffffff, v2
	v_cmp_nlt_f32_e64 s[0:1], |v2|, s0
                                        ; implicit-def: $vgpr5
                                        ; implicit-def: $vgpr6
	s_and_saveexec_b64 s[2:3], s[0:1]
	s_xor_b64 s[8:9], exec, s[2:3]
	s_cbranch_execz .LBB55_109
; %bb.108:
	v_and_b32_e32 v5, 0x7fffff, v3
	v_or_b32_e32 v14, 0x800000, v5
	s_mov_b32 s0, 0xfe5163ab
	v_mad_u64_u32 v[5:6], s[0:1], v14, s0, 0
	v_mov_b32_e32 v7, 0
	s_mov_b32 s0, 0x3c439041
	v_mad_u64_u32 v[8:9], s[0:1], v14, s0, v[6:7]
	s_mov_b32 s0, 0xdb629599
	v_not_b32_e32 v13, 63
	v_mov_b32_e32 v6, v9
	v_mad_u64_u32 v[9:10], s[0:1], v14, s0, v[6:7]
	s_mov_b32 s0, 0xf534ddc0
	v_not_b32_e32 v16, 31
	v_mov_b32_e32 v6, v10
	v_mad_u64_u32 v[10:11], s[0:1], v14, s0, v[6:7]
	v_lshrrev_b32_e32 v6, 23, v3
	v_add_u32_e32 v15, 0xffffff88, v6
	v_mov_b32_e32 v6, v11
	s_mov_b32 s0, 0xfc2757d1
	v_mad_u64_u32 v[11:12], s[0:1], v14, s0, v[6:7]
	v_cmp_lt_u32_e32 vcc, 63, v15
	v_cndmask_b32_e32 v6, 0, v13, vcc
	v_add_u32_e32 v15, v6, v15
	v_mov_b32_e32 v6, v12
	s_mov_b32 s0, 0x4e441529
	v_mad_u64_u32 v[12:13], s[0:1], v14, s0, v[6:7]
	v_cmp_lt_u32_e64 s[0:1], 31, v15
	v_cndmask_b32_e64 v6, 0, v16, s[0:1]
	v_add_u32_e32 v15, v6, v15
	v_mov_b32_e32 v6, v13
	s_mov_b32 s2, 0xa2f9836e
	v_mad_u64_u32 v[6:7], s[2:3], v14, s2, v[6:7]
	v_cmp_lt_u32_e64 s[2:3], 31, v15
	v_cndmask_b32_e64 v13, 0, v16, s[2:3]
	v_cndmask_b32_e32 v14, v12, v10, vcc
	v_cndmask_b32_e32 v6, v6, v11, vcc
	;; [unrolled: 1-line block ×3, first 2 shown]
	v_add_u32_e32 v13, v13, v15
	v_cndmask_b32_e64 v15, v6, v14, s[0:1]
	v_cndmask_b32_e64 v6, v7, v6, s[0:1]
	v_cndmask_b32_e32 v7, v11, v9, vcc
	v_cndmask_b32_e64 v11, v14, v7, s[0:1]
	v_cndmask_b32_e64 v6, v6, v15, s[2:3]
	;; [unrolled: 1-line block ×3, first 2 shown]
	v_sub_u32_e32 v14, 32, v13
	v_alignbit_b32 v15, v6, v12, v14
	v_cmp_eq_u32_e64 s[4:5], 0, v13
	v_cndmask_b32_e64 v13, v15, v6, s[4:5]
	v_cndmask_b32_e32 v6, v10, v8, vcc
	v_cndmask_b32_e64 v7, v7, v6, s[0:1]
	v_cndmask_b32_e64 v8, v11, v7, s[2:3]
	v_alignbit_b32 v10, v12, v8, v14
	v_cndmask_b32_e32 v5, v9, v5, vcc
	v_cndmask_b32_e64 v10, v10, v12, s[4:5]
	v_bfe_u32 v15, v13, 29, 1
	v_cndmask_b32_e64 v5, v6, v5, s[0:1]
	v_alignbit_b32 v11, v13, v10, 30
	v_sub_u32_e32 v16, 0, v15
	v_cndmask_b32_e64 v5, v7, v5, s[2:3]
	v_xor_b32_e32 v11, v11, v16
	v_alignbit_b32 v6, v8, v5, v14
	v_cndmask_b32_e64 v6, v6, v8, s[4:5]
	v_ffbh_u32_e32 v8, v11
	v_alignbit_b32 v7, v10, v6, 30
	v_min_u32_e32 v8, 32, v8
	v_alignbit_b32 v5, v6, v5, 30
	v_xor_b32_e32 v7, v7, v16
	v_sub_u32_e32 v9, 31, v8
	v_xor_b32_e32 v5, v5, v16
	v_alignbit_b32 v10, v11, v7, v9
	v_alignbit_b32 v5, v7, v5, v9
	v_alignbit_b32 v6, v10, v5, 9
	v_ffbh_u32_e32 v7, v6
	v_min_u32_e32 v7, 32, v7
	v_lshrrev_b32_e32 v12, 29, v13
	v_not_b32_e32 v9, v7
	v_alignbit_b32 v5, v6, v5, v9
	v_lshlrev_b32_e32 v6, 31, v12
	v_or_b32_e32 v9, 0x33000000, v6
	v_add_lshl_u32 v7, v7, v8, 23
	v_lshrrev_b32_e32 v5, 9, v5
	v_sub_u32_e32 v7, v9, v7
	v_or_b32_e32 v6, 0.5, v6
	v_lshlrev_b32_e32 v8, 23, v8
	v_or_b32_e32 v5, v7, v5
	v_lshrrev_b32_e32 v7, 9, v10
	v_sub_u32_e32 v6, v6, v8
	v_or_b32_e32 v6, v7, v6
	s_mov_b32 s0, 0x3fc90fda
	v_mul_f32_e32 v7, 0x3fc90fda, v6
	v_fma_f32 v8, v6, s0, -v7
	v_fmac_f32_e32 v8, 0x33a22168, v6
	v_fmac_f32_e32 v8, 0x3fc90fda, v5
	v_lshrrev_b32_e32 v5, 30, v13
	v_add_f32_e32 v6, v7, v8
	v_add_u32_e32 v5, v15, v5
.LBB55_109:
	s_andn2_saveexec_b64 s[0:1], s[8:9]
	s_cbranch_execz .LBB55_111
; %bb.110:
	s_mov_b32 s2, 0x3f22f983
	v_mul_f32_e64 v5, |v2|, s2
	v_rndne_f32_e32 v7, v5
	s_mov_b32 s2, 0xbfc90fda
	v_cvt_i32_f32_e32 v5, v7
	v_fma_f32 v6, v7, s2, |v2|
	v_fmac_f32_e32 v6, 0xb3a22168, v7
	v_fmac_f32_e32 v6, 0xa7c234c4, v7
.LBB55_111:
	s_or_b64 exec, exec, s[0:1]
	v_mul_f32_e32 v7, v6, v6
	v_mov_b32_e32 v8, 0x3c0881c4
	v_fmac_f32_e32 v8, 0xb94c1982, v7
	v_mov_b32_e32 v9, 0xbe2aaa9d
	v_fmac_f32_e32 v9, v7, v8
	v_mul_f32_e32 v8, v7, v9
	v_fmac_f32_e32 v6, v6, v8
	v_mov_b32_e32 v8, 0xbab64f3b
	v_fmac_f32_e32 v8, 0x37d75334, v7
	v_mov_b32_e32 v9, 0x3d2aabf7
	;; [unrolled: 2-line block ×3, first 2 shown]
	v_fmac_f32_e32 v8, v7, v9
	v_fma_f32 v7, v7, v8, 1.0
	v_and_b32_e32 v8, 1, v5
	v_lshlrev_b32_e32 v5, 30, v5
	v_cmp_eq_u32_e32 vcc, 0, v8
	v_and_b32_e32 v5, 0x80000000, v5
	v_xor_b32_e32 v3, v3, v2
	v_cndmask_b32_e32 v6, v7, v6, vcc
	v_xor_b32_e32 v3, v3, v5
	s_movk_i32 s0, 0x1f8
	v_xor_b32_e32 v3, v3, v6
	v_mov_b32_e32 v5, 0x7fc00000
	v_cmp_class_f32_e64 vcc, v2, s0
	v_cndmask_b32_e32 v2, v5, v3, vcc
	v_mul_f32_e32 v2, v2, v2
	s_mov_b32 s2, 0xc11de9e7
	v_div_scale_f32 v3, s[0:1], v2, v2, s2
	v_div_scale_f32 v5, vcc, s2, v2, s2
	v_sub_f32_e32 v1, 1.0, v1
	v_rcp_f32_e32 v6, v3
	v_fma_f32 v7, -v3, v6, 1.0
	v_fmac_f32_e32 v6, v7, v6
	v_mul_f32_e32 v7, v5, v6
	v_fma_f32 v8, -v3, v7, v5
	v_fmac_f32_e32 v7, v8, v6
	v_fma_f32 v3, -v3, v7, v5
	v_div_fmas_f32 v3, v3, v6, v7
	v_div_fixup_f32 v2, v3, v2, s2
	v_add_f32_e32 v3, 0, v2
	v_mov_b32_e32 v2, -1.0
.LBB55_112:
	s_or_b64 exec, exec, s[6:7]
	v_mul_f32_e32 v5, v1, v1
	v_div_scale_f32 v7, s[0:1], v5, v5, 1.0
	v_add_f32_e32 v6, 1.0, v1
	v_mul_f32_e32 v1, v6, v6
	v_div_scale_f32 v9, s[0:1], v1, v1, 1.0
	v_div_scale_f32 v8, vcc, 1.0, v5, 1.0
	v_add_f32_e32 v10, 1.0, v6
	v_div_scale_f32 v11, s[0:1], 1.0, v1, 1.0
	v_mul_f32_e32 v6, v10, v10
	v_div_scale_f32 v12, s[2:3], v6, v6, 1.0
	v_div_scale_f32 v15, s[2:3], 1.0, v6, 1.0
	v_rcp_f32_e32 v13, v7
	v_add_f32_e32 v10, 1.0, v10
	v_add_u32_e32 v4, 0x80, v4
	v_rcp_f32_e32 v14, v9
	v_fma_f32 v16, -v7, v13, 1.0
	v_fmac_f32_e32 v13, v16, v13
	v_mul_f32_e32 v17, v8, v13
	v_fma_f32 v18, -v7, v17, v8
	v_fma_f32 v16, -v9, v14, 1.0
	v_fmac_f32_e32 v17, v18, v13
	v_fma_f32 v7, -v7, v17, v8
	v_fmac_f32_e32 v14, v16, v14
	v_div_fmas_f32 v7, v7, v13, v17
	v_mul_f32_e32 v13, v11, v14
	v_fma_f32 v8, -v9, v13, v11
	v_rcp_f32_e32 v16, v12
	v_fmac_f32_e32 v13, v8, v14
	v_mul_f32_e32 v8, v10, v10
	v_div_scale_f32 v17, s[4:5], v8, v8, 1.0
	v_fma_f32 v9, -v9, v13, v11
	v_fma_f32 v11, -v12, v16, 1.0
	v_fmac_f32_e32 v16, v11, v16
	s_mov_b64 vcc, s[0:1]
	v_mul_f32_e32 v11, v15, v16
	v_div_fmas_f32 v9, v9, v14, v13
	v_fma_f32 v13, -v12, v11, v15
	v_fmac_f32_e32 v11, v13, v16
	v_div_scale_f32 v13, s[0:1], 1.0, v8, 1.0
	v_add_f32_e32 v14, 1.0, v10
	v_mul_f32_e32 v10, v14, v14
	v_div_scale_f32 v18, s[4:5], v10, v10, 1.0
	v_fma_f32 v12, -v12, v11, v15
	s_mov_b64 vcc, s[2:3]
	v_div_fmas_f32 v11, v12, v16, v11
	v_div_scale_f32 v12, s[2:3], 1.0, v10, 1.0
	v_rcp_f32_e32 v15, v17
	v_add_f32_e32 v14, 1.0, v14
	v_mul_f32_e32 v19, v14, v14
	v_div_scale_f32 v20, s[4:5], v19, v19, 1.0
	v_fma_f32 v16, -v17, v15, 1.0
	v_fmac_f32_e32 v15, v16, v15
	v_mul_f32_e32 v16, v13, v15
	v_fma_f32 v21, -v17, v16, v13
	v_fmac_f32_e32 v16, v21, v15
	v_rcp_f32_e32 v21, v18
	v_fma_f32 v13, -v17, v16, v13
	s_mov_b64 vcc, s[0:1]
	v_div_fmas_f32 v13, v13, v15, v16
	v_fma_f32 v15, -v18, v21, 1.0
	v_fmac_f32_e32 v21, v15, v21
	v_mul_f32_e32 v15, v12, v21
	v_fma_f32 v16, -v18, v15, v12
	v_fmac_f32_e32 v15, v16, v21
	v_div_scale_f32 v16, s[0:1], 1.0, v19, 1.0
	v_add_f32_e32 v14, 1.0, v14
	v_mul_f32_e32 v22, v14, v14
	v_div_scale_f32 v23, s[4:5], v22, v22, 1.0
	v_rcp_f32_e32 v17, v20
	v_fma_f32 v12, -v18, v15, v12
	s_mov_b64 vcc, s[2:3]
	v_div_scale_f32 v18, s[2:3], 1.0, v22, 1.0
	v_div_fmas_f32 v12, v12, v21, v15
	v_add_f32_e32 v21, v14, v14
	v_div_scale_f32 v24, s[4:5], v21, v21, 1.0
	v_fma_f32 v15, -v20, v17, 1.0
	v_fmac_f32_e32 v17, v15, v17
	v_mul_f32_e32 v15, v16, v17
	v_fma_f32 v25, -v20, v15, v16
	v_fmac_f32_e32 v15, v25, v17
	v_div_scale_f32 v25, s[4:5], 1.0, v21, 1.0
	v_rcp_f32_e32 v26, v23
	v_fma_f32 v16, -v20, v15, v16
	s_mov_b64 vcc, s[0:1]
	v_div_fmas_f32 v15, v16, v17, v15
	v_fma_f32 v16, -v23, v26, 1.0
	v_fmac_f32_e32 v26, v16, v26
	v_mul_f32_e32 v16, v18, v26
	v_fma_f32 v17, -v23, v16, v18
	v_fmac_f32_e32 v16, v17, v26
	v_rcp_f32_e32 v17, v24
	v_fma_f32 v18, -v23, v16, v18
	s_mov_b64 vcc, s[2:3]
	v_div_fmas_f32 v16, v18, v26, v16
	v_fma_f32 v18, -v24, v17, 1.0
	v_fmac_f32_e32 v17, v18, v17
	v_mul_f32_e32 v18, v25, v17
	v_fma_f32 v20, -v24, v18, v25
	v_fmac_f32_e32 v18, v20, v17
	v_fma_f32 v20, -v24, v18, v25
	s_mov_b64 vcc, s[4:5]
	v_div_fmas_f32 v17, v20, v17, v18
	v_mov_b32_e32 v18, 0x3d088889
	s_mov_b32 s0, 0x3e2aaaab
	v_div_fixup_f32 v5, v7, v5, 1.0
	v_add_f32_e32 v3, v3, v5
	v_div_fixup_f32 v1, v9, v1, 1.0
	v_add_f32_e32 v1, v3, v1
	v_div_fixup_f32 v3, v11, v6, 1.0
	v_div_fixup_f32 v16, v16, v22, 1.0
	v_fmac_f32_e32 v18, 0xbcc30c31, v16
	v_fma_f32 v18, -v16, v18, s0
	v_add_f32_e32 v1, v1, v3
	v_div_fixup_f32 v3, v13, v8, 1.0
	v_add_f32_e32 v1, v1, v3
	v_div_fixup_f32 v3, v12, v10, 1.0
	;; [unrolled: 2-line block ×3, first 2 shown]
	v_add_f32_e32 v17, 1.0, v17
	v_fmac_f32_e32 v17, v16, v18
	v_div_scale_f32 v16, s[0:1], v14, v14, v17
	v_div_scale_f32 v18, vcc, v17, v14, v17
	v_div_fixup_f32 v3, v15, v19, 1.0
	v_add_f32_e32 v1, v1, v3
	v_rcp_f32_e32 v20, v16
	v_fma_f32 v21, -v16, v20, 1.0
	v_fmac_f32_e32 v20, v21, v20
	v_mul_f32_e32 v21, v18, v20
	v_fma_f32 v22, -v16, v21, v18
	v_fmac_f32_e32 v21, v22, v20
	v_fma_f32 v16, -v16, v21, v18
	v_div_fmas_f32 v16, v16, v20, v21
	v_div_fixup_f32 v3, v16, v14, v17
	v_add_f32_e32 v1, v1, v3
	v_mul_f32_e32 v1, v2, v1
	global_store_dword v0, v1, s[16:17]
	s_or_b64 exec, exec, s[48:49]
	v_cmp_gt_i32_e32 vcc, s55, v4
	s_and_saveexec_b64 s[48:49], vcc
	s_cbranch_execnz .LBB55_15
.LBB55_113:
	s_or_b64 exec, exec, s[48:49]
	v_cmp_gt_i32_e32 vcc, s55, v4
	s_and_saveexec_b64 s[48:49], vcc
	s_cbranch_execz .LBB55_135
.LBB55_114:
	s_andn2_b64 vcc, exec, s[36:37]
	s_cbranch_vccnz .LBB55_119
; %bb.115:
	s_andn2_b64 vcc, exec, s[46:47]
	s_cbranch_vccnz .LBB55_120
; %bb.116:
	s_add_i32 s58, s56, 1
	s_cmp_eq_u32 s54, 2
	s_cbranch_scc1 .LBB55_138
; %bb.117:
	s_and_b32 s57, s58, 28
	v_mov_b32_e32 v2, 0
	s_mov_b32 s59, 0
	s_mov_b64 s[50:51], s[34:35]
	s_mov_b64 s[52:53], s[44:45]
	v_mov_b32_e32 v0, 0
	v_mov_b32_e32 v1, v4
.LBB55_118:                             ; =>This Inner Loop Header: Depth=1
	s_load_dwordx8 s[8:15], s[50:51], 0x4
	s_load_dwordx4 s[28:31], s[50:51], 0x24
	s_load_dwordx8 s[0:7], s[52:53], 0x0
	s_add_u32 s50, s50, 48
	s_addc_u32 s51, s51, 0
	s_waitcnt lgkmcnt(0)
	v_mul_hi_u32 v3, s9, v1
	s_add_i32 s59, s59, 4
	s_add_u32 s52, s52, 32
	s_addc_u32 s53, s53, 0
	v_add_u32_e32 v3, v1, v3
	v_lshrrev_b32_e32 v3, s10, v3
	v_mul_lo_u32 v5, v3, s8
	v_mul_hi_u32 v6, s12, v3
	s_cmp_eq_u32 s57, s59
	v_sub_u32_e32 v1, v1, v5
	v_add_u32_e32 v5, v3, v6
	v_mul_lo_u32 v6, v1, s0
	v_mul_lo_u32 v7, v1, s1
	v_lshrrev_b32_e32 v1, s13, v5
	v_mul_lo_u32 v5, v1, s11
	v_mul_hi_u32 v8, s15, v1
	v_sub_u32_e32 v3, v3, v5
	v_add_u32_e32 v5, v1, v8
	v_lshrrev_b32_e32 v5, s28, v5
	v_mul_hi_u32 v9, s30, v5
	v_mul_lo_u32 v10, v5, s14
	v_mul_lo_u32 v8, v3, s2
	v_mul_lo_u32 v3, v3, s3
	v_sub_u32_e32 v10, v1, v10
	v_add_u32_e32 v1, v5, v9
	v_lshrrev_b32_e32 v1, s31, v1
	v_mul_lo_u32 v9, v1, s29
	v_mul_lo_u32 v11, v10, s4
	;; [unrolled: 1-line block ×3, first 2 shown]
	v_add3_u32 v0, v6, v0, v8
	v_sub_u32_e32 v5, v5, v9
	v_mul_lo_u32 v9, v5, s6
	v_mul_lo_u32 v5, v5, s7
	v_add3_u32 v2, v7, v2, v3
	v_add3_u32 v0, v11, v0, v9
	;; [unrolled: 1-line block ×3, first 2 shown]
	s_cbranch_scc0 .LBB55_118
	s_branch .LBB55_139
.LBB55_119:
                                        ; implicit-def: $vgpr0
                                        ; implicit-def: $vgpr2
	s_branch .LBB55_143
.LBB55_120:
	v_mov_b32_e32 v0, 0
	v_mov_b32_e32 v2, 0
	s_branch .LBB55_142
.LBB55_121:
	s_mov_b32 s57, 0
	v_mov_b32_e32 v0, 0
	v_mov_b32_e32 v2, 0
	;; [unrolled: 1-line block ×3, first 2 shown]
.LBB55_122:
	s_and_b32 s4, s58, 3
	s_cmp_eq_u32 s4, 0
	s_cbranch_scc1 .LBB55_125
; %bb.123:
	s_lshl_b32 s0, s57, 3
	s_add_u32 s0, s34, s0
	s_addc_u32 s1, s35, 0
	s_add_u32 s0, s0, 0xc4
	s_addc_u32 s1, s1, 0
	s_mul_i32 s2, s57, 12
	s_add_u32 s2, s34, s2
	s_addc_u32 s3, s35, 0
.LBB55_124:                             ; =>This Inner Loop Header: Depth=1
	s_load_dwordx2 s[6:7], s[2:3], 0x4
	s_load_dword s5, s[2:3], 0xc
	s_load_dwordx2 s[8:9], s[0:1], 0x0
	s_add_u32 s2, s2, 12
	s_addc_u32 s3, s3, 0
	s_waitcnt lgkmcnt(0)
	v_mul_hi_u32 v3, s7, v1
	s_add_u32 s0, s0, 8
	s_addc_u32 s1, s1, 0
	s_add_i32 s4, s4, -1
	v_add_u32_e32 v3, v1, v3
	v_lshrrev_b32_e32 v5, s5, v3
	v_mul_lo_u32 v3, v5, s6
	s_cmp_lg_u32 s4, 0
	v_sub_u32_e32 v3, v1, v3
	v_mad_u64_u32 v[0:1], s[6:7], v3, s8, v[0:1]
	v_mad_u64_u32 v[2:3], s[6:7], v3, s9, v[2:3]
	v_mov_b32_e32 v1, v5
	s_cbranch_scc1 .LBB55_124
.LBB55_125:
	s_cbranch_execnz .LBB55_128
.LBB55_126:
	s_waitcnt lgkmcnt(0)
	v_mul_hi_u32 v0, s25, v4
	s_andn2_b64 vcc, exec, s[42:43]
	v_add_u32_e32 v0, v4, v0
	v_lshrrev_b32_e32 v1, s26, v0
	v_mul_lo_u32 v0, v1, s24
	v_sub_u32_e32 v2, v4, v0
	v_mul_lo_u32 v0, v2, s20
	v_mul_lo_u32 v2, v2, s21
	s_cbranch_vccnz .LBB55_128
; %bb.127:
	v_mul_hi_u32 v3, s40, v1
	v_add_u32_e32 v3, v1, v3
	v_lshrrev_b32_e32 v3, s41, v3
	v_mul_lo_u32 v3, v3, s27
	v_sub_u32_e32 v3, v1, v3
	v_mad_u64_u32 v[0:1], s[0:1], v3, s22, v[0:1]
	v_mad_u64_u32 v[2:3], s[0:1], v3, s23, v[2:3]
.LBB55_128:
	s_waitcnt lgkmcnt(0)
	global_load_dword v1, v2, s[18:19]
	v_mov_b32_e32 v3, 0
	v_mov_b32_e32 v2, 1.0
	s_waitcnt vmcnt(0)
	v_cmp_gt_f32_e32 vcc, 0.5, v1
	s_and_saveexec_b64 s[6:7], vcc
	s_cbranch_execz .LBB55_134
; %bb.129:
	v_mul_f32_e32 v2, 0x40490fdb, v1
	s_brev_b32 s0, 18
	v_and_b32_e32 v3, 0x7fffffff, v2
	v_cmp_nlt_f32_e64 s[0:1], |v2|, s0
                                        ; implicit-def: $vgpr5
                                        ; implicit-def: $vgpr6
	s_and_saveexec_b64 s[2:3], s[0:1]
	s_xor_b64 s[8:9], exec, s[2:3]
	s_cbranch_execz .LBB55_131
; %bb.130:
	v_and_b32_e32 v5, 0x7fffff, v3
	v_or_b32_e32 v14, 0x800000, v5
	s_mov_b32 s0, 0xfe5163ab
	v_mad_u64_u32 v[5:6], s[0:1], v14, s0, 0
	v_mov_b32_e32 v7, 0
	s_mov_b32 s0, 0x3c439041
	v_mad_u64_u32 v[8:9], s[0:1], v14, s0, v[6:7]
	s_mov_b32 s0, 0xdb629599
	v_not_b32_e32 v13, 63
	v_mov_b32_e32 v6, v9
	v_mad_u64_u32 v[9:10], s[0:1], v14, s0, v[6:7]
	s_mov_b32 s0, 0xf534ddc0
	v_not_b32_e32 v16, 31
	v_mov_b32_e32 v6, v10
	v_mad_u64_u32 v[10:11], s[0:1], v14, s0, v[6:7]
	v_lshrrev_b32_e32 v6, 23, v3
	v_add_u32_e32 v15, 0xffffff88, v6
	v_mov_b32_e32 v6, v11
	s_mov_b32 s0, 0xfc2757d1
	v_mad_u64_u32 v[11:12], s[0:1], v14, s0, v[6:7]
	v_cmp_lt_u32_e32 vcc, 63, v15
	v_cndmask_b32_e32 v6, 0, v13, vcc
	v_add_u32_e32 v15, v6, v15
	v_mov_b32_e32 v6, v12
	s_mov_b32 s0, 0x4e441529
	v_mad_u64_u32 v[12:13], s[0:1], v14, s0, v[6:7]
	v_cmp_lt_u32_e64 s[0:1], 31, v15
	v_cndmask_b32_e64 v6, 0, v16, s[0:1]
	v_add_u32_e32 v15, v6, v15
	v_mov_b32_e32 v6, v13
	s_mov_b32 s2, 0xa2f9836e
	v_mad_u64_u32 v[6:7], s[2:3], v14, s2, v[6:7]
	v_cmp_lt_u32_e64 s[2:3], 31, v15
	v_cndmask_b32_e64 v13, 0, v16, s[2:3]
	v_cndmask_b32_e32 v14, v12, v10, vcc
	v_cndmask_b32_e32 v6, v6, v11, vcc
	;; [unrolled: 1-line block ×3, first 2 shown]
	v_add_u32_e32 v13, v13, v15
	v_cndmask_b32_e64 v15, v6, v14, s[0:1]
	v_cndmask_b32_e64 v6, v7, v6, s[0:1]
	v_cndmask_b32_e32 v7, v11, v9, vcc
	v_cndmask_b32_e64 v11, v14, v7, s[0:1]
	v_cndmask_b32_e64 v6, v6, v15, s[2:3]
	;; [unrolled: 1-line block ×3, first 2 shown]
	v_sub_u32_e32 v14, 32, v13
	v_alignbit_b32 v15, v6, v12, v14
	v_cmp_eq_u32_e64 s[4:5], 0, v13
	v_cndmask_b32_e64 v13, v15, v6, s[4:5]
	v_cndmask_b32_e32 v6, v10, v8, vcc
	v_cndmask_b32_e64 v7, v7, v6, s[0:1]
	v_cndmask_b32_e64 v8, v11, v7, s[2:3]
	v_alignbit_b32 v10, v12, v8, v14
	v_cndmask_b32_e32 v5, v9, v5, vcc
	v_cndmask_b32_e64 v10, v10, v12, s[4:5]
	v_bfe_u32 v15, v13, 29, 1
	v_cndmask_b32_e64 v5, v6, v5, s[0:1]
	v_alignbit_b32 v11, v13, v10, 30
	v_sub_u32_e32 v16, 0, v15
	v_cndmask_b32_e64 v5, v7, v5, s[2:3]
	v_xor_b32_e32 v11, v11, v16
	v_alignbit_b32 v6, v8, v5, v14
	v_cndmask_b32_e64 v6, v6, v8, s[4:5]
	v_ffbh_u32_e32 v8, v11
	v_alignbit_b32 v7, v10, v6, 30
	v_min_u32_e32 v8, 32, v8
	v_alignbit_b32 v5, v6, v5, 30
	v_xor_b32_e32 v7, v7, v16
	v_sub_u32_e32 v9, 31, v8
	v_xor_b32_e32 v5, v5, v16
	v_alignbit_b32 v10, v11, v7, v9
	v_alignbit_b32 v5, v7, v5, v9
	;; [unrolled: 1-line block ×3, first 2 shown]
	v_ffbh_u32_e32 v7, v6
	v_min_u32_e32 v7, 32, v7
	v_lshrrev_b32_e32 v12, 29, v13
	v_not_b32_e32 v9, v7
	v_alignbit_b32 v5, v6, v5, v9
	v_lshlrev_b32_e32 v6, 31, v12
	v_or_b32_e32 v9, 0x33000000, v6
	v_add_lshl_u32 v7, v7, v8, 23
	v_lshrrev_b32_e32 v5, 9, v5
	v_sub_u32_e32 v7, v9, v7
	v_or_b32_e32 v6, 0.5, v6
	v_lshlrev_b32_e32 v8, 23, v8
	v_or_b32_e32 v5, v7, v5
	v_lshrrev_b32_e32 v7, 9, v10
	v_sub_u32_e32 v6, v6, v8
	v_or_b32_e32 v6, v7, v6
	s_mov_b32 s0, 0x3fc90fda
	v_mul_f32_e32 v7, 0x3fc90fda, v6
	v_fma_f32 v8, v6, s0, -v7
	v_fmac_f32_e32 v8, 0x33a22168, v6
	v_fmac_f32_e32 v8, 0x3fc90fda, v5
	v_lshrrev_b32_e32 v5, 30, v13
	v_add_f32_e32 v6, v7, v8
	v_add_u32_e32 v5, v15, v5
.LBB55_131:
	s_andn2_saveexec_b64 s[0:1], s[8:9]
	s_cbranch_execz .LBB55_133
; %bb.132:
	s_mov_b32 s2, 0x3f22f983
	v_mul_f32_e64 v5, |v2|, s2
	v_rndne_f32_e32 v7, v5
	s_mov_b32 s2, 0xbfc90fda
	v_cvt_i32_f32_e32 v5, v7
	v_fma_f32 v6, v7, s2, |v2|
	v_fmac_f32_e32 v6, 0xb3a22168, v7
	v_fmac_f32_e32 v6, 0xa7c234c4, v7
.LBB55_133:
	s_or_b64 exec, exec, s[0:1]
	v_mul_f32_e32 v7, v6, v6
	v_mov_b32_e32 v8, 0x3c0881c4
	v_fmac_f32_e32 v8, 0xb94c1982, v7
	v_mov_b32_e32 v9, 0xbe2aaa9d
	v_fmac_f32_e32 v9, v7, v8
	v_mul_f32_e32 v8, v7, v9
	v_fmac_f32_e32 v6, v6, v8
	v_mov_b32_e32 v8, 0xbab64f3b
	v_fmac_f32_e32 v8, 0x37d75334, v7
	v_mov_b32_e32 v9, 0x3d2aabf7
	;; [unrolled: 2-line block ×3, first 2 shown]
	v_fmac_f32_e32 v8, v7, v9
	v_fma_f32 v7, v7, v8, 1.0
	v_and_b32_e32 v8, 1, v5
	v_lshlrev_b32_e32 v5, 30, v5
	v_cmp_eq_u32_e32 vcc, 0, v8
	v_and_b32_e32 v5, 0x80000000, v5
	v_xor_b32_e32 v3, v3, v2
	v_cndmask_b32_e32 v6, v7, v6, vcc
	v_xor_b32_e32 v3, v3, v5
	s_movk_i32 s0, 0x1f8
	v_xor_b32_e32 v3, v3, v6
	v_mov_b32_e32 v5, 0x7fc00000
	v_cmp_class_f32_e64 vcc, v2, s0
	v_cndmask_b32_e32 v2, v5, v3, vcc
	v_mul_f32_e32 v2, v2, v2
	s_mov_b32 s2, 0xc11de9e7
	v_div_scale_f32 v3, s[0:1], v2, v2, s2
	v_div_scale_f32 v5, vcc, s2, v2, s2
	v_sub_f32_e32 v1, 1.0, v1
	v_rcp_f32_e32 v6, v3
	v_fma_f32 v7, -v3, v6, 1.0
	v_fmac_f32_e32 v6, v7, v6
	v_mul_f32_e32 v7, v5, v6
	v_fma_f32 v8, -v3, v7, v5
	v_fmac_f32_e32 v7, v8, v6
	v_fma_f32 v3, -v3, v7, v5
	v_div_fmas_f32 v3, v3, v6, v7
	v_div_fixup_f32 v2, v3, v2, s2
	v_add_f32_e32 v3, 0, v2
	v_mov_b32_e32 v2, -1.0
.LBB55_134:
	s_or_b64 exec, exec, s[6:7]
	v_mul_f32_e32 v5, v1, v1
	v_div_scale_f32 v7, s[0:1], v5, v5, 1.0
	v_add_f32_e32 v6, 1.0, v1
	v_mul_f32_e32 v1, v6, v6
	v_div_scale_f32 v9, s[0:1], v1, v1, 1.0
	v_div_scale_f32 v8, vcc, 1.0, v5, 1.0
	v_add_f32_e32 v10, 1.0, v6
	v_div_scale_f32 v11, s[0:1], 1.0, v1, 1.0
	v_mul_f32_e32 v6, v10, v10
	v_div_scale_f32 v12, s[2:3], v6, v6, 1.0
	v_div_scale_f32 v15, s[2:3], 1.0, v6, 1.0
	v_rcp_f32_e32 v13, v7
	v_add_f32_e32 v10, 1.0, v10
	v_add_u32_e32 v4, 0x80, v4
	v_rcp_f32_e32 v14, v9
	v_fma_f32 v16, -v7, v13, 1.0
	v_fmac_f32_e32 v13, v16, v13
	v_mul_f32_e32 v17, v8, v13
	v_fma_f32 v18, -v7, v17, v8
	v_fma_f32 v16, -v9, v14, 1.0
	v_fmac_f32_e32 v17, v18, v13
	v_fma_f32 v7, -v7, v17, v8
	v_fmac_f32_e32 v14, v16, v14
	v_div_fmas_f32 v7, v7, v13, v17
	v_mul_f32_e32 v13, v11, v14
	v_fma_f32 v8, -v9, v13, v11
	v_rcp_f32_e32 v16, v12
	v_fmac_f32_e32 v13, v8, v14
	v_mul_f32_e32 v8, v10, v10
	v_div_scale_f32 v17, s[4:5], v8, v8, 1.0
	v_fma_f32 v9, -v9, v13, v11
	v_fma_f32 v11, -v12, v16, 1.0
	v_fmac_f32_e32 v16, v11, v16
	s_mov_b64 vcc, s[0:1]
	v_mul_f32_e32 v11, v15, v16
	v_div_fmas_f32 v9, v9, v14, v13
	v_fma_f32 v13, -v12, v11, v15
	v_fmac_f32_e32 v11, v13, v16
	v_div_scale_f32 v13, s[0:1], 1.0, v8, 1.0
	v_add_f32_e32 v14, 1.0, v10
	v_mul_f32_e32 v10, v14, v14
	v_div_scale_f32 v18, s[4:5], v10, v10, 1.0
	v_fma_f32 v12, -v12, v11, v15
	s_mov_b64 vcc, s[2:3]
	v_div_fmas_f32 v11, v12, v16, v11
	v_div_scale_f32 v12, s[2:3], 1.0, v10, 1.0
	v_rcp_f32_e32 v15, v17
	v_add_f32_e32 v14, 1.0, v14
	v_mul_f32_e32 v19, v14, v14
	v_div_scale_f32 v20, s[4:5], v19, v19, 1.0
	v_fma_f32 v16, -v17, v15, 1.0
	v_fmac_f32_e32 v15, v16, v15
	v_mul_f32_e32 v16, v13, v15
	v_fma_f32 v21, -v17, v16, v13
	v_fmac_f32_e32 v16, v21, v15
	v_rcp_f32_e32 v21, v18
	v_fma_f32 v13, -v17, v16, v13
	s_mov_b64 vcc, s[0:1]
	v_div_fmas_f32 v13, v13, v15, v16
	v_fma_f32 v15, -v18, v21, 1.0
	v_fmac_f32_e32 v21, v15, v21
	v_mul_f32_e32 v15, v12, v21
	v_fma_f32 v16, -v18, v15, v12
	v_fmac_f32_e32 v15, v16, v21
	v_div_scale_f32 v16, s[0:1], 1.0, v19, 1.0
	v_add_f32_e32 v14, 1.0, v14
	v_mul_f32_e32 v22, v14, v14
	v_div_scale_f32 v23, s[4:5], v22, v22, 1.0
	v_rcp_f32_e32 v17, v20
	v_fma_f32 v12, -v18, v15, v12
	s_mov_b64 vcc, s[2:3]
	v_div_scale_f32 v18, s[2:3], 1.0, v22, 1.0
	v_div_fmas_f32 v12, v12, v21, v15
	v_add_f32_e32 v21, v14, v14
	v_div_scale_f32 v24, s[4:5], v21, v21, 1.0
	v_fma_f32 v15, -v20, v17, 1.0
	v_fmac_f32_e32 v17, v15, v17
	v_mul_f32_e32 v15, v16, v17
	v_fma_f32 v25, -v20, v15, v16
	v_fmac_f32_e32 v15, v25, v17
	v_div_scale_f32 v25, s[4:5], 1.0, v21, 1.0
	v_rcp_f32_e32 v26, v23
	v_fma_f32 v16, -v20, v15, v16
	s_mov_b64 vcc, s[0:1]
	v_div_fmas_f32 v15, v16, v17, v15
	v_fma_f32 v16, -v23, v26, 1.0
	v_fmac_f32_e32 v26, v16, v26
	v_mul_f32_e32 v16, v18, v26
	v_fma_f32 v17, -v23, v16, v18
	v_fmac_f32_e32 v16, v17, v26
	v_rcp_f32_e32 v17, v24
	v_fma_f32 v18, -v23, v16, v18
	s_mov_b64 vcc, s[2:3]
	v_div_fmas_f32 v16, v18, v26, v16
	v_fma_f32 v18, -v24, v17, 1.0
	v_fmac_f32_e32 v17, v18, v17
	v_mul_f32_e32 v18, v25, v17
	v_fma_f32 v20, -v24, v18, v25
	v_fmac_f32_e32 v18, v20, v17
	v_fma_f32 v20, -v24, v18, v25
	s_mov_b64 vcc, s[4:5]
	v_div_fmas_f32 v17, v20, v17, v18
	v_mov_b32_e32 v18, 0x3d088889
	s_mov_b32 s0, 0x3e2aaaab
	v_div_fixup_f32 v5, v7, v5, 1.0
	v_add_f32_e32 v3, v3, v5
	v_div_fixup_f32 v1, v9, v1, 1.0
	v_add_f32_e32 v1, v3, v1
	v_div_fixup_f32 v3, v11, v6, 1.0
	v_div_fixup_f32 v16, v16, v22, 1.0
	v_fmac_f32_e32 v18, 0xbcc30c31, v16
	v_fma_f32 v18, -v16, v18, s0
	v_add_f32_e32 v1, v1, v3
	v_div_fixup_f32 v3, v13, v8, 1.0
	v_add_f32_e32 v1, v1, v3
	v_div_fixup_f32 v3, v12, v10, 1.0
	v_add_f32_e32 v1, v1, v3
	v_div_fixup_f32 v17, v17, v21, 1.0
	v_add_f32_e32 v17, 1.0, v17
	v_fmac_f32_e32 v17, v16, v18
	v_div_scale_f32 v16, s[0:1], v14, v14, v17
	v_div_scale_f32 v18, vcc, v17, v14, v17
	v_div_fixup_f32 v3, v15, v19, 1.0
	v_add_f32_e32 v1, v1, v3
	v_rcp_f32_e32 v20, v16
	v_fma_f32 v21, -v16, v20, 1.0
	v_fmac_f32_e32 v20, v21, v20
	v_mul_f32_e32 v21, v18, v20
	v_fma_f32 v22, -v16, v21, v18
	v_fmac_f32_e32 v21, v22, v20
	v_fma_f32 v16, -v16, v21, v18
	v_div_fmas_f32 v16, v16, v20, v21
	v_div_fixup_f32 v3, v16, v14, v17
	v_add_f32_e32 v1, v1, v3
	v_mul_f32_e32 v1, v2, v1
	global_store_dword v0, v1, s[16:17]
	s_or_b64 exec, exec, s[48:49]
	v_cmp_gt_i32_e32 vcc, s55, v4
	s_and_saveexec_b64 s[48:49], vcc
	s_cbranch_execnz .LBB55_114
.LBB55_135:
	s_or_b64 exec, exec, s[48:49]
	v_cmp_gt_i32_e32 vcc, s55, v4
	s_and_saveexec_b64 s[48:49], vcc
	s_cbranch_execnz .LBB55_152
.LBB55_136:
	s_or_b64 exec, exec, s[48:49]
                                        ; implicit-def: $vgpr10
                                        ; implicit-def: $vgpr4
	s_andn2_saveexec_b64 s[0:1], s[38:39]
	s_cbranch_execnz .LBB55_8
.LBB55_137:
	s_endpgm
.LBB55_138:
	s_mov_b32 s57, 0
	v_mov_b32_e32 v0, 0
	v_mov_b32_e32 v2, 0
	;; [unrolled: 1-line block ×3, first 2 shown]
.LBB55_139:
	s_and_b32 s4, s58, 3
	s_cmp_eq_u32 s4, 0
	s_cbranch_scc1 .LBB55_142
; %bb.140:
	s_lshl_b32 s0, s57, 3
	s_add_u32 s0, s34, s0
	s_addc_u32 s1, s35, 0
	s_add_u32 s0, s0, 0xc4
	s_addc_u32 s1, s1, 0
	s_mul_i32 s2, s57, 12
	s_add_u32 s2, s34, s2
	s_addc_u32 s3, s35, 0
.LBB55_141:                             ; =>This Inner Loop Header: Depth=1
	s_load_dwordx2 s[6:7], s[2:3], 0x4
	s_load_dword s5, s[2:3], 0xc
	s_load_dwordx2 s[8:9], s[0:1], 0x0
	s_add_u32 s2, s2, 12
	s_addc_u32 s3, s3, 0
	s_waitcnt lgkmcnt(0)
	v_mul_hi_u32 v3, s7, v1
	s_add_u32 s0, s0, 8
	s_addc_u32 s1, s1, 0
	s_add_i32 s4, s4, -1
	v_add_u32_e32 v3, v1, v3
	v_lshrrev_b32_e32 v5, s5, v3
	v_mul_lo_u32 v3, v5, s6
	s_cmp_lg_u32 s4, 0
	v_sub_u32_e32 v3, v1, v3
	v_mad_u64_u32 v[0:1], s[6:7], v3, s8, v[0:1]
	v_mad_u64_u32 v[2:3], s[6:7], v3, s9, v[2:3]
	v_mov_b32_e32 v1, v5
	s_cbranch_scc1 .LBB55_141
.LBB55_142:
	s_cbranch_execnz .LBB55_145
.LBB55_143:
	s_waitcnt lgkmcnt(0)
	v_mul_hi_u32 v0, s25, v4
	s_andn2_b64 vcc, exec, s[42:43]
	v_add_u32_e32 v0, v4, v0
	v_lshrrev_b32_e32 v1, s26, v0
	v_mul_lo_u32 v0, v1, s24
	v_sub_u32_e32 v2, v4, v0
	v_mul_lo_u32 v0, v2, s20
	v_mul_lo_u32 v2, v2, s21
	s_cbranch_vccnz .LBB55_145
; %bb.144:
	v_mul_hi_u32 v3, s40, v1
	v_add_u32_e32 v3, v1, v3
	v_lshrrev_b32_e32 v3, s41, v3
	v_mul_lo_u32 v3, v3, s27
	v_sub_u32_e32 v3, v1, v3
	v_mad_u64_u32 v[0:1], s[0:1], v3, s22, v[0:1]
	v_mad_u64_u32 v[2:3], s[0:1], v3, s23, v[2:3]
.LBB55_145:
	s_waitcnt lgkmcnt(0)
	global_load_dword v1, v2, s[18:19]
	v_mov_b32_e32 v3, 0
	v_mov_b32_e32 v2, 1.0
	s_waitcnt vmcnt(0)
	v_cmp_gt_f32_e32 vcc, 0.5, v1
	s_and_saveexec_b64 s[6:7], vcc
	s_cbranch_execz .LBB55_151
; %bb.146:
	v_mul_f32_e32 v2, 0x40490fdb, v1
	s_brev_b32 s0, 18
	v_and_b32_e32 v3, 0x7fffffff, v2
	v_cmp_nlt_f32_e64 s[0:1], |v2|, s0
                                        ; implicit-def: $vgpr5
                                        ; implicit-def: $vgpr6
	s_and_saveexec_b64 s[2:3], s[0:1]
	s_xor_b64 s[8:9], exec, s[2:3]
	s_cbranch_execz .LBB55_148
; %bb.147:
	v_and_b32_e32 v5, 0x7fffff, v3
	v_or_b32_e32 v14, 0x800000, v5
	s_mov_b32 s0, 0xfe5163ab
	v_mad_u64_u32 v[5:6], s[0:1], v14, s0, 0
	v_mov_b32_e32 v7, 0
	s_mov_b32 s0, 0x3c439041
	v_mad_u64_u32 v[8:9], s[0:1], v14, s0, v[6:7]
	s_mov_b32 s0, 0xdb629599
	v_not_b32_e32 v13, 63
	v_mov_b32_e32 v6, v9
	v_mad_u64_u32 v[9:10], s[0:1], v14, s0, v[6:7]
	s_mov_b32 s0, 0xf534ddc0
	v_not_b32_e32 v16, 31
	v_mov_b32_e32 v6, v10
	v_mad_u64_u32 v[10:11], s[0:1], v14, s0, v[6:7]
	v_lshrrev_b32_e32 v6, 23, v3
	v_add_u32_e32 v15, 0xffffff88, v6
	v_mov_b32_e32 v6, v11
	s_mov_b32 s0, 0xfc2757d1
	v_mad_u64_u32 v[11:12], s[0:1], v14, s0, v[6:7]
	v_cmp_lt_u32_e32 vcc, 63, v15
	v_cndmask_b32_e32 v6, 0, v13, vcc
	v_add_u32_e32 v15, v6, v15
	v_mov_b32_e32 v6, v12
	s_mov_b32 s0, 0x4e441529
	v_mad_u64_u32 v[12:13], s[0:1], v14, s0, v[6:7]
	v_cmp_lt_u32_e64 s[0:1], 31, v15
	v_cndmask_b32_e64 v6, 0, v16, s[0:1]
	v_add_u32_e32 v15, v6, v15
	v_mov_b32_e32 v6, v13
	s_mov_b32 s2, 0xa2f9836e
	v_mad_u64_u32 v[6:7], s[2:3], v14, s2, v[6:7]
	v_cmp_lt_u32_e64 s[2:3], 31, v15
	v_cndmask_b32_e64 v13, 0, v16, s[2:3]
	v_cndmask_b32_e32 v14, v12, v10, vcc
	v_cndmask_b32_e32 v6, v6, v11, vcc
	;; [unrolled: 1-line block ×3, first 2 shown]
	v_add_u32_e32 v13, v13, v15
	v_cndmask_b32_e64 v15, v6, v14, s[0:1]
	v_cndmask_b32_e64 v6, v7, v6, s[0:1]
	v_cndmask_b32_e32 v7, v11, v9, vcc
	v_cndmask_b32_e64 v11, v14, v7, s[0:1]
	v_cndmask_b32_e64 v6, v6, v15, s[2:3]
	;; [unrolled: 1-line block ×3, first 2 shown]
	v_sub_u32_e32 v14, 32, v13
	v_alignbit_b32 v15, v6, v12, v14
	v_cmp_eq_u32_e64 s[4:5], 0, v13
	v_cndmask_b32_e64 v13, v15, v6, s[4:5]
	v_cndmask_b32_e32 v6, v10, v8, vcc
	v_cndmask_b32_e64 v7, v7, v6, s[0:1]
	v_cndmask_b32_e64 v8, v11, v7, s[2:3]
	v_alignbit_b32 v10, v12, v8, v14
	v_cndmask_b32_e32 v5, v9, v5, vcc
	v_cndmask_b32_e64 v10, v10, v12, s[4:5]
	v_bfe_u32 v15, v13, 29, 1
	v_cndmask_b32_e64 v5, v6, v5, s[0:1]
	v_alignbit_b32 v11, v13, v10, 30
	v_sub_u32_e32 v16, 0, v15
	v_cndmask_b32_e64 v5, v7, v5, s[2:3]
	v_xor_b32_e32 v11, v11, v16
	v_alignbit_b32 v6, v8, v5, v14
	v_cndmask_b32_e64 v6, v6, v8, s[4:5]
	v_ffbh_u32_e32 v8, v11
	v_alignbit_b32 v7, v10, v6, 30
	v_min_u32_e32 v8, 32, v8
	v_alignbit_b32 v5, v6, v5, 30
	v_xor_b32_e32 v7, v7, v16
	v_sub_u32_e32 v9, 31, v8
	v_xor_b32_e32 v5, v5, v16
	v_alignbit_b32 v10, v11, v7, v9
	v_alignbit_b32 v5, v7, v5, v9
	;; [unrolled: 1-line block ×3, first 2 shown]
	v_ffbh_u32_e32 v7, v6
	v_min_u32_e32 v7, 32, v7
	v_lshrrev_b32_e32 v12, 29, v13
	v_not_b32_e32 v9, v7
	v_alignbit_b32 v5, v6, v5, v9
	v_lshlrev_b32_e32 v6, 31, v12
	v_or_b32_e32 v9, 0x33000000, v6
	v_add_lshl_u32 v7, v7, v8, 23
	v_lshrrev_b32_e32 v5, 9, v5
	v_sub_u32_e32 v7, v9, v7
	v_or_b32_e32 v6, 0.5, v6
	v_lshlrev_b32_e32 v8, 23, v8
	v_or_b32_e32 v5, v7, v5
	v_lshrrev_b32_e32 v7, 9, v10
	v_sub_u32_e32 v6, v6, v8
	v_or_b32_e32 v6, v7, v6
	s_mov_b32 s0, 0x3fc90fda
	v_mul_f32_e32 v7, 0x3fc90fda, v6
	v_fma_f32 v8, v6, s0, -v7
	v_fmac_f32_e32 v8, 0x33a22168, v6
	v_fmac_f32_e32 v8, 0x3fc90fda, v5
	v_lshrrev_b32_e32 v5, 30, v13
	v_add_f32_e32 v6, v7, v8
	v_add_u32_e32 v5, v15, v5
.LBB55_148:
	s_andn2_saveexec_b64 s[0:1], s[8:9]
	s_cbranch_execz .LBB55_150
; %bb.149:
	s_mov_b32 s2, 0x3f22f983
	v_mul_f32_e64 v5, |v2|, s2
	v_rndne_f32_e32 v7, v5
	s_mov_b32 s2, 0xbfc90fda
	v_cvt_i32_f32_e32 v5, v7
	v_fma_f32 v6, v7, s2, |v2|
	v_fmac_f32_e32 v6, 0xb3a22168, v7
	v_fmac_f32_e32 v6, 0xa7c234c4, v7
.LBB55_150:
	s_or_b64 exec, exec, s[0:1]
	v_mul_f32_e32 v7, v6, v6
	v_mov_b32_e32 v8, 0x3c0881c4
	v_fmac_f32_e32 v8, 0xb94c1982, v7
	v_mov_b32_e32 v9, 0xbe2aaa9d
	v_fmac_f32_e32 v9, v7, v8
	v_mul_f32_e32 v8, v7, v9
	v_fmac_f32_e32 v6, v6, v8
	v_mov_b32_e32 v8, 0xbab64f3b
	v_fmac_f32_e32 v8, 0x37d75334, v7
	v_mov_b32_e32 v9, 0x3d2aabf7
	;; [unrolled: 2-line block ×3, first 2 shown]
	v_fmac_f32_e32 v8, v7, v9
	v_fma_f32 v7, v7, v8, 1.0
	v_and_b32_e32 v8, 1, v5
	v_lshlrev_b32_e32 v5, 30, v5
	v_cmp_eq_u32_e32 vcc, 0, v8
	v_and_b32_e32 v5, 0x80000000, v5
	v_xor_b32_e32 v3, v3, v2
	v_cndmask_b32_e32 v6, v7, v6, vcc
	v_xor_b32_e32 v3, v3, v5
	s_movk_i32 s0, 0x1f8
	v_xor_b32_e32 v3, v3, v6
	v_mov_b32_e32 v5, 0x7fc00000
	v_cmp_class_f32_e64 vcc, v2, s0
	v_cndmask_b32_e32 v2, v5, v3, vcc
	v_mul_f32_e32 v2, v2, v2
	s_mov_b32 s2, 0xc11de9e7
	v_div_scale_f32 v3, s[0:1], v2, v2, s2
	v_div_scale_f32 v5, vcc, s2, v2, s2
	v_sub_f32_e32 v1, 1.0, v1
	v_rcp_f32_e32 v6, v3
	v_fma_f32 v7, -v3, v6, 1.0
	v_fmac_f32_e32 v6, v7, v6
	v_mul_f32_e32 v7, v5, v6
	v_fma_f32 v8, -v3, v7, v5
	v_fmac_f32_e32 v7, v8, v6
	v_fma_f32 v3, -v3, v7, v5
	v_div_fmas_f32 v3, v3, v6, v7
	v_div_fixup_f32 v2, v3, v2, s2
	v_add_f32_e32 v3, 0, v2
	v_mov_b32_e32 v2, -1.0
.LBB55_151:
	s_or_b64 exec, exec, s[6:7]
	v_mul_f32_e32 v5, v1, v1
	v_div_scale_f32 v7, s[0:1], v5, v5, 1.0
	v_add_f32_e32 v6, 1.0, v1
	v_mul_f32_e32 v1, v6, v6
	v_div_scale_f32 v9, s[0:1], v1, v1, 1.0
	v_div_scale_f32 v8, vcc, 1.0, v5, 1.0
	v_add_f32_e32 v10, 1.0, v6
	v_div_scale_f32 v11, s[0:1], 1.0, v1, 1.0
	v_mul_f32_e32 v6, v10, v10
	v_div_scale_f32 v12, s[2:3], v6, v6, 1.0
	v_div_scale_f32 v15, s[2:3], 1.0, v6, 1.0
	v_rcp_f32_e32 v13, v7
	v_add_f32_e32 v10, 1.0, v10
	v_add_u32_e32 v4, 0x80, v4
	v_rcp_f32_e32 v14, v9
	v_fma_f32 v16, -v7, v13, 1.0
	v_fmac_f32_e32 v13, v16, v13
	v_mul_f32_e32 v17, v8, v13
	v_fma_f32 v18, -v7, v17, v8
	v_fma_f32 v16, -v9, v14, 1.0
	v_fmac_f32_e32 v17, v18, v13
	v_fma_f32 v7, -v7, v17, v8
	v_fmac_f32_e32 v14, v16, v14
	v_div_fmas_f32 v7, v7, v13, v17
	v_mul_f32_e32 v13, v11, v14
	v_fma_f32 v8, -v9, v13, v11
	v_rcp_f32_e32 v16, v12
	v_fmac_f32_e32 v13, v8, v14
	v_mul_f32_e32 v8, v10, v10
	v_div_scale_f32 v17, s[4:5], v8, v8, 1.0
	v_fma_f32 v9, -v9, v13, v11
	v_fma_f32 v11, -v12, v16, 1.0
	v_fmac_f32_e32 v16, v11, v16
	s_mov_b64 vcc, s[0:1]
	v_mul_f32_e32 v11, v15, v16
	v_div_fmas_f32 v9, v9, v14, v13
	v_fma_f32 v13, -v12, v11, v15
	v_fmac_f32_e32 v11, v13, v16
	v_div_scale_f32 v13, s[0:1], 1.0, v8, 1.0
	v_add_f32_e32 v14, 1.0, v10
	v_mul_f32_e32 v10, v14, v14
	v_div_scale_f32 v18, s[4:5], v10, v10, 1.0
	v_fma_f32 v12, -v12, v11, v15
	s_mov_b64 vcc, s[2:3]
	v_div_fmas_f32 v11, v12, v16, v11
	v_div_scale_f32 v12, s[2:3], 1.0, v10, 1.0
	v_rcp_f32_e32 v15, v17
	v_add_f32_e32 v14, 1.0, v14
	v_mul_f32_e32 v19, v14, v14
	v_div_scale_f32 v20, s[4:5], v19, v19, 1.0
	v_fma_f32 v16, -v17, v15, 1.0
	v_fmac_f32_e32 v15, v16, v15
	v_mul_f32_e32 v16, v13, v15
	v_fma_f32 v21, -v17, v16, v13
	v_fmac_f32_e32 v16, v21, v15
	v_rcp_f32_e32 v21, v18
	v_fma_f32 v13, -v17, v16, v13
	s_mov_b64 vcc, s[0:1]
	v_div_fmas_f32 v13, v13, v15, v16
	v_fma_f32 v15, -v18, v21, 1.0
	v_fmac_f32_e32 v21, v15, v21
	v_mul_f32_e32 v15, v12, v21
	v_fma_f32 v16, -v18, v15, v12
	v_fmac_f32_e32 v15, v16, v21
	v_div_scale_f32 v16, s[0:1], 1.0, v19, 1.0
	v_add_f32_e32 v14, 1.0, v14
	v_mul_f32_e32 v22, v14, v14
	v_div_scale_f32 v23, s[4:5], v22, v22, 1.0
	v_rcp_f32_e32 v17, v20
	v_fma_f32 v12, -v18, v15, v12
	s_mov_b64 vcc, s[2:3]
	v_div_scale_f32 v18, s[2:3], 1.0, v22, 1.0
	v_div_fmas_f32 v12, v12, v21, v15
	v_add_f32_e32 v21, v14, v14
	v_div_scale_f32 v24, s[4:5], v21, v21, 1.0
	v_fma_f32 v15, -v20, v17, 1.0
	v_fmac_f32_e32 v17, v15, v17
	v_mul_f32_e32 v15, v16, v17
	v_fma_f32 v25, -v20, v15, v16
	v_fmac_f32_e32 v15, v25, v17
	v_div_scale_f32 v25, s[4:5], 1.0, v21, 1.0
	v_rcp_f32_e32 v26, v23
	v_fma_f32 v16, -v20, v15, v16
	s_mov_b64 vcc, s[0:1]
	v_div_fmas_f32 v15, v16, v17, v15
	v_fma_f32 v16, -v23, v26, 1.0
	v_fmac_f32_e32 v26, v16, v26
	v_mul_f32_e32 v16, v18, v26
	v_fma_f32 v17, -v23, v16, v18
	v_fmac_f32_e32 v16, v17, v26
	v_rcp_f32_e32 v17, v24
	v_fma_f32 v18, -v23, v16, v18
	s_mov_b64 vcc, s[2:3]
	v_div_fmas_f32 v16, v18, v26, v16
	v_fma_f32 v18, -v24, v17, 1.0
	v_fmac_f32_e32 v17, v18, v17
	v_mul_f32_e32 v18, v25, v17
	v_fma_f32 v20, -v24, v18, v25
	v_fmac_f32_e32 v18, v20, v17
	v_fma_f32 v20, -v24, v18, v25
	s_mov_b64 vcc, s[4:5]
	v_div_fmas_f32 v17, v20, v17, v18
	v_mov_b32_e32 v18, 0x3d088889
	s_mov_b32 s0, 0x3e2aaaab
	v_div_fixup_f32 v5, v7, v5, 1.0
	v_add_f32_e32 v3, v3, v5
	v_div_fixup_f32 v1, v9, v1, 1.0
	v_add_f32_e32 v1, v3, v1
	v_div_fixup_f32 v3, v11, v6, 1.0
	v_div_fixup_f32 v16, v16, v22, 1.0
	v_fmac_f32_e32 v18, 0xbcc30c31, v16
	v_fma_f32 v18, -v16, v18, s0
	v_add_f32_e32 v1, v1, v3
	v_div_fixup_f32 v3, v13, v8, 1.0
	v_add_f32_e32 v1, v1, v3
	v_div_fixup_f32 v3, v12, v10, 1.0
	;; [unrolled: 2-line block ×3, first 2 shown]
	v_add_f32_e32 v17, 1.0, v17
	v_fmac_f32_e32 v17, v16, v18
	v_div_scale_f32 v16, s[0:1], v14, v14, v17
	v_div_scale_f32 v18, vcc, v17, v14, v17
	v_div_fixup_f32 v3, v15, v19, 1.0
	v_add_f32_e32 v1, v1, v3
	v_rcp_f32_e32 v20, v16
	v_fma_f32 v21, -v16, v20, 1.0
	v_fmac_f32_e32 v20, v21, v20
	v_mul_f32_e32 v21, v18, v20
	v_fma_f32 v22, -v16, v21, v18
	v_fmac_f32_e32 v21, v22, v20
	v_fma_f32 v16, -v16, v21, v18
	v_div_fmas_f32 v16, v16, v20, v21
	v_div_fixup_f32 v3, v16, v14, v17
	v_add_f32_e32 v1, v1, v3
	v_mul_f32_e32 v1, v2, v1
	global_store_dword v0, v1, s[16:17]
	s_or_b64 exec, exec, s[48:49]
	v_cmp_gt_i32_e32 vcc, s55, v4
	s_and_saveexec_b64 s[48:49], vcc
	s_cbranch_execz .LBB55_136
.LBB55_152:
	s_andn2_b64 vcc, exec, s[36:37]
	s_cbranch_vccnz .LBB55_157
; %bb.153:
	s_andn2_b64 vcc, exec, s[46:47]
	s_cbranch_vccnz .LBB55_158
; %bb.154:
	s_add_i32 s56, s56, 1
	s_cmp_eq_u32 s54, 2
	s_cbranch_scc1 .LBB55_159
; %bb.155:
	s_and_b32 s50, s56, 28
	v_mov_b32_e32 v2, 0
	s_mov_b32 s51, 0
	s_mov_b64 s[46:47], s[34:35]
	v_mov_b32_e32 v0, 0
	v_mov_b32_e32 v1, v4
.LBB55_156:                             ; =>This Inner Loop Header: Depth=1
	s_load_dwordx8 s[8:15], s[46:47], 0x4
	s_load_dwordx4 s[28:31], s[46:47], 0x24
	s_load_dwordx8 s[0:7], s[44:45], 0x0
	s_add_u32 s46, s46, 48
	s_addc_u32 s47, s47, 0
	s_waitcnt lgkmcnt(0)
	v_mul_hi_u32 v3, s9, v1
	s_add_i32 s51, s51, 4
	s_add_u32 s44, s44, 32
	s_addc_u32 s45, s45, 0
	v_add_u32_e32 v3, v1, v3
	v_lshrrev_b32_e32 v3, s10, v3
	v_mul_lo_u32 v5, v3, s8
	v_mul_hi_u32 v6, s12, v3
	s_cmp_eq_u32 s50, s51
	v_sub_u32_e32 v1, v1, v5
	v_add_u32_e32 v5, v3, v6
	v_mul_lo_u32 v6, v1, s0
	v_mul_lo_u32 v7, v1, s1
	v_lshrrev_b32_e32 v1, s13, v5
	v_mul_lo_u32 v5, v1, s11
	v_mul_hi_u32 v8, s15, v1
	v_sub_u32_e32 v3, v3, v5
	v_add_u32_e32 v5, v1, v8
	v_lshrrev_b32_e32 v5, s28, v5
	v_mul_hi_u32 v9, s30, v5
	v_mul_lo_u32 v10, v5, s14
	v_mul_lo_u32 v8, v3, s2
	;; [unrolled: 1-line block ×3, first 2 shown]
	v_sub_u32_e32 v10, v1, v10
	v_add_u32_e32 v1, v5, v9
	v_lshrrev_b32_e32 v1, s31, v1
	v_mul_lo_u32 v9, v1, s29
	v_mul_lo_u32 v11, v10, s4
	;; [unrolled: 1-line block ×3, first 2 shown]
	v_add3_u32 v0, v6, v0, v8
	v_sub_u32_e32 v5, v5, v9
	v_mul_lo_u32 v9, v5, s6
	v_mul_lo_u32 v5, v5, s7
	v_add3_u32 v2, v7, v2, v3
	v_add3_u32 v0, v11, v0, v9
	;; [unrolled: 1-line block ×3, first 2 shown]
	s_cbranch_scc0 .LBB55_156
	s_branch .LBB55_160
.LBB55_157:
                                        ; implicit-def: $vgpr0
                                        ; implicit-def: $vgpr2
	s_branch .LBB55_164
.LBB55_158:
	v_mov_b32_e32 v0, 0
	v_mov_b32_e32 v2, 0
	s_branch .LBB55_163
.LBB55_159:
	s_mov_b32 s50, 0
	v_mov_b32_e32 v0, 0
	v_mov_b32_e32 v2, 0
	;; [unrolled: 1-line block ×3, first 2 shown]
.LBB55_160:
	s_and_b32 s4, s56, 3
	s_cmp_eq_u32 s4, 0
	s_cbranch_scc1 .LBB55_163
; %bb.161:
	s_lshl_b32 s0, s50, 3
	s_add_u32 s0, s34, s0
	s_addc_u32 s1, s35, 0
	s_add_u32 s0, s0, 0xc4
	s_addc_u32 s1, s1, 0
	s_mul_i32 s2, s50, 12
	s_add_u32 s2, s34, s2
	s_addc_u32 s3, s35, 0
.LBB55_162:                             ; =>This Inner Loop Header: Depth=1
	s_load_dwordx2 s[6:7], s[2:3], 0x4
	s_load_dword s5, s[2:3], 0xc
	s_load_dwordx2 s[8:9], s[0:1], 0x0
	s_add_u32 s2, s2, 12
	s_addc_u32 s3, s3, 0
	s_waitcnt lgkmcnt(0)
	v_mul_hi_u32 v3, s7, v1
	s_add_u32 s0, s0, 8
	s_addc_u32 s1, s1, 0
	s_add_i32 s4, s4, -1
	v_add_u32_e32 v3, v1, v3
	v_lshrrev_b32_e32 v5, s5, v3
	v_mul_lo_u32 v3, v5, s6
	s_cmp_lg_u32 s4, 0
	v_sub_u32_e32 v3, v1, v3
	v_mad_u64_u32 v[0:1], s[6:7], v3, s8, v[0:1]
	v_mad_u64_u32 v[2:3], s[6:7], v3, s9, v[2:3]
	v_mov_b32_e32 v1, v5
	s_cbranch_scc1 .LBB55_162
.LBB55_163:
	s_cbranch_execnz .LBB55_166
.LBB55_164:
	s_waitcnt lgkmcnt(0)
	v_mul_hi_u32 v0, s25, v4
	s_andn2_b64 vcc, exec, s[42:43]
	v_add_u32_e32 v0, v4, v0
	v_lshrrev_b32_e32 v1, s26, v0
	v_mul_lo_u32 v0, v1, s24
	v_sub_u32_e32 v2, v4, v0
	v_mul_lo_u32 v0, v2, s20
	v_mul_lo_u32 v2, v2, s21
	s_cbranch_vccnz .LBB55_166
; %bb.165:
	v_mul_hi_u32 v3, s40, v1
	v_add_u32_e32 v3, v1, v3
	v_lshrrev_b32_e32 v3, s41, v3
	v_mul_lo_u32 v3, v3, s27
	v_sub_u32_e32 v3, v1, v3
	v_mad_u64_u32 v[0:1], s[0:1], v3, s22, v[0:1]
	v_mad_u64_u32 v[2:3], s[0:1], v3, s23, v[2:3]
.LBB55_166:
	s_waitcnt lgkmcnt(0)
	global_load_dword v1, v2, s[18:19]
	v_mov_b32_e32 v3, 0
	v_mov_b32_e32 v2, 1.0
	s_waitcnt vmcnt(0)
	v_cmp_gt_f32_e32 vcc, 0.5, v1
	s_and_saveexec_b64 s[6:7], vcc
	s_cbranch_execz .LBB55_172
; %bb.167:
	v_mul_f32_e32 v2, 0x40490fdb, v1
	s_brev_b32 s0, 18
	v_and_b32_e32 v3, 0x7fffffff, v2
	v_cmp_nlt_f32_e64 s[0:1], |v2|, s0
                                        ; implicit-def: $vgpr4
                                        ; implicit-def: $vgpr5
	s_and_saveexec_b64 s[2:3], s[0:1]
	s_xor_b64 s[8:9], exec, s[2:3]
	s_cbranch_execz .LBB55_169
; %bb.168:
	v_and_b32_e32 v4, 0x7fffff, v3
	v_or_b32_e32 v13, 0x800000, v4
	s_mov_b32 s0, 0xfe5163ab
	v_mad_u64_u32 v[4:5], s[0:1], v13, s0, 0
	v_mov_b32_e32 v6, 0
	s_mov_b32 s0, 0x3c439041
	v_mad_u64_u32 v[7:8], s[0:1], v13, s0, v[5:6]
	s_mov_b32 s0, 0xdb629599
	v_not_b32_e32 v12, 63
	v_mov_b32_e32 v5, v8
	v_mad_u64_u32 v[8:9], s[0:1], v13, s0, v[5:6]
	s_mov_b32 s0, 0xf534ddc0
	v_not_b32_e32 v15, 31
	v_mov_b32_e32 v5, v9
	v_mad_u64_u32 v[9:10], s[0:1], v13, s0, v[5:6]
	v_lshrrev_b32_e32 v5, 23, v3
	v_add_u32_e32 v14, 0xffffff88, v5
	v_mov_b32_e32 v5, v10
	s_mov_b32 s0, 0xfc2757d1
	v_mad_u64_u32 v[10:11], s[0:1], v13, s0, v[5:6]
	v_cmp_lt_u32_e32 vcc, 63, v14
	v_cndmask_b32_e32 v5, 0, v12, vcc
	v_add_u32_e32 v14, v5, v14
	v_mov_b32_e32 v5, v11
	s_mov_b32 s0, 0x4e441529
	v_mad_u64_u32 v[11:12], s[0:1], v13, s0, v[5:6]
	v_cmp_lt_u32_e64 s[0:1], 31, v14
	v_cndmask_b32_e64 v5, 0, v15, s[0:1]
	v_add_u32_e32 v14, v5, v14
	v_mov_b32_e32 v5, v12
	s_mov_b32 s2, 0xa2f9836e
	v_mad_u64_u32 v[5:6], s[2:3], v13, s2, v[5:6]
	v_cmp_lt_u32_e64 s[2:3], 31, v14
	v_cndmask_b32_e64 v12, 0, v15, s[2:3]
	v_cndmask_b32_e32 v13, v11, v9, vcc
	v_cndmask_b32_e32 v5, v5, v10, vcc
	;; [unrolled: 1-line block ×3, first 2 shown]
	v_add_u32_e32 v12, v12, v14
	v_cndmask_b32_e64 v14, v5, v13, s[0:1]
	v_cndmask_b32_e64 v5, v6, v5, s[0:1]
	v_cndmask_b32_e32 v6, v10, v8, vcc
	v_cndmask_b32_e64 v10, v13, v6, s[0:1]
	v_cndmask_b32_e64 v5, v5, v14, s[2:3]
	v_cndmask_b32_e64 v11, v14, v10, s[2:3]
	v_sub_u32_e32 v13, 32, v12
	v_alignbit_b32 v14, v5, v11, v13
	v_cmp_eq_u32_e64 s[4:5], 0, v12
	v_cndmask_b32_e64 v12, v14, v5, s[4:5]
	v_cndmask_b32_e32 v5, v9, v7, vcc
	v_cndmask_b32_e64 v6, v6, v5, s[0:1]
	v_cndmask_b32_e64 v7, v10, v6, s[2:3]
	v_alignbit_b32 v9, v11, v7, v13
	v_cndmask_b32_e32 v4, v8, v4, vcc
	v_cndmask_b32_e64 v9, v9, v11, s[4:5]
	v_bfe_u32 v14, v12, 29, 1
	v_cndmask_b32_e64 v4, v5, v4, s[0:1]
	v_alignbit_b32 v10, v12, v9, 30
	v_sub_u32_e32 v15, 0, v14
	v_cndmask_b32_e64 v4, v6, v4, s[2:3]
	v_xor_b32_e32 v10, v10, v15
	v_alignbit_b32 v5, v7, v4, v13
	v_cndmask_b32_e64 v5, v5, v7, s[4:5]
	v_ffbh_u32_e32 v7, v10
	v_alignbit_b32 v6, v9, v5, 30
	v_min_u32_e32 v7, 32, v7
	v_alignbit_b32 v4, v5, v4, 30
	v_xor_b32_e32 v6, v6, v15
	v_sub_u32_e32 v8, 31, v7
	v_xor_b32_e32 v4, v4, v15
	v_alignbit_b32 v9, v10, v6, v8
	v_alignbit_b32 v4, v6, v4, v8
	;; [unrolled: 1-line block ×3, first 2 shown]
	v_ffbh_u32_e32 v6, v5
	v_min_u32_e32 v6, 32, v6
	v_lshrrev_b32_e32 v11, 29, v12
	v_not_b32_e32 v8, v6
	v_alignbit_b32 v4, v5, v4, v8
	v_lshlrev_b32_e32 v5, 31, v11
	v_or_b32_e32 v8, 0x33000000, v5
	v_add_lshl_u32 v6, v6, v7, 23
	v_lshrrev_b32_e32 v4, 9, v4
	v_sub_u32_e32 v6, v8, v6
	v_or_b32_e32 v5, 0.5, v5
	v_lshlrev_b32_e32 v7, 23, v7
	v_or_b32_e32 v4, v6, v4
	v_lshrrev_b32_e32 v6, 9, v9
	v_sub_u32_e32 v5, v5, v7
	v_or_b32_e32 v5, v6, v5
	s_mov_b32 s0, 0x3fc90fda
	v_mul_f32_e32 v6, 0x3fc90fda, v5
	v_fma_f32 v7, v5, s0, -v6
	v_fmac_f32_e32 v7, 0x33a22168, v5
	v_fmac_f32_e32 v7, 0x3fc90fda, v4
	v_lshrrev_b32_e32 v4, 30, v12
	v_add_f32_e32 v5, v6, v7
	v_add_u32_e32 v4, v14, v4
.LBB55_169:
	s_andn2_saveexec_b64 s[0:1], s[8:9]
	s_cbranch_execz .LBB55_171
; %bb.170:
	s_mov_b32 s2, 0x3f22f983
	v_mul_f32_e64 v4, |v2|, s2
	v_rndne_f32_e32 v6, v4
	s_mov_b32 s2, 0xbfc90fda
	v_cvt_i32_f32_e32 v4, v6
	v_fma_f32 v5, v6, s2, |v2|
	v_fmac_f32_e32 v5, 0xb3a22168, v6
	v_fmac_f32_e32 v5, 0xa7c234c4, v6
.LBB55_171:
	s_or_b64 exec, exec, s[0:1]
	v_mul_f32_e32 v6, v5, v5
	v_mov_b32_e32 v7, 0x3c0881c4
	v_fmac_f32_e32 v7, 0xb94c1982, v6
	v_mov_b32_e32 v8, 0xbe2aaa9d
	v_fmac_f32_e32 v8, v6, v7
	v_mul_f32_e32 v7, v6, v8
	v_fmac_f32_e32 v5, v5, v7
	v_mov_b32_e32 v7, 0xbab64f3b
	v_fmac_f32_e32 v7, 0x37d75334, v6
	v_mov_b32_e32 v8, 0x3d2aabf7
	;; [unrolled: 2-line block ×3, first 2 shown]
	v_fmac_f32_e32 v7, v6, v8
	v_fma_f32 v6, v6, v7, 1.0
	v_and_b32_e32 v7, 1, v4
	v_lshlrev_b32_e32 v4, 30, v4
	v_cmp_eq_u32_e32 vcc, 0, v7
	v_and_b32_e32 v4, 0x80000000, v4
	v_xor_b32_e32 v3, v3, v2
	v_cndmask_b32_e32 v5, v6, v5, vcc
	v_xor_b32_e32 v3, v3, v4
	s_movk_i32 s0, 0x1f8
	v_xor_b32_e32 v3, v3, v5
	v_mov_b32_e32 v4, 0x7fc00000
	v_cmp_class_f32_e64 vcc, v2, s0
	v_cndmask_b32_e32 v2, v4, v3, vcc
	v_mul_f32_e32 v2, v2, v2
	s_mov_b32 s2, 0xc11de9e7
	v_div_scale_f32 v3, s[0:1], v2, v2, s2
	v_div_scale_f32 v4, vcc, s2, v2, s2
	v_sub_f32_e32 v1, 1.0, v1
	v_rcp_f32_e32 v5, v3
	v_fma_f32 v6, -v3, v5, 1.0
	v_fmac_f32_e32 v5, v6, v5
	v_mul_f32_e32 v6, v4, v5
	v_fma_f32 v7, -v3, v6, v4
	v_fmac_f32_e32 v6, v7, v5
	v_fma_f32 v3, -v3, v6, v4
	v_div_fmas_f32 v3, v3, v5, v6
	v_div_fixup_f32 v2, v3, v2, s2
	v_add_f32_e32 v3, 0, v2
	v_mov_b32_e32 v2, -1.0
.LBB55_172:
	s_or_b64 exec, exec, s[6:7]
	v_mul_f32_e32 v4, v1, v1
	v_div_scale_f32 v6, s[0:1], v4, v4, 1.0
	v_add_f32_e32 v5, 1.0, v1
	v_mul_f32_e32 v1, v5, v5
	v_div_scale_f32 v8, s[0:1], v1, v1, 1.0
	v_div_scale_f32 v7, vcc, 1.0, v4, 1.0
	v_add_f32_e32 v9, 1.0, v5
	v_div_scale_f32 v10, s[0:1], 1.0, v1, 1.0
	v_mul_f32_e32 v5, v9, v9
	v_div_scale_f32 v11, s[2:3], v5, v5, 1.0
	v_div_scale_f32 v14, s[2:3], 1.0, v5, 1.0
	v_rcp_f32_e32 v12, v6
	v_add_f32_e32 v9, 1.0, v9
	v_rcp_f32_e32 v13, v8
	v_fma_f32 v15, -v6, v12, 1.0
	v_fmac_f32_e32 v12, v15, v12
	v_mul_f32_e32 v16, v7, v12
	v_fma_f32 v17, -v6, v16, v7
	v_fma_f32 v15, -v8, v13, 1.0
	v_fmac_f32_e32 v16, v17, v12
	v_fma_f32 v6, -v6, v16, v7
	v_fmac_f32_e32 v13, v15, v13
	v_div_fmas_f32 v6, v6, v12, v16
	v_mul_f32_e32 v12, v10, v13
	v_fma_f32 v7, -v8, v12, v10
	v_rcp_f32_e32 v15, v11
	v_fmac_f32_e32 v12, v7, v13
	v_mul_f32_e32 v7, v9, v9
	v_div_scale_f32 v16, s[4:5], v7, v7, 1.0
	v_fma_f32 v8, -v8, v12, v10
	v_fma_f32 v10, -v11, v15, 1.0
	v_fmac_f32_e32 v15, v10, v15
	s_mov_b64 vcc, s[0:1]
	v_mul_f32_e32 v10, v14, v15
	v_div_fmas_f32 v8, v8, v13, v12
	v_fma_f32 v12, -v11, v10, v14
	v_fmac_f32_e32 v10, v12, v15
	v_div_scale_f32 v12, s[0:1], 1.0, v7, 1.0
	v_add_f32_e32 v13, 1.0, v9
	v_mul_f32_e32 v9, v13, v13
	v_div_scale_f32 v17, s[4:5], v9, v9, 1.0
	v_fma_f32 v11, -v11, v10, v14
	s_mov_b64 vcc, s[2:3]
	v_div_fmas_f32 v10, v11, v15, v10
	v_div_scale_f32 v11, s[2:3], 1.0, v9, 1.0
	v_rcp_f32_e32 v14, v16
	v_add_f32_e32 v13, 1.0, v13
	v_mul_f32_e32 v18, v13, v13
	v_div_scale_f32 v19, s[4:5], v18, v18, 1.0
	v_fma_f32 v15, -v16, v14, 1.0
	v_fmac_f32_e32 v14, v15, v14
	v_mul_f32_e32 v15, v12, v14
	v_fma_f32 v20, -v16, v15, v12
	v_fmac_f32_e32 v15, v20, v14
	v_rcp_f32_e32 v20, v17
	v_fma_f32 v12, -v16, v15, v12
	s_mov_b64 vcc, s[0:1]
	v_div_fmas_f32 v12, v12, v14, v15
	v_fma_f32 v14, -v17, v20, 1.0
	v_fmac_f32_e32 v20, v14, v20
	v_mul_f32_e32 v14, v11, v20
	v_fma_f32 v15, -v17, v14, v11
	v_fmac_f32_e32 v14, v15, v20
	v_div_scale_f32 v15, s[0:1], 1.0, v18, 1.0
	v_add_f32_e32 v13, 1.0, v13
	v_mul_f32_e32 v21, v13, v13
	v_div_scale_f32 v22, s[4:5], v21, v21, 1.0
	v_rcp_f32_e32 v16, v19
	v_fma_f32 v11, -v17, v14, v11
	s_mov_b64 vcc, s[2:3]
	v_div_scale_f32 v17, s[2:3], 1.0, v21, 1.0
	v_div_fmas_f32 v11, v11, v20, v14
	v_add_f32_e32 v20, v13, v13
	v_div_scale_f32 v23, s[4:5], v20, v20, 1.0
	v_fma_f32 v14, -v19, v16, 1.0
	v_fmac_f32_e32 v16, v14, v16
	v_mul_f32_e32 v14, v15, v16
	v_fma_f32 v24, -v19, v14, v15
	v_fmac_f32_e32 v14, v24, v16
	v_div_scale_f32 v24, s[4:5], 1.0, v20, 1.0
	v_rcp_f32_e32 v25, v22
	v_fma_f32 v15, -v19, v14, v15
	s_mov_b64 vcc, s[0:1]
	v_div_fmas_f32 v14, v15, v16, v14
	v_fma_f32 v15, -v22, v25, 1.0
	v_fmac_f32_e32 v25, v15, v25
	v_mul_f32_e32 v15, v17, v25
	v_fma_f32 v16, -v22, v15, v17
	v_fmac_f32_e32 v15, v16, v25
	v_rcp_f32_e32 v16, v23
	v_fma_f32 v17, -v22, v15, v17
	s_mov_b64 vcc, s[2:3]
	v_div_fmas_f32 v15, v17, v25, v15
	v_fma_f32 v17, -v23, v16, 1.0
	v_fmac_f32_e32 v16, v17, v16
	v_mul_f32_e32 v17, v24, v16
	v_fma_f32 v19, -v23, v17, v24
	v_fmac_f32_e32 v17, v19, v16
	v_fma_f32 v19, -v23, v17, v24
	s_mov_b64 vcc, s[4:5]
	v_div_fmas_f32 v16, v19, v16, v17
	v_mov_b32_e32 v17, 0x3d088889
	s_mov_b32 s0, 0x3e2aaaab
	v_div_fixup_f32 v4, v6, v4, 1.0
	v_add_f32_e32 v3, v3, v4
	v_div_fixup_f32 v1, v8, v1, 1.0
	v_add_f32_e32 v1, v3, v1
	v_div_fixup_f32 v3, v10, v5, 1.0
	v_div_fixup_f32 v15, v15, v21, 1.0
	v_fmac_f32_e32 v17, 0xbcc30c31, v15
	v_fma_f32 v17, -v15, v17, s0
	v_add_f32_e32 v1, v1, v3
	v_div_fixup_f32 v3, v12, v7, 1.0
	v_add_f32_e32 v1, v1, v3
	v_div_fixup_f32 v3, v11, v9, 1.0
	;; [unrolled: 2-line block ×3, first 2 shown]
	v_add_f32_e32 v16, 1.0, v16
	v_fmac_f32_e32 v16, v15, v17
	v_div_scale_f32 v15, s[0:1], v13, v13, v16
	v_div_scale_f32 v17, vcc, v16, v13, v16
	v_div_fixup_f32 v3, v14, v18, 1.0
	v_add_f32_e32 v1, v1, v3
	v_rcp_f32_e32 v19, v15
	v_fma_f32 v20, -v15, v19, 1.0
	v_fmac_f32_e32 v19, v20, v19
	v_mul_f32_e32 v20, v17, v19
	v_fma_f32 v21, -v15, v20, v17
	v_fmac_f32_e32 v20, v21, v19
	v_fma_f32 v15, -v15, v20, v17
	v_div_fmas_f32 v15, v15, v19, v20
	v_div_fixup_f32 v3, v15, v13, v16
	v_add_f32_e32 v1, v1, v3
	v_mul_f32_e32 v1, v2, v1
	global_store_dword v0, v1, s[16:17]
	s_or_b64 exec, exec, s[48:49]
                                        ; implicit-def: $vgpr10
                                        ; implicit-def: $vgpr4
	s_andn2_saveexec_b64 s[0:1], s[38:39]
	s_cbranch_execz .LBB55_137
	s_branch .LBB55_8
	.section	.rodata,"a",@progbits
	.p2align	6, 0x0
	.amdhsa_kernel _ZN2at6native32elementwise_kernel_manual_unrollILi128ELi4EZNS0_22gpu_kernel_impl_nocastIZZZNS0_20trigamma_kernel_cudaERNS_18TensorIteratorBaseEENKUlvE_clEvENKUlvE0_clEvEUlfE_EEvS4_RKT_EUlibE_EEviT1_
		.amdhsa_group_segment_fixed_size 0
		.amdhsa_private_segment_fixed_size 0
		.amdhsa_kernarg_size 360
		.amdhsa_user_sgpr_count 6
		.amdhsa_user_sgpr_private_segment_buffer 1
		.amdhsa_user_sgpr_dispatch_ptr 0
		.amdhsa_user_sgpr_queue_ptr 0
		.amdhsa_user_sgpr_kernarg_segment_ptr 1
		.amdhsa_user_sgpr_dispatch_id 0
		.amdhsa_user_sgpr_flat_scratch_init 0
		.amdhsa_user_sgpr_private_segment_size 0
		.amdhsa_uses_dynamic_stack 0
		.amdhsa_system_sgpr_private_segment_wavefront_offset 0
		.amdhsa_system_sgpr_workgroup_id_x 1
		.amdhsa_system_sgpr_workgroup_id_y 0
		.amdhsa_system_sgpr_workgroup_id_z 0
		.amdhsa_system_sgpr_workgroup_info 0
		.amdhsa_system_vgpr_workitem_id 0
		.amdhsa_next_free_vgpr 28
		.amdhsa_next_free_sgpr 60
		.amdhsa_reserve_vcc 1
		.amdhsa_reserve_flat_scratch 0
		.amdhsa_float_round_mode_32 0
		.amdhsa_float_round_mode_16_64 0
		.amdhsa_float_denorm_mode_32 3
		.amdhsa_float_denorm_mode_16_64 3
		.amdhsa_dx10_clamp 1
		.amdhsa_ieee_mode 1
		.amdhsa_fp16_overflow 0
		.amdhsa_exception_fp_ieee_invalid_op 0
		.amdhsa_exception_fp_denorm_src 0
		.amdhsa_exception_fp_ieee_div_zero 0
		.amdhsa_exception_fp_ieee_overflow 0
		.amdhsa_exception_fp_ieee_underflow 0
		.amdhsa_exception_fp_ieee_inexact 0
		.amdhsa_exception_int_div_zero 0
	.end_amdhsa_kernel
	.section	.text._ZN2at6native32elementwise_kernel_manual_unrollILi128ELi4EZNS0_22gpu_kernel_impl_nocastIZZZNS0_20trigamma_kernel_cudaERNS_18TensorIteratorBaseEENKUlvE_clEvENKUlvE0_clEvEUlfE_EEvS4_RKT_EUlibE_EEviT1_,"axG",@progbits,_ZN2at6native32elementwise_kernel_manual_unrollILi128ELi4EZNS0_22gpu_kernel_impl_nocastIZZZNS0_20trigamma_kernel_cudaERNS_18TensorIteratorBaseEENKUlvE_clEvENKUlvE0_clEvEUlfE_EEvS4_RKT_EUlibE_EEviT1_,comdat
.Lfunc_end55:
	.size	_ZN2at6native32elementwise_kernel_manual_unrollILi128ELi4EZNS0_22gpu_kernel_impl_nocastIZZZNS0_20trigamma_kernel_cudaERNS_18TensorIteratorBaseEENKUlvE_clEvENKUlvE0_clEvEUlfE_EEvS4_RKT_EUlibE_EEviT1_, .Lfunc_end55-_ZN2at6native32elementwise_kernel_manual_unrollILi128ELi4EZNS0_22gpu_kernel_impl_nocastIZZZNS0_20trigamma_kernel_cudaERNS_18TensorIteratorBaseEENKUlvE_clEvENKUlvE0_clEvEUlfE_EEvS4_RKT_EUlibE_EEviT1_
                                        ; -- End function
	.set _ZN2at6native32elementwise_kernel_manual_unrollILi128ELi4EZNS0_22gpu_kernel_impl_nocastIZZZNS0_20trigamma_kernel_cudaERNS_18TensorIteratorBaseEENKUlvE_clEvENKUlvE0_clEvEUlfE_EEvS4_RKT_EUlibE_EEviT1_.num_vgpr, 28
	.set _ZN2at6native32elementwise_kernel_manual_unrollILi128ELi4EZNS0_22gpu_kernel_impl_nocastIZZZNS0_20trigamma_kernel_cudaERNS_18TensorIteratorBaseEENKUlvE_clEvENKUlvE0_clEvEUlfE_EEvS4_RKT_EUlibE_EEviT1_.num_agpr, 0
	.set _ZN2at6native32elementwise_kernel_manual_unrollILi128ELi4EZNS0_22gpu_kernel_impl_nocastIZZZNS0_20trigamma_kernel_cudaERNS_18TensorIteratorBaseEENKUlvE_clEvENKUlvE0_clEvEUlfE_EEvS4_RKT_EUlibE_EEviT1_.numbered_sgpr, 60
	.set _ZN2at6native32elementwise_kernel_manual_unrollILi128ELi4EZNS0_22gpu_kernel_impl_nocastIZZZNS0_20trigamma_kernel_cudaERNS_18TensorIteratorBaseEENKUlvE_clEvENKUlvE0_clEvEUlfE_EEvS4_RKT_EUlibE_EEviT1_.num_named_barrier, 0
	.set _ZN2at6native32elementwise_kernel_manual_unrollILi128ELi4EZNS0_22gpu_kernel_impl_nocastIZZZNS0_20trigamma_kernel_cudaERNS_18TensorIteratorBaseEENKUlvE_clEvENKUlvE0_clEvEUlfE_EEvS4_RKT_EUlibE_EEviT1_.private_seg_size, 0
	.set _ZN2at6native32elementwise_kernel_manual_unrollILi128ELi4EZNS0_22gpu_kernel_impl_nocastIZZZNS0_20trigamma_kernel_cudaERNS_18TensorIteratorBaseEENKUlvE_clEvENKUlvE0_clEvEUlfE_EEvS4_RKT_EUlibE_EEviT1_.uses_vcc, 1
	.set _ZN2at6native32elementwise_kernel_manual_unrollILi128ELi4EZNS0_22gpu_kernel_impl_nocastIZZZNS0_20trigamma_kernel_cudaERNS_18TensorIteratorBaseEENKUlvE_clEvENKUlvE0_clEvEUlfE_EEvS4_RKT_EUlibE_EEviT1_.uses_flat_scratch, 0
	.set _ZN2at6native32elementwise_kernel_manual_unrollILi128ELi4EZNS0_22gpu_kernel_impl_nocastIZZZNS0_20trigamma_kernel_cudaERNS_18TensorIteratorBaseEENKUlvE_clEvENKUlvE0_clEvEUlfE_EEvS4_RKT_EUlibE_EEviT1_.has_dyn_sized_stack, 0
	.set _ZN2at6native32elementwise_kernel_manual_unrollILi128ELi4EZNS0_22gpu_kernel_impl_nocastIZZZNS0_20trigamma_kernel_cudaERNS_18TensorIteratorBaseEENKUlvE_clEvENKUlvE0_clEvEUlfE_EEvS4_RKT_EUlibE_EEviT1_.has_recursion, 0
	.set _ZN2at6native32elementwise_kernel_manual_unrollILi128ELi4EZNS0_22gpu_kernel_impl_nocastIZZZNS0_20trigamma_kernel_cudaERNS_18TensorIteratorBaseEENKUlvE_clEvENKUlvE0_clEvEUlfE_EEvS4_RKT_EUlibE_EEviT1_.has_indirect_call, 0
	.section	.AMDGPU.csdata,"",@progbits
; Kernel info:
; codeLenInByte = 19720
; TotalNumSgprs: 64
; NumVgprs: 28
; ScratchSize: 0
; MemoryBound: 0
; FloatMode: 240
; IeeeMode: 1
; LDSByteSize: 0 bytes/workgroup (compile time only)
; SGPRBlocks: 7
; VGPRBlocks: 6
; NumSGPRsForWavesPerEU: 64
; NumVGPRsForWavesPerEU: 28
; Occupancy: 9
; WaveLimiterHint : 1
; COMPUTE_PGM_RSRC2:SCRATCH_EN: 0
; COMPUTE_PGM_RSRC2:USER_SGPR: 6
; COMPUTE_PGM_RSRC2:TRAP_HANDLER: 0
; COMPUTE_PGM_RSRC2:TGID_X_EN: 1
; COMPUTE_PGM_RSRC2:TGID_Y_EN: 0
; COMPUTE_PGM_RSRC2:TGID_Z_EN: 0
; COMPUTE_PGM_RSRC2:TIDIG_COMP_CNT: 0
	.section	.text._ZN2at6native32elementwise_kernel_manual_unrollILi128ELi4EZNS0_15gpu_kernel_implIZZZNS0_20trigamma_kernel_cudaERNS_18TensorIteratorBaseEENKUlvE_clEvENKUlvE0_clEvEUlfE_EEvS4_RKT_EUlibE_EEviT1_,"axG",@progbits,_ZN2at6native32elementwise_kernel_manual_unrollILi128ELi4EZNS0_15gpu_kernel_implIZZZNS0_20trigamma_kernel_cudaERNS_18TensorIteratorBaseEENKUlvE_clEvENKUlvE0_clEvEUlfE_EEvS4_RKT_EUlibE_EEviT1_,comdat
	.globl	_ZN2at6native32elementwise_kernel_manual_unrollILi128ELi4EZNS0_15gpu_kernel_implIZZZNS0_20trigamma_kernel_cudaERNS_18TensorIteratorBaseEENKUlvE_clEvENKUlvE0_clEvEUlfE_EEvS4_RKT_EUlibE_EEviT1_ ; -- Begin function _ZN2at6native32elementwise_kernel_manual_unrollILi128ELi4EZNS0_15gpu_kernel_implIZZZNS0_20trigamma_kernel_cudaERNS_18TensorIteratorBaseEENKUlvE_clEvENKUlvE0_clEvEUlfE_EEvS4_RKT_EUlibE_EEviT1_
	.p2align	8
	.type	_ZN2at6native32elementwise_kernel_manual_unrollILi128ELi4EZNS0_15gpu_kernel_implIZZZNS0_20trigamma_kernel_cudaERNS_18TensorIteratorBaseEENKUlvE_clEvENKUlvE0_clEvEUlfE_EEvS4_RKT_EUlibE_EEviT1_,@function
_ZN2at6native32elementwise_kernel_manual_unrollILi128ELi4EZNS0_15gpu_kernel_implIZZZNS0_20trigamma_kernel_cudaERNS_18TensorIteratorBaseEENKUlvE_clEvENKUlvE0_clEvEUlfE_EEvS4_RKT_EUlibE_EEviT1_: ; @_ZN2at6native32elementwise_kernel_manual_unrollILi128ELi4EZNS0_15gpu_kernel_implIZZZNS0_20trigamma_kernel_cudaERNS_18TensorIteratorBaseEENKUlvE_clEvENKUlvE0_clEvEUlfE_EEvS4_RKT_EUlibE_EEviT1_
; %bb.0:
	v_mov_b32_e32 v1, 0
	global_load_ushort v1, v1, s[4:5] offset:33
	s_load_dwordx4 s[8:11], s[4:5], 0x8
	s_load_dwordx2 s[12:13], s[4:5], 0x18
	s_load_dword s38, s[4:5], 0x0
	v_lshl_or_b32 v4, s6, 9, v0
	v_or_b32_e32 v0, 0x180, v4
	s_mov_b64 s[14:15], 0
	s_mov_b64 s[16:17], 0
	s_waitcnt lgkmcnt(0)
	v_cmp_le_i32_e32 vcc, s38, v0
	s_waitcnt vmcnt(0)
	v_readfirstlane_b32 s33, v1
	s_and_b32 s0, 0xffff, s33
	s_lshr_b32 s42, s0, 8
	s_and_saveexec_b64 s[0:1], vcc
	s_xor_b64 s[6:7], exec, s[0:1]
	s_cbranch_execz .LBB56_1050
; %bb.1:
	v_cmp_gt_i32_e32 vcc, s38, v4
	s_mov_b64 s[2:3], -1
	s_mov_b64 s[24:25], 0
	s_mov_b64 s[18:19], 0
	s_and_saveexec_b64 s[20:21], vcc
	s_cbranch_execz .LBB56_257
; %bb.2:
	v_mul_lo_u32 v0, v4, s13
	v_mov_b32_e32 v1, s11
	s_and_b32 s16, 0xffff, s42
	s_cmp_lt_i32 s16, 11
	v_ashrrev_i32_e32 v2, 31, v0
	v_add_co_u32_e32 v0, vcc, s10, v0
	v_addc_co_u32_e32 v1, vcc, v1, v2, vcc
	s_cbranch_scc1 .LBB56_9
; %bb.3:
	s_cmp_gt_i32 s16, 25
	s_cbranch_scc0 .LBB56_24
; %bb.4:
	s_cmp_gt_i32 s16, 28
	s_cbranch_scc0 .LBB56_28
	;; [unrolled: 3-line block ×4, first 2 shown]
; %bb.7:
	s_cmp_eq_u32 s16, 46
	s_mov_b64 s[2:3], 0
	s_cbranch_scc0 .LBB56_33
; %bb.8:
	global_load_dword v2, v[0:1], off
	s_mov_b64 s[0:1], -1
	s_waitcnt vmcnt(0)
	v_lshlrev_b32_e32 v2, 16, v2
	s_branch .LBB56_35
.LBB56_9:
                                        ; implicit-def: $vgpr2
	s_mov_b64 s[0:1], 0
	s_and_b64 vcc, exec, s[2:3]
	s_cbranch_vccnz .LBB56_208
.LBB56_10:
	s_andn2_b64 vcc, exec, s[0:1]
	s_cbranch_vccnz .LBB56_255
.LBB56_11:
	s_waitcnt vmcnt(0)
	v_cmp_gt_f32_e32 vcc, 0.5, v2
	v_mov_b32_e32 v1, 0
	v_mov_b32_e32 v0, 1.0
	s_and_saveexec_b64 s[16:17], vcc
	s_cbranch_execz .LBB56_17
; %bb.12:
	v_mul_f32_e32 v0, 0x40490fdb, v2
	s_brev_b32 s0, 18
	v_and_b32_e32 v1, 0x7fffffff, v0
	v_cmp_nlt_f32_e64 s[0:1], |v0|, s0
                                        ; implicit-def: $vgpr3
                                        ; implicit-def: $vgpr5
	s_and_saveexec_b64 s[2:3], s[0:1]
	s_xor_b64 s[22:23], exec, s[2:3]
	s_cbranch_execz .LBB56_14
; %bb.13:
	v_and_b32_e32 v3, 0x7fffff, v1
	v_or_b32_e32 v3, 0x800000, v3
	s_mov_b32 s0, 0xfe5163ab
	v_mad_u64_u32 v[5:6], s[0:1], v3, s0, 0
	v_mov_b32_e32 v7, 0
	s_mov_b32 s0, 0x3c439041
	v_mad_u64_u32 v[8:9], s[0:1], v3, s0, v[6:7]
	s_mov_b32 s0, 0xdb629599
	v_not_b32_e32 v13, 63
	v_mov_b32_e32 v6, v9
	v_mad_u64_u32 v[9:10], s[0:1], v3, s0, v[6:7]
	s_mov_b32 s0, 0xf534ddc0
	v_not_b32_e32 v15, 31
	v_mov_b32_e32 v6, v10
	v_mad_u64_u32 v[10:11], s[0:1], v3, s0, v[6:7]
	v_lshrrev_b32_e32 v6, 23, v1
	v_add_u32_e32 v14, 0xffffff88, v6
	v_mov_b32_e32 v6, v11
	s_mov_b32 s0, 0xfc2757d1
	v_mad_u64_u32 v[11:12], s[0:1], v3, s0, v[6:7]
	v_cmp_lt_u32_e32 vcc, 63, v14
	v_cndmask_b32_e32 v6, 0, v13, vcc
	v_add_u32_e32 v14, v6, v14
	v_mov_b32_e32 v6, v12
	s_mov_b32 s0, 0x4e441529
	v_mad_u64_u32 v[12:13], s[0:1], v3, s0, v[6:7]
	v_cmp_lt_u32_e64 s[0:1], 31, v14
	v_cndmask_b32_e64 v6, 0, v15, s[0:1]
	v_add_u32_e32 v14, v6, v14
	v_mov_b32_e32 v6, v13
	s_mov_b32 s2, 0xa2f9836e
	v_mad_u64_u32 v[6:7], s[2:3], v3, s2, v[6:7]
	v_cmp_lt_u32_e64 s[2:3], 31, v14
	v_cndmask_b32_e64 v3, 0, v15, s[2:3]
	v_cndmask_b32_e32 v13, v12, v10, vcc
	v_cndmask_b32_e32 v6, v6, v11, vcc
	;; [unrolled: 1-line block ×3, first 2 shown]
	v_add_u32_e32 v3, v3, v14
	v_cndmask_b32_e64 v14, v6, v13, s[0:1]
	v_cndmask_b32_e64 v6, v7, v6, s[0:1]
	v_cndmask_b32_e32 v7, v11, v9, vcc
	v_cndmask_b32_e64 v11, v13, v7, s[0:1]
	v_cndmask_b32_e64 v6, v6, v14, s[2:3]
	;; [unrolled: 1-line block ×3, first 2 shown]
	v_sub_u32_e32 v13, 32, v3
	v_alignbit_b32 v14, v6, v12, v13
	v_cmp_eq_u32_e64 s[4:5], 0, v3
	v_cndmask_b32_e64 v3, v14, v6, s[4:5]
	v_cndmask_b32_e32 v6, v10, v8, vcc
	v_cndmask_b32_e64 v7, v7, v6, s[0:1]
	v_cndmask_b32_e64 v8, v11, v7, s[2:3]
	v_alignbit_b32 v10, v12, v8, v13
	v_cndmask_b32_e32 v5, v9, v5, vcc
	v_cndmask_b32_e64 v10, v10, v12, s[4:5]
	v_bfe_u32 v14, v3, 29, 1
	v_cndmask_b32_e64 v5, v6, v5, s[0:1]
	v_alignbit_b32 v11, v3, v10, 30
	v_sub_u32_e32 v15, 0, v14
	v_cndmask_b32_e64 v5, v7, v5, s[2:3]
	v_xor_b32_e32 v11, v11, v15
	v_alignbit_b32 v6, v8, v5, v13
	v_cndmask_b32_e64 v6, v6, v8, s[4:5]
	v_ffbh_u32_e32 v8, v11
	v_alignbit_b32 v7, v10, v6, 30
	v_min_u32_e32 v8, 32, v8
	v_alignbit_b32 v5, v6, v5, 30
	v_xor_b32_e32 v7, v7, v15
	v_sub_u32_e32 v9, 31, v8
	v_xor_b32_e32 v5, v5, v15
	v_alignbit_b32 v10, v11, v7, v9
	v_alignbit_b32 v5, v7, v5, v9
	v_alignbit_b32 v6, v10, v5, 9
	v_ffbh_u32_e32 v7, v6
	v_min_u32_e32 v7, 32, v7
	v_lshrrev_b32_e32 v12, 29, v3
	v_not_b32_e32 v9, v7
	v_alignbit_b32 v5, v6, v5, v9
	v_lshlrev_b32_e32 v6, 31, v12
	v_or_b32_e32 v9, 0x33000000, v6
	v_add_lshl_u32 v7, v7, v8, 23
	v_lshrrev_b32_e32 v5, 9, v5
	v_sub_u32_e32 v7, v9, v7
	v_or_b32_e32 v6, 0.5, v6
	v_lshlrev_b32_e32 v8, 23, v8
	v_or_b32_e32 v5, v7, v5
	v_lshrrev_b32_e32 v7, 9, v10
	v_sub_u32_e32 v6, v6, v8
	v_or_b32_e32 v6, v7, v6
	s_mov_b32 s0, 0x3fc90fda
	v_mul_f32_e32 v7, 0x3fc90fda, v6
	v_fma_f32 v8, v6, s0, -v7
	v_fmac_f32_e32 v8, 0x33a22168, v6
	v_fmac_f32_e32 v8, 0x3fc90fda, v5
	v_lshrrev_b32_e32 v3, 30, v3
	v_add_f32_e32 v5, v7, v8
	v_add_u32_e32 v3, v14, v3
.LBB56_14:
	s_andn2_saveexec_b64 s[0:1], s[22:23]
	s_cbranch_execz .LBB56_16
; %bb.15:
	s_mov_b32 s2, 0x3f22f983
	v_mul_f32_e64 v3, |v0|, s2
	v_rndne_f32_e32 v6, v3
	s_mov_b32 s2, 0xbfc90fda
	v_cvt_i32_f32_e32 v3, v6
	v_fma_f32 v5, v6, s2, |v0|
	v_fmac_f32_e32 v5, 0xb3a22168, v6
	v_fmac_f32_e32 v5, 0xa7c234c4, v6
.LBB56_16:
	s_or_b64 exec, exec, s[0:1]
	v_mul_f32_e32 v6, v5, v5
	v_mov_b32_e32 v7, 0x3c0881c4
	v_fmac_f32_e32 v7, 0xb94c1982, v6
	v_mov_b32_e32 v8, 0xbe2aaa9d
	v_fmac_f32_e32 v8, v6, v7
	v_mul_f32_e32 v7, v6, v8
	v_fmac_f32_e32 v5, v5, v7
	v_mov_b32_e32 v7, 0xbab64f3b
	v_fmac_f32_e32 v7, 0x37d75334, v6
	v_mov_b32_e32 v8, 0x3d2aabf7
	v_fmac_f32_e32 v8, v6, v7
	v_mov_b32_e32 v7, 0xbf000004
	v_fmac_f32_e32 v7, v6, v8
	v_fma_f32 v6, v6, v7, 1.0
	v_and_b32_e32 v7, 1, v3
	v_lshlrev_b32_e32 v3, 30, v3
	v_cmp_eq_u32_e32 vcc, 0, v7
	v_and_b32_e32 v3, 0x80000000, v3
	v_xor_b32_e32 v1, v1, v0
	v_cndmask_b32_e32 v5, v6, v5, vcc
	v_xor_b32_e32 v1, v1, v3
	s_movk_i32 s0, 0x1f8
	v_xor_b32_e32 v1, v1, v5
	v_mov_b32_e32 v3, 0x7fc00000
	v_cmp_class_f32_e64 vcc, v0, s0
	v_cndmask_b32_e32 v0, v3, v1, vcc
	v_mul_f32_e32 v0, v0, v0
	s_mov_b32 s2, 0xc11de9e7
	v_div_scale_f32 v1, s[0:1], v0, v0, s2
	v_div_scale_f32 v3, vcc, s2, v0, s2
	v_sub_f32_e32 v2, 1.0, v2
	v_rcp_f32_e32 v5, v1
	v_fma_f32 v6, -v1, v5, 1.0
	v_fmac_f32_e32 v5, v6, v5
	v_mul_f32_e32 v6, v3, v5
	v_fma_f32 v7, -v1, v6, v3
	v_fmac_f32_e32 v6, v7, v5
	v_fma_f32 v1, -v1, v6, v3
	v_div_fmas_f32 v1, v1, v5, v6
	v_div_fixup_f32 v0, v1, v0, s2
	v_add_f32_e32 v1, 0, v0
	v_mov_b32_e32 v0, -1.0
.LBB56_17:
	s_or_b64 exec, exec, s[16:17]
	v_mul_f32_e32 v3, v2, v2
	v_div_scale_f32 v6, s[0:1], v3, v3, 1.0
	v_add_f32_e32 v5, 1.0, v2
	v_mul_f32_e32 v2, v5, v5
	v_div_scale_f32 v8, s[0:1], v2, v2, 1.0
	v_div_scale_f32 v7, vcc, 1.0, v3, 1.0
	v_add_f32_e32 v9, 1.0, v5
	v_div_scale_f32 v10, s[0:1], 1.0, v2, 1.0
	v_mul_f32_e32 v5, v9, v9
	v_div_scale_f32 v11, s[2:3], v5, v5, 1.0
	v_div_scale_f32 v14, s[2:3], 1.0, v5, 1.0
	v_rcp_f32_e32 v12, v6
	v_add_f32_e32 v9, 1.0, v9
	s_and_b32 s22, s33, 0xff
	s_cmp_lt_i32 s22, 11
	v_rcp_f32_e32 v13, v8
	v_fma_f32 v15, -v6, v12, 1.0
	v_fmac_f32_e32 v12, v15, v12
	v_mul_f32_e32 v16, v7, v12
	v_fma_f32 v17, -v6, v16, v7
	v_fma_f32 v15, -v8, v13, 1.0
	v_fmac_f32_e32 v16, v17, v12
	v_fma_f32 v6, -v6, v16, v7
	v_fmac_f32_e32 v13, v15, v13
	v_div_fmas_f32 v6, v6, v12, v16
	v_mul_f32_e32 v12, v10, v13
	v_fma_f32 v7, -v8, v12, v10
	v_rcp_f32_e32 v15, v11
	v_fmac_f32_e32 v12, v7, v13
	v_mul_f32_e32 v7, v9, v9
	v_div_scale_f32 v16, s[4:5], v7, v7, 1.0
	v_fma_f32 v8, -v8, v12, v10
	v_fma_f32 v10, -v11, v15, 1.0
	v_fmac_f32_e32 v15, v10, v15
	s_mov_b64 vcc, s[0:1]
	v_mul_f32_e32 v10, v14, v15
	v_div_fmas_f32 v8, v8, v13, v12
	v_fma_f32 v12, -v11, v10, v14
	v_fmac_f32_e32 v10, v12, v15
	v_div_scale_f32 v12, s[0:1], 1.0, v7, 1.0
	v_add_f32_e32 v13, 1.0, v9
	v_mul_f32_e32 v9, v13, v13
	v_div_scale_f32 v17, s[4:5], v9, v9, 1.0
	v_fma_f32 v11, -v11, v10, v14
	s_mov_b64 vcc, s[2:3]
	v_div_fmas_f32 v10, v11, v15, v10
	v_div_scale_f32 v11, s[2:3], 1.0, v9, 1.0
	v_rcp_f32_e32 v14, v16
	v_add_f32_e32 v13, 1.0, v13
	v_mul_f32_e32 v18, v13, v13
	v_div_scale_f32 v19, s[4:5], v18, v18, 1.0
	v_fma_f32 v15, -v16, v14, 1.0
	v_fmac_f32_e32 v14, v15, v14
	v_mul_f32_e32 v15, v12, v14
	v_fma_f32 v20, -v16, v15, v12
	v_fmac_f32_e32 v15, v20, v14
	v_rcp_f32_e32 v20, v17
	v_fma_f32 v12, -v16, v15, v12
	s_mov_b64 vcc, s[0:1]
	v_div_fmas_f32 v12, v12, v14, v15
	v_fma_f32 v14, -v17, v20, 1.0
	v_fmac_f32_e32 v20, v14, v20
	v_mul_f32_e32 v14, v11, v20
	v_fma_f32 v15, -v17, v14, v11
	v_fmac_f32_e32 v14, v15, v20
	v_div_scale_f32 v15, s[0:1], 1.0, v18, 1.0
	v_add_f32_e32 v13, 1.0, v13
	v_mul_f32_e32 v21, v13, v13
	v_div_scale_f32 v22, s[4:5], v21, v21, 1.0
	v_rcp_f32_e32 v16, v19
	v_fma_f32 v11, -v17, v14, v11
	s_mov_b64 vcc, s[2:3]
	v_div_scale_f32 v17, s[2:3], 1.0, v21, 1.0
	v_div_fmas_f32 v11, v11, v20, v14
	v_add_f32_e32 v20, v13, v13
	v_div_scale_f32 v23, s[4:5], v20, v20, 1.0
	v_fma_f32 v14, -v19, v16, 1.0
	v_fmac_f32_e32 v16, v14, v16
	v_mul_f32_e32 v14, v15, v16
	v_fma_f32 v24, -v19, v14, v15
	v_fmac_f32_e32 v14, v24, v16
	v_div_scale_f32 v24, s[4:5], 1.0, v20, 1.0
	v_rcp_f32_e32 v25, v22
	v_fma_f32 v15, -v19, v14, v15
	s_mov_b64 vcc, s[0:1]
	v_div_fmas_f32 v14, v15, v16, v14
	v_fma_f32 v15, -v22, v25, 1.0
	v_fmac_f32_e32 v25, v15, v25
	v_mul_f32_e32 v15, v17, v25
	v_fma_f32 v16, -v22, v15, v17
	v_fmac_f32_e32 v15, v16, v25
	v_rcp_f32_e32 v16, v23
	v_fma_f32 v17, -v22, v15, v17
	s_mov_b64 vcc, s[2:3]
	v_div_fmas_f32 v15, v17, v25, v15
	v_fma_f32 v17, -v23, v16, 1.0
	v_fmac_f32_e32 v16, v17, v16
	v_mul_f32_e32 v17, v24, v16
	v_fma_f32 v19, -v23, v17, v24
	v_fmac_f32_e32 v17, v19, v16
	v_fma_f32 v19, -v23, v17, v24
	s_mov_b64 vcc, s[4:5]
	v_div_fmas_f32 v16, v19, v16, v17
	v_mov_b32_e32 v17, 0x3d088889
	s_mov_b32 s0, 0x3e2aaaab
	v_div_fixup_f32 v3, v6, v3, 1.0
	v_add_f32_e32 v1, v1, v3
	v_div_fixup_f32 v2, v8, v2, 1.0
	v_add_f32_e32 v1, v1, v2
	v_div_fixup_f32 v2, v10, v5, 1.0
	v_div_fixup_f32 v15, v15, v21, 1.0
	v_fmac_f32_e32 v17, 0xbcc30c31, v15
	v_fma_f32 v17, -v15, v17, s0
	v_add_f32_e32 v1, v1, v2
	v_div_fixup_f32 v2, v12, v7, 1.0
	v_add_f32_e32 v1, v1, v2
	v_div_fixup_f32 v2, v11, v9, 1.0
	v_mul_lo_u32 v3, v4, s12
	v_div_fixup_f32 v16, v16, v20, 1.0
	v_add_f32_e32 v16, 1.0, v16
	v_fmac_f32_e32 v16, v15, v17
	v_div_scale_f32 v15, s[0:1], v13, v13, v16
	v_div_scale_f32 v17, vcc, v16, v13, v16
	v_add_f32_e32 v1, v1, v2
	v_div_fixup_f32 v2, v14, v18, 1.0
	v_add_f32_e32 v1, v1, v2
	v_mov_b32_e32 v5, s9
	v_rcp_f32_e32 v19, v15
	v_fma_f32 v20, -v15, v19, 1.0
	v_fmac_f32_e32 v19, v20, v19
	v_mul_f32_e32 v20, v17, v19
	v_fma_f32 v21, -v15, v20, v17
	v_fmac_f32_e32 v20, v21, v19
	v_fma_f32 v15, -v15, v20, v17
	v_div_fmas_f32 v15, v15, v19, v20
	v_div_fixup_f32 v2, v15, v13, v16
	v_add_f32_e32 v1, v1, v2
	v_mul_f32_e32 v2, v0, v1
	v_ashrrev_i32_e32 v1, 31, v3
	v_add_co_u32_e32 v0, vcc, s8, v3
	v_addc_co_u32_e32 v1, vcc, v5, v1, vcc
	s_cbranch_scc1 .LBB56_25
; %bb.18:
	s_and_b32 s23, 0xffff, s22
	s_cmp_gt_i32 s23, 25
	s_cbranch_scc0 .LBB56_29
; %bb.19:
	s_cmp_gt_i32 s23, 28
	s_cbranch_scc0 .LBB56_31
; %bb.20:
	;; [unrolled: 3-line block ×4, first 2 shown]
	s_mov_b64 s[4:5], 0
	s_mov_b64 s[0:1], -1
	s_cmp_eq_u32 s23, 46
	s_mov_b64 s[2:3], 0
	s_cbranch_scc0 .LBB56_39
; %bb.23:
	v_bfe_u32 v3, v2, 16, 1
	s_movk_i32 s0, 0x7fff
	v_add3_u32 v3, v2, v3, s0
	v_cmp_o_f32_e32 vcc, v2, v2
	v_mov_b32_e32 v5, 0x7fc0
	v_cndmask_b32_sdwa v3, v5, v3, vcc dst_sel:DWORD dst_unused:UNUSED_PAD src0_sel:DWORD src1_sel:WORD_1
	global_store_dword v[0:1], v3, off
	s_mov_b64 s[2:3], -1
	s_mov_b64 s[0:1], 0
	s_branch .LBB56_39
.LBB56_24:
	s_mov_b64 s[0:1], 0
                                        ; implicit-def: $vgpr2
	s_and_b64 vcc, exec, s[2:3]
	s_cbranch_vccnz .LBB56_173
	s_branch .LBB56_207
.LBB56_25:
	s_mov_b64 s[0:1], 0
	s_mov_b64 s[2:3], 0
	s_cbranch_execnz .LBB56_108
.LBB56_26:
	s_andn2_b64 vcc, exec, s[2:3]
	s_cbranch_vccnz .LBB56_146
.LBB56_27:
	v_add_u32_e32 v4, 0x80, v4
	s_mov_b64 s[2:3], -1
	s_branch .LBB56_256
.LBB56_28:
	s_mov_b64 s[0:1], 0
                                        ; implicit-def: $vgpr2
	s_branch .LBB56_154
.LBB56_29:
	s_mov_b64 s[4:5], -1
	s_mov_b64 s[0:1], 0
	s_mov_b64 s[2:3], 0
	s_branch .LBB56_66
.LBB56_30:
	s_mov_b64 s[0:1], 0
                                        ; implicit-def: $vgpr2
	s_branch .LBB56_149
.LBB56_31:
	s_mov_b64 s[4:5], -1
	s_mov_b64 s[0:1], 0
	s_mov_b64 s[2:3], 0
	s_branch .LBB56_49
.LBB56_32:
	s_mov_b64 s[4:5], -1
	s_mov_b64 s[0:1], 0
	s_mov_b64 s[2:3], 0
	s_branch .LBB56_45
.LBB56_33:
	s_mov_b64 s[18:19], -1
.LBB56_34:
	s_mov_b64 s[0:1], 0
                                        ; implicit-def: $vgpr2
.LBB56_35:
	s_and_b64 vcc, exec, s[2:3]
	s_cbranch_vccz .LBB56_148
; %bb.36:
	s_cmp_eq_u32 s16, 44
	s_cbranch_scc0 .LBB56_147
; %bb.37:
	global_load_ubyte v2, v[0:1], off
	s_movk_i32 s2, 0xff
	v_mov_b32_e32 v3, 0x7f800001
	v_mov_b32_e32 v5, 0x400000
	s_mov_b64 s[0:1], -1
	s_mov_b64 s[18:19], 0
	s_waitcnt vmcnt(0)
	v_lshlrev_b32_e32 v6, 23, v2
	v_cmp_ne_u32_e32 vcc, s2, v2
	v_cndmask_b32_e32 v3, v3, v6, vcc
	v_cmp_ne_u32_e32 vcc, 0, v2
	v_cndmask_b32_e32 v2, v5, v3, vcc
	s_branch .LBB56_148
.LBB56_38:
	s_mov_b64 s[4:5], -1
	s_mov_b64 s[0:1], 0
	s_mov_b64 s[2:3], 0
.LBB56_39:
	s_and_b64 vcc, exec, s[4:5]
	s_cbranch_vccz .LBB56_44
; %bb.40:
	s_cmp_eq_u32 s23, 44
	s_mov_b64 s[0:1], -1
	s_cbranch_scc0 .LBB56_44
; %bb.41:
	v_bfe_u32 v3, v2, 23, 8
	s_movk_i32 s0, 0xff
	v_cmp_ne_u32_e32 vcc, s0, v3
	v_mov_b32_e32 v5, 0xff
	s_and_saveexec_b64 s[2:3], vcc
; %bb.42:
	s_mov_b32 s0, 0x3fffff
	v_and_b32_e32 v6, 0x400000, v2
	v_and_or_b32 v3, v2, s0, v3
	v_cmp_ne_u32_e32 vcc, 0, v6
	v_cmp_ne_u32_e64 s[0:1], 0, v3
	s_and_b64 s[0:1], vcc, s[0:1]
	v_lshrrev_b32_e32 v5, 23, v2
	v_cndmask_b32_e64 v3, 0, 1, s[0:1]
	v_add_u32_e32 v5, v5, v3
; %bb.43:
	s_or_b64 exec, exec, s[2:3]
	s_mov_b64 s[2:3], -1
	s_mov_b64 s[0:1], 0
	global_store_byte v[0:1], v5, off
.LBB56_44:
	s_mov_b64 s[4:5], 0
.LBB56_45:
	s_and_b64 vcc, exec, s[4:5]
	s_cbranch_vccz .LBB56_48
; %bb.46:
	s_cmp_eq_u32 s23, 29
	s_mov_b64 s[0:1], -1
	s_cbranch_scc0 .LBB56_48
; %bb.47:
	v_trunc_f32_e32 v3, v2
	v_mul_f32_e32 v5, 0x2f800000, v3
	v_floor_f32_e32 v5, v5
	v_fmac_f32_e32 v3, 0xcf800000, v5
	v_cvt_u32_f32_e32 v6, v5
	v_cvt_u32_f32_e32 v5, v3
	s_mov_b64 s[2:3], -1
	s_mov_b64 s[0:1], 0
	s_mov_b64 s[4:5], 0
	global_store_dwordx2 v[0:1], v[5:6], off
	s_branch .LBB56_49
.LBB56_48:
	s_mov_b64 s[4:5], 0
.LBB56_49:
	s_and_b64 vcc, exec, s[4:5]
	s_cbranch_vccz .LBB56_65
; %bb.50:
	s_cmp_lt_i32 s23, 27
	s_mov_b64 s[2:3], -1
	s_cbranch_scc1 .LBB56_56
; %bb.51:
	v_cvt_u32_f32_e32 v3, v2
	s_cmp_gt_i32 s23, 27
	s_cbranch_scc0 .LBB56_53
; %bb.52:
	s_mov_b64 s[2:3], 0
	global_store_dword v[0:1], v3, off
.LBB56_53:
	s_andn2_b64 vcc, exec, s[2:3]
	s_cbranch_vccnz .LBB56_55
; %bb.54:
	global_store_short v[0:1], v3, off
.LBB56_55:
	s_mov_b64 s[2:3], 0
.LBB56_56:
	s_andn2_b64 vcc, exec, s[2:3]
	s_cbranch_vccnz .LBB56_64
; %bb.57:
	v_and_b32_e32 v3, 0x7fffffff, v2
	s_mov_b32 s2, 0x43800000
	v_cmp_gt_u32_e32 vcc, s2, v3
	v_mov_b32_e32 v5, 0x80
	s_and_saveexec_b64 s[2:3], vcc
	s_cbranch_execz .LBB56_63
; %bb.58:
	s_mov_b32 s4, 0x3bffffff
	v_cmp_lt_u32_e32 vcc, s4, v3
	s_mov_b64 s[4:5], 0
                                        ; implicit-def: $vgpr3
	s_and_saveexec_b64 s[16:17], vcc
	s_xor_b64 s[16:17], exec, s[16:17]
	s_cbranch_execz .LBB56_290
; %bb.59:
	v_bfe_u32 v3, v2, 20, 1
	s_mov_b32 s26, 0x487ffff
	v_add3_u32 v3, v2, v3, s26
	s_mov_b64 s[4:5], exec
	v_lshrrev_b32_e32 v3, 20, v3
	s_andn2_saveexec_b64 s[16:17], s[16:17]
	s_cbranch_execnz .LBB56_291
.LBB56_60:
	s_or_b64 exec, exec, s[16:17]
	v_mov_b32_e32 v5, 0
	s_and_saveexec_b64 s[16:17], s[4:5]
.LBB56_61:
	v_lshrrev_b32_e32 v5, 24, v2
	s_movk_i32 s4, 0x80
	v_and_or_b32 v5, v5, s4, v3
.LBB56_62:
	s_or_b64 exec, exec, s[16:17]
.LBB56_63:
	s_or_b64 exec, exec, s[2:3]
	global_store_byte v[0:1], v5, off
.LBB56_64:
	s_mov_b64 s[2:3], -1
.LBB56_65:
	s_mov_b64 s[4:5], 0
.LBB56_66:
	s_and_b64 vcc, exec, s[4:5]
	s_cbranch_vccz .LBB56_107
; %bb.67:
	s_cmp_gt_i32 s23, 22
	s_mov_b64 s[4:5], -1
	s_cbranch_scc0 .LBB56_99
; %bb.68:
	s_cmp_lt_i32 s23, 24
	s_mov_b64 s[2:3], -1
	s_cbranch_scc1 .LBB56_88
; %bb.69:
	s_cmp_gt_i32 s23, 24
	s_cbranch_scc0 .LBB56_77
; %bb.70:
	v_and_b32_e32 v3, 0x7fffffff, v2
	s_mov_b32 s2, 0x47800000
	v_cmp_gt_u32_e32 vcc, s2, v3
	v_mov_b32_e32 v5, 0x80
	s_and_saveexec_b64 s[2:3], vcc
	s_cbranch_execz .LBB56_76
; %bb.71:
	s_mov_b32 s4, 0x37ffffff
	v_cmp_lt_u32_e32 vcc, s4, v3
	s_mov_b64 s[4:5], 0
                                        ; implicit-def: $vgpr3
	s_and_saveexec_b64 s[16:17], vcc
	s_xor_b64 s[16:17], exec, s[16:17]
	s_cbranch_execz .LBB56_294
; %bb.72:
	v_bfe_u32 v3, v2, 21, 1
	s_mov_b32 s26, 0x88fffff
	v_add3_u32 v3, v2, v3, s26
	s_mov_b64 s[4:5], exec
	v_lshrrev_b32_e32 v3, 21, v3
	s_andn2_saveexec_b64 s[16:17], s[16:17]
	s_cbranch_execnz .LBB56_295
.LBB56_73:
	s_or_b64 exec, exec, s[16:17]
	v_mov_b32_e32 v5, 0
	s_and_saveexec_b64 s[16:17], s[4:5]
.LBB56_74:
	v_lshrrev_b32_e32 v5, 24, v2
	s_movk_i32 s4, 0x80
	v_and_or_b32 v5, v5, s4, v3
.LBB56_75:
	s_or_b64 exec, exec, s[16:17]
.LBB56_76:
	s_or_b64 exec, exec, s[2:3]
	s_mov_b64 s[2:3], 0
	global_store_byte v[0:1], v5, off
.LBB56_77:
	s_and_b64 vcc, exec, s[2:3]
	s_cbranch_vccz .LBB56_87
; %bb.78:
	v_and_b32_e32 v5, 0x7fffffff, v2
	s_mov_b32 s2, 0x43f00000
	v_cmp_gt_u32_e32 vcc, s2, v5
                                        ; implicit-def: $vgpr3
	s_and_saveexec_b64 s[2:3], vcc
	s_xor_b64 s[2:3], exec, s[2:3]
	s_cbranch_execz .LBB56_84
; %bb.79:
	s_mov_b32 s4, 0x3c7fffff
	v_cmp_lt_u32_e32 vcc, s4, v5
                                        ; implicit-def: $vgpr3
	s_and_saveexec_b64 s[4:5], vcc
	s_xor_b64 s[4:5], exec, s[4:5]
; %bb.80:
	v_bfe_u32 v3, v2, 20, 1
	s_mov_b32 s16, 0x407ffff
	v_add3_u32 v3, v2, v3, s16
	v_lshrrev_b32_e32 v5, 20, v3
	v_and_b32_e32 v3, 0xff00000, v3
	s_mov_b32 s16, 0x7f00000
	v_mov_b32_e32 v6, 0x7e
	v_cmp_ne_u32_e32 vcc, s16, v3
	v_cndmask_b32_e32 v3, v6, v5, vcc
; %bb.81:
	s_andn2_saveexec_b64 s[4:5], s[4:5]
; %bb.82:
	s_mov_b32 s16, 0x46800000
	v_add_f32_e64 v3, |v2|, s16
; %bb.83:
	s_or_b64 exec, exec, s[4:5]
                                        ; implicit-def: $vgpr5
.LBB56_84:
	s_andn2_saveexec_b64 s[2:3], s[2:3]
; %bb.85:
	s_mov_b32 s4, 0x7f800000
	v_mov_b32_e32 v3, 0x7e
	v_mov_b32_e32 v6, 0x7f
	v_cmp_lt_u32_e32 vcc, s4, v5
	v_cndmask_b32_e32 v3, v3, v6, vcc
; %bb.86:
	s_or_b64 exec, exec, s[2:3]
	v_lshrrev_b32_e32 v5, 24, v2
	s_movk_i32 s2, 0x80
	v_and_or_b32 v3, v5, s2, v3
	global_store_byte v[0:1], v3, off
.LBB56_87:
	s_mov_b64 s[2:3], 0
.LBB56_88:
	s_andn2_b64 vcc, exec, s[2:3]
	s_cbranch_vccnz .LBB56_98
; %bb.89:
	v_and_b32_e32 v5, 0x7fffffff, v2
	s_mov_b32 s2, 0x47800000
	v_cmp_gt_u32_e32 vcc, s2, v5
                                        ; implicit-def: $vgpr3
	s_and_saveexec_b64 s[2:3], vcc
	s_xor_b64 s[2:3], exec, s[2:3]
	s_cbranch_execz .LBB56_95
; %bb.90:
	s_mov_b32 s4, 0x387fffff
	v_cmp_lt_u32_e32 vcc, s4, v5
                                        ; implicit-def: $vgpr3
	s_and_saveexec_b64 s[4:5], vcc
	s_xor_b64 s[4:5], exec, s[4:5]
; %bb.91:
	v_bfe_u32 v3, v2, 21, 1
	s_mov_b32 s16, 0x80fffff
	v_add3_u32 v3, v2, v3, s16
	v_lshrrev_b32_e32 v3, 21, v3
; %bb.92:
	s_andn2_saveexec_b64 s[4:5], s[4:5]
; %bb.93:
	s_mov_b32 s16, 0x43000000
	v_add_f32_e64 v3, |v2|, s16
; %bb.94:
	s_or_b64 exec, exec, s[4:5]
                                        ; implicit-def: $vgpr5
.LBB56_95:
	s_andn2_saveexec_b64 s[2:3], s[2:3]
; %bb.96:
	s_mov_b32 s4, 0x7f800000
	v_mov_b32_e32 v3, 0x7c
	v_mov_b32_e32 v6, 0x7f
	v_cmp_lt_u32_e32 vcc, s4, v5
	v_cndmask_b32_e32 v3, v3, v6, vcc
; %bb.97:
	s_or_b64 exec, exec, s[2:3]
	v_lshrrev_b32_e32 v5, 24, v2
	s_movk_i32 s2, 0x80
	v_and_or_b32 v3, v5, s2, v3
	global_store_byte v[0:1], v3, off
.LBB56_98:
	s_mov_b64 s[4:5], 0
	s_mov_b64 s[2:3], -1
.LBB56_99:
	s_andn2_b64 vcc, exec, s[4:5]
	s_cbranch_vccnz .LBB56_107
; %bb.100:
	s_cmp_gt_i32 s23, 14
	s_mov_b64 s[4:5], -1
	s_cbranch_scc0 .LBB56_104
; %bb.101:
	s_cmp_eq_u32 s23, 15
	s_mov_b64 s[0:1], -1
	s_cbranch_scc0 .LBB56_103
; %bb.102:
	v_bfe_u32 v3, v2, 16, 1
	s_movk_i32 s0, 0x7fff
	v_add3_u32 v3, v2, v3, s0
	v_cmp_o_f32_e32 vcc, v2, v2
	v_mov_b32_e32 v5, 0x7fc0
	v_cndmask_b32_sdwa v3, v5, v3, vcc dst_sel:DWORD dst_unused:UNUSED_PAD src0_sel:DWORD src1_sel:WORD_1
	global_store_short v[0:1], v3, off
	s_mov_b64 s[2:3], -1
	s_mov_b64 s[0:1], 0
.LBB56_103:
	s_mov_b64 s[4:5], 0
.LBB56_104:
	s_and_b64 vcc, exec, s[4:5]
	s_cbranch_vccz .LBB56_107
; %bb.105:
	s_cmp_eq_u32 s23, 11
	s_mov_b64 s[0:1], -1
	s_cbranch_scc0 .LBB56_107
; %bb.106:
	v_cmp_neq_f32_e32 vcc, 0, v2
	v_cndmask_b32_e64 v3, 0, 1, vcc
	s_mov_b64 s[2:3], -1
	s_mov_b64 s[0:1], 0
	global_store_byte v[0:1], v3, off
.LBB56_107:
	s_branch .LBB56_26
.LBB56_108:
	s_and_b32 s4, 0xffff, s22
	s_cmp_lt_i32 s4, 5
	s_mov_b64 s[2:3], -1
	s_cbranch_scc1 .LBB56_129
; %bb.109:
	s_cmp_lt_i32 s4, 8
	s_cbranch_scc1 .LBB56_119
; %bb.110:
	s_cmp_lt_i32 s4, 9
	s_cbranch_scc1 .LBB56_116
; %bb.111:
	s_cmp_gt_i32 s4, 9
	s_cbranch_scc0 .LBB56_113
; %bb.112:
	v_cvt_f64_f32_e32 v[5:6], v2
	v_mov_b32_e32 v7, 0
	v_mov_b32_e32 v8, v7
	s_mov_b64 s[2:3], 0
	global_store_dwordx4 v[0:1], v[5:8], off
.LBB56_113:
	s_andn2_b64 vcc, exec, s[2:3]
	s_cbranch_vccnz .LBB56_115
; %bb.114:
	v_mov_b32_e32 v3, 0
	global_store_dwordx2 v[0:1], v[2:3], off
.LBB56_115:
	s_mov_b64 s[2:3], 0
.LBB56_116:
	s_andn2_b64 vcc, exec, s[2:3]
	s_cbranch_vccnz .LBB56_118
; %bb.117:
	v_cvt_f16_f32_e32 v3, v2
	global_store_dword v[0:1], v3, off
.LBB56_118:
	s_mov_b64 s[2:3], 0
.LBB56_119:
	s_andn2_b64 vcc, exec, s[2:3]
	s_cbranch_vccnz .LBB56_128
; %bb.120:
	s_cmp_lt_i32 s4, 6
	s_mov_b64 s[2:3], -1
	s_cbranch_scc1 .LBB56_126
; %bb.121:
	s_cmp_gt_i32 s4, 6
	s_cbranch_scc0 .LBB56_123
; %bb.122:
	v_cvt_f64_f32_e32 v[5:6], v2
	s_mov_b64 s[2:3], 0
	global_store_dwordx2 v[0:1], v[5:6], off
.LBB56_123:
	s_andn2_b64 vcc, exec, s[2:3]
	s_cbranch_vccnz .LBB56_125
; %bb.124:
	global_store_dword v[0:1], v2, off
.LBB56_125:
	s_mov_b64 s[2:3], 0
.LBB56_126:
	s_andn2_b64 vcc, exec, s[2:3]
	s_cbranch_vccnz .LBB56_128
; %bb.127:
	v_cvt_f16_f32_e32 v3, v2
	global_store_short v[0:1], v3, off
.LBB56_128:
	s_mov_b64 s[2:3], 0
.LBB56_129:
	s_andn2_b64 vcc, exec, s[2:3]
	s_cbranch_vccnz .LBB56_145
; %bb.130:
	s_cmp_lt_i32 s4, 2
	s_mov_b64 s[2:3], -1
	s_cbranch_scc1 .LBB56_140
; %bb.131:
	s_cmp_lt_i32 s4, 3
	s_cbranch_scc1 .LBB56_137
; %bb.132:
	s_cmp_gt_i32 s4, 3
	s_cbranch_scc0 .LBB56_134
; %bb.133:
	v_trunc_f32_e32 v3, v2
	s_mov_b32 s2, 0x2f800000
	v_mul_f32_e64 v5, |v3|, s2
	v_floor_f32_e32 v5, v5
	s_mov_b32 s2, 0xcf800000
	v_cvt_u32_f32_e32 v6, v5
	v_fma_f32 v5, v5, s2, |v3|
	v_cvt_u32_f32_e32 v5, v5
	v_ashrrev_i32_e32 v3, 31, v3
	v_xor_b32_e32 v6, v6, v3
	s_mov_b64 s[2:3], 0
	v_xor_b32_e32 v5, v5, v3
	v_sub_co_u32_e32 v5, vcc, v5, v3
	v_subb_co_u32_e32 v6, vcc, v6, v3, vcc
	global_store_dwordx2 v[0:1], v[5:6], off
.LBB56_134:
	s_andn2_b64 vcc, exec, s[2:3]
	s_cbranch_vccnz .LBB56_136
; %bb.135:
	v_cvt_i32_f32_e32 v3, v2
	global_store_dword v[0:1], v3, off
.LBB56_136:
	s_mov_b64 s[2:3], 0
.LBB56_137:
	s_andn2_b64 vcc, exec, s[2:3]
	s_cbranch_vccnz .LBB56_139
; %bb.138:
	v_cvt_i32_f32_e32 v3, v2
	global_store_short v[0:1], v3, off
.LBB56_139:
	s_mov_b64 s[2:3], 0
.LBB56_140:
	s_andn2_b64 vcc, exec, s[2:3]
	s_cbranch_vccnz .LBB56_145
; %bb.141:
	s_cmp_gt_i32 s4, 0
	s_mov_b64 s[2:3], -1
	s_cbranch_scc0 .LBB56_143
; %bb.142:
	v_cvt_i32_f32_e32 v3, v2
	s_mov_b64 s[2:3], 0
	global_store_byte v[0:1], v3, off
.LBB56_143:
	s_andn2_b64 vcc, exec, s[2:3]
	s_cbranch_vccnz .LBB56_145
; %bb.144:
	v_trunc_f32_e32 v2, v2
	s_mov_b32 s2, 0x2f800000
	v_mul_f32_e64 v3, |v2|, s2
	v_floor_f32_e32 v3, v3
	s_mov_b32 s2, 0xcf800000
	v_fma_f32 v3, v3, s2, |v2|
	v_cvt_u32_f32_e32 v3, v3
	v_ashrrev_i32_e32 v2, 31, v2
	v_xor_b32_e32 v3, v3, v2
	v_sub_u32_e32 v2, v3, v2
	global_store_byte v[0:1], v2, off
.LBB56_145:
	s_branch .LBB56_27
.LBB56_146:
	s_mov_b64 s[2:3], 0
                                        ; implicit-def: $vgpr4
	s_branch .LBB56_256
.LBB56_147:
	s_mov_b64 s[18:19], -1
                                        ; implicit-def: $vgpr2
.LBB56_148:
	s_mov_b64 s[2:3], 0
.LBB56_149:
	s_and_b64 vcc, exec, s[2:3]
	s_cbranch_vccz .LBB56_153
; %bb.150:
	s_cmp_eq_u32 s16, 29
	s_cbranch_scc0 .LBB56_152
; %bb.151:
	global_load_dwordx2 v[2:3], v[0:1], off
	s_mov_b64 s[0:1], -1
	s_mov_b64 s[18:19], 0
	s_mov_b64 s[2:3], 0
	s_waitcnt vmcnt(0)
	v_ffbh_u32_e32 v5, v3
	v_min_u32_e32 v5, 32, v5
	v_lshlrev_b64 v[2:3], v5, v[2:3]
	v_min_u32_e32 v2, 1, v2
	v_or_b32_e32 v2, v3, v2
	v_cvt_f32_u32_e32 v2, v2
	v_sub_u32_e32 v3, 32, v5
	v_ldexp_f32 v2, v2, v3
	s_branch .LBB56_154
.LBB56_152:
	s_mov_b64 s[18:19], -1
                                        ; implicit-def: $vgpr2
.LBB56_153:
	s_mov_b64 s[2:3], 0
.LBB56_154:
	s_and_b64 vcc, exec, s[2:3]
	s_cbranch_vccz .LBB56_172
; %bb.155:
	s_cmp_lt_i32 s16, 27
	s_cbranch_scc1 .LBB56_158
; %bb.156:
	s_cmp_gt_i32 s16, 27
	s_cbranch_scc0 .LBB56_159
; %bb.157:
	global_load_dword v2, v[0:1], off
	s_mov_b64 s[0:1], 0
	s_waitcnt vmcnt(0)
	v_cvt_f32_u32_e32 v2, v2
	s_branch .LBB56_160
.LBB56_158:
	s_mov_b64 s[0:1], -1
                                        ; implicit-def: $vgpr2
	s_branch .LBB56_163
.LBB56_159:
	s_mov_b64 s[0:1], -1
                                        ; implicit-def: $vgpr2
.LBB56_160:
	s_andn2_b64 vcc, exec, s[0:1]
	s_cbranch_vccnz .LBB56_162
; %bb.161:
	global_load_ushort v2, v[0:1], off
	s_waitcnt vmcnt(0)
	v_cvt_f32_u32_e32 v2, v2
.LBB56_162:
	s_mov_b64 s[0:1], 0
.LBB56_163:
	s_andn2_b64 vcc, exec, s[0:1]
	s_cbranch_vccnz .LBB56_171
; %bb.164:
	global_load_ubyte v3, v[0:1], off
	s_movk_i32 s0, 0x7f
	s_waitcnt vmcnt(0)
	v_cmp_lt_i16_e32 vcc, s0, v3
	s_mov_b64 s[0:1], 0
	s_and_saveexec_b64 s[2:3], vcc
	s_xor_b64 s[2:3], exec, s[2:3]
	s_cbranch_execz .LBB56_184
; %bb.165:
	s_movk_i32 s0, 0x80
	v_cmp_eq_u16_e32 vcc, s0, v3
	s_mov_b64 s[0:1], -1
	s_and_saveexec_b64 s[4:5], vcc
; %bb.166:
	s_xor_b64 s[0:1], exec, -1
; %bb.167:
	s_or_b64 exec, exec, s[4:5]
	s_and_b64 s[0:1], s[0:1], exec
	s_or_saveexec_b64 s[2:3], s[2:3]
	v_mov_b32_e32 v2, 0x7f800001
	s_xor_b64 exec, exec, s[2:3]
	s_cbranch_execnz .LBB56_185
.LBB56_168:
	s_or_b64 exec, exec, s[2:3]
	s_and_saveexec_b64 s[2:3], s[0:1]
	s_cbranch_execz .LBB56_170
.LBB56_169:
	v_lshlrev_b32_e32 v2, 24, v3
	v_and_b32_e32 v3, 0xffff, v3
	v_and_b32_e32 v5, 7, v3
	v_ffbh_u32_e32 v7, v5
	v_min_u32_e32 v7, 32, v7
	v_subrev_u32_e32 v8, 28, v7
	v_bfe_u32 v6, v3, 3, 4
	v_lshlrev_b32_e32 v3, v8, v3
	v_sub_u32_e32 v7, 29, v7
	v_and_b32_e32 v3, 7, v3
	v_cmp_eq_u32_e32 vcc, 0, v6
	v_cndmask_b32_e32 v6, v6, v7, vcc
	v_cndmask_b32_e32 v3, v5, v3, vcc
	v_mov_b32_e32 v5, 0x3b800000
	v_lshlrev_b32_e32 v3, 20, v3
	v_and_b32_e32 v2, 0x80000000, v2
	v_lshl_add_u32 v5, v6, 23, v5
	v_or3_b32 v2, v2, v5, v3
.LBB56_170:
	s_or_b64 exec, exec, s[2:3]
.LBB56_171:
	s_mov_b64 s[0:1], -1
.LBB56_172:
	s_branch .LBB56_207
.LBB56_173:
	s_cmp_gt_i32 s16, 22
	s_cbranch_scc0 .LBB56_183
; %bb.174:
	s_cmp_lt_i32 s16, 24
	s_cbranch_scc1 .LBB56_186
; %bb.175:
	s_cmp_gt_i32 s16, 24
	s_cbranch_scc0 .LBB56_187
; %bb.176:
	global_load_ubyte v3, v[0:1], off
	s_movk_i32 s0, 0x7f
	s_waitcnt vmcnt(0)
	v_cmp_lt_i16_e32 vcc, s0, v3
	s_mov_b64 s[0:1], 0
	s_and_saveexec_b64 s[2:3], vcc
	s_xor_b64 s[2:3], exec, s[2:3]
	s_cbranch_execz .LBB56_199
; %bb.177:
	s_movk_i32 s0, 0x80
	v_cmp_eq_u16_e32 vcc, s0, v3
	s_mov_b64 s[0:1], -1
	s_and_saveexec_b64 s[4:5], vcc
; %bb.178:
	s_xor_b64 s[0:1], exec, -1
; %bb.179:
	s_or_b64 exec, exec, s[4:5]
	s_and_b64 s[0:1], s[0:1], exec
	s_or_saveexec_b64 s[2:3], s[2:3]
	v_mov_b32_e32 v2, 0x7f800001
	s_xor_b64 exec, exec, s[2:3]
	s_cbranch_execnz .LBB56_200
.LBB56_180:
	s_or_b64 exec, exec, s[2:3]
	s_and_saveexec_b64 s[2:3], s[0:1]
	s_cbranch_execz .LBB56_182
.LBB56_181:
	v_lshlrev_b32_e32 v2, 24, v3
	v_and_b32_e32 v3, 0xffff, v3
	v_and_b32_e32 v5, 3, v3
	v_ffbh_u32_e32 v7, v5
	v_min_u32_e32 v7, 32, v7
	v_subrev_u32_e32 v8, 29, v7
	v_bfe_u32 v6, v3, 2, 5
	v_lshlrev_b32_e32 v3, v8, v3
	v_sub_u32_e32 v7, 30, v7
	v_and_b32_e32 v3, 3, v3
	v_cmp_eq_u32_e32 vcc, 0, v6
	v_cndmask_b32_e32 v6, v6, v7, vcc
	v_cndmask_b32_e32 v3, v5, v3, vcc
	v_mov_b32_e32 v5, 0x37800000
	v_lshlrev_b32_e32 v3, 21, v3
	v_and_b32_e32 v2, 0x80000000, v2
	v_lshl_add_u32 v5, v6, 23, v5
	v_or3_b32 v2, v2, v5, v3
.LBB56_182:
	s_or_b64 exec, exec, s[2:3]
	s_mov_b64 s[0:1], 0
	s_branch .LBB56_188
.LBB56_183:
	s_mov_b64 s[2:3], -1
                                        ; implicit-def: $vgpr2
	s_branch .LBB56_194
.LBB56_184:
	s_or_saveexec_b64 s[2:3], s[2:3]
	v_mov_b32_e32 v2, 0x7f800001
	s_xor_b64 exec, exec, s[2:3]
	s_cbranch_execz .LBB56_168
.LBB56_185:
	v_cmp_ne_u16_e32 vcc, 0, v3
	s_andn2_b64 s[0:1], s[0:1], exec
	s_and_b64 s[4:5], vcc, exec
	v_mov_b32_e32 v2, 0
	s_or_b64 s[0:1], s[0:1], s[4:5]
	s_or_b64 exec, exec, s[2:3]
	s_and_saveexec_b64 s[2:3], s[0:1]
	s_cbranch_execnz .LBB56_169
	s_branch .LBB56_170
.LBB56_186:
	s_mov_b64 s[0:1], -1
                                        ; implicit-def: $vgpr2
	s_branch .LBB56_191
.LBB56_187:
	s_mov_b64 s[0:1], -1
                                        ; implicit-def: $vgpr2
.LBB56_188:
	s_and_b64 vcc, exec, s[0:1]
	s_cbranch_vccz .LBB56_190
; %bb.189:
	global_load_ubyte v2, v[0:1], off
	s_mov_b32 s0, 0x7f800000
	s_waitcnt vmcnt(0)
	v_lshlrev_b32_e32 v2, 24, v2
	v_and_b32_e32 v3, 0x7f000000, v2
	v_ffbh_u32_e32 v5, v3
	v_min_u32_e32 v5, 32, v5
	v_sub_u32_e64 v5, v5, 4 clamp
	v_lshlrev_b32_e32 v7, v5, v3
	v_lshlrev_b32_e32 v5, 23, v5
	v_lshrrev_b32_e32 v7, 4, v7
	v_add_u32_e32 v6, 0x1000000, v3
	v_sub_u32_e32 v5, v7, v5
	v_ashrrev_i32_e32 v6, 8, v6
	v_add_u32_e32 v5, 0x3c000000, v5
	v_and_or_b32 v5, v6, s0, v5
	v_cmp_ne_u32_e32 vcc, 0, v3
	v_cndmask_b32_e32 v3, 0, v5, vcc
	s_brev_b32 s0, 1
	v_and_or_b32 v2, v2, s0, v3
.LBB56_190:
	s_mov_b64 s[0:1], 0
.LBB56_191:
	s_andn2_b64 vcc, exec, s[0:1]
	s_cbranch_vccnz .LBB56_193
; %bb.192:
	global_load_ubyte v2, v[0:1], off
	s_movk_i32 s0, 0x7f00
	s_brev_b32 s1, 16
	s_waitcnt vmcnt(0)
	v_lshlrev_b16_e32 v3, 8, v2
	v_lshlrev_b32_e32 v2, 25, v2
	v_lshrrev_b32_e32 v5, 4, v2
	v_and_or_b32 v6, v3, s0, 0.5
	v_or_b32_e32 v5, 0x70000000, v5
	v_add_f32_e32 v6, -0.5, v6
	v_mul_f32_e32 v5, 0x7800000, v5
	v_cmp_gt_u32_e32 vcc, s1, v2
	v_bfe_i32 v3, v3, 0, 16
	v_cndmask_b32_e32 v2, v5, v6, vcc
	s_brev_b32 s0, 1
	v_and_or_b32 v2, v3, s0, v2
.LBB56_193:
	s_mov_b64 s[2:3], 0
	s_mov_b64 s[0:1], -1
.LBB56_194:
	s_andn2_b64 vcc, exec, s[2:3]
	s_cbranch_vccnz .LBB56_207
; %bb.195:
	s_cmp_gt_i32 s16, 14
	s_cbranch_scc0 .LBB56_198
; %bb.196:
	s_cmp_eq_u32 s16, 15
	s_cbranch_scc0 .LBB56_201
; %bb.197:
	global_load_ushort v2, v[0:1], off
	s_mov_b64 s[0:1], -1
	s_mov_b64 s[18:19], 0
	s_waitcnt vmcnt(0)
	v_lshlrev_b32_e32 v2, 16, v2
	s_branch .LBB56_202
.LBB56_198:
	s_mov_b64 s[2:3], -1
                                        ; implicit-def: $vgpr2
	s_branch .LBB56_203
.LBB56_199:
	s_or_saveexec_b64 s[2:3], s[2:3]
	v_mov_b32_e32 v2, 0x7f800001
	s_xor_b64 exec, exec, s[2:3]
	s_cbranch_execz .LBB56_180
.LBB56_200:
	v_cmp_ne_u16_e32 vcc, 0, v3
	s_andn2_b64 s[0:1], s[0:1], exec
	s_and_b64 s[4:5], vcc, exec
	v_mov_b32_e32 v2, 0
	s_or_b64 s[0:1], s[0:1], s[4:5]
	s_or_b64 exec, exec, s[2:3]
	s_and_saveexec_b64 s[2:3], s[0:1]
	s_cbranch_execnz .LBB56_181
	s_branch .LBB56_182
.LBB56_201:
	s_mov_b64 s[18:19], -1
                                        ; implicit-def: $vgpr2
.LBB56_202:
	s_mov_b64 s[2:3], 0
.LBB56_203:
	s_and_b64 vcc, exec, s[2:3]
	s_cbranch_vccz .LBB56_207
; %bb.204:
	s_cmp_eq_u32 s16, 11
	s_cbranch_scc0 .LBB56_206
; %bb.205:
	global_load_ubyte v2, v[0:1], off
	s_mov_b64 s[0:1], -1
	s_mov_b64 s[18:19], 0
	s_waitcnt vmcnt(0)
	v_cmp_ne_u16_e32 vcc, 0, v2
	v_cndmask_b32_e64 v2, 0, 1.0, vcc
	s_branch .LBB56_207
.LBB56_206:
	s_mov_b64 s[18:19], -1
                                        ; implicit-def: $vgpr2
.LBB56_207:
	s_branch .LBB56_10
.LBB56_208:
	s_cmp_lt_i32 s16, 5
	s_cbranch_scc1 .LBB56_213
; %bb.209:
	s_cmp_lt_i32 s16, 8
	s_cbranch_scc1 .LBB56_214
; %bb.210:
	;; [unrolled: 3-line block ×3, first 2 shown]
	s_cmp_gt_i32 s16, 9
	s_cbranch_scc0 .LBB56_216
; %bb.212:
	global_load_dwordx2 v[2:3], v[0:1], off
	s_mov_b64 s[0:1], 0
	s_waitcnt vmcnt(0)
	v_cvt_f32_f64_e32 v2, v[2:3]
	s_branch .LBB56_217
.LBB56_213:
                                        ; implicit-def: $vgpr2
	s_branch .LBB56_235
.LBB56_214:
	s_mov_b64 s[0:1], -1
                                        ; implicit-def: $vgpr2
	s_branch .LBB56_223
.LBB56_215:
	s_mov_b64 s[0:1], -1
                                        ; implicit-def: $vgpr2
	s_branch .LBB56_220
.LBB56_216:
	s_mov_b64 s[0:1], -1
                                        ; implicit-def: $vgpr2
.LBB56_217:
	s_andn2_b64 vcc, exec, s[0:1]
	s_cbranch_vccnz .LBB56_219
; %bb.218:
	global_load_dword v2, v[0:1], off
.LBB56_219:
	s_mov_b64 s[0:1], 0
.LBB56_220:
	s_andn2_b64 vcc, exec, s[0:1]
	s_cbranch_vccnz .LBB56_222
; %bb.221:
	global_load_dword v2, v[0:1], off
	s_waitcnt vmcnt(0)
	v_cvt_f32_f16_e32 v2, v2
.LBB56_222:
	s_mov_b64 s[0:1], 0
.LBB56_223:
	s_andn2_b64 vcc, exec, s[0:1]
	s_cbranch_vccnz .LBB56_234
; %bb.224:
	s_cmp_lt_i32 s16, 6
	s_cbranch_scc1 .LBB56_227
; %bb.225:
	s_cmp_gt_i32 s16, 6
	s_cbranch_scc0 .LBB56_228
; %bb.226:
	global_load_dwordx2 v[2:3], v[0:1], off
	s_mov_b64 s[0:1], 0
	s_waitcnt vmcnt(0)
	v_cvt_f32_f64_e32 v2, v[2:3]
	s_branch .LBB56_229
.LBB56_227:
	s_mov_b64 s[0:1], -1
                                        ; implicit-def: $vgpr2
	s_branch .LBB56_232
.LBB56_228:
	s_mov_b64 s[0:1], -1
                                        ; implicit-def: $vgpr2
.LBB56_229:
	s_andn2_b64 vcc, exec, s[0:1]
	s_cbranch_vccnz .LBB56_231
; %bb.230:
	global_load_dword v2, v[0:1], off
.LBB56_231:
	s_mov_b64 s[0:1], 0
.LBB56_232:
	s_andn2_b64 vcc, exec, s[0:1]
	s_cbranch_vccnz .LBB56_234
; %bb.233:
	global_load_ushort v2, v[0:1], off
	s_waitcnt vmcnt(0)
	v_cvt_f32_f16_e32 v2, v2
.LBB56_234:
	s_cbranch_execnz .LBB56_254
.LBB56_235:
	s_cmp_lt_i32 s16, 2
	s_cbranch_scc1 .LBB56_239
; %bb.236:
	s_cmp_lt_i32 s16, 3
	s_cbranch_scc1 .LBB56_240
; %bb.237:
	s_cmp_gt_i32 s16, 3
	s_cbranch_scc0 .LBB56_241
; %bb.238:
	global_load_dwordx2 v[2:3], v[0:1], off
	s_mov_b64 s[0:1], 0
	s_waitcnt vmcnt(0)
	v_xor_b32_e32 v6, v2, v3
	v_ffbh_i32_e32 v5, v3
	v_ashrrev_i32_e32 v6, 31, v6
	v_add_u32_e32 v5, -1, v5
	v_add_u32_e32 v6, 32, v6
	v_min_u32_e32 v5, v5, v6
	v_lshlrev_b64 v[2:3], v5, v[2:3]
	v_min_u32_e32 v2, 1, v2
	v_or_b32_e32 v2, v3, v2
	v_cvt_f32_i32_e32 v2, v2
	v_sub_u32_e32 v3, 32, v5
	v_ldexp_f32 v2, v2, v3
	s_branch .LBB56_242
.LBB56_239:
	s_mov_b64 s[0:1], -1
                                        ; implicit-def: $vgpr2
	s_branch .LBB56_248
.LBB56_240:
	s_mov_b64 s[0:1], -1
                                        ; implicit-def: $vgpr2
	s_branch .LBB56_245
.LBB56_241:
	s_mov_b64 s[0:1], -1
                                        ; implicit-def: $vgpr2
.LBB56_242:
	s_andn2_b64 vcc, exec, s[0:1]
	s_cbranch_vccnz .LBB56_244
; %bb.243:
	global_load_dword v2, v[0:1], off
	s_waitcnt vmcnt(0)
	v_cvt_f32_i32_e32 v2, v2
.LBB56_244:
	s_mov_b64 s[0:1], 0
.LBB56_245:
	s_andn2_b64 vcc, exec, s[0:1]
	s_cbranch_vccnz .LBB56_247
; %bb.246:
	global_load_sshort v2, v[0:1], off
	s_waitcnt vmcnt(0)
	v_cvt_f32_i32_e32 v2, v2
.LBB56_247:
	s_mov_b64 s[0:1], 0
.LBB56_248:
	s_andn2_b64 vcc, exec, s[0:1]
	s_cbranch_vccnz .LBB56_254
; %bb.249:
	s_cmp_gt_i32 s16, 0
	s_cbranch_scc0 .LBB56_251
; %bb.250:
	global_load_sbyte v2, v[0:1], off
	s_mov_b64 s[0:1], 0
	s_waitcnt vmcnt(0)
	v_cvt_f32_i32_e32 v2, v2
	s_branch .LBB56_252
.LBB56_251:
	s_mov_b64 s[0:1], -1
                                        ; implicit-def: $vgpr2
.LBB56_252:
	s_andn2_b64 vcc, exec, s[0:1]
	s_cbranch_vccnz .LBB56_254
; %bb.253:
	global_load_ubyte v0, v[0:1], off
	s_waitcnt vmcnt(0)
	v_cvt_f32_ubyte0_e32 v2, v0
.LBB56_254:
	s_branch .LBB56_11
.LBB56_255:
	s_mov_b64 s[0:1], 0
                                        ; implicit-def: $vgpr4
	s_mov_b64 s[2:3], 0
.LBB56_256:
	s_and_b64 s[16:17], s[0:1], exec
	s_and_b64 s[18:19], s[18:19], exec
	s_orn2_b64 s[2:3], s[2:3], exec
.LBB56_257:
	s_or_b64 exec, exec, s[20:21]
	s_mov_b64 s[4:5], 0
	s_mov_b64 s[0:1], 0
                                        ; implicit-def: $vgpr0_vgpr1
                                        ; implicit-def: $vgpr3
	s_and_saveexec_b64 s[20:21], s[2:3]
	s_cbranch_execz .LBB56_266
; %bb.258:
	v_cmp_gt_i32_e32 vcc, s38, v4
	s_mov_b64 s[0:1], -1
	s_mov_b64 s[22:23], s[18:19]
	s_mov_b64 s[24:25], s[16:17]
	s_and_saveexec_b64 s[26:27], vcc
	s_cbranch_execz .LBB56_524
; %bb.259:
	v_mul_lo_u32 v0, v4, s13
	v_mov_b32_e32 v1, s11
	s_and_b32 s24, 0xffff, s42
	s_cmp_lt_i32 s24, 11
	s_waitcnt vmcnt(0)
	v_ashrrev_i32_e32 v2, 31, v0
	v_add_co_u32_e32 v0, vcc, s10, v0
	v_addc_co_u32_e32 v1, vcc, v1, v2, vcc
	s_cbranch_scc1 .LBB56_269
; %bb.260:
	s_cmp_gt_i32 s24, 25
	s_cbranch_scc0 .LBB56_284
; %bb.261:
	s_cmp_gt_i32 s24, 28
	s_cbranch_scc0 .LBB56_286
	;; [unrolled: 3-line block ×4, first 2 shown]
; %bb.264:
	s_cmp_eq_u32 s24, 46
	s_mov_b64 s[2:3], 0
	s_cbranch_scc0 .LBB56_296
; %bb.265:
	global_load_dword v2, v[0:1], off
	s_mov_b64 s[22:23], 0
	s_waitcnt vmcnt(0)
	v_lshlrev_b32_e32 v2, 16, v2
	s_branch .LBB56_297
.LBB56_266:
	s_or_b64 exec, exec, s[20:21]
	s_mov_b64 s[20:21], 0
	s_and_saveexec_b64 s[2:3], s[18:19]
	s_cbranch_execnz .LBB56_876
.LBB56_267:
	s_or_b64 exec, exec, s[2:3]
	s_and_saveexec_b64 s[2:3], s[24:25]
	s_xor_b64 s[2:3], exec, s[2:3]
	s_cbranch_execz .LBB56_877
.LBB56_268:
	global_load_ubyte v2, v[0:1], off
	s_or_b64 s[0:1], s[0:1], exec
	s_waitcnt vmcnt(0)
	v_cmp_ne_u16_e32 vcc, 0, v2
	v_cndmask_b32_e64 v3, 0, 1.0, vcc
	s_or_b64 exec, exec, s[2:3]
	s_and_saveexec_b64 s[2:3], s[4:5]
	s_cbranch_execz .LBB56_923
	s_branch .LBB56_878
.LBB56_269:
	s_mov_b64 s[0:1], 0
                                        ; implicit-def: $vgpr2
	s_mov_b64 s[22:23], s[18:19]
	s_cbranch_execnz .LBB56_474
.LBB56_270:
	s_andn2_b64 vcc, exec, s[0:1]
	s_cbranch_vccnz .LBB56_522
.LBB56_271:
	s_waitcnt vmcnt(0)
	v_cmp_gt_f32_e32 vcc, 0.5, v2
	v_mov_b32_e32 v1, 0
	v_mov_b32_e32 v0, 1.0
	s_and_saveexec_b64 s[24:25], vcc
	s_cbranch_execz .LBB56_277
; %bb.272:
	v_mul_f32_e32 v0, 0x40490fdb, v2
	s_brev_b32 s0, 18
	v_and_b32_e32 v1, 0x7fffffff, v0
	v_cmp_nlt_f32_e64 s[0:1], |v0|, s0
                                        ; implicit-def: $vgpr3
                                        ; implicit-def: $vgpr5
	s_and_saveexec_b64 s[2:3], s[0:1]
	s_xor_b64 s[28:29], exec, s[2:3]
	s_cbranch_execz .LBB56_274
; %bb.273:
	v_and_b32_e32 v3, 0x7fffff, v1
	v_or_b32_e32 v3, 0x800000, v3
	s_mov_b32 s0, 0xfe5163ab
	v_mad_u64_u32 v[5:6], s[0:1], v3, s0, 0
	v_mov_b32_e32 v7, 0
	s_mov_b32 s0, 0x3c439041
	v_mad_u64_u32 v[8:9], s[0:1], v3, s0, v[6:7]
	s_mov_b32 s0, 0xdb629599
	v_not_b32_e32 v13, 63
	v_mov_b32_e32 v6, v9
	v_mad_u64_u32 v[9:10], s[0:1], v3, s0, v[6:7]
	s_mov_b32 s0, 0xf534ddc0
	v_not_b32_e32 v15, 31
	v_mov_b32_e32 v6, v10
	v_mad_u64_u32 v[10:11], s[0:1], v3, s0, v[6:7]
	v_lshrrev_b32_e32 v6, 23, v1
	v_add_u32_e32 v14, 0xffffff88, v6
	v_mov_b32_e32 v6, v11
	s_mov_b32 s0, 0xfc2757d1
	v_mad_u64_u32 v[11:12], s[0:1], v3, s0, v[6:7]
	v_cmp_lt_u32_e32 vcc, 63, v14
	v_cndmask_b32_e32 v6, 0, v13, vcc
	v_add_u32_e32 v14, v6, v14
	v_mov_b32_e32 v6, v12
	s_mov_b32 s0, 0x4e441529
	v_mad_u64_u32 v[12:13], s[0:1], v3, s0, v[6:7]
	v_cmp_lt_u32_e64 s[0:1], 31, v14
	v_cndmask_b32_e64 v6, 0, v15, s[0:1]
	v_add_u32_e32 v14, v6, v14
	v_mov_b32_e32 v6, v13
	s_mov_b32 s2, 0xa2f9836e
	v_mad_u64_u32 v[6:7], s[2:3], v3, s2, v[6:7]
	v_cmp_lt_u32_e64 s[2:3], 31, v14
	v_cndmask_b32_e64 v3, 0, v15, s[2:3]
	v_cndmask_b32_e32 v13, v12, v10, vcc
	v_cndmask_b32_e32 v6, v6, v11, vcc
	;; [unrolled: 1-line block ×3, first 2 shown]
	v_add_u32_e32 v3, v3, v14
	v_cndmask_b32_e64 v14, v6, v13, s[0:1]
	v_cndmask_b32_e64 v6, v7, v6, s[0:1]
	v_cndmask_b32_e32 v7, v11, v9, vcc
	v_cndmask_b32_e64 v11, v13, v7, s[0:1]
	v_cndmask_b32_e64 v6, v6, v14, s[2:3]
	;; [unrolled: 1-line block ×3, first 2 shown]
	v_sub_u32_e32 v13, 32, v3
	v_alignbit_b32 v14, v6, v12, v13
	v_cmp_eq_u32_e64 s[4:5], 0, v3
	v_cndmask_b32_e64 v3, v14, v6, s[4:5]
	v_cndmask_b32_e32 v6, v10, v8, vcc
	v_cndmask_b32_e64 v7, v7, v6, s[0:1]
	v_cndmask_b32_e64 v8, v11, v7, s[2:3]
	v_alignbit_b32 v10, v12, v8, v13
	v_cndmask_b32_e32 v5, v9, v5, vcc
	v_cndmask_b32_e64 v10, v10, v12, s[4:5]
	v_bfe_u32 v14, v3, 29, 1
	v_cndmask_b32_e64 v5, v6, v5, s[0:1]
	v_alignbit_b32 v11, v3, v10, 30
	v_sub_u32_e32 v15, 0, v14
	v_cndmask_b32_e64 v5, v7, v5, s[2:3]
	v_xor_b32_e32 v11, v11, v15
	v_alignbit_b32 v6, v8, v5, v13
	v_cndmask_b32_e64 v6, v6, v8, s[4:5]
	v_ffbh_u32_e32 v8, v11
	v_alignbit_b32 v7, v10, v6, 30
	v_min_u32_e32 v8, 32, v8
	v_alignbit_b32 v5, v6, v5, 30
	v_xor_b32_e32 v7, v7, v15
	v_sub_u32_e32 v9, 31, v8
	v_xor_b32_e32 v5, v5, v15
	v_alignbit_b32 v10, v11, v7, v9
	v_alignbit_b32 v5, v7, v5, v9
	;; [unrolled: 1-line block ×3, first 2 shown]
	v_ffbh_u32_e32 v7, v6
	v_min_u32_e32 v7, 32, v7
	v_lshrrev_b32_e32 v12, 29, v3
	v_not_b32_e32 v9, v7
	v_alignbit_b32 v5, v6, v5, v9
	v_lshlrev_b32_e32 v6, 31, v12
	v_or_b32_e32 v9, 0x33000000, v6
	v_add_lshl_u32 v7, v7, v8, 23
	v_lshrrev_b32_e32 v5, 9, v5
	v_sub_u32_e32 v7, v9, v7
	v_or_b32_e32 v6, 0.5, v6
	v_lshlrev_b32_e32 v8, 23, v8
	v_or_b32_e32 v5, v7, v5
	v_lshrrev_b32_e32 v7, 9, v10
	v_sub_u32_e32 v6, v6, v8
	v_or_b32_e32 v6, v7, v6
	s_mov_b32 s0, 0x3fc90fda
	v_mul_f32_e32 v7, 0x3fc90fda, v6
	v_fma_f32 v8, v6, s0, -v7
	v_fmac_f32_e32 v8, 0x33a22168, v6
	v_fmac_f32_e32 v8, 0x3fc90fda, v5
	v_lshrrev_b32_e32 v3, 30, v3
	v_add_f32_e32 v5, v7, v8
	v_add_u32_e32 v3, v14, v3
.LBB56_274:
	s_andn2_saveexec_b64 s[0:1], s[28:29]
	s_cbranch_execz .LBB56_276
; %bb.275:
	s_mov_b32 s2, 0x3f22f983
	v_mul_f32_e64 v3, |v0|, s2
	v_rndne_f32_e32 v6, v3
	s_mov_b32 s2, 0xbfc90fda
	v_cvt_i32_f32_e32 v3, v6
	v_fma_f32 v5, v6, s2, |v0|
	v_fmac_f32_e32 v5, 0xb3a22168, v6
	v_fmac_f32_e32 v5, 0xa7c234c4, v6
.LBB56_276:
	s_or_b64 exec, exec, s[0:1]
	v_mul_f32_e32 v6, v5, v5
	v_mov_b32_e32 v7, 0x3c0881c4
	v_fmac_f32_e32 v7, 0xb94c1982, v6
	v_mov_b32_e32 v8, 0xbe2aaa9d
	v_fmac_f32_e32 v8, v6, v7
	v_mul_f32_e32 v7, v6, v8
	v_fmac_f32_e32 v5, v5, v7
	v_mov_b32_e32 v7, 0xbab64f3b
	v_fmac_f32_e32 v7, 0x37d75334, v6
	v_mov_b32_e32 v8, 0x3d2aabf7
	;; [unrolled: 2-line block ×3, first 2 shown]
	v_fmac_f32_e32 v7, v6, v8
	v_fma_f32 v6, v6, v7, 1.0
	v_and_b32_e32 v7, 1, v3
	v_lshlrev_b32_e32 v3, 30, v3
	v_cmp_eq_u32_e32 vcc, 0, v7
	v_and_b32_e32 v3, 0x80000000, v3
	v_xor_b32_e32 v1, v1, v0
	v_cndmask_b32_e32 v5, v6, v5, vcc
	v_xor_b32_e32 v1, v1, v3
	s_movk_i32 s0, 0x1f8
	v_xor_b32_e32 v1, v1, v5
	v_mov_b32_e32 v3, 0x7fc00000
	v_cmp_class_f32_e64 vcc, v0, s0
	v_cndmask_b32_e32 v0, v3, v1, vcc
	v_mul_f32_e32 v0, v0, v0
	s_mov_b32 s2, 0xc11de9e7
	v_div_scale_f32 v1, s[0:1], v0, v0, s2
	v_div_scale_f32 v3, vcc, s2, v0, s2
	v_sub_f32_e32 v2, 1.0, v2
	v_rcp_f32_e32 v5, v1
	v_fma_f32 v6, -v1, v5, 1.0
	v_fmac_f32_e32 v5, v6, v5
	v_mul_f32_e32 v6, v3, v5
	v_fma_f32 v7, -v1, v6, v3
	v_fmac_f32_e32 v6, v7, v5
	v_fma_f32 v1, -v1, v6, v3
	v_div_fmas_f32 v1, v1, v5, v6
	v_div_fixup_f32 v0, v1, v0, s2
	v_add_f32_e32 v1, 0, v0
	v_mov_b32_e32 v0, -1.0
.LBB56_277:
	s_or_b64 exec, exec, s[24:25]
	v_mul_f32_e32 v3, v2, v2
	v_div_scale_f32 v6, s[0:1], v3, v3, 1.0
	v_add_f32_e32 v5, 1.0, v2
	v_mul_f32_e32 v2, v5, v5
	v_div_scale_f32 v8, s[0:1], v2, v2, 1.0
	v_div_scale_f32 v7, vcc, 1.0, v3, 1.0
	v_add_f32_e32 v9, 1.0, v5
	v_div_scale_f32 v10, s[0:1], 1.0, v2, 1.0
	v_mul_f32_e32 v5, v9, v9
	v_div_scale_f32 v11, s[2:3], v5, v5, 1.0
	v_div_scale_f32 v14, s[2:3], 1.0, v5, 1.0
	v_rcp_f32_e32 v12, v6
	v_add_f32_e32 v9, 1.0, v9
	s_and_b32 s28, s33, 0xff
	s_cmp_lt_i32 s28, 11
	v_rcp_f32_e32 v13, v8
	v_fma_f32 v15, -v6, v12, 1.0
	v_fmac_f32_e32 v12, v15, v12
	v_mul_f32_e32 v16, v7, v12
	v_fma_f32 v17, -v6, v16, v7
	v_fma_f32 v15, -v8, v13, 1.0
	v_fmac_f32_e32 v16, v17, v12
	v_fma_f32 v6, -v6, v16, v7
	v_fmac_f32_e32 v13, v15, v13
	v_div_fmas_f32 v6, v6, v12, v16
	v_mul_f32_e32 v12, v10, v13
	v_fma_f32 v7, -v8, v12, v10
	v_rcp_f32_e32 v15, v11
	v_fmac_f32_e32 v12, v7, v13
	v_mul_f32_e32 v7, v9, v9
	v_div_scale_f32 v16, s[4:5], v7, v7, 1.0
	v_fma_f32 v8, -v8, v12, v10
	v_fma_f32 v10, -v11, v15, 1.0
	v_fmac_f32_e32 v15, v10, v15
	s_mov_b64 vcc, s[0:1]
	v_mul_f32_e32 v10, v14, v15
	v_div_fmas_f32 v8, v8, v13, v12
	v_fma_f32 v12, -v11, v10, v14
	v_fmac_f32_e32 v10, v12, v15
	v_div_scale_f32 v12, s[0:1], 1.0, v7, 1.0
	v_add_f32_e32 v13, 1.0, v9
	v_mul_f32_e32 v9, v13, v13
	v_div_scale_f32 v17, s[4:5], v9, v9, 1.0
	v_fma_f32 v11, -v11, v10, v14
	s_mov_b64 vcc, s[2:3]
	v_div_fmas_f32 v10, v11, v15, v10
	v_div_scale_f32 v11, s[2:3], 1.0, v9, 1.0
	v_rcp_f32_e32 v14, v16
	v_add_f32_e32 v13, 1.0, v13
	v_mul_f32_e32 v18, v13, v13
	v_div_scale_f32 v19, s[4:5], v18, v18, 1.0
	v_fma_f32 v15, -v16, v14, 1.0
	v_fmac_f32_e32 v14, v15, v14
	v_mul_f32_e32 v15, v12, v14
	v_fma_f32 v20, -v16, v15, v12
	v_fmac_f32_e32 v15, v20, v14
	v_rcp_f32_e32 v20, v17
	v_fma_f32 v12, -v16, v15, v12
	s_mov_b64 vcc, s[0:1]
	v_div_fmas_f32 v12, v12, v14, v15
	v_fma_f32 v14, -v17, v20, 1.0
	v_fmac_f32_e32 v20, v14, v20
	v_mul_f32_e32 v14, v11, v20
	v_fma_f32 v15, -v17, v14, v11
	v_fmac_f32_e32 v14, v15, v20
	v_div_scale_f32 v15, s[0:1], 1.0, v18, 1.0
	v_add_f32_e32 v13, 1.0, v13
	v_mul_f32_e32 v21, v13, v13
	v_div_scale_f32 v22, s[4:5], v21, v21, 1.0
	v_rcp_f32_e32 v16, v19
	v_fma_f32 v11, -v17, v14, v11
	s_mov_b64 vcc, s[2:3]
	v_div_scale_f32 v17, s[2:3], 1.0, v21, 1.0
	v_div_fmas_f32 v11, v11, v20, v14
	v_add_f32_e32 v20, v13, v13
	v_div_scale_f32 v23, s[4:5], v20, v20, 1.0
	v_fma_f32 v14, -v19, v16, 1.0
	v_fmac_f32_e32 v16, v14, v16
	v_mul_f32_e32 v14, v15, v16
	v_fma_f32 v24, -v19, v14, v15
	v_fmac_f32_e32 v14, v24, v16
	v_div_scale_f32 v24, s[4:5], 1.0, v20, 1.0
	v_rcp_f32_e32 v25, v22
	v_fma_f32 v15, -v19, v14, v15
	s_mov_b64 vcc, s[0:1]
	v_div_fmas_f32 v14, v15, v16, v14
	v_fma_f32 v15, -v22, v25, 1.0
	v_fmac_f32_e32 v25, v15, v25
	v_mul_f32_e32 v15, v17, v25
	v_fma_f32 v16, -v22, v15, v17
	v_fmac_f32_e32 v15, v16, v25
	v_rcp_f32_e32 v16, v23
	v_fma_f32 v17, -v22, v15, v17
	s_mov_b64 vcc, s[2:3]
	v_div_fmas_f32 v15, v17, v25, v15
	v_fma_f32 v17, -v23, v16, 1.0
	v_fmac_f32_e32 v16, v17, v16
	v_mul_f32_e32 v17, v24, v16
	v_fma_f32 v19, -v23, v17, v24
	v_fmac_f32_e32 v17, v19, v16
	v_fma_f32 v19, -v23, v17, v24
	s_mov_b64 vcc, s[4:5]
	v_div_fmas_f32 v16, v19, v16, v17
	v_mov_b32_e32 v17, 0x3d088889
	s_mov_b32 s0, 0x3e2aaaab
	v_div_fixup_f32 v3, v6, v3, 1.0
	v_add_f32_e32 v1, v1, v3
	v_div_fixup_f32 v2, v8, v2, 1.0
	v_add_f32_e32 v1, v1, v2
	v_div_fixup_f32 v2, v10, v5, 1.0
	v_div_fixup_f32 v15, v15, v21, 1.0
	v_fmac_f32_e32 v17, 0xbcc30c31, v15
	v_fma_f32 v17, -v15, v17, s0
	v_add_f32_e32 v1, v1, v2
	v_div_fixup_f32 v2, v12, v7, 1.0
	v_add_f32_e32 v1, v1, v2
	v_div_fixup_f32 v2, v11, v9, 1.0
	v_mul_lo_u32 v3, v4, s12
	v_div_fixup_f32 v16, v16, v20, 1.0
	v_add_f32_e32 v16, 1.0, v16
	v_fmac_f32_e32 v16, v15, v17
	v_div_scale_f32 v15, s[0:1], v13, v13, v16
	v_div_scale_f32 v17, vcc, v16, v13, v16
	v_add_f32_e32 v1, v1, v2
	v_div_fixup_f32 v2, v14, v18, 1.0
	v_add_f32_e32 v1, v1, v2
	v_mov_b32_e32 v5, s9
	v_rcp_f32_e32 v19, v15
	v_fma_f32 v20, -v15, v19, 1.0
	v_fmac_f32_e32 v19, v20, v19
	v_mul_f32_e32 v20, v17, v19
	v_fma_f32 v21, -v15, v20, v17
	v_fmac_f32_e32 v20, v21, v19
	v_fma_f32 v15, -v15, v20, v17
	v_div_fmas_f32 v15, v15, v19, v20
	v_div_fixup_f32 v2, v15, v13, v16
	v_add_f32_e32 v1, v1, v2
	v_mul_f32_e32 v2, v0, v1
	v_ashrrev_i32_e32 v1, 31, v3
	v_add_co_u32_e32 v0, vcc, s8, v3
	v_addc_co_u32_e32 v1, vcc, v5, v1, vcc
	s_cbranch_scc1 .LBB56_285
; %bb.278:
	s_and_b32 s29, 0xffff, s28
	s_cmp_gt_i32 s29, 25
	s_cbranch_scc0 .LBB56_287
; %bb.279:
	s_cmp_gt_i32 s29, 28
	s_cbranch_scc0 .LBB56_289
; %bb.280:
	;; [unrolled: 3-line block ×4, first 2 shown]
	s_mov_b64 s[4:5], 0
	s_mov_b64 s[0:1], -1
	s_cmp_eq_u32 s29, 46
	s_mov_b64 s[2:3], 0
	s_cbranch_scc0 .LBB56_301
; %bb.283:
	v_bfe_u32 v3, v2, 16, 1
	s_movk_i32 s0, 0x7fff
	v_add3_u32 v3, v2, v3, s0
	v_cmp_o_f32_e32 vcc, v2, v2
	v_mov_b32_e32 v5, 0x7fc0
	v_cndmask_b32_sdwa v3, v5, v3, vcc dst_sel:DWORD dst_unused:UNUSED_PAD src0_sel:DWORD src1_sel:WORD_1
	global_store_dword v[0:1], v3, off
	s_mov_b64 s[2:3], -1
	s_mov_b64 s[0:1], 0
	s_branch .LBB56_301
.LBB56_284:
	s_mov_b64 s[2:3], -1
	s_mov_b64 s[0:1], 0
	s_mov_b64 s[22:23], s[18:19]
                                        ; implicit-def: $vgpr2
	s_branch .LBB56_438
.LBB56_285:
	s_mov_b64 s[4:5], -1
	s_mov_b64 s[2:3], 0
	s_mov_b64 s[0:1], s[16:17]
	s_branch .LBB56_370
.LBB56_286:
	s_mov_b64 s[2:3], -1
	s_mov_b64 s[0:1], 0
	s_mov_b64 s[22:23], s[18:19]
                                        ; implicit-def: $vgpr2
	s_branch .LBB56_419
.LBB56_287:
	s_mov_b64 s[4:5], -1
	s_mov_b64 s[2:3], 0
	s_mov_b64 s[0:1], s[16:17]
	s_branch .LBB56_328
.LBB56_288:
	s_mov_b64 s[2:3], -1
	s_mov_b64 s[0:1], 0
	s_mov_b64 s[22:23], s[18:19]
                                        ; implicit-def: $vgpr2
	s_branch .LBB56_414
.LBB56_289:
	s_mov_b64 s[4:5], -1
	s_mov_b64 s[2:3], 0
	s_mov_b64 s[0:1], s[16:17]
	s_branch .LBB56_311
.LBB56_290:
	s_andn2_saveexec_b64 s[16:17], s[16:17]
	s_cbranch_execz .LBB56_60
.LBB56_291:
	s_mov_b32 s26, 0x46000000
	v_add_f32_e64 v3, |v2|, s26
	v_and_b32_e32 v3, 0xff, v3
	v_cmp_ne_u32_e32 vcc, 0, v3
	s_andn2_b64 s[4:5], s[4:5], exec
	s_and_b64 s[26:27], vcc, exec
	s_or_b64 s[4:5], s[4:5], s[26:27]
	s_or_b64 exec, exec, s[16:17]
	v_mov_b32_e32 v5, 0
	s_and_saveexec_b64 s[16:17], s[4:5]
	s_cbranch_execnz .LBB56_61
	s_branch .LBB56_62
.LBB56_292:
	s_mov_b64 s[2:3], -1
	s_mov_b64 s[0:1], 0
	s_mov_b64 s[22:23], s[18:19]
                                        ; implicit-def: $vgpr2
	s_branch .LBB56_297
.LBB56_293:
	s_mov_b64 s[4:5], -1
	s_mov_b64 s[2:3], 0
	s_mov_b64 s[0:1], s[16:17]
	s_branch .LBB56_307
.LBB56_294:
	s_andn2_saveexec_b64 s[16:17], s[16:17]
	s_cbranch_execz .LBB56_73
.LBB56_295:
	s_mov_b32 s26, 0x42800000
	v_add_f32_e64 v3, |v2|, s26
	v_and_b32_e32 v3, 0xff, v3
	v_cmp_ne_u32_e32 vcc, 0, v3
	s_andn2_b64 s[4:5], s[4:5], exec
	s_and_b64 s[26:27], vcc, exec
	s_or_b64 s[4:5], s[4:5], s[26:27]
	s_or_b64 exec, exec, s[16:17]
	v_mov_b32_e32 v5, 0
	s_and_saveexec_b64 s[16:17], s[4:5]
	s_cbranch_execnz .LBB56_74
	s_branch .LBB56_75
.LBB56_296:
	s_mov_b64 s[22:23], -1
                                        ; implicit-def: $vgpr2
	s_mov_b64 s[0:1], 0
.LBB56_297:
	s_and_b64 vcc, exec, s[2:3]
	s_cbranch_vccz .LBB56_413
; %bb.298:
	s_cmp_eq_u32 s24, 44
	s_cbranch_scc0 .LBB56_412
; %bb.299:
	global_load_ubyte v2, v[0:1], off
	s_movk_i32 s2, 0xff
	v_mov_b32_e32 v3, 0x7f800001
	v_mov_b32_e32 v5, 0x400000
	s_mov_b64 s[0:1], -1
	s_mov_b64 s[22:23], 0
	s_waitcnt vmcnt(0)
	v_lshlrev_b32_e32 v6, 23, v2
	v_cmp_ne_u32_e32 vcc, s2, v2
	v_cndmask_b32_e32 v3, v3, v6, vcc
	v_cmp_ne_u32_e32 vcc, 0, v2
	v_cndmask_b32_e32 v2, v5, v3, vcc
	s_branch .LBB56_413
.LBB56_300:
	s_mov_b64 s[4:5], -1
	s_mov_b64 s[2:3], 0
	s_mov_b64 s[0:1], s[16:17]
.LBB56_301:
	s_and_b64 vcc, exec, s[4:5]
	s_cbranch_vccz .LBB56_306
; %bb.302:
	s_cmp_eq_u32 s29, 44
	s_mov_b64 s[0:1], -1
	s_cbranch_scc0 .LBB56_306
; %bb.303:
	v_bfe_u32 v3, v2, 23, 8
	s_movk_i32 s0, 0xff
	v_cmp_ne_u32_e32 vcc, s0, v3
	v_mov_b32_e32 v5, 0xff
	s_and_saveexec_b64 s[2:3], vcc
; %bb.304:
	s_mov_b32 s0, 0x3fffff
	v_and_b32_e32 v6, 0x400000, v2
	v_and_or_b32 v3, v2, s0, v3
	v_cmp_ne_u32_e32 vcc, 0, v6
	v_cmp_ne_u32_e64 s[0:1], 0, v3
	s_and_b64 s[0:1], vcc, s[0:1]
	v_lshrrev_b32_e32 v5, 23, v2
	v_cndmask_b32_e64 v3, 0, 1, s[0:1]
	v_add_u32_e32 v5, v5, v3
; %bb.305:
	s_or_b64 exec, exec, s[2:3]
	s_mov_b64 s[2:3], -1
	s_mov_b64 s[0:1], 0
	global_store_byte v[0:1], v5, off
.LBB56_306:
	s_mov_b64 s[4:5], 0
.LBB56_307:
	s_and_b64 vcc, exec, s[4:5]
	s_cbranch_vccz .LBB56_310
; %bb.308:
	s_cmp_eq_u32 s29, 29
	s_mov_b64 s[0:1], -1
	s_cbranch_scc0 .LBB56_310
; %bb.309:
	v_trunc_f32_e32 v3, v2
	v_mul_f32_e32 v5, 0x2f800000, v3
	v_floor_f32_e32 v5, v5
	v_fmac_f32_e32 v3, 0xcf800000, v5
	v_cvt_u32_f32_e32 v6, v5
	v_cvt_u32_f32_e32 v5, v3
	s_mov_b64 s[2:3], -1
	s_mov_b64 s[0:1], 0
	s_mov_b64 s[4:5], 0
	global_store_dwordx2 v[0:1], v[5:6], off
	s_branch .LBB56_311
.LBB56_310:
	s_mov_b64 s[4:5], 0
.LBB56_311:
	s_and_b64 vcc, exec, s[4:5]
	s_cbranch_vccz .LBB56_327
; %bb.312:
	s_cmp_lt_i32 s29, 27
	s_mov_b64 s[2:3], -1
	s_cbranch_scc1 .LBB56_318
; %bb.313:
	v_cvt_u32_f32_e32 v3, v2
	s_cmp_gt_i32 s29, 27
	s_cbranch_scc0 .LBB56_315
; %bb.314:
	s_mov_b64 s[2:3], 0
	global_store_dword v[0:1], v3, off
.LBB56_315:
	s_andn2_b64 vcc, exec, s[2:3]
	s_cbranch_vccnz .LBB56_317
; %bb.316:
	global_store_short v[0:1], v3, off
.LBB56_317:
	s_mov_b64 s[2:3], 0
.LBB56_318:
	s_andn2_b64 vcc, exec, s[2:3]
	s_cbranch_vccnz .LBB56_326
; %bb.319:
	v_and_b32_e32 v3, 0x7fffffff, v2
	s_mov_b32 s2, 0x43800000
	v_cmp_gt_u32_e32 vcc, s2, v3
	v_mov_b32_e32 v5, 0x80
	s_and_saveexec_b64 s[2:3], vcc
	s_cbranch_execz .LBB56_325
; %bb.320:
	s_mov_b32 s4, 0x3bffffff
	v_cmp_lt_u32_e32 vcc, s4, v3
	s_mov_b64 s[4:5], 0
                                        ; implicit-def: $vgpr3
	s_and_saveexec_b64 s[24:25], vcc
	s_xor_b64 s[24:25], exec, s[24:25]
	s_cbranch_execz .LBB56_537
; %bb.321:
	v_bfe_u32 v3, v2, 20, 1
	s_mov_b32 s30, 0x487ffff
	v_add3_u32 v3, v2, v3, s30
	s_mov_b64 s[4:5], exec
	v_lshrrev_b32_e32 v3, 20, v3
	s_andn2_saveexec_b64 s[24:25], s[24:25]
	s_cbranch_execnz .LBB56_538
.LBB56_322:
	s_or_b64 exec, exec, s[24:25]
	v_mov_b32_e32 v5, 0
	s_and_saveexec_b64 s[24:25], s[4:5]
.LBB56_323:
	v_lshrrev_b32_e32 v5, 24, v2
	s_movk_i32 s4, 0x80
	v_and_or_b32 v5, v5, s4, v3
.LBB56_324:
	s_or_b64 exec, exec, s[24:25]
.LBB56_325:
	s_or_b64 exec, exec, s[2:3]
	global_store_byte v[0:1], v5, off
.LBB56_326:
	s_mov_b64 s[2:3], -1
.LBB56_327:
	s_mov_b64 s[4:5], 0
.LBB56_328:
	s_and_b64 vcc, exec, s[4:5]
	s_cbranch_vccz .LBB56_369
; %bb.329:
	s_cmp_gt_i32 s29, 22
	s_mov_b64 s[4:5], -1
	s_cbranch_scc0 .LBB56_361
; %bb.330:
	s_cmp_lt_i32 s29, 24
	s_mov_b64 s[2:3], -1
	s_cbranch_scc1 .LBB56_350
; %bb.331:
	s_cmp_gt_i32 s29, 24
	s_cbranch_scc0 .LBB56_339
; %bb.332:
	v_and_b32_e32 v3, 0x7fffffff, v2
	s_mov_b32 s2, 0x47800000
	v_cmp_gt_u32_e32 vcc, s2, v3
	v_mov_b32_e32 v5, 0x80
	s_and_saveexec_b64 s[2:3], vcc
	s_cbranch_execz .LBB56_338
; %bb.333:
	s_mov_b32 s4, 0x37ffffff
	v_cmp_lt_u32_e32 vcc, s4, v3
	s_mov_b64 s[4:5], 0
                                        ; implicit-def: $vgpr3
	s_and_saveexec_b64 s[24:25], vcc
	s_xor_b64 s[24:25], exec, s[24:25]
	s_cbranch_execz .LBB56_540
; %bb.334:
	v_bfe_u32 v3, v2, 21, 1
	s_mov_b32 s30, 0x88fffff
	v_add3_u32 v3, v2, v3, s30
	s_mov_b64 s[4:5], exec
	v_lshrrev_b32_e32 v3, 21, v3
	s_andn2_saveexec_b64 s[24:25], s[24:25]
	s_cbranch_execnz .LBB56_541
.LBB56_335:
	s_or_b64 exec, exec, s[24:25]
	v_mov_b32_e32 v5, 0
	s_and_saveexec_b64 s[24:25], s[4:5]
.LBB56_336:
	v_lshrrev_b32_e32 v5, 24, v2
	s_movk_i32 s4, 0x80
	v_and_or_b32 v5, v5, s4, v3
.LBB56_337:
	s_or_b64 exec, exec, s[24:25]
.LBB56_338:
	s_or_b64 exec, exec, s[2:3]
	s_mov_b64 s[2:3], 0
	global_store_byte v[0:1], v5, off
.LBB56_339:
	s_and_b64 vcc, exec, s[2:3]
	s_cbranch_vccz .LBB56_349
; %bb.340:
	v_and_b32_e32 v5, 0x7fffffff, v2
	s_mov_b32 s2, 0x43f00000
	v_cmp_gt_u32_e32 vcc, s2, v5
                                        ; implicit-def: $vgpr3
	s_and_saveexec_b64 s[2:3], vcc
	s_xor_b64 s[2:3], exec, s[2:3]
	s_cbranch_execz .LBB56_346
; %bb.341:
	s_mov_b32 s4, 0x3c7fffff
	v_cmp_lt_u32_e32 vcc, s4, v5
                                        ; implicit-def: $vgpr3
	s_and_saveexec_b64 s[4:5], vcc
	s_xor_b64 s[4:5], exec, s[4:5]
; %bb.342:
	v_bfe_u32 v3, v2, 20, 1
	s_mov_b32 s24, 0x407ffff
	v_add3_u32 v3, v2, v3, s24
	v_lshrrev_b32_e32 v5, 20, v3
	v_and_b32_e32 v3, 0xff00000, v3
	s_mov_b32 s24, 0x7f00000
	v_mov_b32_e32 v6, 0x7e
	v_cmp_ne_u32_e32 vcc, s24, v3
	v_cndmask_b32_e32 v3, v6, v5, vcc
; %bb.343:
	s_andn2_saveexec_b64 s[4:5], s[4:5]
; %bb.344:
	s_mov_b32 s24, 0x46800000
	v_add_f32_e64 v3, |v2|, s24
; %bb.345:
	s_or_b64 exec, exec, s[4:5]
                                        ; implicit-def: $vgpr5
.LBB56_346:
	s_andn2_saveexec_b64 s[2:3], s[2:3]
; %bb.347:
	s_mov_b32 s4, 0x7f800000
	v_mov_b32_e32 v3, 0x7e
	v_mov_b32_e32 v6, 0x7f
	v_cmp_lt_u32_e32 vcc, s4, v5
	v_cndmask_b32_e32 v3, v3, v6, vcc
; %bb.348:
	s_or_b64 exec, exec, s[2:3]
	v_lshrrev_b32_e32 v5, 24, v2
	s_movk_i32 s2, 0x80
	v_and_or_b32 v3, v5, s2, v3
	global_store_byte v[0:1], v3, off
.LBB56_349:
	s_mov_b64 s[2:3], 0
.LBB56_350:
	s_andn2_b64 vcc, exec, s[2:3]
	s_cbranch_vccnz .LBB56_360
; %bb.351:
	v_and_b32_e32 v5, 0x7fffffff, v2
	s_mov_b32 s2, 0x47800000
	v_cmp_gt_u32_e32 vcc, s2, v5
                                        ; implicit-def: $vgpr3
	s_and_saveexec_b64 s[2:3], vcc
	s_xor_b64 s[2:3], exec, s[2:3]
	s_cbranch_execz .LBB56_357
; %bb.352:
	s_mov_b32 s4, 0x387fffff
	v_cmp_lt_u32_e32 vcc, s4, v5
                                        ; implicit-def: $vgpr3
	s_and_saveexec_b64 s[4:5], vcc
	s_xor_b64 s[4:5], exec, s[4:5]
; %bb.353:
	v_bfe_u32 v3, v2, 21, 1
	s_mov_b32 s24, 0x80fffff
	v_add3_u32 v3, v2, v3, s24
	v_lshrrev_b32_e32 v3, 21, v3
; %bb.354:
	s_andn2_saveexec_b64 s[4:5], s[4:5]
; %bb.355:
	s_mov_b32 s24, 0x43000000
	v_add_f32_e64 v3, |v2|, s24
; %bb.356:
	s_or_b64 exec, exec, s[4:5]
                                        ; implicit-def: $vgpr5
.LBB56_357:
	s_andn2_saveexec_b64 s[2:3], s[2:3]
; %bb.358:
	s_mov_b32 s4, 0x7f800000
	v_mov_b32_e32 v3, 0x7c
	v_mov_b32_e32 v6, 0x7f
	v_cmp_lt_u32_e32 vcc, s4, v5
	v_cndmask_b32_e32 v3, v3, v6, vcc
; %bb.359:
	s_or_b64 exec, exec, s[2:3]
	v_lshrrev_b32_e32 v5, 24, v2
	s_movk_i32 s2, 0x80
	v_and_or_b32 v3, v5, s2, v3
	global_store_byte v[0:1], v3, off
.LBB56_360:
	s_mov_b64 s[4:5], 0
	s_mov_b64 s[2:3], -1
.LBB56_361:
	s_andn2_b64 vcc, exec, s[4:5]
	s_cbranch_vccnz .LBB56_369
; %bb.362:
	s_cmp_gt_i32 s29, 14
	s_mov_b64 s[4:5], -1
	s_cbranch_scc0 .LBB56_366
; %bb.363:
	s_cmp_eq_u32 s29, 15
	s_mov_b64 s[0:1], -1
	s_cbranch_scc0 .LBB56_365
; %bb.364:
	v_bfe_u32 v3, v2, 16, 1
	s_movk_i32 s0, 0x7fff
	v_add3_u32 v3, v2, v3, s0
	v_cmp_o_f32_e32 vcc, v2, v2
	v_mov_b32_e32 v5, 0x7fc0
	v_cndmask_b32_sdwa v3, v5, v3, vcc dst_sel:DWORD dst_unused:UNUSED_PAD src0_sel:DWORD src1_sel:WORD_1
	global_store_short v[0:1], v3, off
	s_mov_b64 s[2:3], -1
	s_mov_b64 s[0:1], 0
.LBB56_365:
	s_mov_b64 s[4:5], 0
.LBB56_366:
	s_and_b64 vcc, exec, s[4:5]
	s_cbranch_vccz .LBB56_369
; %bb.367:
	s_cmp_eq_u32 s29, 11
	s_mov_b64 s[0:1], -1
	s_cbranch_scc0 .LBB56_369
; %bb.368:
	v_cmp_neq_f32_e32 vcc, 0, v2
	v_cndmask_b32_e64 v3, 0, 1, vcc
	s_mov_b64 s[2:3], -1
	s_mov_b64 s[0:1], 0
	global_store_byte v[0:1], v3, off
.LBB56_369:
	s_mov_b64 s[4:5], 0
.LBB56_370:
	s_and_b64 vcc, exec, s[4:5]
	s_cbranch_vccz .LBB56_409
; %bb.371:
	s_and_b32 s4, 0xffff, s28
	s_cmp_lt_i32 s4, 5
	s_mov_b64 s[2:3], -1
	s_cbranch_scc1 .LBB56_392
; %bb.372:
	s_cmp_lt_i32 s4, 8
	s_cbranch_scc1 .LBB56_382
; %bb.373:
	s_cmp_lt_i32 s4, 9
	s_cbranch_scc1 .LBB56_379
; %bb.374:
	s_cmp_gt_i32 s4, 9
	s_cbranch_scc0 .LBB56_376
; %bb.375:
	v_cvt_f64_f32_e32 v[5:6], v2
	v_mov_b32_e32 v7, 0
	v_mov_b32_e32 v8, v7
	s_mov_b64 s[2:3], 0
	global_store_dwordx4 v[0:1], v[5:8], off
.LBB56_376:
	s_andn2_b64 vcc, exec, s[2:3]
	s_cbranch_vccnz .LBB56_378
; %bb.377:
	v_mov_b32_e32 v3, 0
	global_store_dwordx2 v[0:1], v[2:3], off
.LBB56_378:
	s_mov_b64 s[2:3], 0
.LBB56_379:
	s_andn2_b64 vcc, exec, s[2:3]
	s_cbranch_vccnz .LBB56_381
; %bb.380:
	v_cvt_f16_f32_e32 v3, v2
	global_store_dword v[0:1], v3, off
.LBB56_381:
	s_mov_b64 s[2:3], 0
.LBB56_382:
	s_andn2_b64 vcc, exec, s[2:3]
	s_cbranch_vccnz .LBB56_391
; %bb.383:
	s_cmp_lt_i32 s4, 6
	s_mov_b64 s[2:3], -1
	s_cbranch_scc1 .LBB56_389
; %bb.384:
	s_cmp_gt_i32 s4, 6
	s_cbranch_scc0 .LBB56_386
; %bb.385:
	v_cvt_f64_f32_e32 v[5:6], v2
	s_mov_b64 s[2:3], 0
	global_store_dwordx2 v[0:1], v[5:6], off
.LBB56_386:
	s_andn2_b64 vcc, exec, s[2:3]
	s_cbranch_vccnz .LBB56_388
; %bb.387:
	global_store_dword v[0:1], v2, off
.LBB56_388:
	s_mov_b64 s[2:3], 0
.LBB56_389:
	s_andn2_b64 vcc, exec, s[2:3]
	s_cbranch_vccnz .LBB56_391
; %bb.390:
	v_cvt_f16_f32_e32 v3, v2
	global_store_short v[0:1], v3, off
.LBB56_391:
	s_mov_b64 s[2:3], 0
.LBB56_392:
	s_andn2_b64 vcc, exec, s[2:3]
	s_cbranch_vccnz .LBB56_408
; %bb.393:
	s_cmp_lt_i32 s4, 2
	s_mov_b64 s[2:3], -1
	s_cbranch_scc1 .LBB56_403
; %bb.394:
	s_cmp_lt_i32 s4, 3
	s_cbranch_scc1 .LBB56_400
; %bb.395:
	s_cmp_gt_i32 s4, 3
	s_cbranch_scc0 .LBB56_397
; %bb.396:
	v_trunc_f32_e32 v3, v2
	s_mov_b32 s2, 0x2f800000
	v_mul_f32_e64 v5, |v3|, s2
	v_floor_f32_e32 v5, v5
	s_mov_b32 s2, 0xcf800000
	v_cvt_u32_f32_e32 v6, v5
	v_fma_f32 v5, v5, s2, |v3|
	v_cvt_u32_f32_e32 v5, v5
	v_ashrrev_i32_e32 v3, 31, v3
	v_xor_b32_e32 v6, v6, v3
	s_mov_b64 s[2:3], 0
	v_xor_b32_e32 v5, v5, v3
	v_sub_co_u32_e32 v5, vcc, v5, v3
	v_subb_co_u32_e32 v6, vcc, v6, v3, vcc
	global_store_dwordx2 v[0:1], v[5:6], off
.LBB56_397:
	s_andn2_b64 vcc, exec, s[2:3]
	s_cbranch_vccnz .LBB56_399
; %bb.398:
	v_cvt_i32_f32_e32 v3, v2
	global_store_dword v[0:1], v3, off
.LBB56_399:
	s_mov_b64 s[2:3], 0
.LBB56_400:
	s_andn2_b64 vcc, exec, s[2:3]
	s_cbranch_vccnz .LBB56_402
; %bb.401:
	v_cvt_i32_f32_e32 v3, v2
	global_store_short v[0:1], v3, off
.LBB56_402:
	s_mov_b64 s[2:3], 0
.LBB56_403:
	s_andn2_b64 vcc, exec, s[2:3]
	s_cbranch_vccnz .LBB56_408
; %bb.404:
	s_cmp_gt_i32 s4, 0
	s_mov_b64 s[2:3], -1
	s_cbranch_scc0 .LBB56_406
; %bb.405:
	v_cvt_i32_f32_e32 v3, v2
	s_mov_b64 s[2:3], 0
	global_store_byte v[0:1], v3, off
.LBB56_406:
	s_andn2_b64 vcc, exec, s[2:3]
	s_cbranch_vccnz .LBB56_408
; %bb.407:
	v_trunc_f32_e32 v2, v2
	s_mov_b32 s2, 0x2f800000
	v_mul_f32_e64 v3, |v2|, s2
	v_floor_f32_e32 v3, v3
	s_mov_b32 s2, 0xcf800000
	v_fma_f32 v3, v3, s2, |v2|
	v_cvt_u32_f32_e32 v3, v3
	v_ashrrev_i32_e32 v2, 31, v2
	v_xor_b32_e32 v3, v3, v2
	v_sub_u32_e32 v2, v3, v2
	global_store_byte v[0:1], v2, off
.LBB56_408:
	s_mov_b64 s[2:3], -1
.LBB56_409:
	s_andn2_b64 vcc, exec, s[2:3]
	s_cbranch_vccnz .LBB56_411
; %bb.410:
	v_add_u32_e32 v4, 0x80, v4
	s_mov_b64 s[2:3], -1
	s_branch .LBB56_523
.LBB56_411:
	s_mov_b64 s[2:3], 0
                                        ; implicit-def: $vgpr4
	s_branch .LBB56_523
.LBB56_412:
	s_mov_b64 s[22:23], -1
                                        ; implicit-def: $vgpr2
.LBB56_413:
	s_mov_b64 s[2:3], 0
.LBB56_414:
	s_and_b64 vcc, exec, s[2:3]
	s_cbranch_vccz .LBB56_418
; %bb.415:
	s_cmp_eq_u32 s24, 29
	s_cbranch_scc0 .LBB56_417
; %bb.416:
	global_load_dwordx2 v[2:3], v[0:1], off
	s_mov_b64 s[0:1], -1
	s_mov_b64 s[22:23], 0
	s_mov_b64 s[2:3], 0
	s_waitcnt vmcnt(0)
	v_ffbh_u32_e32 v5, v3
	v_min_u32_e32 v5, 32, v5
	v_lshlrev_b64 v[2:3], v5, v[2:3]
	v_min_u32_e32 v2, 1, v2
	v_or_b32_e32 v2, v3, v2
	v_cvt_f32_u32_e32 v2, v2
	v_sub_u32_e32 v3, 32, v5
	v_ldexp_f32 v2, v2, v3
	s_branch .LBB56_419
.LBB56_417:
	s_mov_b64 s[22:23], -1
                                        ; implicit-def: $vgpr2
.LBB56_418:
	s_mov_b64 s[2:3], 0
.LBB56_419:
	s_and_b64 vcc, exec, s[2:3]
	s_cbranch_vccz .LBB56_437
; %bb.420:
	s_cmp_lt_i32 s24, 27
	s_cbranch_scc1 .LBB56_423
; %bb.421:
	s_cmp_gt_i32 s24, 27
	s_cbranch_scc0 .LBB56_424
; %bb.422:
	global_load_dword v2, v[0:1], off
	s_mov_b64 s[0:1], 0
	s_waitcnt vmcnt(0)
	v_cvt_f32_u32_e32 v2, v2
	s_branch .LBB56_425
.LBB56_423:
	s_mov_b64 s[0:1], -1
                                        ; implicit-def: $vgpr2
	s_branch .LBB56_428
.LBB56_424:
	s_mov_b64 s[0:1], -1
                                        ; implicit-def: $vgpr2
.LBB56_425:
	s_andn2_b64 vcc, exec, s[0:1]
	s_cbranch_vccnz .LBB56_427
; %bb.426:
	global_load_ushort v2, v[0:1], off
	s_waitcnt vmcnt(0)
	v_cvt_f32_u32_e32 v2, v2
.LBB56_427:
	s_mov_b64 s[0:1], 0
.LBB56_428:
	s_andn2_b64 vcc, exec, s[0:1]
	s_cbranch_vccnz .LBB56_436
; %bb.429:
	global_load_ubyte v3, v[0:1], off
	s_movk_i32 s0, 0x7f
	s_waitcnt vmcnt(0)
	v_cmp_lt_i16_e32 vcc, s0, v3
	s_mov_b64 s[0:1], 0
	s_and_saveexec_b64 s[2:3], vcc
	s_xor_b64 s[2:3], exec, s[2:3]
	s_cbranch_execz .LBB56_450
; %bb.430:
	s_movk_i32 s0, 0x80
	v_cmp_eq_u16_e32 vcc, s0, v3
	s_mov_b64 s[0:1], -1
	s_and_saveexec_b64 s[4:5], vcc
; %bb.431:
	s_xor_b64 s[0:1], exec, -1
; %bb.432:
	s_or_b64 exec, exec, s[4:5]
	s_and_b64 s[0:1], s[0:1], exec
	s_or_saveexec_b64 s[2:3], s[2:3]
	v_mov_b32_e32 v2, 0x7f800001
	s_xor_b64 exec, exec, s[2:3]
	s_cbranch_execnz .LBB56_451
.LBB56_433:
	s_or_b64 exec, exec, s[2:3]
	s_and_saveexec_b64 s[2:3], s[0:1]
	s_cbranch_execz .LBB56_435
.LBB56_434:
	v_lshlrev_b32_e32 v2, 24, v3
	v_and_b32_e32 v3, 0xffff, v3
	v_and_b32_e32 v5, 7, v3
	v_ffbh_u32_e32 v7, v5
	v_min_u32_e32 v7, 32, v7
	v_subrev_u32_e32 v8, 28, v7
	v_bfe_u32 v6, v3, 3, 4
	v_lshlrev_b32_e32 v3, v8, v3
	v_sub_u32_e32 v7, 29, v7
	v_and_b32_e32 v3, 7, v3
	v_cmp_eq_u32_e32 vcc, 0, v6
	v_cndmask_b32_e32 v6, v6, v7, vcc
	v_cndmask_b32_e32 v3, v5, v3, vcc
	v_mov_b32_e32 v5, 0x3b800000
	v_lshlrev_b32_e32 v3, 20, v3
	v_and_b32_e32 v2, 0x80000000, v2
	v_lshl_add_u32 v5, v6, 23, v5
	v_or3_b32 v2, v2, v5, v3
.LBB56_435:
	s_or_b64 exec, exec, s[2:3]
.LBB56_436:
	s_mov_b64 s[0:1], -1
.LBB56_437:
	s_mov_b64 s[2:3], 0
.LBB56_438:
	s_and_b64 vcc, exec, s[2:3]
	s_cbranch_vccz .LBB56_473
; %bb.439:
	s_cmp_gt_i32 s24, 22
	s_cbranch_scc0 .LBB56_449
; %bb.440:
	s_cmp_lt_i32 s24, 24
	s_cbranch_scc1 .LBB56_452
; %bb.441:
	s_cmp_gt_i32 s24, 24
	s_cbranch_scc0 .LBB56_453
; %bb.442:
	global_load_ubyte v3, v[0:1], off
	s_movk_i32 s0, 0x7f
	s_waitcnt vmcnt(0)
	v_cmp_lt_i16_e32 vcc, s0, v3
	s_mov_b64 s[0:1], 0
	s_and_saveexec_b64 s[2:3], vcc
	s_xor_b64 s[2:3], exec, s[2:3]
	s_cbranch_execz .LBB56_465
; %bb.443:
	s_movk_i32 s0, 0x80
	v_cmp_eq_u16_e32 vcc, s0, v3
	s_mov_b64 s[0:1], -1
	s_and_saveexec_b64 s[4:5], vcc
; %bb.444:
	s_xor_b64 s[0:1], exec, -1
; %bb.445:
	s_or_b64 exec, exec, s[4:5]
	s_and_b64 s[0:1], s[0:1], exec
	s_or_saveexec_b64 s[2:3], s[2:3]
	v_mov_b32_e32 v2, 0x7f800001
	s_xor_b64 exec, exec, s[2:3]
	s_cbranch_execnz .LBB56_466
.LBB56_446:
	s_or_b64 exec, exec, s[2:3]
	s_and_saveexec_b64 s[2:3], s[0:1]
	s_cbranch_execz .LBB56_448
.LBB56_447:
	v_lshlrev_b32_e32 v2, 24, v3
	v_and_b32_e32 v3, 0xffff, v3
	v_and_b32_e32 v5, 3, v3
	v_ffbh_u32_e32 v7, v5
	v_min_u32_e32 v7, 32, v7
	v_subrev_u32_e32 v8, 29, v7
	v_bfe_u32 v6, v3, 2, 5
	v_lshlrev_b32_e32 v3, v8, v3
	v_sub_u32_e32 v7, 30, v7
	v_and_b32_e32 v3, 3, v3
	v_cmp_eq_u32_e32 vcc, 0, v6
	v_cndmask_b32_e32 v6, v6, v7, vcc
	v_cndmask_b32_e32 v3, v5, v3, vcc
	v_mov_b32_e32 v5, 0x37800000
	v_lshlrev_b32_e32 v3, 21, v3
	v_and_b32_e32 v2, 0x80000000, v2
	v_lshl_add_u32 v5, v6, 23, v5
	v_or3_b32 v2, v2, v5, v3
.LBB56_448:
	s_or_b64 exec, exec, s[2:3]
	s_mov_b64 s[0:1], 0
	s_branch .LBB56_454
.LBB56_449:
	s_mov_b64 s[2:3], -1
                                        ; implicit-def: $vgpr2
	s_branch .LBB56_460
.LBB56_450:
	s_or_saveexec_b64 s[2:3], s[2:3]
	v_mov_b32_e32 v2, 0x7f800001
	s_xor_b64 exec, exec, s[2:3]
	s_cbranch_execz .LBB56_433
.LBB56_451:
	v_cmp_ne_u16_e32 vcc, 0, v3
	s_andn2_b64 s[0:1], s[0:1], exec
	s_and_b64 s[4:5], vcc, exec
	v_mov_b32_e32 v2, 0
	s_or_b64 s[0:1], s[0:1], s[4:5]
	s_or_b64 exec, exec, s[2:3]
	s_and_saveexec_b64 s[2:3], s[0:1]
	s_cbranch_execnz .LBB56_434
	s_branch .LBB56_435
.LBB56_452:
	s_mov_b64 s[0:1], -1
                                        ; implicit-def: $vgpr2
	s_branch .LBB56_457
.LBB56_453:
	s_mov_b64 s[0:1], -1
                                        ; implicit-def: $vgpr2
.LBB56_454:
	s_and_b64 vcc, exec, s[0:1]
	s_cbranch_vccz .LBB56_456
; %bb.455:
	global_load_ubyte v2, v[0:1], off
	s_mov_b32 s0, 0x7f800000
	s_waitcnt vmcnt(0)
	v_lshlrev_b32_e32 v2, 24, v2
	v_and_b32_e32 v3, 0x7f000000, v2
	v_ffbh_u32_e32 v5, v3
	v_min_u32_e32 v5, 32, v5
	v_sub_u32_e64 v5, v5, 4 clamp
	v_lshlrev_b32_e32 v7, v5, v3
	v_lshlrev_b32_e32 v5, 23, v5
	v_lshrrev_b32_e32 v7, 4, v7
	v_add_u32_e32 v6, 0x1000000, v3
	v_sub_u32_e32 v5, v7, v5
	v_ashrrev_i32_e32 v6, 8, v6
	v_add_u32_e32 v5, 0x3c000000, v5
	v_and_or_b32 v5, v6, s0, v5
	v_cmp_ne_u32_e32 vcc, 0, v3
	v_cndmask_b32_e32 v3, 0, v5, vcc
	s_brev_b32 s0, 1
	v_and_or_b32 v2, v2, s0, v3
.LBB56_456:
	s_mov_b64 s[0:1], 0
.LBB56_457:
	s_andn2_b64 vcc, exec, s[0:1]
	s_cbranch_vccnz .LBB56_459
; %bb.458:
	global_load_ubyte v2, v[0:1], off
	s_movk_i32 s0, 0x7f00
	s_brev_b32 s1, 16
	s_waitcnt vmcnt(0)
	v_lshlrev_b16_e32 v3, 8, v2
	v_lshlrev_b32_e32 v2, 25, v2
	v_lshrrev_b32_e32 v5, 4, v2
	v_and_or_b32 v6, v3, s0, 0.5
	v_or_b32_e32 v5, 0x70000000, v5
	v_add_f32_e32 v6, -0.5, v6
	v_mul_f32_e32 v5, 0x7800000, v5
	v_cmp_gt_u32_e32 vcc, s1, v2
	v_bfe_i32 v3, v3, 0, 16
	v_cndmask_b32_e32 v2, v5, v6, vcc
	s_brev_b32 s0, 1
	v_and_or_b32 v2, v3, s0, v2
.LBB56_459:
	s_mov_b64 s[2:3], 0
	s_mov_b64 s[0:1], -1
.LBB56_460:
	s_andn2_b64 vcc, exec, s[2:3]
	s_cbranch_vccnz .LBB56_473
; %bb.461:
	s_cmp_gt_i32 s24, 14
	s_cbranch_scc0 .LBB56_464
; %bb.462:
	s_cmp_eq_u32 s24, 15
	s_cbranch_scc0 .LBB56_467
; %bb.463:
	global_load_ushort v2, v[0:1], off
	s_mov_b64 s[0:1], -1
	s_mov_b64 s[22:23], 0
	s_waitcnt vmcnt(0)
	v_lshlrev_b32_e32 v2, 16, v2
	s_branch .LBB56_468
.LBB56_464:
	s_mov_b64 s[2:3], -1
                                        ; implicit-def: $vgpr2
	s_branch .LBB56_469
.LBB56_465:
	s_or_saveexec_b64 s[2:3], s[2:3]
	v_mov_b32_e32 v2, 0x7f800001
	s_xor_b64 exec, exec, s[2:3]
	s_cbranch_execz .LBB56_446
.LBB56_466:
	v_cmp_ne_u16_e32 vcc, 0, v3
	s_andn2_b64 s[0:1], s[0:1], exec
	s_and_b64 s[4:5], vcc, exec
	v_mov_b32_e32 v2, 0
	s_or_b64 s[0:1], s[0:1], s[4:5]
	s_or_b64 exec, exec, s[2:3]
	s_and_saveexec_b64 s[2:3], s[0:1]
	s_cbranch_execnz .LBB56_447
	s_branch .LBB56_448
.LBB56_467:
	s_mov_b64 s[22:23], -1
                                        ; implicit-def: $vgpr2
.LBB56_468:
	s_mov_b64 s[2:3], 0
.LBB56_469:
	s_and_b64 vcc, exec, s[2:3]
	s_cbranch_vccz .LBB56_473
; %bb.470:
	s_cmp_eq_u32 s24, 11
	s_cbranch_scc0 .LBB56_472
; %bb.471:
	global_load_ubyte v2, v[0:1], off
	s_mov_b64 s[0:1], -1
	s_mov_b64 s[22:23], 0
	s_waitcnt vmcnt(0)
	v_cmp_ne_u16_e32 vcc, 0, v2
	v_cndmask_b32_e64 v2, 0, 1.0, vcc
	s_branch .LBB56_473
.LBB56_472:
	s_mov_b64 s[22:23], -1
                                        ; implicit-def: $vgpr2
.LBB56_473:
	s_branch .LBB56_270
.LBB56_474:
	s_cmp_lt_i32 s24, 5
	s_cbranch_scc1 .LBB56_479
; %bb.475:
	s_cmp_lt_i32 s24, 8
	s_cbranch_scc1 .LBB56_480
; %bb.476:
	;; [unrolled: 3-line block ×3, first 2 shown]
	s_cmp_gt_i32 s24, 9
	s_cbranch_scc0 .LBB56_482
; %bb.478:
	global_load_dwordx2 v[2:3], v[0:1], off
	s_mov_b64 s[0:1], 0
	s_waitcnt vmcnt(0)
	v_cvt_f32_f64_e32 v2, v[2:3]
	s_branch .LBB56_483
.LBB56_479:
	s_mov_b64 s[0:1], -1
                                        ; implicit-def: $vgpr2
	s_branch .LBB56_501
.LBB56_480:
	s_mov_b64 s[0:1], -1
                                        ; implicit-def: $vgpr2
	s_branch .LBB56_489
.LBB56_481:
	s_mov_b64 s[0:1], -1
                                        ; implicit-def: $vgpr2
	s_branch .LBB56_486
.LBB56_482:
	s_mov_b64 s[0:1], -1
                                        ; implicit-def: $vgpr2
.LBB56_483:
	s_andn2_b64 vcc, exec, s[0:1]
	s_cbranch_vccnz .LBB56_485
; %bb.484:
	global_load_dword v2, v[0:1], off
.LBB56_485:
	s_mov_b64 s[0:1], 0
.LBB56_486:
	s_andn2_b64 vcc, exec, s[0:1]
	s_cbranch_vccnz .LBB56_488
; %bb.487:
	global_load_dword v2, v[0:1], off
	s_waitcnt vmcnt(0)
	v_cvt_f32_f16_e32 v2, v2
.LBB56_488:
	s_mov_b64 s[0:1], 0
.LBB56_489:
	s_andn2_b64 vcc, exec, s[0:1]
	s_cbranch_vccnz .LBB56_500
; %bb.490:
	s_cmp_lt_i32 s24, 6
	s_cbranch_scc1 .LBB56_493
; %bb.491:
	s_cmp_gt_i32 s24, 6
	s_cbranch_scc0 .LBB56_494
; %bb.492:
	global_load_dwordx2 v[2:3], v[0:1], off
	s_mov_b64 s[0:1], 0
	s_waitcnt vmcnt(0)
	v_cvt_f32_f64_e32 v2, v[2:3]
	s_branch .LBB56_495
.LBB56_493:
	s_mov_b64 s[0:1], -1
                                        ; implicit-def: $vgpr2
	s_branch .LBB56_498
.LBB56_494:
	s_mov_b64 s[0:1], -1
                                        ; implicit-def: $vgpr2
.LBB56_495:
	s_andn2_b64 vcc, exec, s[0:1]
	s_cbranch_vccnz .LBB56_497
; %bb.496:
	global_load_dword v2, v[0:1], off
.LBB56_497:
	s_mov_b64 s[0:1], 0
.LBB56_498:
	s_andn2_b64 vcc, exec, s[0:1]
	s_cbranch_vccnz .LBB56_500
; %bb.499:
	global_load_ushort v2, v[0:1], off
	s_waitcnt vmcnt(0)
	v_cvt_f32_f16_e32 v2, v2
.LBB56_500:
	s_mov_b64 s[0:1], 0
.LBB56_501:
	s_andn2_b64 vcc, exec, s[0:1]
	s_cbranch_vccnz .LBB56_521
; %bb.502:
	s_cmp_lt_i32 s24, 2
	s_cbranch_scc1 .LBB56_506
; %bb.503:
	s_cmp_lt_i32 s24, 3
	s_cbranch_scc1 .LBB56_507
; %bb.504:
	s_cmp_gt_i32 s24, 3
	s_cbranch_scc0 .LBB56_508
; %bb.505:
	global_load_dwordx2 v[2:3], v[0:1], off
	s_mov_b64 s[0:1], 0
	s_waitcnt vmcnt(0)
	v_xor_b32_e32 v6, v2, v3
	v_ffbh_i32_e32 v5, v3
	v_ashrrev_i32_e32 v6, 31, v6
	v_add_u32_e32 v5, -1, v5
	v_add_u32_e32 v6, 32, v6
	v_min_u32_e32 v5, v5, v6
	v_lshlrev_b64 v[2:3], v5, v[2:3]
	v_min_u32_e32 v2, 1, v2
	v_or_b32_e32 v2, v3, v2
	v_cvt_f32_i32_e32 v2, v2
	v_sub_u32_e32 v3, 32, v5
	v_ldexp_f32 v2, v2, v3
	s_branch .LBB56_509
.LBB56_506:
	s_mov_b64 s[0:1], -1
                                        ; implicit-def: $vgpr2
	s_branch .LBB56_515
.LBB56_507:
	s_mov_b64 s[0:1], -1
                                        ; implicit-def: $vgpr2
	s_branch .LBB56_512
.LBB56_508:
	s_mov_b64 s[0:1], -1
                                        ; implicit-def: $vgpr2
.LBB56_509:
	s_andn2_b64 vcc, exec, s[0:1]
	s_cbranch_vccnz .LBB56_511
; %bb.510:
	global_load_dword v2, v[0:1], off
	s_waitcnt vmcnt(0)
	v_cvt_f32_i32_e32 v2, v2
.LBB56_511:
	s_mov_b64 s[0:1], 0
.LBB56_512:
	s_andn2_b64 vcc, exec, s[0:1]
	s_cbranch_vccnz .LBB56_514
; %bb.513:
	global_load_sshort v2, v[0:1], off
	s_waitcnt vmcnt(0)
	v_cvt_f32_i32_e32 v2, v2
.LBB56_514:
	s_mov_b64 s[0:1], 0
.LBB56_515:
	s_andn2_b64 vcc, exec, s[0:1]
	s_cbranch_vccnz .LBB56_521
; %bb.516:
	s_cmp_gt_i32 s24, 0
	s_cbranch_scc0 .LBB56_518
; %bb.517:
	global_load_sbyte v2, v[0:1], off
	s_mov_b64 s[0:1], 0
	s_waitcnt vmcnt(0)
	v_cvt_f32_i32_e32 v2, v2
	s_branch .LBB56_519
.LBB56_518:
	s_mov_b64 s[0:1], -1
                                        ; implicit-def: $vgpr2
.LBB56_519:
	s_andn2_b64 vcc, exec, s[0:1]
	s_cbranch_vccnz .LBB56_521
; %bb.520:
	global_load_ubyte v0, v[0:1], off
	s_waitcnt vmcnt(0)
	v_cvt_f32_ubyte0_e32 v2, v0
.LBB56_521:
	s_branch .LBB56_271
.LBB56_522:
	s_mov_b64 s[2:3], 0
                                        ; implicit-def: $vgpr4
	s_mov_b64 s[0:1], s[16:17]
.LBB56_523:
	s_andn2_b64 s[4:5], s[16:17], exec
	s_and_b64 s[0:1], s[0:1], exec
	s_or_b64 s[24:25], s[4:5], s[0:1]
	s_andn2_b64 s[0:1], s[18:19], exec
	s_and_b64 s[4:5], s[22:23], exec
	s_or_b64 s[22:23], s[0:1], s[4:5]
	s_orn2_b64 s[0:1], s[2:3], exec
.LBB56_524:
	s_or_b64 exec, exec, s[26:27]
	s_mov_b64 s[2:3], 0
	s_mov_b64 s[4:5], 0
	;; [unrolled: 1-line block ×3, first 2 shown]
                                        ; implicit-def: $vgpr0_vgpr1
                                        ; implicit-def: $vgpr3
	s_and_saveexec_b64 s[26:27], s[0:1]
	s_cbranch_execz .LBB56_875
; %bb.525:
	v_cmp_gt_i32_e32 vcc, s38, v4
	s_mov_b64 s[34:35], -1
	s_mov_b64 s[0:1], s[22:23]
	s_mov_b64 s[2:3], s[24:25]
	s_and_saveexec_b64 s[28:29], vcc
	s_cbranch_execz .LBB56_789
; %bb.526:
	v_mul_lo_u32 v0, v4, s13
	v_mov_b32_e32 v1, s11
	s_and_b32 s34, 0xffff, s42
	s_cmp_lt_i32 s34, 11
	s_waitcnt vmcnt(0)
	v_ashrrev_i32_e32 v2, 31, v0
	v_add_co_u32_e32 v0, vcc, s10, v0
	v_addc_co_u32_e32 v1, vcc, v1, v2, vcc
	s_cbranch_scc1 .LBB56_533
; %bb.527:
	s_cmp_gt_i32 s34, 25
	s_cbranch_scc0 .LBB56_534
; %bb.528:
	s_cmp_gt_i32 s34, 28
	s_cbranch_scc0 .LBB56_535
; %bb.529:
	s_cmp_gt_i32 s34, 43
	s_cbranch_scc0 .LBB56_536
; %bb.530:
	s_cmp_gt_i32 s34, 45
	s_cbranch_scc0 .LBB56_539
; %bb.531:
	s_cmp_eq_u32 s34, 46
	s_mov_b64 s[2:3], 0
	s_cbranch_scc0 .LBB56_542
; %bb.532:
	global_load_dword v2, v[0:1], off
	s_mov_b64 s[0:1], -1
	s_mov_b64 s[30:31], 0
	s_waitcnt vmcnt(0)
	v_lshlrev_b32_e32 v2, 16, v2
	s_branch .LBB56_543
.LBB56_533:
	s_mov_b64 s[2:3], -1
	s_mov_b64 s[0:1], 0
                                        ; implicit-def: $vgpr2
	s_mov_b64 s[30:31], s[22:23]
	s_branch .LBB56_608
.LBB56_534:
	s_mov_b64 s[2:3], -1
	s_mov_b64 s[0:1], 0
	s_mov_b64 s[30:31], s[22:23]
                                        ; implicit-def: $vgpr2
	s_branch .LBB56_572
.LBB56_535:
	s_mov_b64 s[2:3], -1
	s_mov_b64 s[0:1], 0
	s_mov_b64 s[30:31], s[22:23]
                                        ; implicit-def: $vgpr2
	s_branch .LBB56_553
.LBB56_536:
	s_mov_b64 s[2:3], -1
	s_mov_b64 s[0:1], 0
	s_mov_b64 s[30:31], s[22:23]
                                        ; implicit-def: $vgpr2
	s_branch .LBB56_548
.LBB56_537:
	s_andn2_saveexec_b64 s[24:25], s[24:25]
	s_cbranch_execz .LBB56_322
.LBB56_538:
	s_mov_b32 s30, 0x46000000
	v_add_f32_e64 v3, |v2|, s30
	v_and_b32_e32 v3, 0xff, v3
	v_cmp_ne_u32_e32 vcc, 0, v3
	s_andn2_b64 s[4:5], s[4:5], exec
	s_and_b64 s[30:31], vcc, exec
	s_or_b64 s[4:5], s[4:5], s[30:31]
	s_or_b64 exec, exec, s[24:25]
	v_mov_b32_e32 v5, 0
	s_and_saveexec_b64 s[24:25], s[4:5]
	s_cbranch_execnz .LBB56_323
	s_branch .LBB56_324
.LBB56_539:
	s_mov_b64 s[2:3], -1
	s_mov_b64 s[0:1], 0
	s_mov_b64 s[30:31], s[22:23]
                                        ; implicit-def: $vgpr2
	s_branch .LBB56_543
.LBB56_540:
	s_andn2_saveexec_b64 s[24:25], s[24:25]
	s_cbranch_execz .LBB56_335
.LBB56_541:
	s_mov_b32 s30, 0x42800000
	v_add_f32_e64 v3, |v2|, s30
	v_and_b32_e32 v3, 0xff, v3
	v_cmp_ne_u32_e32 vcc, 0, v3
	s_andn2_b64 s[4:5], s[4:5], exec
	s_and_b64 s[30:31], vcc, exec
	s_or_b64 s[4:5], s[4:5], s[30:31]
	s_or_b64 exec, exec, s[24:25]
	v_mov_b32_e32 v5, 0
	s_and_saveexec_b64 s[24:25], s[4:5]
	s_cbranch_execnz .LBB56_336
	s_branch .LBB56_337
.LBB56_542:
	s_mov_b64 s[30:31], -1
                                        ; implicit-def: $vgpr2
	s_mov_b64 s[0:1], 0
.LBB56_543:
	s_and_b64 vcc, exec, s[2:3]
	s_cbranch_vccz .LBB56_547
; %bb.544:
	s_cmp_eq_u32 s34, 44
	s_cbranch_scc0 .LBB56_546
; %bb.545:
	global_load_ubyte v2, v[0:1], off
	s_movk_i32 s2, 0xff
	v_mov_b32_e32 v3, 0x7f800001
	v_mov_b32_e32 v5, 0x400000
	s_mov_b64 s[0:1], -1
	s_mov_b64 s[30:31], 0
	s_waitcnt vmcnt(0)
	v_lshlrev_b32_e32 v6, 23, v2
	v_cmp_ne_u32_e32 vcc, s2, v2
	v_cndmask_b32_e32 v3, v3, v6, vcc
	v_cmp_ne_u32_e32 vcc, 0, v2
	v_cndmask_b32_e32 v2, v5, v3, vcc
	s_branch .LBB56_547
.LBB56_546:
	s_mov_b64 s[30:31], -1
                                        ; implicit-def: $vgpr2
.LBB56_547:
	s_mov_b64 s[2:3], 0
.LBB56_548:
	s_and_b64 vcc, exec, s[2:3]
	s_cbranch_vccz .LBB56_552
; %bb.549:
	s_cmp_eq_u32 s34, 29
	s_cbranch_scc0 .LBB56_551
; %bb.550:
	global_load_dwordx2 v[2:3], v[0:1], off
	s_mov_b64 s[0:1], -1
	s_mov_b64 s[30:31], 0
	s_mov_b64 s[2:3], 0
	s_waitcnt vmcnt(0)
	v_ffbh_u32_e32 v5, v3
	v_min_u32_e32 v5, 32, v5
	v_lshlrev_b64 v[2:3], v5, v[2:3]
	v_min_u32_e32 v2, 1, v2
	v_or_b32_e32 v2, v3, v2
	v_cvt_f32_u32_e32 v2, v2
	v_sub_u32_e32 v3, 32, v5
	v_ldexp_f32 v2, v2, v3
	s_branch .LBB56_553
.LBB56_551:
	s_mov_b64 s[30:31], -1
                                        ; implicit-def: $vgpr2
.LBB56_552:
	s_mov_b64 s[2:3], 0
.LBB56_553:
	s_and_b64 vcc, exec, s[2:3]
	s_cbranch_vccz .LBB56_571
; %bb.554:
	s_cmp_lt_i32 s34, 27
	s_cbranch_scc1 .LBB56_557
; %bb.555:
	s_cmp_gt_i32 s34, 27
	s_cbranch_scc0 .LBB56_558
; %bb.556:
	global_load_dword v2, v[0:1], off
	s_mov_b64 s[0:1], 0
	s_waitcnt vmcnt(0)
	v_cvt_f32_u32_e32 v2, v2
	s_branch .LBB56_559
.LBB56_557:
	s_mov_b64 s[0:1], -1
                                        ; implicit-def: $vgpr2
	s_branch .LBB56_562
.LBB56_558:
	s_mov_b64 s[0:1], -1
                                        ; implicit-def: $vgpr2
.LBB56_559:
	s_andn2_b64 vcc, exec, s[0:1]
	s_cbranch_vccnz .LBB56_561
; %bb.560:
	global_load_ushort v2, v[0:1], off
	s_waitcnt vmcnt(0)
	v_cvt_f32_u32_e32 v2, v2
.LBB56_561:
	s_mov_b64 s[0:1], 0
.LBB56_562:
	s_andn2_b64 vcc, exec, s[0:1]
	s_cbranch_vccnz .LBB56_570
; %bb.563:
	global_load_ubyte v3, v[0:1], off
	s_movk_i32 s0, 0x7f
	s_waitcnt vmcnt(0)
	v_cmp_lt_i16_e32 vcc, s0, v3
	s_mov_b64 s[0:1], 0
	s_and_saveexec_b64 s[2:3], vcc
	s_xor_b64 s[2:3], exec, s[2:3]
	s_cbranch_execz .LBB56_584
; %bb.564:
	s_movk_i32 s0, 0x80
	v_cmp_eq_u16_e32 vcc, s0, v3
	s_mov_b64 s[0:1], -1
	s_and_saveexec_b64 s[4:5], vcc
; %bb.565:
	s_xor_b64 s[0:1], exec, -1
; %bb.566:
	s_or_b64 exec, exec, s[4:5]
	s_and_b64 s[0:1], s[0:1], exec
	s_or_saveexec_b64 s[2:3], s[2:3]
	v_mov_b32_e32 v2, 0x7f800001
	s_xor_b64 exec, exec, s[2:3]
	s_cbranch_execnz .LBB56_585
.LBB56_567:
	s_or_b64 exec, exec, s[2:3]
	s_and_saveexec_b64 s[2:3], s[0:1]
	s_cbranch_execz .LBB56_569
.LBB56_568:
	v_lshlrev_b32_e32 v2, 24, v3
	v_and_b32_e32 v3, 0xffff, v3
	v_and_b32_e32 v5, 7, v3
	v_ffbh_u32_e32 v7, v5
	v_min_u32_e32 v7, 32, v7
	v_subrev_u32_e32 v8, 28, v7
	v_bfe_u32 v6, v3, 3, 4
	v_lshlrev_b32_e32 v3, v8, v3
	v_sub_u32_e32 v7, 29, v7
	v_and_b32_e32 v3, 7, v3
	v_cmp_eq_u32_e32 vcc, 0, v6
	v_cndmask_b32_e32 v6, v6, v7, vcc
	v_cndmask_b32_e32 v3, v5, v3, vcc
	v_mov_b32_e32 v5, 0x3b800000
	v_lshlrev_b32_e32 v3, 20, v3
	v_and_b32_e32 v2, 0x80000000, v2
	v_lshl_add_u32 v5, v6, 23, v5
	v_or3_b32 v2, v2, v5, v3
.LBB56_569:
	s_or_b64 exec, exec, s[2:3]
.LBB56_570:
	s_mov_b64 s[0:1], -1
.LBB56_571:
	s_mov_b64 s[2:3], 0
.LBB56_572:
	s_and_b64 vcc, exec, s[2:3]
	s_cbranch_vccz .LBB56_607
; %bb.573:
	s_cmp_gt_i32 s34, 22
	s_cbranch_scc0 .LBB56_583
; %bb.574:
	s_cmp_lt_i32 s34, 24
	s_cbranch_scc1 .LBB56_586
; %bb.575:
	s_cmp_gt_i32 s34, 24
	s_cbranch_scc0 .LBB56_587
; %bb.576:
	global_load_ubyte v3, v[0:1], off
	s_movk_i32 s0, 0x7f
	s_waitcnt vmcnt(0)
	v_cmp_lt_i16_e32 vcc, s0, v3
	s_mov_b64 s[0:1], 0
	s_and_saveexec_b64 s[2:3], vcc
	s_xor_b64 s[2:3], exec, s[2:3]
	s_cbranch_execz .LBB56_599
; %bb.577:
	s_movk_i32 s0, 0x80
	v_cmp_eq_u16_e32 vcc, s0, v3
	s_mov_b64 s[0:1], -1
	s_and_saveexec_b64 s[4:5], vcc
; %bb.578:
	s_xor_b64 s[0:1], exec, -1
; %bb.579:
	s_or_b64 exec, exec, s[4:5]
	s_and_b64 s[0:1], s[0:1], exec
	s_or_saveexec_b64 s[2:3], s[2:3]
	v_mov_b32_e32 v2, 0x7f800001
	s_xor_b64 exec, exec, s[2:3]
	s_cbranch_execnz .LBB56_600
.LBB56_580:
	s_or_b64 exec, exec, s[2:3]
	s_and_saveexec_b64 s[2:3], s[0:1]
	s_cbranch_execz .LBB56_582
.LBB56_581:
	v_lshlrev_b32_e32 v2, 24, v3
	v_and_b32_e32 v3, 0xffff, v3
	v_and_b32_e32 v5, 3, v3
	v_ffbh_u32_e32 v7, v5
	v_min_u32_e32 v7, 32, v7
	v_subrev_u32_e32 v8, 29, v7
	v_bfe_u32 v6, v3, 2, 5
	v_lshlrev_b32_e32 v3, v8, v3
	v_sub_u32_e32 v7, 30, v7
	v_and_b32_e32 v3, 3, v3
	v_cmp_eq_u32_e32 vcc, 0, v6
	v_cndmask_b32_e32 v6, v6, v7, vcc
	v_cndmask_b32_e32 v3, v5, v3, vcc
	v_mov_b32_e32 v5, 0x37800000
	v_lshlrev_b32_e32 v3, 21, v3
	v_and_b32_e32 v2, 0x80000000, v2
	v_lshl_add_u32 v5, v6, 23, v5
	v_or3_b32 v2, v2, v5, v3
.LBB56_582:
	s_or_b64 exec, exec, s[2:3]
	s_mov_b64 s[0:1], 0
	s_branch .LBB56_588
.LBB56_583:
	s_mov_b64 s[2:3], -1
                                        ; implicit-def: $vgpr2
	s_branch .LBB56_594
.LBB56_584:
	s_or_saveexec_b64 s[2:3], s[2:3]
	v_mov_b32_e32 v2, 0x7f800001
	s_xor_b64 exec, exec, s[2:3]
	s_cbranch_execz .LBB56_567
.LBB56_585:
	v_cmp_ne_u16_e32 vcc, 0, v3
	s_andn2_b64 s[0:1], s[0:1], exec
	s_and_b64 s[4:5], vcc, exec
	v_mov_b32_e32 v2, 0
	s_or_b64 s[0:1], s[0:1], s[4:5]
	s_or_b64 exec, exec, s[2:3]
	s_and_saveexec_b64 s[2:3], s[0:1]
	s_cbranch_execnz .LBB56_568
	s_branch .LBB56_569
.LBB56_586:
	s_mov_b64 s[0:1], -1
                                        ; implicit-def: $vgpr2
	s_branch .LBB56_591
.LBB56_587:
	s_mov_b64 s[0:1], -1
                                        ; implicit-def: $vgpr2
.LBB56_588:
	s_and_b64 vcc, exec, s[0:1]
	s_cbranch_vccz .LBB56_590
; %bb.589:
	global_load_ubyte v2, v[0:1], off
	s_mov_b32 s0, 0x7f800000
	s_waitcnt vmcnt(0)
	v_lshlrev_b32_e32 v2, 24, v2
	v_and_b32_e32 v3, 0x7f000000, v2
	v_ffbh_u32_e32 v5, v3
	v_min_u32_e32 v5, 32, v5
	v_sub_u32_e64 v5, v5, 4 clamp
	v_lshlrev_b32_e32 v7, v5, v3
	v_lshlrev_b32_e32 v5, 23, v5
	v_lshrrev_b32_e32 v7, 4, v7
	v_add_u32_e32 v6, 0x1000000, v3
	v_sub_u32_e32 v5, v7, v5
	v_ashrrev_i32_e32 v6, 8, v6
	v_add_u32_e32 v5, 0x3c000000, v5
	v_and_or_b32 v5, v6, s0, v5
	v_cmp_ne_u32_e32 vcc, 0, v3
	v_cndmask_b32_e32 v3, 0, v5, vcc
	s_brev_b32 s0, 1
	v_and_or_b32 v2, v2, s0, v3
.LBB56_590:
	s_mov_b64 s[0:1], 0
.LBB56_591:
	s_andn2_b64 vcc, exec, s[0:1]
	s_cbranch_vccnz .LBB56_593
; %bb.592:
	global_load_ubyte v2, v[0:1], off
	s_movk_i32 s0, 0x7f00
	s_brev_b32 s1, 16
	s_waitcnt vmcnt(0)
	v_lshlrev_b16_e32 v3, 8, v2
	v_lshlrev_b32_e32 v2, 25, v2
	v_lshrrev_b32_e32 v5, 4, v2
	v_and_or_b32 v6, v3, s0, 0.5
	v_or_b32_e32 v5, 0x70000000, v5
	v_add_f32_e32 v6, -0.5, v6
	v_mul_f32_e32 v5, 0x7800000, v5
	v_cmp_gt_u32_e32 vcc, s1, v2
	v_bfe_i32 v3, v3, 0, 16
	v_cndmask_b32_e32 v2, v5, v6, vcc
	s_brev_b32 s0, 1
	v_and_or_b32 v2, v3, s0, v2
.LBB56_593:
	s_mov_b64 s[2:3], 0
	s_mov_b64 s[0:1], -1
.LBB56_594:
	s_andn2_b64 vcc, exec, s[2:3]
	s_cbranch_vccnz .LBB56_607
; %bb.595:
	s_cmp_gt_i32 s34, 14
	s_cbranch_scc0 .LBB56_598
; %bb.596:
	s_cmp_eq_u32 s34, 15
	s_cbranch_scc0 .LBB56_601
; %bb.597:
	global_load_ushort v2, v[0:1], off
	s_mov_b64 s[0:1], -1
	s_mov_b64 s[30:31], 0
	s_waitcnt vmcnt(0)
	v_lshlrev_b32_e32 v2, 16, v2
	s_branch .LBB56_602
.LBB56_598:
	s_mov_b64 s[2:3], -1
                                        ; implicit-def: $vgpr2
	s_branch .LBB56_603
.LBB56_599:
	s_or_saveexec_b64 s[2:3], s[2:3]
	v_mov_b32_e32 v2, 0x7f800001
	s_xor_b64 exec, exec, s[2:3]
	s_cbranch_execz .LBB56_580
.LBB56_600:
	v_cmp_ne_u16_e32 vcc, 0, v3
	s_andn2_b64 s[0:1], s[0:1], exec
	s_and_b64 s[4:5], vcc, exec
	v_mov_b32_e32 v2, 0
	s_or_b64 s[0:1], s[0:1], s[4:5]
	s_or_b64 exec, exec, s[2:3]
	s_and_saveexec_b64 s[2:3], s[0:1]
	s_cbranch_execnz .LBB56_581
	s_branch .LBB56_582
.LBB56_601:
	s_mov_b64 s[30:31], -1
                                        ; implicit-def: $vgpr2
.LBB56_602:
	s_mov_b64 s[2:3], 0
.LBB56_603:
	s_and_b64 vcc, exec, s[2:3]
	s_cbranch_vccz .LBB56_607
; %bb.604:
	s_cmp_eq_u32 s34, 11
	s_cbranch_scc0 .LBB56_606
; %bb.605:
	global_load_ubyte v2, v[0:1], off
	s_mov_b64 s[0:1], -1
	s_mov_b64 s[30:31], 0
	s_waitcnt vmcnt(0)
	v_cmp_ne_u16_e32 vcc, 0, v2
	v_cndmask_b32_e64 v2, 0, 1.0, vcc
	s_branch .LBB56_607
.LBB56_606:
	s_mov_b64 s[30:31], -1
                                        ; implicit-def: $vgpr2
.LBB56_607:
	s_mov_b64 s[2:3], 0
.LBB56_608:
	s_and_b64 vcc, exec, s[2:3]
	s_cbranch_vccz .LBB56_657
; %bb.609:
	s_cmp_lt_i32 s34, 5
	s_cbranch_scc1 .LBB56_614
; %bb.610:
	s_cmp_lt_i32 s34, 8
	s_cbranch_scc1 .LBB56_615
	;; [unrolled: 3-line block ×3, first 2 shown]
; %bb.612:
	s_cmp_gt_i32 s34, 9
	s_cbranch_scc0 .LBB56_617
; %bb.613:
	global_load_dwordx2 v[2:3], v[0:1], off
	s_mov_b64 s[0:1], 0
	s_waitcnt vmcnt(0)
	v_cvt_f32_f64_e32 v2, v[2:3]
	s_branch .LBB56_618
.LBB56_614:
	s_mov_b64 s[0:1], -1
                                        ; implicit-def: $vgpr2
	s_branch .LBB56_636
.LBB56_615:
	s_mov_b64 s[0:1], -1
                                        ; implicit-def: $vgpr2
	s_branch .LBB56_624
.LBB56_616:
	s_mov_b64 s[0:1], -1
                                        ; implicit-def: $vgpr2
	s_branch .LBB56_621
.LBB56_617:
	s_mov_b64 s[0:1], -1
                                        ; implicit-def: $vgpr2
.LBB56_618:
	s_andn2_b64 vcc, exec, s[0:1]
	s_cbranch_vccnz .LBB56_620
; %bb.619:
	global_load_dword v2, v[0:1], off
.LBB56_620:
	s_mov_b64 s[0:1], 0
.LBB56_621:
	s_andn2_b64 vcc, exec, s[0:1]
	s_cbranch_vccnz .LBB56_623
; %bb.622:
	global_load_dword v2, v[0:1], off
	s_waitcnt vmcnt(0)
	v_cvt_f32_f16_e32 v2, v2
.LBB56_623:
	s_mov_b64 s[0:1], 0
.LBB56_624:
	s_andn2_b64 vcc, exec, s[0:1]
	s_cbranch_vccnz .LBB56_635
; %bb.625:
	s_cmp_lt_i32 s34, 6
	s_cbranch_scc1 .LBB56_628
; %bb.626:
	s_cmp_gt_i32 s34, 6
	s_cbranch_scc0 .LBB56_629
; %bb.627:
	global_load_dwordx2 v[2:3], v[0:1], off
	s_mov_b64 s[0:1], 0
	s_waitcnt vmcnt(0)
	v_cvt_f32_f64_e32 v2, v[2:3]
	s_branch .LBB56_630
.LBB56_628:
	s_mov_b64 s[0:1], -1
                                        ; implicit-def: $vgpr2
	s_branch .LBB56_633
.LBB56_629:
	s_mov_b64 s[0:1], -1
                                        ; implicit-def: $vgpr2
.LBB56_630:
	s_andn2_b64 vcc, exec, s[0:1]
	s_cbranch_vccnz .LBB56_632
; %bb.631:
	global_load_dword v2, v[0:1], off
.LBB56_632:
	s_mov_b64 s[0:1], 0
.LBB56_633:
	s_andn2_b64 vcc, exec, s[0:1]
	s_cbranch_vccnz .LBB56_635
; %bb.634:
	global_load_ushort v2, v[0:1], off
	s_waitcnt vmcnt(0)
	v_cvt_f32_f16_e32 v2, v2
.LBB56_635:
	s_mov_b64 s[0:1], 0
.LBB56_636:
	s_andn2_b64 vcc, exec, s[0:1]
	s_cbranch_vccnz .LBB56_656
; %bb.637:
	s_cmp_lt_i32 s34, 2
	s_cbranch_scc1 .LBB56_641
; %bb.638:
	s_cmp_lt_i32 s34, 3
	s_cbranch_scc1 .LBB56_642
; %bb.639:
	s_cmp_gt_i32 s34, 3
	s_cbranch_scc0 .LBB56_643
; %bb.640:
	global_load_dwordx2 v[2:3], v[0:1], off
	s_mov_b64 s[0:1], 0
	s_waitcnt vmcnt(0)
	v_xor_b32_e32 v6, v2, v3
	v_ffbh_i32_e32 v5, v3
	v_ashrrev_i32_e32 v6, 31, v6
	v_add_u32_e32 v5, -1, v5
	v_add_u32_e32 v6, 32, v6
	v_min_u32_e32 v5, v5, v6
	v_lshlrev_b64 v[2:3], v5, v[2:3]
	v_min_u32_e32 v2, 1, v2
	v_or_b32_e32 v2, v3, v2
	v_cvt_f32_i32_e32 v2, v2
	v_sub_u32_e32 v3, 32, v5
	v_ldexp_f32 v2, v2, v3
	s_branch .LBB56_644
.LBB56_641:
	s_mov_b64 s[0:1], -1
                                        ; implicit-def: $vgpr2
	s_branch .LBB56_650
.LBB56_642:
	s_mov_b64 s[0:1], -1
                                        ; implicit-def: $vgpr2
	s_branch .LBB56_647
.LBB56_643:
	s_mov_b64 s[0:1], -1
                                        ; implicit-def: $vgpr2
.LBB56_644:
	s_andn2_b64 vcc, exec, s[0:1]
	s_cbranch_vccnz .LBB56_646
; %bb.645:
	global_load_dword v2, v[0:1], off
	s_waitcnt vmcnt(0)
	v_cvt_f32_i32_e32 v2, v2
.LBB56_646:
	s_mov_b64 s[0:1], 0
.LBB56_647:
	s_andn2_b64 vcc, exec, s[0:1]
	s_cbranch_vccnz .LBB56_649
; %bb.648:
	global_load_sshort v2, v[0:1], off
	s_waitcnt vmcnt(0)
	v_cvt_f32_i32_e32 v2, v2
.LBB56_649:
	s_mov_b64 s[0:1], 0
.LBB56_650:
	s_andn2_b64 vcc, exec, s[0:1]
	s_cbranch_vccnz .LBB56_656
; %bb.651:
	s_cmp_gt_i32 s34, 0
	s_cbranch_scc0 .LBB56_653
; %bb.652:
	global_load_sbyte v2, v[0:1], off
	s_mov_b64 s[0:1], 0
	s_waitcnt vmcnt(0)
	v_cvt_f32_i32_e32 v2, v2
	s_branch .LBB56_654
.LBB56_653:
	s_mov_b64 s[0:1], -1
                                        ; implicit-def: $vgpr2
.LBB56_654:
	s_andn2_b64 vcc, exec, s[0:1]
	s_cbranch_vccnz .LBB56_656
; %bb.655:
	global_load_ubyte v0, v[0:1], off
	s_waitcnt vmcnt(0)
	v_cvt_f32_ubyte0_e32 v2, v0
.LBB56_656:
	s_mov_b64 s[0:1], -1
.LBB56_657:
	s_andn2_b64 vcc, exec, s[0:1]
	s_cbranch_vccnz .LBB56_671
; %bb.658:
	s_waitcnt vmcnt(0)
	v_cmp_gt_f32_e32 vcc, 0.5, v2
	v_mov_b32_e32 v1, 0
	v_mov_b32_e32 v0, 1.0
	s_and_saveexec_b64 s[34:35], vcc
	s_cbranch_execz .LBB56_664
; %bb.659:
	v_mul_f32_e32 v0, 0x40490fdb, v2
	s_brev_b32 s0, 18
	v_and_b32_e32 v1, 0x7fffffff, v0
	v_cmp_nlt_f32_e64 s[0:1], |v0|, s0
                                        ; implicit-def: $vgpr3
                                        ; implicit-def: $vgpr5
	s_and_saveexec_b64 s[2:3], s[0:1]
	s_xor_b64 s[36:37], exec, s[2:3]
	s_cbranch_execz .LBB56_661
; %bb.660:
	v_and_b32_e32 v3, 0x7fffff, v1
	v_or_b32_e32 v3, 0x800000, v3
	s_mov_b32 s0, 0xfe5163ab
	v_mad_u64_u32 v[5:6], s[0:1], v3, s0, 0
	v_mov_b32_e32 v7, 0
	s_mov_b32 s0, 0x3c439041
	v_mad_u64_u32 v[8:9], s[0:1], v3, s0, v[6:7]
	s_mov_b32 s0, 0xdb629599
	v_not_b32_e32 v13, 63
	v_mov_b32_e32 v6, v9
	v_mad_u64_u32 v[9:10], s[0:1], v3, s0, v[6:7]
	s_mov_b32 s0, 0xf534ddc0
	v_not_b32_e32 v15, 31
	v_mov_b32_e32 v6, v10
	v_mad_u64_u32 v[10:11], s[0:1], v3, s0, v[6:7]
	v_lshrrev_b32_e32 v6, 23, v1
	v_add_u32_e32 v14, 0xffffff88, v6
	v_mov_b32_e32 v6, v11
	s_mov_b32 s0, 0xfc2757d1
	v_mad_u64_u32 v[11:12], s[0:1], v3, s0, v[6:7]
	v_cmp_lt_u32_e32 vcc, 63, v14
	v_cndmask_b32_e32 v6, 0, v13, vcc
	v_add_u32_e32 v14, v6, v14
	v_mov_b32_e32 v6, v12
	s_mov_b32 s0, 0x4e441529
	v_mad_u64_u32 v[12:13], s[0:1], v3, s0, v[6:7]
	v_cmp_lt_u32_e64 s[0:1], 31, v14
	v_cndmask_b32_e64 v6, 0, v15, s[0:1]
	v_add_u32_e32 v14, v6, v14
	v_mov_b32_e32 v6, v13
	s_mov_b32 s2, 0xa2f9836e
	v_mad_u64_u32 v[6:7], s[2:3], v3, s2, v[6:7]
	v_cmp_lt_u32_e64 s[2:3], 31, v14
	v_cndmask_b32_e64 v3, 0, v15, s[2:3]
	v_cndmask_b32_e32 v13, v12, v10, vcc
	v_cndmask_b32_e32 v6, v6, v11, vcc
	;; [unrolled: 1-line block ×3, first 2 shown]
	v_add_u32_e32 v3, v3, v14
	v_cndmask_b32_e64 v14, v6, v13, s[0:1]
	v_cndmask_b32_e64 v6, v7, v6, s[0:1]
	v_cndmask_b32_e32 v7, v11, v9, vcc
	v_cndmask_b32_e64 v11, v13, v7, s[0:1]
	v_cndmask_b32_e64 v6, v6, v14, s[2:3]
	;; [unrolled: 1-line block ×3, first 2 shown]
	v_sub_u32_e32 v13, 32, v3
	v_alignbit_b32 v14, v6, v12, v13
	v_cmp_eq_u32_e64 s[4:5], 0, v3
	v_cndmask_b32_e64 v3, v14, v6, s[4:5]
	v_cndmask_b32_e32 v6, v10, v8, vcc
	v_cndmask_b32_e64 v7, v7, v6, s[0:1]
	v_cndmask_b32_e64 v8, v11, v7, s[2:3]
	v_alignbit_b32 v10, v12, v8, v13
	v_cndmask_b32_e32 v5, v9, v5, vcc
	v_cndmask_b32_e64 v10, v10, v12, s[4:5]
	v_bfe_u32 v14, v3, 29, 1
	v_cndmask_b32_e64 v5, v6, v5, s[0:1]
	v_alignbit_b32 v11, v3, v10, 30
	v_sub_u32_e32 v15, 0, v14
	v_cndmask_b32_e64 v5, v7, v5, s[2:3]
	v_xor_b32_e32 v11, v11, v15
	v_alignbit_b32 v6, v8, v5, v13
	v_cndmask_b32_e64 v6, v6, v8, s[4:5]
	v_ffbh_u32_e32 v8, v11
	v_alignbit_b32 v7, v10, v6, 30
	v_min_u32_e32 v8, 32, v8
	v_alignbit_b32 v5, v6, v5, 30
	v_xor_b32_e32 v7, v7, v15
	v_sub_u32_e32 v9, 31, v8
	v_xor_b32_e32 v5, v5, v15
	v_alignbit_b32 v10, v11, v7, v9
	v_alignbit_b32 v5, v7, v5, v9
	;; [unrolled: 1-line block ×3, first 2 shown]
	v_ffbh_u32_e32 v7, v6
	v_min_u32_e32 v7, 32, v7
	v_lshrrev_b32_e32 v12, 29, v3
	v_not_b32_e32 v9, v7
	v_alignbit_b32 v5, v6, v5, v9
	v_lshlrev_b32_e32 v6, 31, v12
	v_or_b32_e32 v9, 0x33000000, v6
	v_add_lshl_u32 v7, v7, v8, 23
	v_lshrrev_b32_e32 v5, 9, v5
	v_sub_u32_e32 v7, v9, v7
	v_or_b32_e32 v6, 0.5, v6
	v_lshlrev_b32_e32 v8, 23, v8
	v_or_b32_e32 v5, v7, v5
	v_lshrrev_b32_e32 v7, 9, v10
	v_sub_u32_e32 v6, v6, v8
	v_or_b32_e32 v6, v7, v6
	s_mov_b32 s0, 0x3fc90fda
	v_mul_f32_e32 v7, 0x3fc90fda, v6
	v_fma_f32 v8, v6, s0, -v7
	v_fmac_f32_e32 v8, 0x33a22168, v6
	v_fmac_f32_e32 v8, 0x3fc90fda, v5
	v_lshrrev_b32_e32 v3, 30, v3
	v_add_f32_e32 v5, v7, v8
	v_add_u32_e32 v3, v14, v3
.LBB56_661:
	s_andn2_saveexec_b64 s[0:1], s[36:37]
	s_cbranch_execz .LBB56_663
; %bb.662:
	s_mov_b32 s2, 0x3f22f983
	v_mul_f32_e64 v3, |v0|, s2
	v_rndne_f32_e32 v6, v3
	s_mov_b32 s2, 0xbfc90fda
	v_cvt_i32_f32_e32 v3, v6
	v_fma_f32 v5, v6, s2, |v0|
	v_fmac_f32_e32 v5, 0xb3a22168, v6
	v_fmac_f32_e32 v5, 0xa7c234c4, v6
.LBB56_663:
	s_or_b64 exec, exec, s[0:1]
	v_mul_f32_e32 v6, v5, v5
	v_mov_b32_e32 v7, 0x3c0881c4
	v_fmac_f32_e32 v7, 0xb94c1982, v6
	v_mov_b32_e32 v8, 0xbe2aaa9d
	v_fmac_f32_e32 v8, v6, v7
	v_mul_f32_e32 v7, v6, v8
	v_fmac_f32_e32 v5, v5, v7
	v_mov_b32_e32 v7, 0xbab64f3b
	v_fmac_f32_e32 v7, 0x37d75334, v6
	v_mov_b32_e32 v8, 0x3d2aabf7
	;; [unrolled: 2-line block ×3, first 2 shown]
	v_fmac_f32_e32 v7, v6, v8
	v_fma_f32 v6, v6, v7, 1.0
	v_and_b32_e32 v7, 1, v3
	v_lshlrev_b32_e32 v3, 30, v3
	v_cmp_eq_u32_e32 vcc, 0, v7
	v_and_b32_e32 v3, 0x80000000, v3
	v_xor_b32_e32 v1, v1, v0
	v_cndmask_b32_e32 v5, v6, v5, vcc
	v_xor_b32_e32 v1, v1, v3
	s_movk_i32 s0, 0x1f8
	v_xor_b32_e32 v1, v1, v5
	v_mov_b32_e32 v3, 0x7fc00000
	v_cmp_class_f32_e64 vcc, v0, s0
	v_cndmask_b32_e32 v0, v3, v1, vcc
	v_mul_f32_e32 v0, v0, v0
	s_mov_b32 s2, 0xc11de9e7
	v_div_scale_f32 v1, s[0:1], v0, v0, s2
	v_div_scale_f32 v3, vcc, s2, v0, s2
	v_sub_f32_e32 v2, 1.0, v2
	v_rcp_f32_e32 v5, v1
	v_fma_f32 v6, -v1, v5, 1.0
	v_fmac_f32_e32 v5, v6, v5
	v_mul_f32_e32 v6, v3, v5
	v_fma_f32 v7, -v1, v6, v3
	v_fmac_f32_e32 v6, v7, v5
	v_fma_f32 v1, -v1, v6, v3
	v_div_fmas_f32 v1, v1, v5, v6
	v_div_fixup_f32 v0, v1, v0, s2
	v_add_f32_e32 v1, 0, v0
	v_mov_b32_e32 v0, -1.0
.LBB56_664:
	s_or_b64 exec, exec, s[34:35]
	v_mul_f32_e32 v3, v2, v2
	v_div_scale_f32 v6, s[0:1], v3, v3, 1.0
	v_add_f32_e32 v5, 1.0, v2
	v_mul_f32_e32 v2, v5, v5
	v_div_scale_f32 v8, s[0:1], v2, v2, 1.0
	v_div_scale_f32 v7, vcc, 1.0, v3, 1.0
	v_add_f32_e32 v9, 1.0, v5
	v_div_scale_f32 v10, s[0:1], 1.0, v2, 1.0
	v_mul_f32_e32 v5, v9, v9
	v_div_scale_f32 v11, s[2:3], v5, v5, 1.0
	v_div_scale_f32 v14, s[2:3], 1.0, v5, 1.0
	v_rcp_f32_e32 v12, v6
	v_add_f32_e32 v9, 1.0, v9
	s_and_b32 s36, s33, 0xff
	s_cmp_lt_i32 s36, 11
	v_rcp_f32_e32 v13, v8
	v_fma_f32 v15, -v6, v12, 1.0
	v_fmac_f32_e32 v12, v15, v12
	v_mul_f32_e32 v16, v7, v12
	v_fma_f32 v17, -v6, v16, v7
	v_fma_f32 v15, -v8, v13, 1.0
	v_fmac_f32_e32 v16, v17, v12
	v_fma_f32 v6, -v6, v16, v7
	v_fmac_f32_e32 v13, v15, v13
	v_div_fmas_f32 v6, v6, v12, v16
	v_mul_f32_e32 v12, v10, v13
	v_fma_f32 v7, -v8, v12, v10
	v_rcp_f32_e32 v15, v11
	v_fmac_f32_e32 v12, v7, v13
	v_mul_f32_e32 v7, v9, v9
	v_div_scale_f32 v16, s[4:5], v7, v7, 1.0
	v_fma_f32 v8, -v8, v12, v10
	v_fma_f32 v10, -v11, v15, 1.0
	v_fmac_f32_e32 v15, v10, v15
	s_mov_b64 vcc, s[0:1]
	v_mul_f32_e32 v10, v14, v15
	v_div_fmas_f32 v8, v8, v13, v12
	v_fma_f32 v12, -v11, v10, v14
	v_fmac_f32_e32 v10, v12, v15
	v_div_scale_f32 v12, s[0:1], 1.0, v7, 1.0
	v_add_f32_e32 v13, 1.0, v9
	v_mul_f32_e32 v9, v13, v13
	v_div_scale_f32 v17, s[4:5], v9, v9, 1.0
	v_fma_f32 v11, -v11, v10, v14
	s_mov_b64 vcc, s[2:3]
	v_div_fmas_f32 v10, v11, v15, v10
	v_div_scale_f32 v11, s[2:3], 1.0, v9, 1.0
	v_rcp_f32_e32 v14, v16
	v_add_f32_e32 v13, 1.0, v13
	v_mul_f32_e32 v18, v13, v13
	v_div_scale_f32 v19, s[4:5], v18, v18, 1.0
	v_fma_f32 v15, -v16, v14, 1.0
	v_fmac_f32_e32 v14, v15, v14
	v_mul_f32_e32 v15, v12, v14
	v_fma_f32 v20, -v16, v15, v12
	v_fmac_f32_e32 v15, v20, v14
	v_rcp_f32_e32 v20, v17
	v_fma_f32 v12, -v16, v15, v12
	s_mov_b64 vcc, s[0:1]
	v_div_fmas_f32 v12, v12, v14, v15
	v_fma_f32 v14, -v17, v20, 1.0
	v_fmac_f32_e32 v20, v14, v20
	v_mul_f32_e32 v14, v11, v20
	v_fma_f32 v15, -v17, v14, v11
	v_fmac_f32_e32 v14, v15, v20
	v_div_scale_f32 v15, s[0:1], 1.0, v18, 1.0
	v_add_f32_e32 v13, 1.0, v13
	v_mul_f32_e32 v21, v13, v13
	v_div_scale_f32 v22, s[4:5], v21, v21, 1.0
	v_rcp_f32_e32 v16, v19
	v_fma_f32 v11, -v17, v14, v11
	s_mov_b64 vcc, s[2:3]
	v_div_scale_f32 v17, s[2:3], 1.0, v21, 1.0
	v_div_fmas_f32 v11, v11, v20, v14
	v_add_f32_e32 v20, v13, v13
	v_div_scale_f32 v23, s[4:5], v20, v20, 1.0
	v_fma_f32 v14, -v19, v16, 1.0
	v_fmac_f32_e32 v16, v14, v16
	v_mul_f32_e32 v14, v15, v16
	v_fma_f32 v24, -v19, v14, v15
	v_fmac_f32_e32 v14, v24, v16
	v_div_scale_f32 v24, s[4:5], 1.0, v20, 1.0
	v_rcp_f32_e32 v25, v22
	v_fma_f32 v15, -v19, v14, v15
	s_mov_b64 vcc, s[0:1]
	v_div_fmas_f32 v14, v15, v16, v14
	v_fma_f32 v15, -v22, v25, 1.0
	v_fmac_f32_e32 v25, v15, v25
	v_mul_f32_e32 v15, v17, v25
	v_fma_f32 v16, -v22, v15, v17
	v_fmac_f32_e32 v15, v16, v25
	v_rcp_f32_e32 v16, v23
	v_fma_f32 v17, -v22, v15, v17
	s_mov_b64 vcc, s[2:3]
	v_div_fmas_f32 v15, v17, v25, v15
	v_fma_f32 v17, -v23, v16, 1.0
	v_fmac_f32_e32 v16, v17, v16
	v_mul_f32_e32 v17, v24, v16
	v_fma_f32 v19, -v23, v17, v24
	v_fmac_f32_e32 v17, v19, v16
	v_fma_f32 v19, -v23, v17, v24
	s_mov_b64 vcc, s[4:5]
	v_div_fmas_f32 v16, v19, v16, v17
	v_mov_b32_e32 v17, 0x3d088889
	s_mov_b32 s0, 0x3e2aaaab
	v_div_fixup_f32 v3, v6, v3, 1.0
	v_add_f32_e32 v1, v1, v3
	v_div_fixup_f32 v2, v8, v2, 1.0
	v_add_f32_e32 v1, v1, v2
	v_div_fixup_f32 v2, v10, v5, 1.0
	v_div_fixup_f32 v15, v15, v21, 1.0
	v_fmac_f32_e32 v17, 0xbcc30c31, v15
	v_fma_f32 v17, -v15, v17, s0
	v_add_f32_e32 v1, v1, v2
	v_div_fixup_f32 v2, v12, v7, 1.0
	v_add_f32_e32 v1, v1, v2
	v_div_fixup_f32 v2, v11, v9, 1.0
	v_mul_lo_u32 v3, v4, s12
	v_div_fixup_f32 v16, v16, v20, 1.0
	v_add_f32_e32 v16, 1.0, v16
	v_fmac_f32_e32 v16, v15, v17
	v_div_scale_f32 v15, s[0:1], v13, v13, v16
	v_div_scale_f32 v17, vcc, v16, v13, v16
	v_add_f32_e32 v1, v1, v2
	v_div_fixup_f32 v2, v14, v18, 1.0
	v_add_f32_e32 v1, v1, v2
	v_mov_b32_e32 v5, s9
	v_rcp_f32_e32 v19, v15
	v_fma_f32 v20, -v15, v19, 1.0
	v_fmac_f32_e32 v19, v20, v19
	v_mul_f32_e32 v20, v17, v19
	v_fma_f32 v21, -v15, v20, v17
	v_fmac_f32_e32 v20, v21, v19
	v_fma_f32 v15, -v15, v20, v17
	v_div_fmas_f32 v15, v15, v19, v20
	v_div_fixup_f32 v2, v15, v13, v16
	v_add_f32_e32 v1, v1, v2
	v_mul_f32_e32 v2, v0, v1
	v_ashrrev_i32_e32 v1, 31, v3
	v_add_co_u32_e32 v0, vcc, s8, v3
	v_addc_co_u32_e32 v1, vcc, v5, v1, vcc
	s_cbranch_scc1 .LBB56_672
; %bb.665:
	s_and_b32 s37, 0xffff, s36
	s_cmp_gt_i32 s37, 25
	s_cbranch_scc0 .LBB56_673
; %bb.666:
	s_cmp_gt_i32 s37, 28
	s_cbranch_scc0 .LBB56_674
; %bb.667:
	;; [unrolled: 3-line block ×4, first 2 shown]
	s_mov_b64 s[4:5], 0
	s_mov_b64 s[0:1], -1
	s_cmp_eq_u32 s37, 46
	s_mov_b64 s[2:3], 0
	s_cbranch_scc0 .LBB56_677
; %bb.670:
	v_bfe_u32 v3, v2, 16, 1
	s_movk_i32 s0, 0x7fff
	v_add3_u32 v3, v2, v3, s0
	v_cmp_o_f32_e32 vcc, v2, v2
	v_mov_b32_e32 v5, 0x7fc0
	v_cndmask_b32_sdwa v3, v5, v3, vcc dst_sel:DWORD dst_unused:UNUSED_PAD src0_sel:DWORD src1_sel:WORD_1
	global_store_dword v[0:1], v3, off
	s_mov_b64 s[2:3], -1
	s_mov_b64 s[0:1], 0
	s_branch .LBB56_677
.LBB56_671:
	s_mov_b64 s[4:5], 0
                                        ; implicit-def: $vgpr4
	s_mov_b64 s[0:1], s[24:25]
	s_branch .LBB56_788
.LBB56_672:
	s_mov_b64 s[4:5], -1
	s_mov_b64 s[2:3], 0
	s_mov_b64 s[0:1], s[24:25]
	s_branch .LBB56_746
.LBB56_673:
	s_mov_b64 s[4:5], -1
	s_mov_b64 s[2:3], 0
	s_mov_b64 s[0:1], s[24:25]
	s_branch .LBB56_704
.LBB56_674:
	s_mov_b64 s[4:5], -1
	s_mov_b64 s[2:3], 0
	s_mov_b64 s[0:1], s[24:25]
	s_branch .LBB56_687
.LBB56_675:
	s_mov_b64 s[4:5], -1
	s_mov_b64 s[2:3], 0
	s_mov_b64 s[0:1], s[24:25]
	s_branch .LBB56_683
.LBB56_676:
	s_mov_b64 s[4:5], -1
	s_mov_b64 s[2:3], 0
	s_mov_b64 s[0:1], s[24:25]
.LBB56_677:
	s_and_b64 vcc, exec, s[4:5]
	s_cbranch_vccz .LBB56_682
; %bb.678:
	s_cmp_eq_u32 s37, 44
	s_mov_b64 s[0:1], -1
	s_cbranch_scc0 .LBB56_682
; %bb.679:
	v_bfe_u32 v3, v2, 23, 8
	s_movk_i32 s0, 0xff
	v_cmp_ne_u32_e32 vcc, s0, v3
	v_mov_b32_e32 v5, 0xff
	s_and_saveexec_b64 s[2:3], vcc
; %bb.680:
	s_mov_b32 s0, 0x3fffff
	v_and_b32_e32 v6, 0x400000, v2
	v_and_or_b32 v3, v2, s0, v3
	v_cmp_ne_u32_e32 vcc, 0, v6
	v_cmp_ne_u32_e64 s[0:1], 0, v3
	s_and_b64 s[0:1], vcc, s[0:1]
	v_lshrrev_b32_e32 v5, 23, v2
	v_cndmask_b32_e64 v3, 0, 1, s[0:1]
	v_add_u32_e32 v5, v5, v3
; %bb.681:
	s_or_b64 exec, exec, s[2:3]
	s_mov_b64 s[2:3], -1
	s_mov_b64 s[0:1], 0
	global_store_byte v[0:1], v5, off
.LBB56_682:
	s_mov_b64 s[4:5], 0
.LBB56_683:
	s_and_b64 vcc, exec, s[4:5]
	s_cbranch_vccz .LBB56_686
; %bb.684:
	s_cmp_eq_u32 s37, 29
	s_mov_b64 s[0:1], -1
	s_cbranch_scc0 .LBB56_686
; %bb.685:
	v_trunc_f32_e32 v3, v2
	v_mul_f32_e32 v5, 0x2f800000, v3
	v_floor_f32_e32 v5, v5
	v_fmac_f32_e32 v3, 0xcf800000, v5
	v_cvt_u32_f32_e32 v6, v5
	v_cvt_u32_f32_e32 v5, v3
	s_mov_b64 s[2:3], -1
	s_mov_b64 s[0:1], 0
	s_mov_b64 s[4:5], 0
	global_store_dwordx2 v[0:1], v[5:6], off
	s_branch .LBB56_687
.LBB56_686:
	s_mov_b64 s[4:5], 0
.LBB56_687:
	s_and_b64 vcc, exec, s[4:5]
	s_cbranch_vccz .LBB56_703
; %bb.688:
	s_cmp_lt_i32 s37, 27
	s_mov_b64 s[2:3], -1
	s_cbranch_scc1 .LBB56_694
; %bb.689:
	v_cvt_u32_f32_e32 v3, v2
	s_cmp_gt_i32 s37, 27
	s_cbranch_scc0 .LBB56_691
; %bb.690:
	s_mov_b64 s[2:3], 0
	global_store_dword v[0:1], v3, off
.LBB56_691:
	s_andn2_b64 vcc, exec, s[2:3]
	s_cbranch_vccnz .LBB56_693
; %bb.692:
	global_store_short v[0:1], v3, off
.LBB56_693:
	s_mov_b64 s[2:3], 0
.LBB56_694:
	s_andn2_b64 vcc, exec, s[2:3]
	s_cbranch_vccnz .LBB56_702
; %bb.695:
	v_and_b32_e32 v3, 0x7fffffff, v2
	s_mov_b32 s2, 0x43800000
	v_cmp_gt_u32_e32 vcc, s2, v3
	v_mov_b32_e32 v5, 0x80
	s_and_saveexec_b64 s[2:3], vcc
	s_cbranch_execz .LBB56_701
; %bb.696:
	s_mov_b32 s4, 0x3bffffff
	v_cmp_lt_u32_e32 vcc, s4, v3
	s_mov_b64 s[4:5], 0
                                        ; implicit-def: $vgpr3
	s_and_saveexec_b64 s[34:35], vcc
	s_xor_b64 s[34:35], exec, s[34:35]
	s_cbranch_execz .LBB56_802
; %bb.697:
	v_bfe_u32 v3, v2, 20, 1
	s_mov_b32 s39, 0x487ffff
	v_add3_u32 v3, v2, v3, s39
	s_mov_b64 s[4:5], exec
	v_lshrrev_b32_e32 v3, 20, v3
	s_andn2_saveexec_b64 s[34:35], s[34:35]
	s_cbranch_execnz .LBB56_803
.LBB56_698:
	s_or_b64 exec, exec, s[34:35]
	v_mov_b32_e32 v5, 0
	s_and_saveexec_b64 s[34:35], s[4:5]
.LBB56_699:
	v_lshrrev_b32_e32 v5, 24, v2
	s_movk_i32 s4, 0x80
	v_and_or_b32 v5, v5, s4, v3
.LBB56_700:
	s_or_b64 exec, exec, s[34:35]
.LBB56_701:
	s_or_b64 exec, exec, s[2:3]
	global_store_byte v[0:1], v5, off
.LBB56_702:
	s_mov_b64 s[2:3], -1
.LBB56_703:
	s_mov_b64 s[4:5], 0
.LBB56_704:
	s_and_b64 vcc, exec, s[4:5]
	s_cbranch_vccz .LBB56_745
; %bb.705:
	s_cmp_gt_i32 s37, 22
	s_mov_b64 s[4:5], -1
	s_cbranch_scc0 .LBB56_737
; %bb.706:
	s_cmp_lt_i32 s37, 24
	s_mov_b64 s[2:3], -1
	s_cbranch_scc1 .LBB56_726
; %bb.707:
	s_cmp_gt_i32 s37, 24
	s_cbranch_scc0 .LBB56_715
; %bb.708:
	v_and_b32_e32 v3, 0x7fffffff, v2
	s_mov_b32 s2, 0x47800000
	v_cmp_gt_u32_e32 vcc, s2, v3
	v_mov_b32_e32 v5, 0x80
	s_and_saveexec_b64 s[2:3], vcc
	s_cbranch_execz .LBB56_714
; %bb.709:
	s_mov_b32 s4, 0x37ffffff
	v_cmp_lt_u32_e32 vcc, s4, v3
	s_mov_b64 s[4:5], 0
                                        ; implicit-def: $vgpr3
	s_and_saveexec_b64 s[34:35], vcc
	s_xor_b64 s[34:35], exec, s[34:35]
	s_cbranch_execz .LBB56_805
; %bb.710:
	v_bfe_u32 v3, v2, 21, 1
	s_mov_b32 s39, 0x88fffff
	v_add3_u32 v3, v2, v3, s39
	s_mov_b64 s[4:5], exec
	v_lshrrev_b32_e32 v3, 21, v3
	s_andn2_saveexec_b64 s[34:35], s[34:35]
	s_cbranch_execnz .LBB56_806
.LBB56_711:
	s_or_b64 exec, exec, s[34:35]
	v_mov_b32_e32 v5, 0
	s_and_saveexec_b64 s[34:35], s[4:5]
.LBB56_712:
	v_lshrrev_b32_e32 v5, 24, v2
	s_movk_i32 s4, 0x80
	v_and_or_b32 v5, v5, s4, v3
.LBB56_713:
	s_or_b64 exec, exec, s[34:35]
.LBB56_714:
	s_or_b64 exec, exec, s[2:3]
	s_mov_b64 s[2:3], 0
	global_store_byte v[0:1], v5, off
.LBB56_715:
	s_and_b64 vcc, exec, s[2:3]
	s_cbranch_vccz .LBB56_725
; %bb.716:
	v_and_b32_e32 v5, 0x7fffffff, v2
	s_mov_b32 s2, 0x43f00000
	v_cmp_gt_u32_e32 vcc, s2, v5
                                        ; implicit-def: $vgpr3
	s_and_saveexec_b64 s[2:3], vcc
	s_xor_b64 s[2:3], exec, s[2:3]
	s_cbranch_execz .LBB56_722
; %bb.717:
	s_mov_b32 s4, 0x3c7fffff
	v_cmp_lt_u32_e32 vcc, s4, v5
                                        ; implicit-def: $vgpr3
	s_and_saveexec_b64 s[4:5], vcc
	s_xor_b64 s[4:5], exec, s[4:5]
; %bb.718:
	v_bfe_u32 v3, v2, 20, 1
	s_mov_b32 s34, 0x407ffff
	v_add3_u32 v3, v2, v3, s34
	v_lshrrev_b32_e32 v5, 20, v3
	v_and_b32_e32 v3, 0xff00000, v3
	s_mov_b32 s34, 0x7f00000
	v_mov_b32_e32 v6, 0x7e
	v_cmp_ne_u32_e32 vcc, s34, v3
	v_cndmask_b32_e32 v3, v6, v5, vcc
; %bb.719:
	s_andn2_saveexec_b64 s[4:5], s[4:5]
; %bb.720:
	s_mov_b32 s34, 0x46800000
	v_add_f32_e64 v3, |v2|, s34
; %bb.721:
	s_or_b64 exec, exec, s[4:5]
                                        ; implicit-def: $vgpr5
.LBB56_722:
	s_andn2_saveexec_b64 s[2:3], s[2:3]
; %bb.723:
	s_mov_b32 s4, 0x7f800000
	v_mov_b32_e32 v3, 0x7e
	v_mov_b32_e32 v6, 0x7f
	v_cmp_lt_u32_e32 vcc, s4, v5
	v_cndmask_b32_e32 v3, v3, v6, vcc
; %bb.724:
	s_or_b64 exec, exec, s[2:3]
	v_lshrrev_b32_e32 v5, 24, v2
	s_movk_i32 s2, 0x80
	v_and_or_b32 v3, v5, s2, v3
	global_store_byte v[0:1], v3, off
.LBB56_725:
	s_mov_b64 s[2:3], 0
.LBB56_726:
	s_andn2_b64 vcc, exec, s[2:3]
	s_cbranch_vccnz .LBB56_736
; %bb.727:
	v_and_b32_e32 v5, 0x7fffffff, v2
	s_mov_b32 s2, 0x47800000
	v_cmp_gt_u32_e32 vcc, s2, v5
                                        ; implicit-def: $vgpr3
	s_and_saveexec_b64 s[2:3], vcc
	s_xor_b64 s[2:3], exec, s[2:3]
	s_cbranch_execz .LBB56_733
; %bb.728:
	s_mov_b32 s4, 0x387fffff
	v_cmp_lt_u32_e32 vcc, s4, v5
                                        ; implicit-def: $vgpr3
	s_and_saveexec_b64 s[4:5], vcc
	s_xor_b64 s[4:5], exec, s[4:5]
; %bb.729:
	v_bfe_u32 v3, v2, 21, 1
	s_mov_b32 s34, 0x80fffff
	v_add3_u32 v3, v2, v3, s34
	v_lshrrev_b32_e32 v3, 21, v3
; %bb.730:
	s_andn2_saveexec_b64 s[4:5], s[4:5]
; %bb.731:
	s_mov_b32 s34, 0x43000000
	v_add_f32_e64 v3, |v2|, s34
; %bb.732:
	s_or_b64 exec, exec, s[4:5]
                                        ; implicit-def: $vgpr5
.LBB56_733:
	s_andn2_saveexec_b64 s[2:3], s[2:3]
; %bb.734:
	s_mov_b32 s4, 0x7f800000
	v_mov_b32_e32 v3, 0x7c
	v_mov_b32_e32 v6, 0x7f
	v_cmp_lt_u32_e32 vcc, s4, v5
	v_cndmask_b32_e32 v3, v3, v6, vcc
; %bb.735:
	s_or_b64 exec, exec, s[2:3]
	v_lshrrev_b32_e32 v5, 24, v2
	s_movk_i32 s2, 0x80
	v_and_or_b32 v3, v5, s2, v3
	global_store_byte v[0:1], v3, off
.LBB56_736:
	s_mov_b64 s[4:5], 0
	s_mov_b64 s[2:3], -1
.LBB56_737:
	s_andn2_b64 vcc, exec, s[4:5]
	s_cbranch_vccnz .LBB56_745
; %bb.738:
	s_cmp_gt_i32 s37, 14
	s_mov_b64 s[4:5], -1
	s_cbranch_scc0 .LBB56_742
; %bb.739:
	s_cmp_eq_u32 s37, 15
	s_mov_b64 s[0:1], -1
	s_cbranch_scc0 .LBB56_741
; %bb.740:
	v_bfe_u32 v3, v2, 16, 1
	s_movk_i32 s0, 0x7fff
	v_add3_u32 v3, v2, v3, s0
	v_cmp_o_f32_e32 vcc, v2, v2
	v_mov_b32_e32 v5, 0x7fc0
	v_cndmask_b32_sdwa v3, v5, v3, vcc dst_sel:DWORD dst_unused:UNUSED_PAD src0_sel:DWORD src1_sel:WORD_1
	global_store_short v[0:1], v3, off
	s_mov_b64 s[2:3], -1
	s_mov_b64 s[0:1], 0
.LBB56_741:
	s_mov_b64 s[4:5], 0
.LBB56_742:
	s_and_b64 vcc, exec, s[4:5]
	s_cbranch_vccz .LBB56_745
; %bb.743:
	s_cmp_eq_u32 s37, 11
	s_mov_b64 s[0:1], -1
	s_cbranch_scc0 .LBB56_745
; %bb.744:
	v_cmp_neq_f32_e32 vcc, 0, v2
	v_cndmask_b32_e64 v3, 0, 1, vcc
	s_mov_b64 s[2:3], -1
	s_mov_b64 s[0:1], 0
	global_store_byte v[0:1], v3, off
.LBB56_745:
	s_mov_b64 s[4:5], 0
.LBB56_746:
	s_and_b64 vcc, exec, s[4:5]
	s_cbranch_vccz .LBB56_785
; %bb.747:
	s_and_b32 s4, 0xffff, s36
	s_cmp_lt_i32 s4, 5
	s_mov_b64 s[2:3], -1
	s_cbranch_scc1 .LBB56_768
; %bb.748:
	s_cmp_lt_i32 s4, 8
	s_cbranch_scc1 .LBB56_758
; %bb.749:
	s_cmp_lt_i32 s4, 9
	s_cbranch_scc1 .LBB56_755
; %bb.750:
	s_cmp_gt_i32 s4, 9
	s_cbranch_scc0 .LBB56_752
; %bb.751:
	v_cvt_f64_f32_e32 v[5:6], v2
	v_mov_b32_e32 v7, 0
	v_mov_b32_e32 v8, v7
	s_mov_b64 s[2:3], 0
	global_store_dwordx4 v[0:1], v[5:8], off
.LBB56_752:
	s_andn2_b64 vcc, exec, s[2:3]
	s_cbranch_vccnz .LBB56_754
; %bb.753:
	v_mov_b32_e32 v3, 0
	global_store_dwordx2 v[0:1], v[2:3], off
.LBB56_754:
	s_mov_b64 s[2:3], 0
.LBB56_755:
	s_andn2_b64 vcc, exec, s[2:3]
	s_cbranch_vccnz .LBB56_757
; %bb.756:
	v_cvt_f16_f32_e32 v3, v2
	global_store_dword v[0:1], v3, off
.LBB56_757:
	s_mov_b64 s[2:3], 0
.LBB56_758:
	s_andn2_b64 vcc, exec, s[2:3]
	s_cbranch_vccnz .LBB56_767
; %bb.759:
	s_cmp_lt_i32 s4, 6
	s_mov_b64 s[2:3], -1
	s_cbranch_scc1 .LBB56_765
; %bb.760:
	s_cmp_gt_i32 s4, 6
	s_cbranch_scc0 .LBB56_762
; %bb.761:
	v_cvt_f64_f32_e32 v[5:6], v2
	s_mov_b64 s[2:3], 0
	global_store_dwordx2 v[0:1], v[5:6], off
.LBB56_762:
	s_andn2_b64 vcc, exec, s[2:3]
	s_cbranch_vccnz .LBB56_764
; %bb.763:
	global_store_dword v[0:1], v2, off
.LBB56_764:
	s_mov_b64 s[2:3], 0
.LBB56_765:
	s_andn2_b64 vcc, exec, s[2:3]
	s_cbranch_vccnz .LBB56_767
; %bb.766:
	v_cvt_f16_f32_e32 v3, v2
	global_store_short v[0:1], v3, off
.LBB56_767:
	s_mov_b64 s[2:3], 0
.LBB56_768:
	s_andn2_b64 vcc, exec, s[2:3]
	s_cbranch_vccnz .LBB56_784
; %bb.769:
	s_cmp_lt_i32 s4, 2
	s_mov_b64 s[2:3], -1
	s_cbranch_scc1 .LBB56_779
; %bb.770:
	s_cmp_lt_i32 s4, 3
	s_cbranch_scc1 .LBB56_776
; %bb.771:
	s_cmp_gt_i32 s4, 3
	s_cbranch_scc0 .LBB56_773
; %bb.772:
	v_trunc_f32_e32 v3, v2
	s_mov_b32 s2, 0x2f800000
	v_mul_f32_e64 v5, |v3|, s2
	v_floor_f32_e32 v5, v5
	s_mov_b32 s2, 0xcf800000
	v_cvt_u32_f32_e32 v6, v5
	v_fma_f32 v5, v5, s2, |v3|
	v_cvt_u32_f32_e32 v5, v5
	v_ashrrev_i32_e32 v3, 31, v3
	v_xor_b32_e32 v6, v6, v3
	s_mov_b64 s[2:3], 0
	v_xor_b32_e32 v5, v5, v3
	v_sub_co_u32_e32 v5, vcc, v5, v3
	v_subb_co_u32_e32 v6, vcc, v6, v3, vcc
	global_store_dwordx2 v[0:1], v[5:6], off
.LBB56_773:
	s_andn2_b64 vcc, exec, s[2:3]
	s_cbranch_vccnz .LBB56_775
; %bb.774:
	v_cvt_i32_f32_e32 v3, v2
	global_store_dword v[0:1], v3, off
.LBB56_775:
	s_mov_b64 s[2:3], 0
.LBB56_776:
	s_andn2_b64 vcc, exec, s[2:3]
	s_cbranch_vccnz .LBB56_778
; %bb.777:
	v_cvt_i32_f32_e32 v3, v2
	global_store_short v[0:1], v3, off
.LBB56_778:
	s_mov_b64 s[2:3], 0
.LBB56_779:
	s_andn2_b64 vcc, exec, s[2:3]
	s_cbranch_vccnz .LBB56_784
; %bb.780:
	s_cmp_gt_i32 s4, 0
	s_mov_b64 s[2:3], -1
	s_cbranch_scc0 .LBB56_782
; %bb.781:
	v_cvt_i32_f32_e32 v3, v2
	s_mov_b64 s[2:3], 0
	global_store_byte v[0:1], v3, off
.LBB56_782:
	s_andn2_b64 vcc, exec, s[2:3]
	s_cbranch_vccnz .LBB56_784
; %bb.783:
	v_trunc_f32_e32 v2, v2
	s_mov_b32 s2, 0x2f800000
	v_mul_f32_e64 v3, |v2|, s2
	v_floor_f32_e32 v3, v3
	s_mov_b32 s2, 0xcf800000
	v_fma_f32 v3, v3, s2, |v2|
	v_cvt_u32_f32_e32 v3, v3
	v_ashrrev_i32_e32 v2, 31, v2
	v_xor_b32_e32 v3, v3, v2
	v_sub_u32_e32 v2, v3, v2
	global_store_byte v[0:1], v2, off
.LBB56_784:
	s_mov_b64 s[2:3], -1
.LBB56_785:
	s_andn2_b64 vcc, exec, s[2:3]
	s_cbranch_vccnz .LBB56_787
; %bb.786:
	v_add_u32_e32 v4, 0x80, v4
	s_mov_b64 s[4:5], -1
	s_branch .LBB56_788
.LBB56_787:
	s_mov_b64 s[4:5], 0
                                        ; implicit-def: $vgpr4
.LBB56_788:
	s_andn2_b64 s[2:3], s[24:25], exec
	s_and_b64 s[0:1], s[0:1], exec
	s_or_b64 s[2:3], s[2:3], s[0:1]
	s_andn2_b64 s[0:1], s[22:23], exec
	s_and_b64 s[30:31], s[30:31], exec
	s_or_b64 s[0:1], s[0:1], s[30:31]
	s_orn2_b64 s[34:35], s[4:5], exec
.LBB56_789:
	s_or_b64 exec, exec, s[28:29]
	s_mov_b64 s[30:31], 0
	s_mov_b64 s[36:37], 0
	;; [unrolled: 1-line block ×3, first 2 shown]
                                        ; implicit-def: $vgpr0_vgpr1
                                        ; implicit-def: $vgpr3
	s_and_saveexec_b64 s[4:5], s[34:35]
	s_cbranch_execz .LBB56_874
; %bb.790:
	v_cmp_gt_i32_e32 vcc, s38, v4
	s_mov_b64 s[34:35], 0
	s_mov_b64 s[38:39], s[0:1]
	;; [unrolled: 1-line block ×3, first 2 shown]
                                        ; implicit-def: $vgpr0_vgpr1
                                        ; implicit-def: $vgpr3
	s_and_saveexec_b64 s[28:29], vcc
	s_cbranch_execz .LBB56_873
; %bb.791:
	v_mul_lo_u32 v0, v4, s13
	v_mov_b32_e32 v1, s11
	s_and_b32 s43, 0xffff, s42
	s_cmp_lt_i32 s43, 11
	s_waitcnt vmcnt(0)
	v_ashrrev_i32_e32 v2, 31, v0
	v_add_co_u32_e32 v0, vcc, s10, v0
	v_addc_co_u32_e32 v1, vcc, v1, v2, vcc
	s_cbranch_scc1 .LBB56_798
; %bb.792:
	s_cmp_gt_i32 s43, 25
	s_cbranch_scc0 .LBB56_799
; %bb.793:
	s_cmp_gt_i32 s43, 28
	s_cbranch_scc0 .LBB56_800
	;; [unrolled: 3-line block ×4, first 2 shown]
; %bb.796:
	s_cmp_eq_u32 s43, 46
	s_mov_b64 s[38:39], 0
	s_cbranch_scc0 .LBB56_807
; %bb.797:
	global_load_dword v2, v[0:1], off
	s_mov_b64 s[36:37], -1
	s_waitcnt vmcnt(0)
	v_lshlrev_b32_e32 v3, 16, v2
	s_branch .LBB56_809
.LBB56_798:
	s_mov_b64 s[38:39], -1
                                        ; implicit-def: $vgpr3
	s_mov_b64 s[30:31], s[0:1]
	s_branch .LBB56_872
.LBB56_799:
	s_mov_b64 s[38:39], -1
	s_mov_b64 s[30:31], s[0:1]
                                        ; implicit-def: $vgpr3
	s_branch .LBB56_838
.LBB56_800:
	s_mov_b64 s[38:39], -1
	s_mov_b64 s[30:31], s[0:1]
                                        ; implicit-def: $vgpr3
	s_branch .LBB56_819
.LBB56_801:
	s_mov_b64 s[38:39], -1
	s_mov_b64 s[30:31], s[0:1]
                                        ; implicit-def: $vgpr3
	s_branch .LBB56_814
.LBB56_802:
	s_andn2_saveexec_b64 s[34:35], s[34:35]
	s_cbranch_execz .LBB56_698
.LBB56_803:
	s_mov_b32 s39, 0x46000000
	v_add_f32_e64 v3, |v2|, s39
	v_and_b32_e32 v3, 0xff, v3
	v_cmp_ne_u32_e32 vcc, 0, v3
	s_andn2_b64 s[4:5], s[4:5], exec
	s_and_b64 s[40:41], vcc, exec
	s_or_b64 s[4:5], s[4:5], s[40:41]
	s_or_b64 exec, exec, s[34:35]
	v_mov_b32_e32 v5, 0
	s_and_saveexec_b64 s[34:35], s[4:5]
	s_cbranch_execnz .LBB56_699
	s_branch .LBB56_700
.LBB56_804:
	s_mov_b64 s[38:39], -1
	s_mov_b64 s[30:31], s[0:1]
	s_branch .LBB56_808
.LBB56_805:
	s_andn2_saveexec_b64 s[34:35], s[34:35]
	s_cbranch_execz .LBB56_711
.LBB56_806:
	s_mov_b32 s39, 0x42800000
	v_add_f32_e64 v3, |v2|, s39
	v_and_b32_e32 v3, 0xff, v3
	v_cmp_ne_u32_e32 vcc, 0, v3
	s_andn2_b64 s[4:5], s[4:5], exec
	s_and_b64 s[40:41], vcc, exec
	s_or_b64 s[4:5], s[4:5], s[40:41]
	s_or_b64 exec, exec, s[34:35]
	v_mov_b32_e32 v5, 0
	s_and_saveexec_b64 s[34:35], s[4:5]
	s_cbranch_execnz .LBB56_712
	s_branch .LBB56_713
.LBB56_807:
	s_mov_b64 s[30:31], -1
.LBB56_808:
                                        ; implicit-def: $vgpr3
.LBB56_809:
	s_and_b64 vcc, exec, s[38:39]
	s_cbranch_vccz .LBB56_813
; %bb.810:
	s_cmp_eq_u32 s43, 44
	s_cbranch_scc0 .LBB56_812
; %bb.811:
	global_load_ubyte v2, v[0:1], off
	s_movk_i32 s36, 0xff
	v_mov_b32_e32 v3, 0x7f800001
	v_mov_b32_e32 v5, 0x400000
	s_mov_b64 s[30:31], 0
	s_waitcnt vmcnt(0)
	v_lshlrev_b32_e32 v6, 23, v2
	v_cmp_ne_u32_e32 vcc, s36, v2
	v_cndmask_b32_e32 v3, v3, v6, vcc
	v_cmp_ne_u32_e32 vcc, 0, v2
	v_cndmask_b32_e32 v3, v5, v3, vcc
	s_mov_b64 s[36:37], -1
	s_branch .LBB56_813
.LBB56_812:
	s_mov_b64 s[30:31], -1
                                        ; implicit-def: $vgpr3
.LBB56_813:
	s_mov_b64 s[38:39], 0
.LBB56_814:
	s_and_b64 vcc, exec, s[38:39]
	s_cbranch_vccz .LBB56_818
; %bb.815:
	s_cmp_eq_u32 s43, 29
	s_cbranch_scc0 .LBB56_817
; %bb.816:
	global_load_dwordx2 v[2:3], v[0:1], off
	s_mov_b64 s[30:31], 0
	s_mov_b64 s[36:37], -1
	s_mov_b64 s[38:39], 0
	s_waitcnt vmcnt(0)
	v_ffbh_u32_e32 v5, v3
	v_min_u32_e32 v5, 32, v5
	v_lshlrev_b64 v[2:3], v5, v[2:3]
	v_min_u32_e32 v2, 1, v2
	v_or_b32_e32 v2, v3, v2
	v_cvt_f32_u32_e32 v2, v2
	v_sub_u32_e32 v3, 32, v5
	v_ldexp_f32 v3, v2, v3
	s_branch .LBB56_819
.LBB56_817:
	s_mov_b64 s[30:31], -1
                                        ; implicit-def: $vgpr3
.LBB56_818:
	s_mov_b64 s[38:39], 0
.LBB56_819:
	s_and_b64 vcc, exec, s[38:39]
	s_cbranch_vccz .LBB56_837
; %bb.820:
	s_cmp_lt_i32 s43, 27
	s_cbranch_scc1 .LBB56_823
; %bb.821:
	s_cmp_gt_i32 s43, 27
	s_cbranch_scc0 .LBB56_824
; %bb.822:
	global_load_dword v2, v[0:1], off
	s_mov_b64 s[36:37], 0
	s_waitcnt vmcnt(0)
	v_cvt_f32_u32_e32 v3, v2
	s_branch .LBB56_825
.LBB56_823:
	s_mov_b64 s[36:37], -1
                                        ; implicit-def: $vgpr3
	s_branch .LBB56_828
.LBB56_824:
	s_mov_b64 s[36:37], -1
                                        ; implicit-def: $vgpr3
.LBB56_825:
	s_andn2_b64 vcc, exec, s[36:37]
	s_cbranch_vccnz .LBB56_827
; %bb.826:
	global_load_ushort v2, v[0:1], off
	s_waitcnt vmcnt(0)
	v_cvt_f32_u32_e32 v3, v2
.LBB56_827:
	s_mov_b64 s[36:37], 0
.LBB56_828:
	s_andn2_b64 vcc, exec, s[36:37]
	s_cbranch_vccnz .LBB56_836
; %bb.829:
	global_load_ubyte v2, v[0:1], off
	s_movk_i32 s36, 0x7f
	s_waitcnt vmcnt(0)
	v_cmp_lt_i16_e32 vcc, s36, v2
	s_mov_b64 s[36:37], 0
	s_and_saveexec_b64 s[38:39], vcc
	s_xor_b64 s[38:39], exec, s[38:39]
	s_cbranch_execz .LBB56_850
; %bb.830:
	s_movk_i32 s36, 0x80
	v_cmp_eq_u16_e32 vcc, s36, v2
	s_mov_b64 s[36:37], -1
	s_and_saveexec_b64 s[40:41], vcc
; %bb.831:
	s_xor_b64 s[36:37], exec, -1
; %bb.832:
	s_or_b64 exec, exec, s[40:41]
	s_and_b64 s[36:37], s[36:37], exec
	s_or_saveexec_b64 s[38:39], s[38:39]
	v_mov_b32_e32 v3, 0x7f800001
	s_xor_b64 exec, exec, s[38:39]
	s_cbranch_execnz .LBB56_851
.LBB56_833:
	s_or_b64 exec, exec, s[38:39]
	s_and_saveexec_b64 s[38:39], s[36:37]
	s_cbranch_execz .LBB56_835
.LBB56_834:
	v_lshlrev_b32_e32 v3, 24, v2
	v_and_b32_e32 v2, 0xffff, v2
	v_and_b32_e32 v5, 7, v2
	v_ffbh_u32_e32 v7, v5
	v_min_u32_e32 v7, 32, v7
	v_subrev_u32_e32 v8, 28, v7
	v_bfe_u32 v6, v2, 3, 4
	v_lshlrev_b32_e32 v2, v8, v2
	v_sub_u32_e32 v7, 29, v7
	v_and_b32_e32 v2, 7, v2
	v_cmp_eq_u32_e32 vcc, 0, v6
	v_cndmask_b32_e32 v6, v6, v7, vcc
	v_cndmask_b32_e32 v2, v5, v2, vcc
	v_mov_b32_e32 v5, 0x3b800000
	v_lshlrev_b32_e32 v2, 20, v2
	v_and_b32_e32 v3, 0x80000000, v3
	v_lshl_add_u32 v5, v6, 23, v5
	v_or3_b32 v3, v3, v5, v2
.LBB56_835:
	s_or_b64 exec, exec, s[38:39]
.LBB56_836:
	s_mov_b64 s[36:37], -1
.LBB56_837:
	s_mov_b64 s[38:39], 0
.LBB56_838:
	s_and_b64 vcc, exec, s[38:39]
	s_cbranch_vccz .LBB56_871
; %bb.839:
	s_cmp_gt_i32 s43, 22
	s_cbranch_scc0 .LBB56_849
; %bb.840:
	s_cmp_lt_i32 s43, 24
	s_cbranch_scc1 .LBB56_852
; %bb.841:
	s_cmp_gt_i32 s43, 24
	s_cbranch_scc0 .LBB56_853
; %bb.842:
	global_load_ubyte v2, v[0:1], off
	s_movk_i32 s34, 0x7f
	s_waitcnt vmcnt(0)
	v_cmp_lt_i16_e32 vcc, s34, v2
	s_mov_b64 s[34:35], 0
	s_and_saveexec_b64 s[36:37], vcc
	s_xor_b64 s[36:37], exec, s[36:37]
	s_cbranch_execz .LBB56_865
; %bb.843:
	s_movk_i32 s34, 0x80
	v_cmp_eq_u16_e32 vcc, s34, v2
	s_mov_b64 s[34:35], -1
	s_and_saveexec_b64 s[38:39], vcc
; %bb.844:
	s_xor_b64 s[34:35], exec, -1
; %bb.845:
	s_or_b64 exec, exec, s[38:39]
	s_and_b64 s[34:35], s[34:35], exec
	s_or_saveexec_b64 s[36:37], s[36:37]
	v_mov_b32_e32 v3, 0x7f800001
	s_xor_b64 exec, exec, s[36:37]
	s_cbranch_execnz .LBB56_866
.LBB56_846:
	s_or_b64 exec, exec, s[36:37]
	s_and_saveexec_b64 s[36:37], s[34:35]
	s_cbranch_execz .LBB56_848
.LBB56_847:
	v_lshlrev_b32_e32 v3, 24, v2
	v_and_b32_e32 v2, 0xffff, v2
	v_and_b32_e32 v5, 3, v2
	v_ffbh_u32_e32 v7, v5
	v_min_u32_e32 v7, 32, v7
	v_subrev_u32_e32 v8, 29, v7
	v_bfe_u32 v6, v2, 2, 5
	v_lshlrev_b32_e32 v2, v8, v2
	v_sub_u32_e32 v7, 30, v7
	v_and_b32_e32 v2, 3, v2
	v_cmp_eq_u32_e32 vcc, 0, v6
	v_cndmask_b32_e32 v6, v6, v7, vcc
	v_cndmask_b32_e32 v2, v5, v2, vcc
	v_mov_b32_e32 v5, 0x37800000
	v_lshlrev_b32_e32 v2, 21, v2
	v_and_b32_e32 v3, 0x80000000, v3
	v_lshl_add_u32 v5, v6, 23, v5
	v_or3_b32 v3, v3, v5, v2
.LBB56_848:
	s_or_b64 exec, exec, s[36:37]
	s_mov_b64 s[34:35], 0
	s_branch .LBB56_854
.LBB56_849:
	s_mov_b64 s[34:35], -1
                                        ; implicit-def: $vgpr3
	s_branch .LBB56_860
.LBB56_850:
	s_or_saveexec_b64 s[38:39], s[38:39]
	v_mov_b32_e32 v3, 0x7f800001
	s_xor_b64 exec, exec, s[38:39]
	s_cbranch_execz .LBB56_833
.LBB56_851:
	v_cmp_ne_u16_e32 vcc, 0, v2
	s_andn2_b64 s[36:37], s[36:37], exec
	s_and_b64 s[40:41], vcc, exec
	v_mov_b32_e32 v3, 0
	s_or_b64 s[36:37], s[36:37], s[40:41]
	s_or_b64 exec, exec, s[38:39]
	s_and_saveexec_b64 s[38:39], s[36:37]
	s_cbranch_execnz .LBB56_834
	s_branch .LBB56_835
.LBB56_852:
	s_mov_b64 s[34:35], -1
                                        ; implicit-def: $vgpr3
	s_branch .LBB56_857
.LBB56_853:
	s_mov_b64 s[34:35], -1
                                        ; implicit-def: $vgpr3
.LBB56_854:
	s_and_b64 vcc, exec, s[34:35]
	s_cbranch_vccz .LBB56_856
; %bb.855:
	global_load_ubyte v2, v[0:1], off
	s_mov_b32 s34, 0x7f800000
	s_waitcnt vmcnt(0)
	v_lshlrev_b32_e32 v2, 24, v2
	v_and_b32_e32 v3, 0x7f000000, v2
	v_ffbh_u32_e32 v5, v3
	v_min_u32_e32 v5, 32, v5
	v_sub_u32_e64 v5, v5, 4 clamp
	v_lshlrev_b32_e32 v7, v5, v3
	v_lshlrev_b32_e32 v5, 23, v5
	v_lshrrev_b32_e32 v7, 4, v7
	v_add_u32_e32 v6, 0x1000000, v3
	v_sub_u32_e32 v5, v7, v5
	v_ashrrev_i32_e32 v6, 8, v6
	v_add_u32_e32 v5, 0x3c000000, v5
	v_and_or_b32 v5, v6, s34, v5
	v_cmp_ne_u32_e32 vcc, 0, v3
	v_cndmask_b32_e32 v3, 0, v5, vcc
	s_brev_b32 s34, 1
	v_and_or_b32 v3, v2, s34, v3
.LBB56_856:
	s_mov_b64 s[34:35], 0
.LBB56_857:
	s_andn2_b64 vcc, exec, s[34:35]
	s_cbranch_vccnz .LBB56_859
; %bb.858:
	global_load_ubyte v2, v[0:1], off
	s_movk_i32 s34, 0x7f00
	s_brev_b32 s35, 16
	s_waitcnt vmcnt(0)
	v_lshlrev_b16_e32 v3, 8, v2
	v_lshlrev_b32_e32 v2, 25, v2
	v_lshrrev_b32_e32 v5, 4, v2
	v_and_or_b32 v6, v3, s34, 0.5
	v_or_b32_e32 v5, 0x70000000, v5
	v_add_f32_e32 v6, -0.5, v6
	v_mul_f32_e32 v5, 0x7800000, v5
	v_cmp_gt_u32_e32 vcc, s35, v2
	v_bfe_i32 v3, v3, 0, 16
	v_cndmask_b32_e32 v2, v5, v6, vcc
	s_brev_b32 s34, 1
	v_and_or_b32 v3, v3, s34, v2
.LBB56_859:
	s_mov_b64 s[34:35], 0
	s_mov_b64 s[36:37], -1
.LBB56_860:
	s_andn2_b64 vcc, exec, s[34:35]
	s_mov_b64 s[34:35], 0
	s_cbranch_vccnz .LBB56_871
; %bb.861:
	s_cmp_gt_i32 s43, 14
	s_cbranch_scc0 .LBB56_864
; %bb.862:
	s_cmp_eq_u32 s43, 15
	s_cbranch_scc0 .LBB56_867
; %bb.863:
	global_load_ushort v2, v[0:1], off
	s_mov_b64 s[30:31], 0
	s_mov_b64 s[36:37], -1
	s_waitcnt vmcnt(0)
	v_lshlrev_b32_e32 v3, 16, v2
	s_branch .LBB56_868
.LBB56_864:
	s_mov_b64 s[38:39], -1
                                        ; implicit-def: $vgpr3
	s_branch .LBB56_869
.LBB56_865:
	s_or_saveexec_b64 s[36:37], s[36:37]
	v_mov_b32_e32 v3, 0x7f800001
	s_xor_b64 exec, exec, s[36:37]
	s_cbranch_execz .LBB56_846
.LBB56_866:
	v_cmp_ne_u16_e32 vcc, 0, v2
	s_andn2_b64 s[34:35], s[34:35], exec
	s_and_b64 s[38:39], vcc, exec
	v_mov_b32_e32 v3, 0
	s_or_b64 s[34:35], s[34:35], s[38:39]
	s_or_b64 exec, exec, s[36:37]
	s_and_saveexec_b64 s[36:37], s[34:35]
	s_cbranch_execnz .LBB56_847
	s_branch .LBB56_848
.LBB56_867:
	s_mov_b64 s[30:31], -1
                                        ; implicit-def: $vgpr3
.LBB56_868:
	s_mov_b64 s[38:39], 0
.LBB56_869:
	s_and_b64 vcc, exec, s[38:39]
	s_cbranch_vccz .LBB56_871
; %bb.870:
	s_cmp_lg_u32 s43, 11
	s_cselect_b64 s[38:39], -1, 0
	s_andn2_b64 s[30:31], s[30:31], exec
	s_and_b64 s[38:39], s[38:39], exec
	s_mov_b64 s[34:35], -1
	s_or_b64 s[30:31], s[30:31], s[38:39]
.LBB56_871:
	s_mov_b64 s[38:39], 0
.LBB56_872:
	s_and_b64 s[40:41], s[36:37], exec
	s_and_b64 s[36:37], s[38:39], exec
	s_andn2_b64 s[38:39], s[0:1], exec
	s_and_b64 s[30:31], s[30:31], exec
	s_and_b64 s[34:35], s[34:35], exec
	s_or_b64 s[38:39], s[38:39], s[30:31]
.LBB56_873:
	s_or_b64 exec, exec, s[28:29]
	s_and_b64 s[30:31], s[34:35], exec
	s_andn2_b64 s[0:1], s[0:1], exec
	s_and_b64 s[34:35], s[38:39], exec
	s_and_b64 s[28:29], s[40:41], exec
	;; [unrolled: 1-line block ×3, first 2 shown]
	s_or_b64 s[0:1], s[0:1], s[34:35]
.LBB56_874:
	s_or_b64 exec, exec, s[4:5]
	s_andn2_b64 s[4:5], s[24:25], exec
	s_and_b64 s[2:3], s[2:3], exec
	s_andn2_b64 s[22:23], s[22:23], exec
	s_and_b64 s[0:1], s[0:1], exec
	s_or_b64 s[24:25], s[4:5], s[2:3]
	s_and_b64 s[28:29], s[28:29], exec
	s_and_b64 s[4:5], s[36:37], exec
	s_and_b64 s[2:3], s[30:31], exec
	s_or_b64 s[22:23], s[22:23], s[0:1]
.LBB56_875:
	s_or_b64 exec, exec, s[26:27]
	s_andn2_b64 s[0:1], s[16:17], exec
	s_and_b64 s[16:17], s[24:25], exec
	s_and_b64 s[24:25], s[2:3], exec
	s_andn2_b64 s[2:3], s[18:19], exec
	s_and_b64 s[18:19], s[22:23], exec
	s_or_b64 s[16:17], s[0:1], s[16:17]
	s_and_b64 s[0:1], s[28:29], exec
	s_and_b64 s[4:5], s[4:5], exec
	s_or_b64 s[18:19], s[2:3], s[18:19]
	s_or_b64 exec, exec, s[20:21]
	s_mov_b64 s[20:21], 0
	s_and_saveexec_b64 s[2:3], s[18:19]
	s_cbranch_execz .LBB56_267
.LBB56_876:
	s_mov_b64 s[20:21], exec
	s_andn2_b64 s[24:25], s[24:25], exec
	s_trap 2
	s_or_b64 exec, exec, s[2:3]
	s_and_saveexec_b64 s[2:3], s[24:25]
	s_xor_b64 s[2:3], exec, s[2:3]
	s_cbranch_execnz .LBB56_268
.LBB56_877:
	s_or_b64 exec, exec, s[2:3]
	s_and_saveexec_b64 s[2:3], s[4:5]
	s_cbranch_execz .LBB56_923
.LBB56_878:
	s_sext_i32_i16 s4, s42
	s_cmp_lt_i32 s4, 5
	s_cbranch_scc1 .LBB56_883
; %bb.879:
	s_cmp_lt_i32 s4, 8
	s_cbranch_scc1 .LBB56_884
; %bb.880:
	;; [unrolled: 3-line block ×3, first 2 shown]
	s_cmp_gt_i32 s4, 9
	s_cbranch_scc0 .LBB56_886
; %bb.882:
	global_load_dwordx2 v[2:3], v[0:1], off
	s_mov_b64 s[4:5], 0
	s_waitcnt vmcnt(0)
	v_cvt_f32_f64_e32 v3, v[2:3]
	s_branch .LBB56_887
.LBB56_883:
                                        ; implicit-def: $vgpr3
	s_branch .LBB56_904
.LBB56_884:
                                        ; implicit-def: $vgpr3
	s_branch .LBB56_893
.LBB56_885:
	s_mov_b64 s[4:5], -1
                                        ; implicit-def: $vgpr3
	s_branch .LBB56_890
.LBB56_886:
	s_mov_b64 s[4:5], -1
                                        ; implicit-def: $vgpr3
.LBB56_887:
	s_andn2_b64 vcc, exec, s[4:5]
	s_cbranch_vccnz .LBB56_889
; %bb.888:
	global_load_dword v3, v[0:1], off
.LBB56_889:
	s_mov_b64 s[4:5], 0
.LBB56_890:
	s_andn2_b64 vcc, exec, s[4:5]
	s_cbranch_vccnz .LBB56_892
; %bb.891:
	global_load_dword v2, v[0:1], off
	s_waitcnt vmcnt(0)
	v_cvt_f32_f16_e32 v3, v2
.LBB56_892:
	s_cbranch_execnz .LBB56_903
.LBB56_893:
	s_sext_i32_i16 s4, s42
	s_cmp_lt_i32 s4, 6
	s_cbranch_scc1 .LBB56_896
; %bb.894:
	s_cmp_gt_i32 s4, 6
	s_cbranch_scc0 .LBB56_897
; %bb.895:
	global_load_dwordx2 v[2:3], v[0:1], off
	s_mov_b64 s[4:5], 0
	s_waitcnt vmcnt(0)
	v_cvt_f32_f64_e32 v3, v[2:3]
	s_branch .LBB56_898
.LBB56_896:
	s_mov_b64 s[4:5], -1
                                        ; implicit-def: $vgpr3
	s_branch .LBB56_901
.LBB56_897:
	s_mov_b64 s[4:5], -1
                                        ; implicit-def: $vgpr3
.LBB56_898:
	s_andn2_b64 vcc, exec, s[4:5]
	s_cbranch_vccnz .LBB56_900
; %bb.899:
	global_load_dword v3, v[0:1], off
.LBB56_900:
	s_mov_b64 s[4:5], 0
.LBB56_901:
	s_andn2_b64 vcc, exec, s[4:5]
	s_cbranch_vccnz .LBB56_903
; %bb.902:
	global_load_ushort v2, v[0:1], off
	s_waitcnt vmcnt(0)
	v_cvt_f32_f16_e32 v3, v2
.LBB56_903:
	s_cbranch_execnz .LBB56_922
.LBB56_904:
	s_sext_i32_i16 s4, s42
	s_cmp_lt_i32 s4, 2
	s_cbranch_scc1 .LBB56_908
; %bb.905:
	s_cmp_lt_i32 s4, 3
	s_cbranch_scc1 .LBB56_909
; %bb.906:
	s_cmp_gt_i32 s4, 3
	s_cbranch_scc0 .LBB56_910
; %bb.907:
	global_load_dwordx2 v[2:3], v[0:1], off
	s_mov_b64 s[4:5], 0
	s_waitcnt vmcnt(0)
	v_xor_b32_e32 v6, v2, v3
	v_ffbh_i32_e32 v5, v3
	v_ashrrev_i32_e32 v6, 31, v6
	v_add_u32_e32 v5, -1, v5
	v_add_u32_e32 v6, 32, v6
	v_min_u32_e32 v5, v5, v6
	v_lshlrev_b64 v[2:3], v5, v[2:3]
	v_min_u32_e32 v2, 1, v2
	v_or_b32_e32 v2, v3, v2
	v_cvt_f32_i32_e32 v2, v2
	v_sub_u32_e32 v3, 32, v5
	v_ldexp_f32 v3, v2, v3
	s_branch .LBB56_911
.LBB56_908:
                                        ; implicit-def: $vgpr3
	s_branch .LBB56_917
.LBB56_909:
	s_mov_b64 s[4:5], -1
                                        ; implicit-def: $vgpr3
	s_branch .LBB56_914
.LBB56_910:
	s_mov_b64 s[4:5], -1
                                        ; implicit-def: $vgpr3
.LBB56_911:
	s_andn2_b64 vcc, exec, s[4:5]
	s_cbranch_vccnz .LBB56_913
; %bb.912:
	global_load_dword v2, v[0:1], off
	s_waitcnt vmcnt(0)
	v_cvt_f32_i32_e32 v3, v2
.LBB56_913:
	s_mov_b64 s[4:5], 0
.LBB56_914:
	s_andn2_b64 vcc, exec, s[4:5]
	s_cbranch_vccnz .LBB56_916
; %bb.915:
	global_load_sshort v2, v[0:1], off
	s_waitcnt vmcnt(0)
	v_cvt_f32_i32_e32 v3, v2
.LBB56_916:
	s_cbranch_execnz .LBB56_922
.LBB56_917:
	s_sext_i32_i16 s4, s42
	s_cmp_gt_i32 s4, 0
	s_cbranch_scc0 .LBB56_919
; %bb.918:
	global_load_sbyte v2, v[0:1], off
	s_mov_b64 s[4:5], 0
	s_waitcnt vmcnt(0)
	v_cvt_f32_i32_e32 v3, v2
	s_branch .LBB56_920
.LBB56_919:
	s_mov_b64 s[4:5], -1
                                        ; implicit-def: $vgpr3
.LBB56_920:
	s_andn2_b64 vcc, exec, s[4:5]
	s_cbranch_vccnz .LBB56_922
; %bb.921:
	global_load_ubyte v0, v[0:1], off
	s_waitcnt vmcnt(0)
	v_cvt_f32_ubyte0_e32 v3, v0
.LBB56_922:
	s_or_b64 s[0:1], s[0:1], exec
.LBB56_923:
	s_or_b64 exec, exec, s[2:3]
	s_mov_b64 s[4:5], 0
	s_mov_b64 s[2:3], 0
                                        ; implicit-def: $sgpr26
                                        ; implicit-def: $vgpr0_vgpr1
                                        ; implicit-def: $vgpr2
	s_and_saveexec_b64 s[18:19], s[0:1]
	s_cbranch_execz .LBB56_947
; %bb.924:
	s_waitcnt vmcnt(0)
	v_cmp_gt_f32_e32 vcc, 0.5, v3
	v_mov_b32_e32 v1, 0
	v_mov_b32_e32 v0, 1.0
	s_and_saveexec_b64 s[22:23], vcc
	s_cbranch_execz .LBB56_930
; %bb.925:
	v_mul_f32_e32 v0, 0x40490fdb, v3
	s_brev_b32 s0, 18
	v_and_b32_e32 v1, 0x7fffffff, v0
	v_cmp_nlt_f32_e64 s[0:1], |v0|, s0
                                        ; implicit-def: $vgpr2
                                        ; implicit-def: $vgpr5
	s_and_saveexec_b64 s[2:3], s[0:1]
	s_xor_b64 s[24:25], exec, s[2:3]
	s_cbranch_execz .LBB56_927
; %bb.926:
	v_and_b32_e32 v2, 0x7fffff, v1
	v_or_b32_e32 v2, 0x800000, v2
	s_mov_b32 s0, 0xfe5163ab
	v_mad_u64_u32 v[5:6], s[0:1], v2, s0, 0
	v_mov_b32_e32 v7, 0
	s_mov_b32 s0, 0x3c439041
	v_mad_u64_u32 v[8:9], s[0:1], v2, s0, v[6:7]
	s_mov_b32 s0, 0xdb629599
	v_not_b32_e32 v13, 63
	v_mov_b32_e32 v6, v9
	v_mad_u64_u32 v[9:10], s[0:1], v2, s0, v[6:7]
	s_mov_b32 s0, 0xf534ddc0
	v_not_b32_e32 v15, 31
	v_mov_b32_e32 v6, v10
	v_mad_u64_u32 v[10:11], s[0:1], v2, s0, v[6:7]
	v_lshrrev_b32_e32 v6, 23, v1
	v_add_u32_e32 v14, 0xffffff88, v6
	v_mov_b32_e32 v6, v11
	s_mov_b32 s0, 0xfc2757d1
	v_mad_u64_u32 v[11:12], s[0:1], v2, s0, v[6:7]
	v_cmp_lt_u32_e32 vcc, 63, v14
	v_cndmask_b32_e32 v6, 0, v13, vcc
	v_add_u32_e32 v14, v6, v14
	v_mov_b32_e32 v6, v12
	s_mov_b32 s0, 0x4e441529
	v_mad_u64_u32 v[12:13], s[0:1], v2, s0, v[6:7]
	v_cmp_lt_u32_e64 s[0:1], 31, v14
	v_cndmask_b32_e64 v6, 0, v15, s[0:1]
	v_add_u32_e32 v14, v6, v14
	v_mov_b32_e32 v6, v13
	s_mov_b32 s2, 0xa2f9836e
	v_mad_u64_u32 v[6:7], s[2:3], v2, s2, v[6:7]
	v_cmp_lt_u32_e64 s[2:3], 31, v14
	v_cndmask_b32_e64 v2, 0, v15, s[2:3]
	v_cndmask_b32_e32 v13, v12, v10, vcc
	v_cndmask_b32_e32 v6, v6, v11, vcc
	;; [unrolled: 1-line block ×3, first 2 shown]
	v_add_u32_e32 v2, v2, v14
	v_cndmask_b32_e64 v14, v6, v13, s[0:1]
	v_cndmask_b32_e64 v6, v7, v6, s[0:1]
	v_cndmask_b32_e32 v7, v11, v9, vcc
	v_cndmask_b32_e64 v11, v13, v7, s[0:1]
	v_cndmask_b32_e64 v6, v6, v14, s[2:3]
	;; [unrolled: 1-line block ×3, first 2 shown]
	v_sub_u32_e32 v13, 32, v2
	v_alignbit_b32 v14, v6, v12, v13
	v_cmp_eq_u32_e64 s[4:5], 0, v2
	v_cndmask_b32_e64 v2, v14, v6, s[4:5]
	v_cndmask_b32_e32 v6, v10, v8, vcc
	v_cndmask_b32_e64 v7, v7, v6, s[0:1]
	v_cndmask_b32_e64 v8, v11, v7, s[2:3]
	v_alignbit_b32 v10, v12, v8, v13
	v_cndmask_b32_e32 v5, v9, v5, vcc
	v_cndmask_b32_e64 v10, v10, v12, s[4:5]
	v_bfe_u32 v14, v2, 29, 1
	v_cndmask_b32_e64 v5, v6, v5, s[0:1]
	v_alignbit_b32 v11, v2, v10, 30
	v_sub_u32_e32 v15, 0, v14
	v_cndmask_b32_e64 v5, v7, v5, s[2:3]
	v_xor_b32_e32 v11, v11, v15
	v_alignbit_b32 v6, v8, v5, v13
	v_cndmask_b32_e64 v6, v6, v8, s[4:5]
	v_ffbh_u32_e32 v8, v11
	v_alignbit_b32 v7, v10, v6, 30
	v_min_u32_e32 v8, 32, v8
	v_alignbit_b32 v5, v6, v5, 30
	v_xor_b32_e32 v7, v7, v15
	v_sub_u32_e32 v9, 31, v8
	v_xor_b32_e32 v5, v5, v15
	v_alignbit_b32 v10, v11, v7, v9
	v_alignbit_b32 v5, v7, v5, v9
	;; [unrolled: 1-line block ×3, first 2 shown]
	v_ffbh_u32_e32 v7, v6
	v_min_u32_e32 v7, 32, v7
	v_lshrrev_b32_e32 v12, 29, v2
	v_not_b32_e32 v9, v7
	v_alignbit_b32 v5, v6, v5, v9
	v_lshlrev_b32_e32 v6, 31, v12
	v_or_b32_e32 v9, 0x33000000, v6
	v_add_lshl_u32 v7, v7, v8, 23
	v_lshrrev_b32_e32 v5, 9, v5
	v_sub_u32_e32 v7, v9, v7
	v_or_b32_e32 v6, 0.5, v6
	v_lshlrev_b32_e32 v8, 23, v8
	v_or_b32_e32 v5, v7, v5
	v_lshrrev_b32_e32 v7, 9, v10
	v_sub_u32_e32 v6, v6, v8
	v_or_b32_e32 v6, v7, v6
	s_mov_b32 s0, 0x3fc90fda
	v_mul_f32_e32 v7, 0x3fc90fda, v6
	v_fma_f32 v8, v6, s0, -v7
	v_fmac_f32_e32 v8, 0x33a22168, v6
	v_fmac_f32_e32 v8, 0x3fc90fda, v5
	v_lshrrev_b32_e32 v2, 30, v2
	v_add_f32_e32 v5, v7, v8
	v_add_u32_e32 v2, v14, v2
.LBB56_927:
	s_andn2_saveexec_b64 s[0:1], s[24:25]
	s_cbranch_execz .LBB56_929
; %bb.928:
	s_mov_b32 s2, 0x3f22f983
	v_mul_f32_e64 v2, |v0|, s2
	v_rndne_f32_e32 v6, v2
	s_mov_b32 s2, 0xbfc90fda
	v_cvt_i32_f32_e32 v2, v6
	v_fma_f32 v5, v6, s2, |v0|
	v_fmac_f32_e32 v5, 0xb3a22168, v6
	v_fmac_f32_e32 v5, 0xa7c234c4, v6
.LBB56_929:
	s_or_b64 exec, exec, s[0:1]
	v_mul_f32_e32 v6, v5, v5
	v_mov_b32_e32 v7, 0x3c0881c4
	v_fmac_f32_e32 v7, 0xb94c1982, v6
	v_mov_b32_e32 v8, 0xbe2aaa9d
	v_fmac_f32_e32 v8, v6, v7
	v_mul_f32_e32 v7, v6, v8
	v_fmac_f32_e32 v5, v5, v7
	v_mov_b32_e32 v7, 0xbab64f3b
	v_fmac_f32_e32 v7, 0x37d75334, v6
	v_mov_b32_e32 v8, 0x3d2aabf7
	;; [unrolled: 2-line block ×3, first 2 shown]
	v_fmac_f32_e32 v7, v6, v8
	v_fma_f32 v6, v6, v7, 1.0
	v_and_b32_e32 v7, 1, v2
	v_lshlrev_b32_e32 v2, 30, v2
	v_cmp_eq_u32_e32 vcc, 0, v7
	v_and_b32_e32 v2, 0x80000000, v2
	v_xor_b32_e32 v1, v1, v0
	v_cndmask_b32_e32 v5, v6, v5, vcc
	v_xor_b32_e32 v1, v1, v2
	s_movk_i32 s0, 0x1f8
	v_xor_b32_e32 v1, v1, v5
	v_mov_b32_e32 v2, 0x7fc00000
	v_cmp_class_f32_e64 vcc, v0, s0
	v_cndmask_b32_e32 v0, v2, v1, vcc
	v_mul_f32_e32 v0, v0, v0
	s_mov_b32 s2, 0xc11de9e7
	v_div_scale_f32 v1, s[0:1], v0, v0, s2
	v_div_scale_f32 v2, vcc, s2, v0, s2
	v_sub_f32_e32 v3, 1.0, v3
	v_rcp_f32_e32 v5, v1
	v_fma_f32 v6, -v1, v5, 1.0
	v_fmac_f32_e32 v5, v6, v5
	v_mul_f32_e32 v6, v2, v5
	v_fma_f32 v7, -v1, v6, v2
	v_fmac_f32_e32 v6, v7, v5
	v_fma_f32 v1, -v1, v6, v2
	v_div_fmas_f32 v1, v1, v5, v6
	v_div_fixup_f32 v0, v1, v0, s2
	v_add_f32_e32 v1, 0, v0
	v_mov_b32_e32 v0, -1.0
.LBB56_930:
	s_or_b64 exec, exec, s[22:23]
	v_mul_f32_e32 v2, v3, v3
	v_div_scale_f32 v6, s[0:1], v2, v2, 1.0
	v_add_f32_e32 v5, 1.0, v3
	v_mul_f32_e32 v3, v5, v5
	v_div_scale_f32 v8, s[0:1], v3, v3, 1.0
	v_div_scale_f32 v7, vcc, 1.0, v2, 1.0
	v_add_f32_e32 v9, 1.0, v5
	v_div_scale_f32 v10, s[0:1], 1.0, v3, 1.0
	v_mul_f32_e32 v5, v9, v9
	v_div_scale_f32 v11, s[2:3], v5, v5, 1.0
	v_div_scale_f32 v14, s[2:3], 1.0, v5, 1.0
	v_rcp_f32_e32 v12, v6
	v_add_f32_e32 v9, 1.0, v9
	s_and_b32 s26, s33, 0xff
	s_cmp_lt_i32 s26, 11
	v_rcp_f32_e32 v13, v8
	v_fma_f32 v15, -v6, v12, 1.0
	v_fmac_f32_e32 v12, v15, v12
	v_mul_f32_e32 v16, v7, v12
	v_fma_f32 v17, -v6, v16, v7
	v_fma_f32 v15, -v8, v13, 1.0
	v_fmac_f32_e32 v16, v17, v12
	v_fma_f32 v6, -v6, v16, v7
	v_fmac_f32_e32 v13, v15, v13
	v_div_fmas_f32 v6, v6, v12, v16
	v_mul_f32_e32 v12, v10, v13
	v_fma_f32 v7, -v8, v12, v10
	v_rcp_f32_e32 v15, v11
	v_fmac_f32_e32 v12, v7, v13
	v_mul_f32_e32 v7, v9, v9
	v_div_scale_f32 v16, s[4:5], v7, v7, 1.0
	v_fma_f32 v8, -v8, v12, v10
	v_fma_f32 v10, -v11, v15, 1.0
	v_fmac_f32_e32 v15, v10, v15
	s_mov_b64 vcc, s[0:1]
	v_mul_f32_e32 v10, v14, v15
	v_div_fmas_f32 v8, v8, v13, v12
	v_fma_f32 v12, -v11, v10, v14
	v_fmac_f32_e32 v10, v12, v15
	v_div_scale_f32 v12, s[0:1], 1.0, v7, 1.0
	v_add_f32_e32 v13, 1.0, v9
	v_mul_f32_e32 v9, v13, v13
	v_div_scale_f32 v17, s[4:5], v9, v9, 1.0
	v_fma_f32 v11, -v11, v10, v14
	s_mov_b64 vcc, s[2:3]
	v_div_fmas_f32 v10, v11, v15, v10
	v_div_scale_f32 v11, s[2:3], 1.0, v9, 1.0
	v_rcp_f32_e32 v14, v16
	v_add_f32_e32 v13, 1.0, v13
	v_mul_f32_e32 v18, v13, v13
	v_div_scale_f32 v19, s[4:5], v18, v18, 1.0
	v_fma_f32 v15, -v16, v14, 1.0
	v_fmac_f32_e32 v14, v15, v14
	v_mul_f32_e32 v15, v12, v14
	v_fma_f32 v20, -v16, v15, v12
	v_fmac_f32_e32 v15, v20, v14
	v_rcp_f32_e32 v20, v17
	v_fma_f32 v12, -v16, v15, v12
	s_mov_b64 vcc, s[0:1]
	v_div_fmas_f32 v12, v12, v14, v15
	v_fma_f32 v14, -v17, v20, 1.0
	v_fmac_f32_e32 v20, v14, v20
	v_mul_f32_e32 v14, v11, v20
	v_fma_f32 v15, -v17, v14, v11
	v_fmac_f32_e32 v14, v15, v20
	v_div_scale_f32 v15, s[0:1], 1.0, v18, 1.0
	v_add_f32_e32 v13, 1.0, v13
	v_mul_f32_e32 v21, v13, v13
	v_div_scale_f32 v22, s[4:5], v21, v21, 1.0
	v_rcp_f32_e32 v16, v19
	v_fma_f32 v11, -v17, v14, v11
	s_mov_b64 vcc, s[2:3]
	v_div_scale_f32 v17, s[2:3], 1.0, v21, 1.0
	v_div_fmas_f32 v11, v11, v20, v14
	v_add_f32_e32 v20, v13, v13
	v_div_scale_f32 v23, s[4:5], v20, v20, 1.0
	v_fma_f32 v14, -v19, v16, 1.0
	v_fmac_f32_e32 v16, v14, v16
	v_mul_f32_e32 v14, v15, v16
	v_fma_f32 v24, -v19, v14, v15
	v_fmac_f32_e32 v14, v24, v16
	v_div_scale_f32 v24, s[4:5], 1.0, v20, 1.0
	v_rcp_f32_e32 v25, v22
	v_fma_f32 v15, -v19, v14, v15
	s_mov_b64 vcc, s[0:1]
	v_div_fmas_f32 v14, v15, v16, v14
	v_fma_f32 v15, -v22, v25, 1.0
	v_fmac_f32_e32 v25, v15, v25
	v_mul_f32_e32 v15, v17, v25
	v_fma_f32 v16, -v22, v15, v17
	v_fmac_f32_e32 v15, v16, v25
	v_rcp_f32_e32 v16, v23
	v_fma_f32 v17, -v22, v15, v17
	s_mov_b64 vcc, s[2:3]
	v_div_fmas_f32 v15, v17, v25, v15
	v_fma_f32 v17, -v23, v16, 1.0
	v_fmac_f32_e32 v16, v17, v16
	v_mul_f32_e32 v17, v24, v16
	v_fma_f32 v19, -v23, v17, v24
	v_fmac_f32_e32 v17, v19, v16
	v_fma_f32 v19, -v23, v17, v24
	s_mov_b64 vcc, s[4:5]
	v_div_fmas_f32 v16, v19, v16, v17
	v_mov_b32_e32 v17, 0x3d088889
	s_mov_b32 s0, 0x3e2aaaab
	v_div_fixup_f32 v2, v6, v2, 1.0
	v_add_f32_e32 v1, v1, v2
	v_div_fixup_f32 v2, v8, v3, 1.0
	v_add_f32_e32 v1, v1, v2
	v_div_fixup_f32 v2, v10, v5, 1.0
	v_div_fixup_f32 v15, v15, v21, 1.0
	v_fmac_f32_e32 v17, 0xbcc30c31, v15
	v_fma_f32 v17, -v15, v17, s0
	v_add_f32_e32 v1, v1, v2
	v_div_fixup_f32 v2, v12, v7, 1.0
	v_add_f32_e32 v1, v1, v2
	v_div_fixup_f32 v2, v11, v9, 1.0
	v_mul_lo_u32 v3, v4, s12
	v_div_fixup_f32 v16, v16, v20, 1.0
	v_add_f32_e32 v16, 1.0, v16
	v_fmac_f32_e32 v16, v15, v17
	v_div_scale_f32 v15, s[0:1], v13, v13, v16
	v_div_scale_f32 v17, vcc, v16, v13, v16
	v_add_f32_e32 v1, v1, v2
	v_div_fixup_f32 v2, v14, v18, 1.0
	v_add_f32_e32 v1, v1, v2
	v_mov_b32_e32 v4, s9
	v_rcp_f32_e32 v19, v15
	v_fma_f32 v20, -v15, v19, 1.0
	v_fmac_f32_e32 v19, v20, v19
	v_mul_f32_e32 v20, v17, v19
	v_fma_f32 v21, -v15, v20, v17
	v_fmac_f32_e32 v20, v21, v19
	v_fma_f32 v15, -v15, v20, v17
	v_div_fmas_f32 v15, v15, v19, v20
	v_div_fixup_f32 v2, v15, v13, v16
	v_add_f32_e32 v1, v1, v2
	v_mul_f32_e32 v2, v0, v1
	v_ashrrev_i32_e32 v1, 31, v3
	v_add_co_u32_e32 v0, vcc, s8, v3
	v_addc_co_u32_e32 v1, vcc, v4, v1, vcc
	s_cbranch_scc1 .LBB56_950
; %bb.931:
	s_and_b32 s27, 0xffff, s26
	s_mov_b64 s[4:5], -1
	s_cmp_gt_i32 s27, 25
	s_mov_b64 s[0:1], s[16:17]
	s_cbranch_scc0 .LBB56_968
; %bb.932:
	s_mov_b64 s[2:3], -1
	s_cmp_gt_i32 s27, 28
	s_mov_b64 s[0:1], s[16:17]
	s_cbranch_scc0 .LBB56_952
; %bb.933:
	s_cmp_gt_i32 s27, 43
	s_mov_b64 s[0:1], s[16:17]
	s_cbranch_scc0 .LBB56_944
; %bb.934:
	;; [unrolled: 4-line block ×3, first 2 shown]
	s_cmp_eq_u32 s27, 46
	s_mov_b64 s[0:1], -1
	s_cbranch_scc0 .LBB56_937
; %bb.936:
	v_bfe_u32 v3, v2, 16, 1
	s_movk_i32 s0, 0x7fff
	v_add3_u32 v3, v2, v3, s0
	v_cmp_o_f32_e32 vcc, v2, v2
	v_mov_b32_e32 v4, 0x7fc0
	v_cndmask_b32_sdwa v3, v4, v3, vcc dst_sel:DWORD dst_unused:UNUSED_PAD src0_sel:DWORD src1_sel:WORD_1
	global_store_dword v[0:1], v3, off
	s_mov_b64 s[0:1], 0
.LBB56_937:
	s_mov_b64 s[2:3], 0
.LBB56_938:
	s_and_b64 vcc, exec, s[2:3]
	s_cbranch_vccz .LBB56_943
; %bb.939:
	s_cmp_eq_u32 s27, 44
	s_mov_b64 s[0:1], -1
	s_cbranch_scc0 .LBB56_943
; %bb.940:
	v_bfe_u32 v3, v2, 23, 8
	s_movk_i32 s0, 0xff
	v_cmp_ne_u32_e32 vcc, s0, v3
	v_mov_b32_e32 v4, 0xff
	s_and_saveexec_b64 s[2:3], vcc
; %bb.941:
	s_mov_b32 s0, 0x3fffff
	v_and_b32_e32 v5, 0x400000, v2
	v_and_or_b32 v3, v2, s0, v3
	v_cmp_ne_u32_e32 vcc, 0, v5
	v_cmp_ne_u32_e64 s[0:1], 0, v3
	s_and_b64 s[0:1], vcc, s[0:1]
	v_lshrrev_b32_e32 v4, 23, v2
	v_cndmask_b32_e64 v3, 0, 1, s[0:1]
	v_add_u32_e32 v4, v4, v3
; %bb.942:
	s_or_b64 exec, exec, s[2:3]
	s_mov_b64 s[0:1], 0
	global_store_byte v[0:1], v4, off
.LBB56_943:
	s_mov_b64 s[2:3], 0
.LBB56_944:
	s_and_b64 vcc, exec, s[2:3]
	s_cbranch_vccz .LBB56_951
; %bb.945:
	s_cmp_eq_u32 s27, 29
	s_mov_b64 s[0:1], -1
	s_cbranch_scc0 .LBB56_951
; %bb.946:
	v_trunc_f32_e32 v3, v2
	v_mul_f32_e32 v4, 0x2f800000, v3
	v_floor_f32_e32 v5, v4
	v_fmac_f32_e32 v3, 0xcf800000, v5
	v_cvt_u32_f32_e32 v4, v5
	v_cvt_u32_f32_e32 v3, v3
	s_mov_b64 s[0:1], 0
	s_mov_b64 s[2:3], 0
	global_store_dwordx2 v[0:1], v[3:4], off
	s_branch .LBB56_952
.LBB56_947:
	s_or_b64 exec, exec, s[18:19]
	s_and_saveexec_b64 s[0:1], s[16:17]
	s_cbranch_execnz .LBB56_1010
.LBB56_948:
	s_or_b64 exec, exec, s[0:1]
	s_and_saveexec_b64 s[0:1], s[4:5]
	s_xor_b64 s[0:1], exec, s[0:1]
	s_cbranch_execz .LBB56_1011
.LBB56_949:
	s_waitcnt vmcnt(0)
	v_cmp_neq_f32_e32 vcc, 0, v2
	v_cndmask_b32_e64 v3, 0, 1, vcc
	global_store_byte v[0:1], v3, off
	s_or_b64 exec, exec, s[0:1]
	s_and_saveexec_b64 s[0:1], s[2:3]
	s_xor_b64 s[0:1], exec, s[0:1]
	s_cbranch_execz .LBB56_1049
	s_branch .LBB56_1012
.LBB56_950:
	s_mov_b64 s[4:5], 0
	s_mov_b64 s[2:3], -1
	s_mov_b64 s[0:1], s[16:17]
	s_branch .LBB56_1009
.LBB56_951:
	s_mov_b64 s[2:3], 0
.LBB56_952:
	s_and_b64 vcc, exec, s[2:3]
	s_cbranch_vccz .LBB56_967
; %bb.953:
	s_cmp_lt_i32 s27, 27
	s_mov_b64 s[2:3], -1
	s_cbranch_scc1 .LBB56_959
; %bb.954:
	v_cvt_u32_f32_e32 v3, v2
	s_cmp_gt_i32 s27, 27
	s_cbranch_scc0 .LBB56_956
; %bb.955:
	s_mov_b64 s[2:3], 0
	global_store_dword v[0:1], v3, off
.LBB56_956:
	s_andn2_b64 vcc, exec, s[2:3]
	s_cbranch_vccnz .LBB56_958
; %bb.957:
	global_store_short v[0:1], v3, off
.LBB56_958:
	s_mov_b64 s[2:3], 0
.LBB56_959:
	s_andn2_b64 vcc, exec, s[2:3]
	s_cbranch_vccnz .LBB56_967
; %bb.960:
	v_and_b32_e32 v3, 0x7fffffff, v2
	s_mov_b32 s2, 0x43800000
	v_cmp_gt_u32_e32 vcc, s2, v3
	v_mov_b32_e32 v4, 0x80
	s_and_saveexec_b64 s[2:3], vcc
	s_cbranch_execz .LBB56_966
; %bb.961:
	s_mov_b32 s4, 0x3bffffff
	v_cmp_lt_u32_e32 vcc, s4, v3
	s_mov_b64 s[4:5], 0
                                        ; implicit-def: $vgpr3
	s_and_saveexec_b64 s[22:23], vcc
	s_xor_b64 s[22:23], exec, s[22:23]
	s_cbranch_execz .LBB56_1064
; %bb.962:
	v_bfe_u32 v3, v2, 20, 1
	s_mov_b32 s24, 0x487ffff
	v_add3_u32 v3, v2, v3, s24
	s_mov_b64 s[4:5], exec
	v_lshrrev_b32_e32 v3, 20, v3
	s_andn2_saveexec_b64 s[22:23], s[22:23]
	s_cbranch_execnz .LBB56_1065
.LBB56_963:
	s_or_b64 exec, exec, s[22:23]
	v_mov_b32_e32 v4, 0
	s_and_saveexec_b64 s[22:23], s[4:5]
.LBB56_964:
	v_lshrrev_b32_e32 v4, 24, v2
	s_movk_i32 s4, 0x80
	v_and_or_b32 v4, v4, s4, v3
.LBB56_965:
	s_or_b64 exec, exec, s[22:23]
.LBB56_966:
	s_or_b64 exec, exec, s[2:3]
	global_store_byte v[0:1], v4, off
.LBB56_967:
	s_mov_b64 s[4:5], 0
.LBB56_968:
	s_mov_b64 s[2:3], 0
	s_and_b64 vcc, exec, s[4:5]
	s_cbranch_vccz .LBB56_1008
; %bb.969:
	s_cmp_gt_i32 s27, 22
	s_mov_b64 s[4:5], -1
	s_cbranch_scc0 .LBB56_1001
; %bb.970:
	s_cmp_lt_i32 s27, 24
	s_cbranch_scc1 .LBB56_990
; %bb.971:
	s_cmp_gt_i32 s27, 24
	s_cbranch_scc0 .LBB56_979
; %bb.972:
	v_and_b32_e32 v3, 0x7fffffff, v2
	s_mov_b32 s4, 0x47800000
	v_cmp_gt_u32_e32 vcc, s4, v3
	v_mov_b32_e32 v4, 0x80
	s_and_saveexec_b64 s[4:5], vcc
	s_cbranch_execz .LBB56_978
; %bb.973:
	s_mov_b32 s22, 0x37ffffff
	v_cmp_lt_u32_e32 vcc, s22, v3
	s_mov_b64 s[22:23], 0
                                        ; implicit-def: $vgpr3
	s_and_saveexec_b64 s[24:25], vcc
	s_xor_b64 s[24:25], exec, s[24:25]
	s_cbranch_execz .LBB56_1195
; %bb.974:
	v_bfe_u32 v3, v2, 21, 1
	s_mov_b32 s28, 0x88fffff
	v_add3_u32 v3, v2, v3, s28
	s_mov_b64 s[22:23], exec
	v_lshrrev_b32_e32 v3, 21, v3
	s_andn2_saveexec_b64 s[24:25], s[24:25]
	s_cbranch_execnz .LBB56_1196
.LBB56_975:
	s_or_b64 exec, exec, s[24:25]
	v_mov_b32_e32 v4, 0
	s_and_saveexec_b64 s[24:25], s[22:23]
.LBB56_976:
	v_lshrrev_b32_e32 v4, 24, v2
	s_movk_i32 s22, 0x80
	v_and_or_b32 v4, v4, s22, v3
.LBB56_977:
	s_or_b64 exec, exec, s[24:25]
.LBB56_978:
	s_or_b64 exec, exec, s[4:5]
	s_mov_b64 s[4:5], 0
	global_store_byte v[0:1], v4, off
.LBB56_979:
	s_and_b64 vcc, exec, s[4:5]
	s_cbranch_vccz .LBB56_989
; %bb.980:
	v_and_b32_e32 v4, 0x7fffffff, v2
	s_mov_b32 s4, 0x43f00000
	v_cmp_gt_u32_e32 vcc, s4, v4
                                        ; implicit-def: $vgpr3
	s_and_saveexec_b64 s[4:5], vcc
	s_xor_b64 s[4:5], exec, s[4:5]
	s_cbranch_execz .LBB56_986
; %bb.981:
	s_mov_b32 s22, 0x3c7fffff
	v_cmp_lt_u32_e32 vcc, s22, v4
                                        ; implicit-def: $vgpr3
	s_and_saveexec_b64 s[22:23], vcc
	s_xor_b64 s[22:23], exec, s[22:23]
; %bb.982:
	v_bfe_u32 v3, v2, 20, 1
	s_mov_b32 s24, 0x407ffff
	v_add3_u32 v3, v2, v3, s24
	v_lshrrev_b32_e32 v4, 20, v3
	v_and_b32_e32 v3, 0xff00000, v3
	s_mov_b32 s24, 0x7f00000
	v_mov_b32_e32 v5, 0x7e
	v_cmp_ne_u32_e32 vcc, s24, v3
	v_cndmask_b32_e32 v3, v5, v4, vcc
; %bb.983:
	s_andn2_saveexec_b64 s[22:23], s[22:23]
; %bb.984:
	s_mov_b32 s24, 0x46800000
	v_add_f32_e64 v3, |v2|, s24
; %bb.985:
	s_or_b64 exec, exec, s[22:23]
                                        ; implicit-def: $vgpr4
.LBB56_986:
	s_andn2_saveexec_b64 s[4:5], s[4:5]
; %bb.987:
	s_mov_b32 s22, 0x7f800000
	v_mov_b32_e32 v3, 0x7e
	v_mov_b32_e32 v5, 0x7f
	v_cmp_lt_u32_e32 vcc, s22, v4
	v_cndmask_b32_e32 v3, v3, v5, vcc
; %bb.988:
	s_or_b64 exec, exec, s[4:5]
	v_lshrrev_b32_e32 v4, 24, v2
	s_movk_i32 s4, 0x80
	v_and_or_b32 v3, v4, s4, v3
	global_store_byte v[0:1], v3, off
.LBB56_989:
	s_mov_b64 s[4:5], 0
.LBB56_990:
	s_andn2_b64 vcc, exec, s[4:5]
	s_cbranch_vccnz .LBB56_1000
; %bb.991:
	v_and_b32_e32 v4, 0x7fffffff, v2
	s_mov_b32 s4, 0x47800000
	v_cmp_gt_u32_e32 vcc, s4, v4
                                        ; implicit-def: $vgpr3
	s_and_saveexec_b64 s[4:5], vcc
	s_xor_b64 s[4:5], exec, s[4:5]
	s_cbranch_execz .LBB56_997
; %bb.992:
	s_mov_b32 s22, 0x387fffff
	v_cmp_lt_u32_e32 vcc, s22, v4
                                        ; implicit-def: $vgpr3
	s_and_saveexec_b64 s[22:23], vcc
	s_xor_b64 s[22:23], exec, s[22:23]
; %bb.993:
	v_bfe_u32 v3, v2, 21, 1
	s_mov_b32 s24, 0x80fffff
	v_add3_u32 v3, v2, v3, s24
	v_lshrrev_b32_e32 v3, 21, v3
; %bb.994:
	s_andn2_saveexec_b64 s[22:23], s[22:23]
; %bb.995:
	s_mov_b32 s24, 0x43000000
	v_add_f32_e64 v3, |v2|, s24
; %bb.996:
	s_or_b64 exec, exec, s[22:23]
                                        ; implicit-def: $vgpr4
.LBB56_997:
	s_andn2_saveexec_b64 s[4:5], s[4:5]
; %bb.998:
	s_mov_b32 s22, 0x7f800000
	v_mov_b32_e32 v3, 0x7c
	v_mov_b32_e32 v5, 0x7f
	v_cmp_lt_u32_e32 vcc, s22, v4
	v_cndmask_b32_e32 v3, v3, v5, vcc
; %bb.999:
	s_or_b64 exec, exec, s[4:5]
	v_lshrrev_b32_e32 v4, 24, v2
	s_movk_i32 s4, 0x80
	v_and_or_b32 v3, v4, s4, v3
	global_store_byte v[0:1], v3, off
.LBB56_1000:
	s_mov_b64 s[4:5], 0
.LBB56_1001:
	s_andn2_b64 vcc, exec, s[4:5]
	s_mov_b64 s[4:5], 0
	s_cbranch_vccnz .LBB56_1009
; %bb.1002:
	s_cmp_gt_i32 s27, 14
	s_mov_b64 s[22:23], -1
	s_cbranch_scc0 .LBB56_1006
; %bb.1003:
	s_cmp_eq_u32 s27, 15
	s_mov_b64 s[0:1], -1
	s_cbranch_scc0 .LBB56_1005
; %bb.1004:
	v_bfe_u32 v3, v2, 16, 1
	s_movk_i32 s0, 0x7fff
	v_add3_u32 v3, v2, v3, s0
	v_cmp_o_f32_e32 vcc, v2, v2
	v_mov_b32_e32 v4, 0x7fc0
	v_cndmask_b32_sdwa v3, v4, v3, vcc dst_sel:DWORD dst_unused:UNUSED_PAD src0_sel:DWORD src1_sel:WORD_1
	global_store_short v[0:1], v3, off
	s_mov_b64 s[0:1], 0
.LBB56_1005:
	s_mov_b64 s[22:23], 0
.LBB56_1006:
	s_and_b64 vcc, exec, s[22:23]
	s_cbranch_vccz .LBB56_1009
; %bb.1007:
	s_cmp_lg_u32 s27, 11
	s_cselect_b64 s[22:23], -1, 0
	s_andn2_b64 s[0:1], s[0:1], exec
	s_and_b64 s[22:23], s[22:23], exec
	s_mov_b64 s[4:5], -1
	s_or_b64 s[0:1], s[0:1], s[22:23]
	s_branch .LBB56_1009
.LBB56_1008:
	s_mov_b64 s[4:5], 0
.LBB56_1009:
	s_andn2_b64 s[16:17], s[16:17], exec
	s_and_b64 s[0:1], s[0:1], exec
	s_and_b64 s[2:3], s[2:3], exec
	;; [unrolled: 1-line block ×3, first 2 shown]
	s_or_b64 s[16:17], s[16:17], s[0:1]
	s_or_b64 exec, exec, s[18:19]
	s_and_saveexec_b64 s[0:1], s[16:17]
	s_cbranch_execz .LBB56_948
.LBB56_1010:
	s_or_b64 s[20:21], s[20:21], exec
	s_andn2_b64 s[4:5], s[4:5], exec
	s_trap 2
	s_or_b64 exec, exec, s[0:1]
	s_and_saveexec_b64 s[0:1], s[4:5]
	s_xor_b64 s[0:1], exec, s[0:1]
	s_cbranch_execnz .LBB56_949
.LBB56_1011:
	s_or_b64 exec, exec, s[0:1]
	s_and_saveexec_b64 s[0:1], s[2:3]
	s_xor_b64 s[0:1], exec, s[0:1]
	s_cbranch_execz .LBB56_1049
.LBB56_1012:
	s_sext_i32_i16 s4, s26
	s_cmp_lt_i32 s4, 5
	s_mov_b64 s[2:3], -1
	s_cbranch_scc1 .LBB56_1033
; %bb.1013:
	s_cmp_lt_i32 s4, 8
	s_cbranch_scc1 .LBB56_1023
; %bb.1014:
	s_cmp_lt_i32 s4, 9
	s_cbranch_scc1 .LBB56_1020
; %bb.1015:
	s_cmp_gt_i32 s4, 9
	s_cbranch_scc0 .LBB56_1017
; %bb.1016:
	s_waitcnt vmcnt(0)
	v_cvt_f64_f32_e32 v[3:4], v2
	v_mov_b32_e32 v5, 0
	v_mov_b32_e32 v6, v5
	s_mov_b64 s[2:3], 0
	global_store_dwordx4 v[0:1], v[3:6], off
.LBB56_1017:
	s_andn2_b64 vcc, exec, s[2:3]
	s_cbranch_vccnz .LBB56_1019
; %bb.1018:
	s_waitcnt vmcnt(0)
	v_mov_b32_e32 v3, 0
	global_store_dwordx2 v[0:1], v[2:3], off
.LBB56_1019:
	s_mov_b64 s[2:3], 0
.LBB56_1020:
	s_andn2_b64 vcc, exec, s[2:3]
	s_cbranch_vccnz .LBB56_1022
; %bb.1021:
	s_waitcnt vmcnt(0)
	v_cvt_f16_f32_e32 v3, v2
	global_store_dword v[0:1], v3, off
.LBB56_1022:
	s_mov_b64 s[2:3], 0
.LBB56_1023:
	s_andn2_b64 vcc, exec, s[2:3]
	s_cbranch_vccnz .LBB56_1032
; %bb.1024:
	s_sext_i32_i16 s4, s26
	s_cmp_lt_i32 s4, 6
	s_mov_b64 s[2:3], -1
	s_cbranch_scc1 .LBB56_1030
; %bb.1025:
	s_cmp_gt_i32 s4, 6
	s_cbranch_scc0 .LBB56_1027
; %bb.1026:
	s_waitcnt vmcnt(0)
	v_cvt_f64_f32_e32 v[3:4], v2
	s_mov_b64 s[2:3], 0
	global_store_dwordx2 v[0:1], v[3:4], off
.LBB56_1027:
	s_andn2_b64 vcc, exec, s[2:3]
	s_cbranch_vccnz .LBB56_1029
; %bb.1028:
	s_waitcnt vmcnt(0)
	global_store_dword v[0:1], v2, off
.LBB56_1029:
	s_mov_b64 s[2:3], 0
.LBB56_1030:
	s_andn2_b64 vcc, exec, s[2:3]
	s_cbranch_vccnz .LBB56_1032
; %bb.1031:
	s_waitcnt vmcnt(0)
	v_cvt_f16_f32_e32 v3, v2
	global_store_short v[0:1], v3, off
.LBB56_1032:
	s_mov_b64 s[2:3], 0
.LBB56_1033:
	s_andn2_b64 vcc, exec, s[2:3]
	s_cbranch_vccnz .LBB56_1049
; %bb.1034:
	s_sext_i32_i16 s4, s26
	s_cmp_lt_i32 s4, 2
	s_mov_b64 s[2:3], -1
	s_cbranch_scc1 .LBB56_1044
; %bb.1035:
	s_cmp_lt_i32 s4, 3
	s_cbranch_scc1 .LBB56_1041
; %bb.1036:
	s_cmp_gt_i32 s4, 3
	s_cbranch_scc0 .LBB56_1038
; %bb.1037:
	s_waitcnt vmcnt(0)
	v_trunc_f32_e32 v3, v2
	s_mov_b32 s2, 0x2f800000
	v_mul_f32_e64 v4, |v3|, s2
	v_floor_f32_e32 v4, v4
	s_mov_b32 s2, 0xcf800000
	v_cvt_u32_f32_e32 v5, v4
	v_fma_f32 v4, v4, s2, |v3|
	v_cvt_u32_f32_e32 v4, v4
	v_ashrrev_i32_e32 v6, 31, v3
	v_xor_b32_e32 v5, v5, v6
	s_mov_b64 s[2:3], 0
	v_xor_b32_e32 v3, v4, v6
	v_sub_co_u32_e32 v3, vcc, v3, v6
	v_subb_co_u32_e32 v4, vcc, v5, v6, vcc
	global_store_dwordx2 v[0:1], v[3:4], off
.LBB56_1038:
	s_andn2_b64 vcc, exec, s[2:3]
	s_cbranch_vccnz .LBB56_1040
; %bb.1039:
	s_waitcnt vmcnt(0)
	v_cvt_i32_f32_e32 v3, v2
	global_store_dword v[0:1], v3, off
.LBB56_1040:
	s_mov_b64 s[2:3], 0
.LBB56_1041:
	s_andn2_b64 vcc, exec, s[2:3]
	s_cbranch_vccnz .LBB56_1043
; %bb.1042:
	s_waitcnt vmcnt(0)
	v_cvt_i32_f32_e32 v3, v2
	global_store_short v[0:1], v3, off
.LBB56_1043:
	s_mov_b64 s[2:3], 0
.LBB56_1044:
	s_andn2_b64 vcc, exec, s[2:3]
	s_cbranch_vccnz .LBB56_1049
; %bb.1045:
	s_sext_i32_i16 s2, s26
	s_cmp_gt_i32 s2, 0
	s_mov_b64 s[2:3], -1
	s_cbranch_scc0 .LBB56_1047
; %bb.1046:
	s_waitcnt vmcnt(0)
	v_cvt_i32_f32_e32 v3, v2
	s_mov_b64 s[2:3], 0
	global_store_byte v[0:1], v3, off
.LBB56_1047:
	s_andn2_b64 vcc, exec, s[2:3]
	s_cbranch_vccnz .LBB56_1049
; %bb.1048:
	s_waitcnt vmcnt(0)
	v_trunc_f32_e32 v2, v2
	s_mov_b32 s2, 0x2f800000
	v_mul_f32_e64 v3, |v2|, s2
	v_floor_f32_e32 v3, v3
	s_mov_b32 s2, 0xcf800000
	v_fma_f32 v3, v3, s2, |v2|
	v_cvt_u32_f32_e32 v3, v3
	v_ashrrev_i32_e32 v2, 31, v2
	v_xor_b32_e32 v3, v3, v2
	v_sub_u32_e32 v2, v3, v2
	global_store_byte v[0:1], v2, off
.LBB56_1049:
	s_or_b64 exec, exec, s[0:1]
	s_and_b64 s[16:17], s[20:21], exec
                                        ; implicit-def: $vgpr4
.LBB56_1050:
	s_or_saveexec_b64 s[6:7], s[6:7]
	s_mov_b64 s[0:1], 0
                                        ; implicit-def: $sgpr20
                                        ; implicit-def: $vgpr0_vgpr1
                                        ; implicit-def: $vgpr2
	s_xor_b64 exec, exec, s[6:7]
	s_cbranch_execz .LBB56_2022
; %bb.1051:
	v_mul_lo_u32 v5, s13, v4
	v_mov_b32_e32 v1, s11
	s_and_b32 s22, 0xffff, s42
	s_cmp_lt_i32 s22, 11
	s_waitcnt vmcnt(0)
	v_ashrrev_i32_e32 v2, 31, v5
	v_add_co_u32_e32 v0, vcc, s10, v5
	v_addc_co_u32_e32 v1, vcc, v1, v2, vcc
	s_cbranch_scc1 .LBB56_1058
; %bb.1052:
	s_cmp_gt_i32 s22, 25
	s_mov_b64 s[2:3], 0
	s_cbranch_scc0 .LBB56_1060
; %bb.1053:
	s_cmp_gt_i32 s22, 28
	s_cbranch_scc0 .LBB56_1061
; %bb.1054:
	s_cmp_gt_i32 s22, 43
	;; [unrolled: 3-line block ×3, first 2 shown]
	s_cbranch_scc0 .LBB56_1063
; %bb.1056:
	s_cmp_eq_u32 s22, 46
	s_cbranch_scc0 .LBB56_1066
; %bb.1057:
	global_load_dword v2, v[0:1], off
	s_mov_b64 s[4:5], -1
	s_waitcnt vmcnt(0)
	v_lshlrev_b32_e32 v2, 16, v2
	s_branch .LBB56_1067
.LBB56_1058:
	s_mov_b64 s[4:5], 0
                                        ; implicit-def: $vgpr2
	s_mov_b64 s[18:19], s[16:17]
	s_cbranch_execnz .LBB56_1130
.LBB56_1059:
	s_andn2_b64 vcc, exec, s[4:5]
	s_cbranch_vccz .LBB56_1175
	s_branch .LBB56_2020
.LBB56_1060:
	s_mov_b64 s[4:5], 0
                                        ; implicit-def: $vgpr2
	s_cbranch_execnz .LBB56_1095
	s_branch .LBB56_1126
.LBB56_1061:
	s_mov_b64 s[14:15], -1
	s_mov_b64 s[4:5], 0
                                        ; implicit-def: $vgpr2
	s_branch .LBB56_1076
.LBB56_1062:
	s_mov_b64 s[4:5], 0
                                        ; implicit-def: $vgpr2
	s_cbranch_execnz .LBB56_1072
	s_branch .LBB56_1075
.LBB56_1063:
	s_mov_b64 s[14:15], -1
	s_mov_b64 s[4:5], 0
                                        ; implicit-def: $vgpr2
	s_branch .LBB56_1067
.LBB56_1064:
	s_andn2_saveexec_b64 s[22:23], s[22:23]
	s_cbranch_execz .LBB56_963
.LBB56_1065:
	s_mov_b32 s24, 0x46000000
	v_add_f32_e64 v3, |v2|, s24
	v_and_b32_e32 v3, 0xff, v3
	v_cmp_ne_u32_e32 vcc, 0, v3
	s_andn2_b64 s[4:5], s[4:5], exec
	s_and_b64 s[24:25], vcc, exec
	s_or_b64 s[4:5], s[4:5], s[24:25]
	s_or_b64 exec, exec, s[22:23]
	v_mov_b32_e32 v4, 0
	s_and_saveexec_b64 s[22:23], s[4:5]
	s_cbranch_execnz .LBB56_964
	s_branch .LBB56_965
.LBB56_1066:
	s_mov_b64 s[0:1], -1
                                        ; implicit-def: $vgpr2
	s_mov_b64 s[4:5], 0
.LBB56_1067:
	s_and_b64 vcc, exec, s[14:15]
	s_cbranch_vccz .LBB56_1070
; %bb.1068:
	s_cmp_eq_u32 s22, 44
	s_cbranch_scc0 .LBB56_1071
; %bb.1069:
	global_load_ubyte v2, v[0:1], off
	s_movk_i32 s4, 0xff
	v_mov_b32_e32 v3, 0x7f800001
	v_mov_b32_e32 v6, 0x400000
	s_mov_b64 s[0:1], 0
	s_waitcnt vmcnt(0)
	v_lshlrev_b32_e32 v7, 23, v2
	v_cmp_ne_u32_e32 vcc, s4, v2
	v_cndmask_b32_e32 v3, v3, v7, vcc
	v_cmp_ne_u32_e32 vcc, 0, v2
	v_cndmask_b32_e32 v2, v6, v3, vcc
	s_mov_b64 s[4:5], -1
.LBB56_1070:
	s_branch .LBB56_1075
.LBB56_1071:
	s_mov_b64 s[0:1], -1
                                        ; implicit-def: $vgpr2
	s_branch .LBB56_1075
.LBB56_1072:
	s_cmp_eq_u32 s22, 29
	s_cbranch_scc0 .LBB56_1074
; %bb.1073:
	global_load_dwordx2 v[2:3], v[0:1], off
	s_mov_b64 s[0:1], 0
	s_mov_b64 s[4:5], -1
	s_mov_b64 s[14:15], 0
	s_waitcnt vmcnt(0)
	v_ffbh_u32_e32 v6, v3
	v_min_u32_e32 v6, 32, v6
	v_lshlrev_b64 v[2:3], v6, v[2:3]
	v_min_u32_e32 v2, 1, v2
	v_or_b32_e32 v2, v3, v2
	v_cvt_f32_u32_e32 v2, v2
	v_sub_u32_e32 v3, 32, v6
	v_ldexp_f32 v2, v2, v3
	s_branch .LBB56_1076
.LBB56_1074:
	s_mov_b64 s[0:1], -1
                                        ; implicit-def: $vgpr2
.LBB56_1075:
	s_mov_b64 s[14:15], 0
.LBB56_1076:
	s_and_b64 vcc, exec, s[14:15]
	s_cbranch_vccz .LBB56_1094
; %bb.1077:
	s_cmp_lt_i32 s22, 27
	s_cbranch_scc1 .LBB56_1080
; %bb.1078:
	s_cmp_gt_i32 s22, 27
	s_cbranch_scc0 .LBB56_1081
; %bb.1079:
	global_load_dword v2, v[0:1], off
	s_mov_b64 s[4:5], 0
	s_waitcnt vmcnt(0)
	v_cvt_f32_u32_e32 v2, v2
	s_branch .LBB56_1082
.LBB56_1080:
	s_mov_b64 s[4:5], -1
                                        ; implicit-def: $vgpr2
	s_branch .LBB56_1085
.LBB56_1081:
	s_mov_b64 s[4:5], -1
                                        ; implicit-def: $vgpr2
.LBB56_1082:
	s_andn2_b64 vcc, exec, s[4:5]
	s_cbranch_vccnz .LBB56_1084
; %bb.1083:
	global_load_ushort v2, v[0:1], off
	s_waitcnt vmcnt(0)
	v_cvt_f32_u32_e32 v2, v2
.LBB56_1084:
	s_mov_b64 s[4:5], 0
.LBB56_1085:
	s_andn2_b64 vcc, exec, s[4:5]
	s_cbranch_vccnz .LBB56_1093
; %bb.1086:
	global_load_ubyte v3, v[0:1], off
	s_movk_i32 s4, 0x7f
	s_waitcnt vmcnt(0)
	v_cmp_lt_i16_e32 vcc, s4, v3
	s_mov_b64 s[4:5], 0
	s_and_saveexec_b64 s[14:15], vcc
	s_xor_b64 s[14:15], exec, s[14:15]
	s_cbranch_execz .LBB56_1106
; %bb.1087:
	s_movk_i32 s4, 0x80
	v_cmp_eq_u16_e32 vcc, s4, v3
	s_mov_b64 s[4:5], -1
	s_and_saveexec_b64 s[18:19], vcc
; %bb.1088:
	s_xor_b64 s[4:5], exec, -1
; %bb.1089:
	s_or_b64 exec, exec, s[18:19]
	s_and_b64 s[4:5], s[4:5], exec
	s_or_saveexec_b64 s[14:15], s[14:15]
	v_mov_b32_e32 v2, 0x7f800001
	s_xor_b64 exec, exec, s[14:15]
	s_cbranch_execnz .LBB56_1107
.LBB56_1090:
	s_or_b64 exec, exec, s[14:15]
	s_and_saveexec_b64 s[14:15], s[4:5]
	s_cbranch_execz .LBB56_1092
.LBB56_1091:
	v_lshlrev_b32_e32 v2, 24, v3
	v_and_b32_e32 v3, 0xffff, v3
	v_and_b32_e32 v6, 7, v3
	v_ffbh_u32_e32 v8, v6
	v_min_u32_e32 v8, 32, v8
	v_subrev_u32_e32 v9, 28, v8
	v_bfe_u32 v7, v3, 3, 4
	v_lshlrev_b32_e32 v3, v9, v3
	v_sub_u32_e32 v8, 29, v8
	v_and_b32_e32 v3, 7, v3
	v_cmp_eq_u32_e32 vcc, 0, v7
	v_cndmask_b32_e32 v7, v7, v8, vcc
	v_cndmask_b32_e32 v3, v6, v3, vcc
	v_mov_b32_e32 v6, 0x3b800000
	v_lshlrev_b32_e32 v3, 20, v3
	v_and_b32_e32 v2, 0x80000000, v2
	v_lshl_add_u32 v6, v7, 23, v6
	v_or3_b32 v2, v2, v6, v3
.LBB56_1092:
	s_or_b64 exec, exec, s[14:15]
.LBB56_1093:
	s_mov_b64 s[4:5], -1
.LBB56_1094:
	s_branch .LBB56_1126
.LBB56_1095:
	s_cmp_gt_i32 s22, 22
	s_cbranch_scc0 .LBB56_1105
; %bb.1096:
	s_cmp_lt_i32 s22, 24
	s_cbranch_scc1 .LBB56_1108
; %bb.1097:
	s_cmp_gt_i32 s22, 24
	s_cbranch_scc0 .LBB56_1109
; %bb.1098:
	global_load_ubyte v3, v[0:1], off
	s_movk_i32 s2, 0x7f
	s_waitcnt vmcnt(0)
	v_cmp_lt_i16_e32 vcc, s2, v3
	s_mov_b64 s[2:3], 0
	s_and_saveexec_b64 s[4:5], vcc
	s_xor_b64 s[4:5], exec, s[4:5]
	s_cbranch_execz .LBB56_1120
; %bb.1099:
	s_movk_i32 s2, 0x80
	v_cmp_eq_u16_e32 vcc, s2, v3
	s_mov_b64 s[2:3], -1
	s_and_saveexec_b64 s[14:15], vcc
; %bb.1100:
	s_xor_b64 s[2:3], exec, -1
; %bb.1101:
	s_or_b64 exec, exec, s[14:15]
	s_and_b64 s[2:3], s[2:3], exec
	s_or_saveexec_b64 s[4:5], s[4:5]
	v_mov_b32_e32 v2, 0x7f800001
	s_xor_b64 exec, exec, s[4:5]
	s_cbranch_execnz .LBB56_1121
.LBB56_1102:
	s_or_b64 exec, exec, s[4:5]
	s_and_saveexec_b64 s[4:5], s[2:3]
	s_cbranch_execz .LBB56_1104
.LBB56_1103:
	v_lshlrev_b32_e32 v2, 24, v3
	v_and_b32_e32 v3, 0xffff, v3
	v_and_b32_e32 v6, 3, v3
	v_ffbh_u32_e32 v8, v6
	v_min_u32_e32 v8, 32, v8
	v_subrev_u32_e32 v9, 29, v8
	v_bfe_u32 v7, v3, 2, 5
	v_lshlrev_b32_e32 v3, v9, v3
	v_sub_u32_e32 v8, 30, v8
	v_and_b32_e32 v3, 3, v3
	v_cmp_eq_u32_e32 vcc, 0, v7
	v_cndmask_b32_e32 v7, v7, v8, vcc
	v_cndmask_b32_e32 v3, v6, v3, vcc
	v_mov_b32_e32 v6, 0x37800000
	v_lshlrev_b32_e32 v3, 21, v3
	v_and_b32_e32 v2, 0x80000000, v2
	v_lshl_add_u32 v6, v7, 23, v6
	v_or3_b32 v2, v2, v6, v3
.LBB56_1104:
	s_or_b64 exec, exec, s[4:5]
	s_mov_b64 s[2:3], 0
	s_branch .LBB56_1110
.LBB56_1105:
                                        ; implicit-def: $vgpr2
	s_mov_b64 s[2:3], 0
	s_branch .LBB56_1116
.LBB56_1106:
	s_or_saveexec_b64 s[14:15], s[14:15]
	v_mov_b32_e32 v2, 0x7f800001
	s_xor_b64 exec, exec, s[14:15]
	s_cbranch_execz .LBB56_1090
.LBB56_1107:
	v_cmp_ne_u16_e32 vcc, 0, v3
	s_andn2_b64 s[4:5], s[4:5], exec
	s_and_b64 s[18:19], vcc, exec
	v_mov_b32_e32 v2, 0
	s_or_b64 s[4:5], s[4:5], s[18:19]
	s_or_b64 exec, exec, s[14:15]
	s_and_saveexec_b64 s[14:15], s[4:5]
	s_cbranch_execnz .LBB56_1091
	s_branch .LBB56_1092
.LBB56_1108:
	s_mov_b64 s[2:3], -1
                                        ; implicit-def: $vgpr2
	s_branch .LBB56_1113
.LBB56_1109:
	s_mov_b64 s[2:3], -1
                                        ; implicit-def: $vgpr2
.LBB56_1110:
	s_and_b64 vcc, exec, s[2:3]
	s_cbranch_vccz .LBB56_1112
; %bb.1111:
	global_load_ubyte v2, v[0:1], off
	s_mov_b32 s2, 0x7f800000
	s_waitcnt vmcnt(0)
	v_lshlrev_b32_e32 v2, 24, v2
	v_and_b32_e32 v3, 0x7f000000, v2
	v_ffbh_u32_e32 v6, v3
	v_min_u32_e32 v6, 32, v6
	v_sub_u32_e64 v6, v6, 4 clamp
	v_lshlrev_b32_e32 v8, v6, v3
	v_lshlrev_b32_e32 v6, 23, v6
	v_lshrrev_b32_e32 v8, 4, v8
	v_add_u32_e32 v7, 0x1000000, v3
	v_sub_u32_e32 v6, v8, v6
	v_ashrrev_i32_e32 v7, 8, v7
	v_add_u32_e32 v6, 0x3c000000, v6
	v_and_or_b32 v6, v7, s2, v6
	v_cmp_ne_u32_e32 vcc, 0, v3
	v_cndmask_b32_e32 v3, 0, v6, vcc
	s_brev_b32 s2, 1
	v_and_or_b32 v2, v2, s2, v3
.LBB56_1112:
	s_mov_b64 s[2:3], 0
.LBB56_1113:
	s_andn2_b64 vcc, exec, s[2:3]
	s_cbranch_vccnz .LBB56_1115
; %bb.1114:
	global_load_ubyte v2, v[0:1], off
	s_movk_i32 s2, 0x7f00
	s_brev_b32 s3, 16
	s_waitcnt vmcnt(0)
	v_lshlrev_b16_e32 v3, 8, v2
	v_lshlrev_b32_e32 v2, 25, v2
	v_lshrrev_b32_e32 v6, 4, v2
	v_and_or_b32 v7, v3, s2, 0.5
	v_or_b32_e32 v6, 0x70000000, v6
	v_add_f32_e32 v7, -0.5, v7
	v_mul_f32_e32 v6, 0x7800000, v6
	v_cmp_gt_u32_e32 vcc, s3, v2
	v_bfe_i32 v3, v3, 0, 16
	v_cndmask_b32_e32 v2, v6, v7, vcc
	s_brev_b32 s2, 1
	v_and_or_b32 v2, v3, s2, v2
.LBB56_1115:
	s_mov_b64 s[4:5], -1
	s_mov_b64 s[2:3], 0
	s_cbranch_execnz .LBB56_1126
.LBB56_1116:
	s_cmp_gt_i32 s22, 14
	s_cbranch_scc0 .LBB56_1119
; %bb.1117:
	s_cmp_eq_u32 s22, 15
	s_cbranch_scc0 .LBB56_1122
; %bb.1118:
	global_load_ushort v2, v[0:1], off
	s_mov_b64 s[0:1], 0
	s_mov_b64 s[4:5], -1
	s_waitcnt vmcnt(0)
	v_lshlrev_b32_e32 v2, 16, v2
	s_branch .LBB56_1123
.LBB56_1119:
	s_mov_b64 s[14:15], -1
                                        ; implicit-def: $vgpr2
	s_branch .LBB56_1124
.LBB56_1120:
	s_or_saveexec_b64 s[4:5], s[4:5]
	v_mov_b32_e32 v2, 0x7f800001
	s_xor_b64 exec, exec, s[4:5]
	s_cbranch_execz .LBB56_1102
.LBB56_1121:
	v_cmp_ne_u16_e32 vcc, 0, v3
	s_andn2_b64 s[2:3], s[2:3], exec
	s_and_b64 s[14:15], vcc, exec
	v_mov_b32_e32 v2, 0
	s_or_b64 s[2:3], s[2:3], s[14:15]
	s_or_b64 exec, exec, s[4:5]
	s_and_saveexec_b64 s[4:5], s[2:3]
	s_cbranch_execnz .LBB56_1103
	s_branch .LBB56_1104
.LBB56_1122:
	s_mov_b64 s[0:1], -1
                                        ; implicit-def: $vgpr2
.LBB56_1123:
	s_mov_b64 s[14:15], 0
.LBB56_1124:
	s_and_b64 vcc, exec, s[14:15]
	s_cbranch_vccz .LBB56_1126
; %bb.1125:
	s_cmp_lg_u32 s22, 11
	s_mov_b64 s[2:3], -1
	s_cselect_b64 s[0:1], -1, 0
.LBB56_1126:
	s_and_b64 vcc, exec, s[0:1]
	s_mov_b64 s[18:19], s[16:17]
	s_cbranch_vccnz .LBB56_1193
; %bb.1127:
	s_andn2_b64 vcc, exec, s[2:3]
	s_cbranch_vccnz .LBB56_1129
.LBB56_1128:
	global_load_ubyte v2, v[0:1], off
	s_mov_b64 s[4:5], -1
	s_waitcnt vmcnt(0)
	v_cmp_ne_u16_e32 vcc, 0, v2
	v_cndmask_b32_e64 v2, 0, 1.0, vcc
.LBB56_1129:
	s_branch .LBB56_1059
.LBB56_1130:
	s_cmp_lt_i32 s22, 5
	s_cbranch_scc1 .LBB56_1135
; %bb.1131:
	s_cmp_lt_i32 s22, 8
	s_cbranch_scc1 .LBB56_1136
; %bb.1132:
	;; [unrolled: 3-line block ×3, first 2 shown]
	s_cmp_gt_i32 s22, 9
	s_cbranch_scc0 .LBB56_1138
; %bb.1134:
	global_load_dwordx2 v[2:3], v[0:1], off
	s_mov_b64 s[0:1], 0
	s_waitcnt vmcnt(0)
	v_cvt_f32_f64_e32 v2, v[2:3]
	s_branch .LBB56_1139
.LBB56_1135:
                                        ; implicit-def: $vgpr2
	s_branch .LBB56_1156
.LBB56_1136:
                                        ; implicit-def: $vgpr2
	s_branch .LBB56_1145
.LBB56_1137:
	s_mov_b64 s[0:1], -1
                                        ; implicit-def: $vgpr2
	s_branch .LBB56_1142
.LBB56_1138:
	s_mov_b64 s[0:1], -1
                                        ; implicit-def: $vgpr2
.LBB56_1139:
	s_andn2_b64 vcc, exec, s[0:1]
	s_cbranch_vccnz .LBB56_1141
; %bb.1140:
	global_load_dword v2, v[0:1], off
.LBB56_1141:
	s_mov_b64 s[0:1], 0
.LBB56_1142:
	s_andn2_b64 vcc, exec, s[0:1]
	s_cbranch_vccnz .LBB56_1144
; %bb.1143:
	global_load_dword v2, v[0:1], off
	s_waitcnt vmcnt(0)
	v_cvt_f32_f16_e32 v2, v2
.LBB56_1144:
	s_cbranch_execnz .LBB56_1155
.LBB56_1145:
	s_cmp_lt_i32 s22, 6
	s_cbranch_scc1 .LBB56_1148
; %bb.1146:
	s_cmp_gt_i32 s22, 6
	s_cbranch_scc0 .LBB56_1149
; %bb.1147:
	global_load_dwordx2 v[2:3], v[0:1], off
	s_mov_b64 s[0:1], 0
	s_waitcnt vmcnt(0)
	v_cvt_f32_f64_e32 v2, v[2:3]
	s_branch .LBB56_1150
.LBB56_1148:
	s_mov_b64 s[0:1], -1
                                        ; implicit-def: $vgpr2
	s_branch .LBB56_1153
.LBB56_1149:
	s_mov_b64 s[0:1], -1
                                        ; implicit-def: $vgpr2
.LBB56_1150:
	s_andn2_b64 vcc, exec, s[0:1]
	s_cbranch_vccnz .LBB56_1152
; %bb.1151:
	global_load_dword v2, v[0:1], off
.LBB56_1152:
	s_mov_b64 s[0:1], 0
.LBB56_1153:
	s_andn2_b64 vcc, exec, s[0:1]
	s_cbranch_vccnz .LBB56_1155
; %bb.1154:
	global_load_ushort v2, v[0:1], off
	s_waitcnt vmcnt(0)
	v_cvt_f32_f16_e32 v2, v2
.LBB56_1155:
	s_cbranch_execnz .LBB56_1174
.LBB56_1156:
	s_cmp_lt_i32 s22, 2
	s_cbranch_scc1 .LBB56_1160
; %bb.1157:
	s_cmp_lt_i32 s22, 3
	s_cbranch_scc1 .LBB56_1161
; %bb.1158:
	s_cmp_gt_i32 s22, 3
	s_cbranch_scc0 .LBB56_1162
; %bb.1159:
	global_load_dwordx2 v[2:3], v[0:1], off
	s_mov_b64 s[0:1], 0
	s_waitcnt vmcnt(0)
	v_xor_b32_e32 v7, v2, v3
	v_ffbh_i32_e32 v6, v3
	v_ashrrev_i32_e32 v7, 31, v7
	v_add_u32_e32 v6, -1, v6
	v_add_u32_e32 v7, 32, v7
	v_min_u32_e32 v6, v6, v7
	v_lshlrev_b64 v[2:3], v6, v[2:3]
	v_min_u32_e32 v2, 1, v2
	v_or_b32_e32 v2, v3, v2
	v_cvt_f32_i32_e32 v2, v2
	v_sub_u32_e32 v3, 32, v6
	v_ldexp_f32 v2, v2, v3
	s_branch .LBB56_1163
.LBB56_1160:
                                        ; implicit-def: $vgpr2
	s_branch .LBB56_1169
.LBB56_1161:
	s_mov_b64 s[0:1], -1
                                        ; implicit-def: $vgpr2
	s_branch .LBB56_1166
.LBB56_1162:
	s_mov_b64 s[0:1], -1
                                        ; implicit-def: $vgpr2
.LBB56_1163:
	s_andn2_b64 vcc, exec, s[0:1]
	s_cbranch_vccnz .LBB56_1165
; %bb.1164:
	global_load_dword v2, v[0:1], off
	s_waitcnt vmcnt(0)
	v_cvt_f32_i32_e32 v2, v2
.LBB56_1165:
	s_mov_b64 s[0:1], 0
.LBB56_1166:
	s_andn2_b64 vcc, exec, s[0:1]
	s_cbranch_vccnz .LBB56_1168
; %bb.1167:
	global_load_sshort v2, v[0:1], off
	s_waitcnt vmcnt(0)
	v_cvt_f32_i32_e32 v2, v2
.LBB56_1168:
	s_cbranch_execnz .LBB56_1174
.LBB56_1169:
	s_cmp_gt_i32 s22, 0
	s_cbranch_scc0 .LBB56_1171
; %bb.1170:
	global_load_sbyte v2, v[0:1], off
	s_mov_b64 s[0:1], 0
	s_waitcnt vmcnt(0)
	v_cvt_f32_i32_e32 v2, v2
	s_branch .LBB56_1172
.LBB56_1171:
	s_mov_b64 s[0:1], -1
                                        ; implicit-def: $vgpr2
.LBB56_1172:
	s_andn2_b64 vcc, exec, s[0:1]
	s_cbranch_vccnz .LBB56_1174
; %bb.1173:
	global_load_ubyte v0, v[0:1], off
	s_waitcnt vmcnt(0)
	v_cvt_f32_ubyte0_e32 v2, v0
.LBB56_1174:
.LBB56_1175:
	s_waitcnt vmcnt(0)
	v_cmp_gt_f32_e32 vcc, 0.5, v2
	v_mov_b32_e32 v8, 0
	v_mov_b32_e32 v3, 1.0
	s_and_saveexec_b64 s[14:15], vcc
	s_cbranch_execz .LBB56_1181
; %bb.1176:
	v_mul_f32_e32 v0, 0x40490fdb, v2
	s_brev_b32 s0, 18
	v_and_b32_e32 v1, 0x7fffffff, v0
	v_cmp_nlt_f32_e64 s[0:1], |v0|, s0
                                        ; implicit-def: $vgpr3
                                        ; implicit-def: $vgpr6
	s_and_saveexec_b64 s[2:3], s[0:1]
	s_xor_b64 s[20:21], exec, s[2:3]
	s_cbranch_execz .LBB56_1178
; %bb.1177:
	v_and_b32_e32 v3, 0x7fffff, v1
	v_or_b32_e32 v3, 0x800000, v3
	s_mov_b32 s0, 0xfe5163ab
	v_mad_u64_u32 v[6:7], s[0:1], v3, s0, 0
	v_mov_b32_e32 v8, 0
	s_mov_b32 s0, 0x3c439041
	v_mad_u64_u32 v[9:10], s[0:1], v3, s0, v[7:8]
	s_mov_b32 s0, 0xdb629599
	v_not_b32_e32 v14, 63
	v_mov_b32_e32 v7, v10
	v_mad_u64_u32 v[10:11], s[0:1], v3, s0, v[7:8]
	s_mov_b32 s0, 0xf534ddc0
	v_not_b32_e32 v16, 31
	v_mov_b32_e32 v7, v11
	v_mad_u64_u32 v[11:12], s[0:1], v3, s0, v[7:8]
	v_lshrrev_b32_e32 v7, 23, v1
	v_add_u32_e32 v15, 0xffffff88, v7
	v_mov_b32_e32 v7, v12
	s_mov_b32 s0, 0xfc2757d1
	v_mad_u64_u32 v[12:13], s[0:1], v3, s0, v[7:8]
	v_cmp_lt_u32_e32 vcc, 63, v15
	v_cndmask_b32_e32 v7, 0, v14, vcc
	v_add_u32_e32 v15, v7, v15
	v_mov_b32_e32 v7, v13
	s_mov_b32 s0, 0x4e441529
	v_mad_u64_u32 v[13:14], s[0:1], v3, s0, v[7:8]
	v_cmp_lt_u32_e64 s[0:1], 31, v15
	v_cndmask_b32_e64 v7, 0, v16, s[0:1]
	v_add_u32_e32 v15, v7, v15
	v_mov_b32_e32 v7, v14
	s_mov_b32 s2, 0xa2f9836e
	v_mad_u64_u32 v[7:8], s[2:3], v3, s2, v[7:8]
	v_cmp_lt_u32_e64 s[2:3], 31, v15
	v_cndmask_b32_e64 v3, 0, v16, s[2:3]
	v_cndmask_b32_e32 v14, v13, v11, vcc
	v_cndmask_b32_e32 v7, v7, v12, vcc
	;; [unrolled: 1-line block ×3, first 2 shown]
	v_add_u32_e32 v3, v3, v15
	v_cndmask_b32_e64 v15, v7, v14, s[0:1]
	v_cndmask_b32_e64 v7, v8, v7, s[0:1]
	v_cndmask_b32_e32 v8, v12, v10, vcc
	v_cndmask_b32_e64 v12, v14, v8, s[0:1]
	v_cndmask_b32_e64 v7, v7, v15, s[2:3]
	;; [unrolled: 1-line block ×3, first 2 shown]
	v_sub_u32_e32 v14, 32, v3
	v_alignbit_b32 v15, v7, v13, v14
	v_cmp_eq_u32_e64 s[4:5], 0, v3
	v_cndmask_b32_e64 v3, v15, v7, s[4:5]
	v_cndmask_b32_e32 v7, v11, v9, vcc
	v_cndmask_b32_e64 v8, v8, v7, s[0:1]
	v_cndmask_b32_e64 v9, v12, v8, s[2:3]
	v_alignbit_b32 v11, v13, v9, v14
	v_cndmask_b32_e32 v6, v10, v6, vcc
	v_cndmask_b32_e64 v11, v11, v13, s[4:5]
	v_bfe_u32 v15, v3, 29, 1
	v_cndmask_b32_e64 v6, v7, v6, s[0:1]
	v_alignbit_b32 v12, v3, v11, 30
	v_sub_u32_e32 v16, 0, v15
	v_cndmask_b32_e64 v6, v8, v6, s[2:3]
	v_xor_b32_e32 v12, v12, v16
	v_alignbit_b32 v7, v9, v6, v14
	v_cndmask_b32_e64 v7, v7, v9, s[4:5]
	v_ffbh_u32_e32 v9, v12
	v_alignbit_b32 v8, v11, v7, 30
	v_min_u32_e32 v9, 32, v9
	v_alignbit_b32 v6, v7, v6, 30
	v_xor_b32_e32 v8, v8, v16
	v_sub_u32_e32 v10, 31, v9
	v_xor_b32_e32 v6, v6, v16
	v_alignbit_b32 v11, v12, v8, v10
	v_alignbit_b32 v6, v8, v6, v10
	;; [unrolled: 1-line block ×3, first 2 shown]
	v_ffbh_u32_e32 v8, v7
	v_min_u32_e32 v8, 32, v8
	v_lshrrev_b32_e32 v13, 29, v3
	v_not_b32_e32 v10, v8
	v_alignbit_b32 v6, v7, v6, v10
	v_lshlrev_b32_e32 v7, 31, v13
	v_or_b32_e32 v10, 0x33000000, v7
	v_add_lshl_u32 v8, v8, v9, 23
	v_lshrrev_b32_e32 v6, 9, v6
	v_sub_u32_e32 v8, v10, v8
	v_or_b32_e32 v7, 0.5, v7
	v_lshlrev_b32_e32 v9, 23, v9
	v_or_b32_e32 v6, v8, v6
	v_lshrrev_b32_e32 v8, 9, v11
	v_sub_u32_e32 v7, v7, v9
	v_or_b32_e32 v7, v8, v7
	s_mov_b32 s0, 0x3fc90fda
	v_mul_f32_e32 v8, 0x3fc90fda, v7
	v_fma_f32 v9, v7, s0, -v8
	v_fmac_f32_e32 v9, 0x33a22168, v7
	v_fmac_f32_e32 v9, 0x3fc90fda, v6
	v_lshrrev_b32_e32 v3, 30, v3
	v_add_f32_e32 v6, v8, v9
	v_add_u32_e32 v3, v15, v3
.LBB56_1178:
	s_andn2_saveexec_b64 s[0:1], s[20:21]
	s_cbranch_execz .LBB56_1180
; %bb.1179:
	s_mov_b32 s2, 0x3f22f983
	v_mul_f32_e64 v3, |v0|, s2
	v_rndne_f32_e32 v7, v3
	s_mov_b32 s2, 0xbfc90fda
	v_cvt_i32_f32_e32 v3, v7
	v_fma_f32 v6, v7, s2, |v0|
	v_fmac_f32_e32 v6, 0xb3a22168, v7
	v_fmac_f32_e32 v6, 0xa7c234c4, v7
.LBB56_1180:
	s_or_b64 exec, exec, s[0:1]
	v_mul_f32_e32 v7, v6, v6
	v_mov_b32_e32 v8, 0x3c0881c4
	v_fmac_f32_e32 v8, 0xb94c1982, v7
	v_mov_b32_e32 v9, 0xbe2aaa9d
	v_fmac_f32_e32 v9, v7, v8
	v_mul_f32_e32 v8, v7, v9
	v_fmac_f32_e32 v6, v6, v8
	v_mov_b32_e32 v8, 0xbab64f3b
	v_fmac_f32_e32 v8, 0x37d75334, v7
	v_mov_b32_e32 v9, 0x3d2aabf7
	;; [unrolled: 2-line block ×3, first 2 shown]
	v_fmac_f32_e32 v8, v7, v9
	v_fma_f32 v7, v7, v8, 1.0
	v_and_b32_e32 v8, 1, v3
	v_lshlrev_b32_e32 v3, 30, v3
	v_cmp_eq_u32_e32 vcc, 0, v8
	v_and_b32_e32 v3, 0x80000000, v3
	v_xor_b32_e32 v1, v1, v0
	v_cndmask_b32_e32 v6, v7, v6, vcc
	v_xor_b32_e32 v1, v1, v3
	s_movk_i32 s0, 0x1f8
	v_xor_b32_e32 v1, v1, v6
	v_mov_b32_e32 v3, 0x7fc00000
	v_cmp_class_f32_e64 vcc, v0, s0
	v_cndmask_b32_e32 v0, v3, v1, vcc
	v_mul_f32_e32 v0, v0, v0
	s_mov_b32 s2, 0xc11de9e7
	v_div_scale_f32 v1, s[0:1], v0, v0, s2
	v_div_scale_f32 v3, vcc, s2, v0, s2
	v_sub_f32_e32 v2, 1.0, v2
	v_rcp_f32_e32 v6, v1
	v_fma_f32 v7, -v1, v6, 1.0
	v_fmac_f32_e32 v6, v7, v6
	v_mul_f32_e32 v7, v3, v6
	v_fma_f32 v8, -v1, v7, v3
	v_fmac_f32_e32 v7, v8, v6
	v_fma_f32 v1, -v1, v7, v3
	v_div_fmas_f32 v1, v1, v6, v7
	v_mov_b32_e32 v3, -1.0
	v_div_fixup_f32 v0, v1, v0, s2
	v_add_f32_e32 v8, 0, v0
.LBB56_1181:
	s_or_b64 exec, exec, s[14:15]
	s_lshl_b32 s13, s13, 7
	v_add_u32_e32 v6, s13, v5
	v_ashrrev_i32_e32 v1, 31, v6
	v_mov_b32_e32 v5, s11
	v_add_co_u32_e32 v0, vcc, s10, v6
	s_cmp_lt_i32 s22, 11
	v_addc_co_u32_e32 v1, vcc, v5, v1, vcc
	s_cbranch_scc1 .LBB56_1188
; %bb.1182:
	s_cmp_gt_i32 s22, 25
	s_mov_b64 s[2:3], 0
	s_cbranch_scc0 .LBB56_1190
; %bb.1183:
	s_cmp_gt_i32 s22, 28
	s_cbranch_scc0 .LBB56_1191
; %bb.1184:
	s_cmp_gt_i32 s22, 43
	;; [unrolled: 3-line block ×3, first 2 shown]
	s_cbranch_scc0 .LBB56_1194
; %bb.1186:
	s_cmp_eq_u32 s22, 46
	s_mov_b64 s[14:15], 0
	s_cbranch_scc0 .LBB56_1197
; %bb.1187:
	global_load_dword v5, v[0:1], off
	s_mov_b64 s[0:1], 0
	s_mov_b64 s[4:5], -1
	s_waitcnt vmcnt(0)
	v_lshlrev_b32_e32 v5, 16, v5
	s_branch .LBB56_1198
.LBB56_1188:
	s_mov_b64 s[4:5], 0
                                        ; implicit-def: $vgpr5
	s_cbranch_execnz .LBB56_1263
.LBB56_1189:
	s_andn2_b64 vcc, exec, s[4:5]
	s_cbranch_vccnz .LBB56_2020
	s_branch .LBB56_1310
.LBB56_1190:
	s_mov_b64 s[4:5], 0
	s_mov_b64 s[0:1], 0
                                        ; implicit-def: $vgpr5
	s_cbranch_execnz .LBB56_1227
	s_branch .LBB56_1259
.LBB56_1191:
	s_mov_b64 s[14:15], -1
	s_mov_b64 s[4:5], 0
	s_mov_b64 s[0:1], 0
                                        ; implicit-def: $vgpr5
	s_branch .LBB56_1208
.LBB56_1192:
	s_mov_b64 s[14:15], -1
	s_mov_b64 s[4:5], 0
	s_mov_b64 s[0:1], 0
                                        ; implicit-def: $vgpr5
	s_branch .LBB56_1203
.LBB56_1193:
	s_or_b64 s[18:19], s[16:17], exec
	s_trap 2
	s_cbranch_execz .LBB56_1128
	s_branch .LBB56_1129
.LBB56_1194:
	s_mov_b64 s[14:15], -1
	s_mov_b64 s[4:5], 0
	s_mov_b64 s[0:1], 0
                                        ; implicit-def: $vgpr5
	s_branch .LBB56_1198
.LBB56_1195:
	s_andn2_saveexec_b64 s[24:25], s[24:25]
	s_cbranch_execz .LBB56_975
.LBB56_1196:
	s_mov_b32 s28, 0x42800000
	v_add_f32_e64 v3, |v2|, s28
	v_and_b32_e32 v3, 0xff, v3
	v_cmp_ne_u32_e32 vcc, 0, v3
	s_andn2_b64 s[22:23], s[22:23], exec
	s_and_b64 s[28:29], vcc, exec
	s_or_b64 s[22:23], s[22:23], s[28:29]
	s_or_b64 exec, exec, s[24:25]
	v_mov_b32_e32 v4, 0
	s_and_saveexec_b64 s[24:25], s[22:23]
	s_cbranch_execnz .LBB56_976
	s_branch .LBB56_977
.LBB56_1197:
	s_mov_b64 s[0:1], -1
                                        ; implicit-def: $vgpr5
	s_mov_b64 s[4:5], 0
.LBB56_1198:
	s_and_b64 vcc, exec, s[14:15]
	s_cbranch_vccz .LBB56_1202
; %bb.1199:
	s_cmp_eq_u32 s22, 44
	s_cbranch_scc0 .LBB56_1201
; %bb.1200:
	global_load_ubyte v5, v[0:1], off
	s_movk_i32 s4, 0xff
	v_mov_b32_e32 v7, 0x7f800001
	v_mov_b32_e32 v9, 0x400000
	s_mov_b64 s[0:1], 0
	s_waitcnt vmcnt(0)
	v_lshlrev_b32_e32 v10, 23, v5
	v_cmp_ne_u32_e32 vcc, s4, v5
	v_cndmask_b32_e32 v7, v7, v10, vcc
	v_cmp_ne_u32_e32 vcc, 0, v5
	v_cndmask_b32_e32 v5, v9, v7, vcc
	s_mov_b64 s[4:5], -1
	s_branch .LBB56_1202
.LBB56_1201:
	s_mov_b64 s[0:1], -1
                                        ; implicit-def: $vgpr5
.LBB56_1202:
	s_mov_b64 s[14:15], 0
.LBB56_1203:
	s_and_b64 vcc, exec, s[14:15]
	s_cbranch_vccz .LBB56_1207
; %bb.1204:
	s_cmp_eq_u32 s22, 29
	s_cbranch_scc0 .LBB56_1206
; %bb.1205:
	global_load_dwordx2 v[9:10], v[0:1], off
	s_mov_b64 s[0:1], 0
	s_mov_b64 s[4:5], -1
	s_mov_b64 s[14:15], 0
	s_waitcnt vmcnt(0)
	v_ffbh_u32_e32 v5, v10
	v_min_u32_e32 v5, 32, v5
	v_lshlrev_b64 v[9:10], v5, v[9:10]
	v_sub_u32_e32 v5, 32, v5
	v_min_u32_e32 v7, 1, v9
	v_or_b32_e32 v7, v10, v7
	v_cvt_f32_u32_e32 v7, v7
	v_ldexp_f32 v5, v7, v5
	s_branch .LBB56_1208
.LBB56_1206:
	s_mov_b64 s[0:1], -1
                                        ; implicit-def: $vgpr5
.LBB56_1207:
	s_mov_b64 s[14:15], 0
.LBB56_1208:
	s_and_b64 vcc, exec, s[14:15]
	s_cbranch_vccz .LBB56_1226
; %bb.1209:
	s_cmp_lt_i32 s22, 27
	s_cbranch_scc1 .LBB56_1212
; %bb.1210:
	s_cmp_gt_i32 s22, 27
	s_cbranch_scc0 .LBB56_1213
; %bb.1211:
	global_load_dword v5, v[0:1], off
	s_mov_b64 s[4:5], 0
	s_waitcnt vmcnt(0)
	v_cvt_f32_u32_e32 v5, v5
	s_branch .LBB56_1214
.LBB56_1212:
	s_mov_b64 s[4:5], -1
                                        ; implicit-def: $vgpr5
	s_branch .LBB56_1217
.LBB56_1213:
	s_mov_b64 s[4:5], -1
                                        ; implicit-def: $vgpr5
.LBB56_1214:
	s_andn2_b64 vcc, exec, s[4:5]
	s_cbranch_vccnz .LBB56_1216
; %bb.1215:
	global_load_ushort v5, v[0:1], off
	s_waitcnt vmcnt(0)
	v_cvt_f32_u32_e32 v5, v5
.LBB56_1216:
	s_mov_b64 s[4:5], 0
.LBB56_1217:
	s_andn2_b64 vcc, exec, s[4:5]
	s_cbranch_vccnz .LBB56_1225
; %bb.1218:
	global_load_ubyte v7, v[0:1], off
	s_movk_i32 s4, 0x7f
	s_waitcnt vmcnt(0)
	v_cmp_lt_i16_e32 vcc, s4, v7
	s_mov_b64 s[4:5], 0
	s_and_saveexec_b64 s[14:15], vcc
	s_xor_b64 s[14:15], exec, s[14:15]
	s_cbranch_execz .LBB56_1238
; %bb.1219:
	s_movk_i32 s4, 0x80
	v_cmp_eq_u16_e32 vcc, s4, v7
	s_mov_b64 s[4:5], -1
	s_and_saveexec_b64 s[20:21], vcc
; %bb.1220:
	s_xor_b64 s[4:5], exec, -1
; %bb.1221:
	s_or_b64 exec, exec, s[20:21]
	s_and_b64 s[4:5], s[4:5], exec
	s_or_saveexec_b64 s[14:15], s[14:15]
	v_mov_b32_e32 v5, 0x7f800001
	s_xor_b64 exec, exec, s[14:15]
	s_cbranch_execnz .LBB56_1239
.LBB56_1222:
	s_or_b64 exec, exec, s[14:15]
	s_and_saveexec_b64 s[14:15], s[4:5]
	s_cbranch_execz .LBB56_1224
.LBB56_1223:
	v_lshlrev_b32_e32 v5, 24, v7
	v_and_b32_e32 v7, 0xffff, v7
	v_and_b32_e32 v9, 7, v7
	v_ffbh_u32_e32 v11, v9
	v_min_u32_e32 v11, 32, v11
	v_subrev_u32_e32 v12, 28, v11
	v_bfe_u32 v10, v7, 3, 4
	v_lshlrev_b32_e32 v7, v12, v7
	v_sub_u32_e32 v11, 29, v11
	v_and_b32_e32 v7, 7, v7
	v_cmp_eq_u32_e32 vcc, 0, v10
	v_cndmask_b32_e32 v10, v10, v11, vcc
	v_cndmask_b32_e32 v7, v9, v7, vcc
	v_mov_b32_e32 v9, 0x3b800000
	v_lshlrev_b32_e32 v7, 20, v7
	v_and_b32_e32 v5, 0x80000000, v5
	v_lshl_add_u32 v9, v10, 23, v9
	v_or3_b32 v5, v5, v9, v7
.LBB56_1224:
	s_or_b64 exec, exec, s[14:15]
.LBB56_1225:
	s_mov_b64 s[4:5], -1
.LBB56_1226:
	s_branch .LBB56_1259
.LBB56_1227:
	s_cmp_gt_i32 s22, 22
	s_cbranch_scc0 .LBB56_1237
; %bb.1228:
	s_cmp_lt_i32 s22, 24
	s_cbranch_scc1 .LBB56_1240
; %bb.1229:
	s_cmp_gt_i32 s22, 24
	s_cbranch_scc0 .LBB56_1241
; %bb.1230:
	global_load_ubyte v7, v[0:1], off
	s_movk_i32 s2, 0x7f
	s_waitcnt vmcnt(0)
	v_cmp_lt_i16_e32 vcc, s2, v7
	s_mov_b64 s[2:3], 0
	s_and_saveexec_b64 s[4:5], vcc
	s_xor_b64 s[4:5], exec, s[4:5]
	s_cbranch_execz .LBB56_1253
; %bb.1231:
	s_movk_i32 s2, 0x80
	v_cmp_eq_u16_e32 vcc, s2, v7
	s_mov_b64 s[2:3], -1
	s_and_saveexec_b64 s[14:15], vcc
; %bb.1232:
	s_xor_b64 s[2:3], exec, -1
; %bb.1233:
	s_or_b64 exec, exec, s[14:15]
	s_and_b64 s[2:3], s[2:3], exec
	s_or_saveexec_b64 s[4:5], s[4:5]
	v_mov_b32_e32 v5, 0x7f800001
	s_xor_b64 exec, exec, s[4:5]
	s_cbranch_execnz .LBB56_1254
.LBB56_1234:
	s_or_b64 exec, exec, s[4:5]
	s_and_saveexec_b64 s[4:5], s[2:3]
	s_cbranch_execz .LBB56_1236
.LBB56_1235:
	v_lshlrev_b32_e32 v5, 24, v7
	v_and_b32_e32 v7, 0xffff, v7
	v_and_b32_e32 v9, 3, v7
	v_ffbh_u32_e32 v11, v9
	v_min_u32_e32 v11, 32, v11
	v_subrev_u32_e32 v12, 29, v11
	v_bfe_u32 v10, v7, 2, 5
	v_lshlrev_b32_e32 v7, v12, v7
	v_sub_u32_e32 v11, 30, v11
	v_and_b32_e32 v7, 3, v7
	v_cmp_eq_u32_e32 vcc, 0, v10
	v_cndmask_b32_e32 v10, v10, v11, vcc
	v_cndmask_b32_e32 v7, v9, v7, vcc
	v_mov_b32_e32 v9, 0x37800000
	v_lshlrev_b32_e32 v7, 21, v7
	v_and_b32_e32 v5, 0x80000000, v5
	v_lshl_add_u32 v9, v10, 23, v9
	v_or3_b32 v5, v5, v9, v7
.LBB56_1236:
	s_or_b64 exec, exec, s[4:5]
	s_mov_b64 s[2:3], 0
	s_branch .LBB56_1242
.LBB56_1237:
	s_mov_b64 s[2:3], -1
                                        ; implicit-def: $vgpr5
	s_branch .LBB56_1248
.LBB56_1238:
	s_or_saveexec_b64 s[14:15], s[14:15]
	v_mov_b32_e32 v5, 0x7f800001
	s_xor_b64 exec, exec, s[14:15]
	s_cbranch_execz .LBB56_1222
.LBB56_1239:
	v_cmp_ne_u16_e32 vcc, 0, v7
	s_andn2_b64 s[4:5], s[4:5], exec
	s_and_b64 s[20:21], vcc, exec
	v_mov_b32_e32 v5, 0
	s_or_b64 s[4:5], s[4:5], s[20:21]
	s_or_b64 exec, exec, s[14:15]
	s_and_saveexec_b64 s[14:15], s[4:5]
	s_cbranch_execnz .LBB56_1223
	s_branch .LBB56_1224
.LBB56_1240:
	s_mov_b64 s[2:3], -1
                                        ; implicit-def: $vgpr5
	s_branch .LBB56_1245
.LBB56_1241:
	s_mov_b64 s[2:3], -1
                                        ; implicit-def: $vgpr5
.LBB56_1242:
	s_and_b64 vcc, exec, s[2:3]
	s_cbranch_vccz .LBB56_1244
; %bb.1243:
	global_load_ubyte v5, v[0:1], off
	s_mov_b32 s2, 0x7f800000
	s_waitcnt vmcnt(0)
	v_lshlrev_b32_e32 v5, 24, v5
	v_and_b32_e32 v7, 0x7f000000, v5
	v_ffbh_u32_e32 v9, v7
	v_min_u32_e32 v9, 32, v9
	v_sub_u32_e64 v9, v9, 4 clamp
	v_lshlrev_b32_e32 v11, v9, v7
	v_lshlrev_b32_e32 v9, 23, v9
	v_lshrrev_b32_e32 v11, 4, v11
	v_add_u32_e32 v10, 0x1000000, v7
	v_sub_u32_e32 v9, v11, v9
	v_ashrrev_i32_e32 v10, 8, v10
	v_add_u32_e32 v9, 0x3c000000, v9
	v_and_or_b32 v9, v10, s2, v9
	v_cmp_ne_u32_e32 vcc, 0, v7
	v_cndmask_b32_e32 v7, 0, v9, vcc
	s_brev_b32 s2, 1
	v_and_or_b32 v5, v5, s2, v7
.LBB56_1244:
	s_mov_b64 s[2:3], 0
.LBB56_1245:
	s_andn2_b64 vcc, exec, s[2:3]
	s_cbranch_vccnz .LBB56_1247
; %bb.1246:
	global_load_ubyte v5, v[0:1], off
	s_movk_i32 s2, 0x7f00
	s_brev_b32 s3, 16
	s_waitcnt vmcnt(0)
	v_lshlrev_b16_e32 v7, 8, v5
	v_lshlrev_b32_e32 v5, 25, v5
	v_lshrrev_b32_e32 v9, 4, v5
	v_and_or_b32 v10, v7, s2, 0.5
	v_or_b32_e32 v9, 0x70000000, v9
	v_add_f32_e32 v10, -0.5, v10
	v_mul_f32_e32 v9, 0x7800000, v9
	v_cmp_gt_u32_e32 vcc, s3, v5
	v_bfe_i32 v7, v7, 0, 16
	v_cndmask_b32_e32 v5, v9, v10, vcc
	s_brev_b32 s2, 1
	v_and_or_b32 v5, v7, s2, v5
.LBB56_1247:
	s_mov_b64 s[2:3], 0
	s_mov_b64 s[4:5], -1
.LBB56_1248:
	s_andn2_b64 vcc, exec, s[2:3]
	s_mov_b64 s[2:3], 0
	s_cbranch_vccnz .LBB56_1259
; %bb.1249:
	s_cmp_gt_i32 s22, 14
	s_cbranch_scc0 .LBB56_1252
; %bb.1250:
	s_cmp_eq_u32 s22, 15
	s_cbranch_scc0 .LBB56_1255
; %bb.1251:
	global_load_ushort v5, v[0:1], off
	s_mov_b64 s[0:1], 0
	s_mov_b64 s[4:5], -1
	s_waitcnt vmcnt(0)
	v_lshlrev_b32_e32 v5, 16, v5
	s_branch .LBB56_1256
.LBB56_1252:
	s_mov_b64 s[14:15], -1
                                        ; implicit-def: $vgpr5
	s_branch .LBB56_1257
.LBB56_1253:
	s_or_saveexec_b64 s[4:5], s[4:5]
	v_mov_b32_e32 v5, 0x7f800001
	s_xor_b64 exec, exec, s[4:5]
	s_cbranch_execz .LBB56_1234
.LBB56_1254:
	v_cmp_ne_u16_e32 vcc, 0, v7
	s_andn2_b64 s[2:3], s[2:3], exec
	s_and_b64 s[14:15], vcc, exec
	v_mov_b32_e32 v5, 0
	s_or_b64 s[2:3], s[2:3], s[14:15]
	s_or_b64 exec, exec, s[4:5]
	s_and_saveexec_b64 s[4:5], s[2:3]
	s_cbranch_execnz .LBB56_1235
	s_branch .LBB56_1236
.LBB56_1255:
	s_mov_b64 s[0:1], -1
                                        ; implicit-def: $vgpr5
.LBB56_1256:
	s_mov_b64 s[14:15], 0
.LBB56_1257:
	s_and_b64 vcc, exec, s[14:15]
	s_cbranch_vccz .LBB56_1259
; %bb.1258:
	s_cmp_lg_u32 s22, 11
	s_mov_b64 s[2:3], -1
	s_cselect_b64 s[0:1], -1, 0
.LBB56_1259:
	s_and_b64 vcc, exec, s[0:1]
	s_cbranch_vccnz .LBB56_1328
; %bb.1260:
	s_andn2_b64 vcc, exec, s[2:3]
	s_cbranch_vccnz .LBB56_1262
.LBB56_1261:
	global_load_ubyte v5, v[0:1], off
	s_mov_b64 s[4:5], -1
	s_waitcnt vmcnt(0)
	v_cmp_ne_u16_e32 vcc, 0, v5
	v_cndmask_b32_e64 v5, 0, 1.0, vcc
.LBB56_1262:
	s_branch .LBB56_1189
.LBB56_1263:
	s_cmp_lt_i32 s22, 5
	s_cbranch_scc1 .LBB56_1268
; %bb.1264:
	s_cmp_lt_i32 s22, 8
	s_cbranch_scc1 .LBB56_1269
; %bb.1265:
	;; [unrolled: 3-line block ×3, first 2 shown]
	s_cmp_gt_i32 s22, 9
	s_cbranch_scc0 .LBB56_1271
; %bb.1267:
	global_load_dwordx2 v[9:10], v[0:1], off
	s_mov_b64 s[0:1], 0
	s_waitcnt vmcnt(0)
	v_cvt_f32_f64_e32 v5, v[9:10]
	s_branch .LBB56_1272
.LBB56_1268:
                                        ; implicit-def: $vgpr5
	s_branch .LBB56_1290
.LBB56_1269:
	s_mov_b64 s[0:1], -1
                                        ; implicit-def: $vgpr5
	s_branch .LBB56_1278
.LBB56_1270:
	s_mov_b64 s[0:1], -1
                                        ; implicit-def: $vgpr5
	s_branch .LBB56_1275
.LBB56_1271:
	s_mov_b64 s[0:1], -1
                                        ; implicit-def: $vgpr5
.LBB56_1272:
	s_andn2_b64 vcc, exec, s[0:1]
	s_cbranch_vccnz .LBB56_1274
; %bb.1273:
	global_load_dword v5, v[0:1], off
.LBB56_1274:
	s_mov_b64 s[0:1], 0
.LBB56_1275:
	s_andn2_b64 vcc, exec, s[0:1]
	s_cbranch_vccnz .LBB56_1277
; %bb.1276:
	global_load_dword v5, v[0:1], off
	s_waitcnt vmcnt(0)
	v_cvt_f32_f16_e32 v5, v5
.LBB56_1277:
	s_mov_b64 s[0:1], 0
.LBB56_1278:
	s_andn2_b64 vcc, exec, s[0:1]
	s_cbranch_vccnz .LBB56_1289
; %bb.1279:
	s_cmp_lt_i32 s22, 6
	s_cbranch_scc1 .LBB56_1282
; %bb.1280:
	s_cmp_gt_i32 s22, 6
	s_cbranch_scc0 .LBB56_1283
; %bb.1281:
	global_load_dwordx2 v[9:10], v[0:1], off
	s_mov_b64 s[0:1], 0
	s_waitcnt vmcnt(0)
	v_cvt_f32_f64_e32 v5, v[9:10]
	s_branch .LBB56_1284
.LBB56_1282:
	s_mov_b64 s[0:1], -1
                                        ; implicit-def: $vgpr5
	s_branch .LBB56_1287
.LBB56_1283:
	s_mov_b64 s[0:1], -1
                                        ; implicit-def: $vgpr5
.LBB56_1284:
	s_andn2_b64 vcc, exec, s[0:1]
	s_cbranch_vccnz .LBB56_1286
; %bb.1285:
	global_load_dword v5, v[0:1], off
.LBB56_1286:
	s_mov_b64 s[0:1], 0
.LBB56_1287:
	s_andn2_b64 vcc, exec, s[0:1]
	s_cbranch_vccnz .LBB56_1289
; %bb.1288:
	global_load_ushort v5, v[0:1], off
	s_waitcnt vmcnt(0)
	v_cvt_f32_f16_e32 v5, v5
.LBB56_1289:
	s_cbranch_execnz .LBB56_1309
.LBB56_1290:
	s_cmp_lt_i32 s22, 2
	s_cbranch_scc1 .LBB56_1294
; %bb.1291:
	s_cmp_lt_i32 s22, 3
	s_cbranch_scc1 .LBB56_1295
; %bb.1292:
	s_cmp_gt_i32 s22, 3
	s_cbranch_scc0 .LBB56_1296
; %bb.1293:
	global_load_dwordx2 v[9:10], v[0:1], off
	s_mov_b64 s[0:1], 0
	s_waitcnt vmcnt(0)
	v_xor_b32_e32 v7, v9, v10
	v_ffbh_i32_e32 v5, v10
	v_ashrrev_i32_e32 v7, 31, v7
	v_add_u32_e32 v5, -1, v5
	v_add_u32_e32 v7, 32, v7
	v_min_u32_e32 v5, v5, v7
	v_lshlrev_b64 v[9:10], v5, v[9:10]
	v_sub_u32_e32 v5, 32, v5
	v_min_u32_e32 v7, 1, v9
	v_or_b32_e32 v7, v10, v7
	v_cvt_f32_i32_e32 v7, v7
	v_ldexp_f32 v5, v7, v5
	s_branch .LBB56_1297
.LBB56_1294:
	s_mov_b64 s[0:1], -1
                                        ; implicit-def: $vgpr5
	s_branch .LBB56_1303
.LBB56_1295:
	s_mov_b64 s[0:1], -1
                                        ; implicit-def: $vgpr5
	s_branch .LBB56_1300
.LBB56_1296:
	s_mov_b64 s[0:1], -1
                                        ; implicit-def: $vgpr5
.LBB56_1297:
	s_andn2_b64 vcc, exec, s[0:1]
	s_cbranch_vccnz .LBB56_1299
; %bb.1298:
	global_load_dword v5, v[0:1], off
	s_waitcnt vmcnt(0)
	v_cvt_f32_i32_e32 v5, v5
.LBB56_1299:
	s_mov_b64 s[0:1], 0
.LBB56_1300:
	s_andn2_b64 vcc, exec, s[0:1]
	s_cbranch_vccnz .LBB56_1302
; %bb.1301:
	global_load_sshort v5, v[0:1], off
	s_waitcnt vmcnt(0)
	v_cvt_f32_i32_e32 v5, v5
.LBB56_1302:
	s_mov_b64 s[0:1], 0
.LBB56_1303:
	s_andn2_b64 vcc, exec, s[0:1]
	s_cbranch_vccnz .LBB56_1309
; %bb.1304:
	s_cmp_gt_i32 s22, 0
	s_cbranch_scc0 .LBB56_1306
; %bb.1305:
	global_load_sbyte v5, v[0:1], off
	s_mov_b64 s[0:1], 0
	s_waitcnt vmcnt(0)
	v_cvt_f32_i32_e32 v5, v5
	s_branch .LBB56_1307
.LBB56_1306:
	s_mov_b64 s[0:1], -1
                                        ; implicit-def: $vgpr5
.LBB56_1307:
	s_andn2_b64 vcc, exec, s[0:1]
	s_cbranch_vccnz .LBB56_1309
; %bb.1308:
	global_load_ubyte v0, v[0:1], off
	s_waitcnt vmcnt(0)
	v_cvt_f32_ubyte0_e32 v5, v0
.LBB56_1309:
.LBB56_1310:
	s_waitcnt vmcnt(0)
	v_cmp_gt_f32_e32 vcc, 0.5, v5
	v_mov_b32_e32 v10, 0
	v_mov_b32_e32 v9, 1.0
	s_and_saveexec_b64 s[14:15], vcc
	s_cbranch_execz .LBB56_1316
; %bb.1311:
	v_mul_f32_e32 v0, 0x40490fdb, v5
	s_brev_b32 s0, 18
	v_and_b32_e32 v1, 0x7fffffff, v0
	v_cmp_nlt_f32_e64 s[0:1], |v0|, s0
                                        ; implicit-def: $vgpr7
                                        ; implicit-def: $vgpr9
	s_and_saveexec_b64 s[2:3], s[0:1]
	s_xor_b64 s[20:21], exec, s[2:3]
	s_cbranch_execz .LBB56_1313
; %bb.1312:
	v_and_b32_e32 v7, 0x7fffff, v1
	v_or_b32_e32 v7, 0x800000, v7
	s_mov_b32 s0, 0xfe5163ab
	v_mad_u64_u32 v[9:10], s[0:1], v7, s0, 0
	v_mov_b32_e32 v11, 0
	s_mov_b32 s0, 0x3c439041
	v_mad_u64_u32 v[12:13], s[0:1], v7, s0, v[10:11]
	s_mov_b32 s0, 0xdb629599
	v_not_b32_e32 v17, 63
	v_mov_b32_e32 v10, v13
	v_mad_u64_u32 v[13:14], s[0:1], v7, s0, v[10:11]
	s_mov_b32 s0, 0xf534ddc0
	v_not_b32_e32 v19, 31
	v_mov_b32_e32 v10, v14
	v_mad_u64_u32 v[14:15], s[0:1], v7, s0, v[10:11]
	v_lshrrev_b32_e32 v10, 23, v1
	v_add_u32_e32 v18, 0xffffff88, v10
	v_mov_b32_e32 v10, v15
	s_mov_b32 s0, 0xfc2757d1
	v_mad_u64_u32 v[15:16], s[0:1], v7, s0, v[10:11]
	v_cmp_lt_u32_e32 vcc, 63, v18
	v_cndmask_b32_e32 v10, 0, v17, vcc
	v_add_u32_e32 v18, v10, v18
	v_mov_b32_e32 v10, v16
	s_mov_b32 s0, 0x4e441529
	v_mad_u64_u32 v[16:17], s[0:1], v7, s0, v[10:11]
	v_cmp_lt_u32_e64 s[0:1], 31, v18
	v_cndmask_b32_e64 v10, 0, v19, s[0:1]
	v_add_u32_e32 v18, v10, v18
	v_mov_b32_e32 v10, v17
	s_mov_b32 s2, 0xa2f9836e
	v_mad_u64_u32 v[10:11], s[2:3], v7, s2, v[10:11]
	v_cmp_lt_u32_e64 s[2:3], 31, v18
	v_cndmask_b32_e64 v7, 0, v19, s[2:3]
	v_cndmask_b32_e32 v17, v16, v14, vcc
	v_cndmask_b32_e32 v10, v10, v15, vcc
	;; [unrolled: 1-line block ×3, first 2 shown]
	v_add_u32_e32 v7, v7, v18
	v_cndmask_b32_e64 v18, v10, v17, s[0:1]
	v_cndmask_b32_e64 v10, v11, v10, s[0:1]
	v_cndmask_b32_e32 v11, v15, v13, vcc
	v_cndmask_b32_e64 v15, v17, v11, s[0:1]
	v_cndmask_b32_e64 v10, v10, v18, s[2:3]
	;; [unrolled: 1-line block ×3, first 2 shown]
	v_sub_u32_e32 v17, 32, v7
	v_alignbit_b32 v18, v10, v16, v17
	v_cmp_eq_u32_e64 s[4:5], 0, v7
	v_cndmask_b32_e64 v7, v18, v10, s[4:5]
	v_cndmask_b32_e32 v10, v14, v12, vcc
	v_cndmask_b32_e64 v11, v11, v10, s[0:1]
	v_cndmask_b32_e64 v12, v15, v11, s[2:3]
	v_alignbit_b32 v14, v16, v12, v17
	v_cndmask_b32_e32 v9, v13, v9, vcc
	v_cndmask_b32_e64 v14, v14, v16, s[4:5]
	v_bfe_u32 v18, v7, 29, 1
	v_cndmask_b32_e64 v9, v10, v9, s[0:1]
	v_alignbit_b32 v15, v7, v14, 30
	v_sub_u32_e32 v19, 0, v18
	v_cndmask_b32_e64 v9, v11, v9, s[2:3]
	v_xor_b32_e32 v15, v15, v19
	v_alignbit_b32 v10, v12, v9, v17
	v_cndmask_b32_e64 v10, v10, v12, s[4:5]
	v_ffbh_u32_e32 v12, v15
	v_alignbit_b32 v11, v14, v10, 30
	v_min_u32_e32 v12, 32, v12
	v_alignbit_b32 v9, v10, v9, 30
	v_xor_b32_e32 v11, v11, v19
	v_sub_u32_e32 v13, 31, v12
	v_xor_b32_e32 v9, v9, v19
	v_alignbit_b32 v14, v15, v11, v13
	v_alignbit_b32 v9, v11, v9, v13
	;; [unrolled: 1-line block ×3, first 2 shown]
	v_ffbh_u32_e32 v11, v10
	v_min_u32_e32 v11, 32, v11
	v_lshrrev_b32_e32 v16, 29, v7
	v_not_b32_e32 v13, v11
	v_alignbit_b32 v9, v10, v9, v13
	v_lshlrev_b32_e32 v10, 31, v16
	v_or_b32_e32 v13, 0x33000000, v10
	v_add_lshl_u32 v11, v11, v12, 23
	v_lshrrev_b32_e32 v9, 9, v9
	v_sub_u32_e32 v11, v13, v11
	v_or_b32_e32 v10, 0.5, v10
	v_lshlrev_b32_e32 v12, 23, v12
	v_or_b32_e32 v9, v11, v9
	v_lshrrev_b32_e32 v11, 9, v14
	v_sub_u32_e32 v10, v10, v12
	v_or_b32_e32 v10, v11, v10
	s_mov_b32 s0, 0x3fc90fda
	v_mul_f32_e32 v11, 0x3fc90fda, v10
	v_fma_f32 v12, v10, s0, -v11
	v_fmac_f32_e32 v12, 0x33a22168, v10
	v_fmac_f32_e32 v12, 0x3fc90fda, v9
	v_lshrrev_b32_e32 v7, 30, v7
	v_add_f32_e32 v9, v11, v12
	v_add_u32_e32 v7, v18, v7
.LBB56_1313:
	s_andn2_saveexec_b64 s[0:1], s[20:21]
	s_cbranch_execz .LBB56_1315
; %bb.1314:
	s_mov_b32 s2, 0x3f22f983
	v_mul_f32_e64 v7, |v0|, s2
	v_rndne_f32_e32 v10, v7
	s_mov_b32 s2, 0xbfc90fda
	v_cvt_i32_f32_e32 v7, v10
	v_fma_f32 v9, v10, s2, |v0|
	v_fmac_f32_e32 v9, 0xb3a22168, v10
	v_fmac_f32_e32 v9, 0xa7c234c4, v10
.LBB56_1315:
	s_or_b64 exec, exec, s[0:1]
	v_mul_f32_e32 v10, v9, v9
	v_mov_b32_e32 v11, 0x3c0881c4
	v_fmac_f32_e32 v11, 0xb94c1982, v10
	v_mov_b32_e32 v12, 0xbe2aaa9d
	v_fmac_f32_e32 v12, v10, v11
	v_mul_f32_e32 v11, v10, v12
	v_fmac_f32_e32 v9, v9, v11
	v_mov_b32_e32 v11, 0xbab64f3b
	v_fmac_f32_e32 v11, 0x37d75334, v10
	v_mov_b32_e32 v12, 0x3d2aabf7
	;; [unrolled: 2-line block ×3, first 2 shown]
	v_fmac_f32_e32 v11, v10, v12
	v_fma_f32 v10, v10, v11, 1.0
	v_and_b32_e32 v11, 1, v7
	v_lshlrev_b32_e32 v7, 30, v7
	v_cmp_eq_u32_e32 vcc, 0, v11
	v_and_b32_e32 v7, 0x80000000, v7
	v_xor_b32_e32 v1, v1, v0
	v_cndmask_b32_e32 v9, v10, v9, vcc
	v_xor_b32_e32 v1, v1, v7
	s_movk_i32 s0, 0x1f8
	v_xor_b32_e32 v1, v1, v9
	v_mov_b32_e32 v7, 0x7fc00000
	v_cmp_class_f32_e64 vcc, v0, s0
	v_cndmask_b32_e32 v0, v7, v1, vcc
	v_mul_f32_e32 v0, v0, v0
	s_mov_b32 s2, 0xc11de9e7
	v_div_scale_f32 v1, s[0:1], v0, v0, s2
	v_div_scale_f32 v7, vcc, s2, v0, s2
	v_sub_f32_e32 v5, 1.0, v5
	v_rcp_f32_e32 v9, v1
	v_fma_f32 v10, -v1, v9, 1.0
	v_fmac_f32_e32 v9, v10, v9
	v_mul_f32_e32 v10, v7, v9
	v_fma_f32 v11, -v1, v10, v7
	v_fmac_f32_e32 v10, v11, v9
	v_fma_f32 v1, -v1, v10, v7
	v_div_fmas_f32 v1, v1, v9, v10
	v_mov_b32_e32 v9, -1.0
	v_div_fixup_f32 v0, v1, v0, s2
	v_add_f32_e32 v10, 0, v0
.LBB56_1316:
	s_or_b64 exec, exec, s[14:15]
	v_add_u32_e32 v7, s13, v6
	v_ashrrev_i32_e32 v1, 31, v7
	v_mov_b32_e32 v6, s11
	v_add_co_u32_e32 v0, vcc, s10, v7
	s_cmp_lt_i32 s22, 11
	v_addc_co_u32_e32 v1, vcc, v6, v1, vcc
	s_cbranch_scc1 .LBB56_1323
; %bb.1317:
	s_cmp_gt_i32 s22, 25
	s_mov_b64 s[2:3], 0
	s_cbranch_scc0 .LBB56_1325
; %bb.1318:
	s_cmp_gt_i32 s22, 28
	s_cbranch_scc0 .LBB56_1326
; %bb.1319:
	s_cmp_gt_i32 s22, 43
	;; [unrolled: 3-line block ×3, first 2 shown]
	s_cbranch_scc0 .LBB56_1329
; %bb.1321:
	s_cmp_eq_u32 s22, 46
	s_mov_b64 s[14:15], 0
	s_cbranch_scc0 .LBB56_1330
; %bb.1322:
	global_load_dword v6, v[0:1], off
	s_mov_b64 s[0:1], 0
	s_mov_b64 s[4:5], -1
	s_waitcnt vmcnt(0)
	v_lshlrev_b32_e32 v6, 16, v6
	s_branch .LBB56_1331
.LBB56_1323:
	s_mov_b64 s[4:5], 0
                                        ; implicit-def: $vgpr6
	s_cbranch_execnz .LBB56_1397
.LBB56_1324:
	s_andn2_b64 vcc, exec, s[4:5]
	s_cbranch_vccnz .LBB56_2020
	s_branch .LBB56_1445
.LBB56_1325:
	s_mov_b64 s[14:15], -1
	s_mov_b64 s[4:5], 0
	s_mov_b64 s[0:1], 0
                                        ; implicit-def: $vgpr6
	s_branch .LBB56_1360
.LBB56_1326:
	s_mov_b64 s[14:15], -1
	s_mov_b64 s[4:5], 0
	s_mov_b64 s[0:1], 0
                                        ; implicit-def: $vgpr6
	s_branch .LBB56_1341
.LBB56_1327:
	s_mov_b64 s[14:15], -1
	s_mov_b64 s[4:5], 0
	s_mov_b64 s[0:1], 0
                                        ; implicit-def: $vgpr6
	s_branch .LBB56_1336
.LBB56_1328:
	s_trap 2
	s_or_b64 s[18:19], s[18:19], exec
	s_cbranch_execz .LBB56_1261
	s_branch .LBB56_1262
.LBB56_1329:
	s_mov_b64 s[14:15], -1
	s_mov_b64 s[4:5], 0
	s_mov_b64 s[0:1], 0
                                        ; implicit-def: $vgpr6
	s_branch .LBB56_1331
.LBB56_1330:
	s_mov_b64 s[0:1], -1
                                        ; implicit-def: $vgpr6
	s_mov_b64 s[4:5], 0
.LBB56_1331:
	s_and_b64 vcc, exec, s[14:15]
	s_cbranch_vccz .LBB56_1335
; %bb.1332:
	s_cmp_eq_u32 s22, 44
	s_cbranch_scc0 .LBB56_1334
; %bb.1333:
	global_load_ubyte v6, v[0:1], off
	s_movk_i32 s4, 0xff
	v_mov_b32_e32 v11, 0x7f800001
	v_mov_b32_e32 v12, 0x400000
	s_mov_b64 s[0:1], 0
	s_waitcnt vmcnt(0)
	v_lshlrev_b32_e32 v13, 23, v6
	v_cmp_ne_u32_e32 vcc, s4, v6
	v_cndmask_b32_e32 v11, v11, v13, vcc
	v_cmp_ne_u32_e32 vcc, 0, v6
	v_cndmask_b32_e32 v6, v12, v11, vcc
	s_mov_b64 s[4:5], -1
	s_branch .LBB56_1335
.LBB56_1334:
	s_mov_b64 s[0:1], -1
                                        ; implicit-def: $vgpr6
.LBB56_1335:
	s_mov_b64 s[14:15], 0
.LBB56_1336:
	s_and_b64 vcc, exec, s[14:15]
	s_cbranch_vccz .LBB56_1340
; %bb.1337:
	s_cmp_eq_u32 s22, 29
	s_cbranch_scc0 .LBB56_1339
; %bb.1338:
	global_load_dwordx2 v[11:12], v[0:1], off
	s_mov_b64 s[0:1], 0
	s_mov_b64 s[4:5], -1
	s_mov_b64 s[14:15], 0
	s_waitcnt vmcnt(0)
	v_ffbh_u32_e32 v6, v12
	v_min_u32_e32 v6, 32, v6
	v_lshlrev_b64 v[11:12], v6, v[11:12]
	v_sub_u32_e32 v6, 32, v6
	v_min_u32_e32 v11, 1, v11
	v_or_b32_e32 v11, v12, v11
	v_cvt_f32_u32_e32 v11, v11
	v_ldexp_f32 v6, v11, v6
	s_branch .LBB56_1341
.LBB56_1339:
	s_mov_b64 s[0:1], -1
                                        ; implicit-def: $vgpr6
.LBB56_1340:
	s_mov_b64 s[14:15], 0
.LBB56_1341:
	s_and_b64 vcc, exec, s[14:15]
	s_cbranch_vccz .LBB56_1359
; %bb.1342:
	s_cmp_lt_i32 s22, 27
	s_cbranch_scc1 .LBB56_1345
; %bb.1343:
	s_cmp_gt_i32 s22, 27
	s_cbranch_scc0 .LBB56_1346
; %bb.1344:
	global_load_dword v6, v[0:1], off
	s_mov_b64 s[4:5], 0
	s_waitcnt vmcnt(0)
	v_cvt_f32_u32_e32 v6, v6
	s_branch .LBB56_1347
.LBB56_1345:
	s_mov_b64 s[4:5], -1
                                        ; implicit-def: $vgpr6
	s_branch .LBB56_1350
.LBB56_1346:
	s_mov_b64 s[4:5], -1
                                        ; implicit-def: $vgpr6
.LBB56_1347:
	s_andn2_b64 vcc, exec, s[4:5]
	s_cbranch_vccnz .LBB56_1349
; %bb.1348:
	global_load_ushort v6, v[0:1], off
	s_waitcnt vmcnt(0)
	v_cvt_f32_u32_e32 v6, v6
.LBB56_1349:
	s_mov_b64 s[4:5], 0
.LBB56_1350:
	s_andn2_b64 vcc, exec, s[4:5]
	s_cbranch_vccnz .LBB56_1358
; %bb.1351:
	global_load_ubyte v11, v[0:1], off
	s_movk_i32 s4, 0x7f
	s_waitcnt vmcnt(0)
	v_cmp_lt_i16_e32 vcc, s4, v11
	s_mov_b64 s[4:5], 0
	s_and_saveexec_b64 s[14:15], vcc
	s_xor_b64 s[14:15], exec, s[14:15]
	s_cbranch_execz .LBB56_1372
; %bb.1352:
	s_movk_i32 s4, 0x80
	v_cmp_eq_u16_e32 vcc, s4, v11
	s_mov_b64 s[4:5], -1
	s_and_saveexec_b64 s[20:21], vcc
; %bb.1353:
	s_xor_b64 s[4:5], exec, -1
; %bb.1354:
	s_or_b64 exec, exec, s[20:21]
	s_and_b64 s[4:5], s[4:5], exec
	s_or_saveexec_b64 s[14:15], s[14:15]
	v_mov_b32_e32 v6, 0x7f800001
	s_xor_b64 exec, exec, s[14:15]
	s_cbranch_execnz .LBB56_1373
.LBB56_1355:
	s_or_b64 exec, exec, s[14:15]
	s_and_saveexec_b64 s[14:15], s[4:5]
	s_cbranch_execz .LBB56_1357
.LBB56_1356:
	v_lshlrev_b32_e32 v6, 24, v11
	v_and_b32_e32 v11, 0xffff, v11
	v_and_b32_e32 v12, 7, v11
	v_ffbh_u32_e32 v14, v12
	v_min_u32_e32 v14, 32, v14
	v_subrev_u32_e32 v15, 28, v14
	v_bfe_u32 v13, v11, 3, 4
	v_lshlrev_b32_e32 v11, v15, v11
	v_sub_u32_e32 v14, 29, v14
	v_and_b32_e32 v11, 7, v11
	v_cmp_eq_u32_e32 vcc, 0, v13
	v_cndmask_b32_e32 v13, v13, v14, vcc
	v_cndmask_b32_e32 v11, v12, v11, vcc
	v_mov_b32_e32 v12, 0x3b800000
	v_lshlrev_b32_e32 v11, 20, v11
	v_and_b32_e32 v6, 0x80000000, v6
	v_lshl_add_u32 v12, v13, 23, v12
	v_or3_b32 v6, v6, v12, v11
.LBB56_1357:
	s_or_b64 exec, exec, s[14:15]
.LBB56_1358:
	s_mov_b64 s[4:5], -1
.LBB56_1359:
	s_mov_b64 s[14:15], 0
.LBB56_1360:
	s_and_b64 vcc, exec, s[14:15]
	s_cbranch_vccz .LBB56_1393
; %bb.1361:
	s_cmp_gt_i32 s22, 22
	s_cbranch_scc0 .LBB56_1371
; %bb.1362:
	s_cmp_lt_i32 s22, 24
	s_cbranch_scc1 .LBB56_1374
; %bb.1363:
	s_cmp_gt_i32 s22, 24
	s_cbranch_scc0 .LBB56_1375
; %bb.1364:
	global_load_ubyte v11, v[0:1], off
	s_movk_i32 s2, 0x7f
	s_waitcnt vmcnt(0)
	v_cmp_lt_i16_e32 vcc, s2, v11
	s_mov_b64 s[2:3], 0
	s_and_saveexec_b64 s[4:5], vcc
	s_xor_b64 s[4:5], exec, s[4:5]
	s_cbranch_execz .LBB56_1387
; %bb.1365:
	s_movk_i32 s2, 0x80
	v_cmp_eq_u16_e32 vcc, s2, v11
	s_mov_b64 s[2:3], -1
	s_and_saveexec_b64 s[14:15], vcc
; %bb.1366:
	s_xor_b64 s[2:3], exec, -1
; %bb.1367:
	s_or_b64 exec, exec, s[14:15]
	s_and_b64 s[2:3], s[2:3], exec
	s_or_saveexec_b64 s[4:5], s[4:5]
	v_mov_b32_e32 v6, 0x7f800001
	s_xor_b64 exec, exec, s[4:5]
	s_cbranch_execnz .LBB56_1388
.LBB56_1368:
	s_or_b64 exec, exec, s[4:5]
	s_and_saveexec_b64 s[4:5], s[2:3]
	s_cbranch_execz .LBB56_1370
.LBB56_1369:
	v_lshlrev_b32_e32 v6, 24, v11
	v_and_b32_e32 v11, 0xffff, v11
	v_and_b32_e32 v12, 3, v11
	v_ffbh_u32_e32 v14, v12
	v_min_u32_e32 v14, 32, v14
	v_subrev_u32_e32 v15, 29, v14
	v_bfe_u32 v13, v11, 2, 5
	v_lshlrev_b32_e32 v11, v15, v11
	v_sub_u32_e32 v14, 30, v14
	v_and_b32_e32 v11, 3, v11
	v_cmp_eq_u32_e32 vcc, 0, v13
	v_cndmask_b32_e32 v13, v13, v14, vcc
	v_cndmask_b32_e32 v11, v12, v11, vcc
	v_mov_b32_e32 v12, 0x37800000
	v_lshlrev_b32_e32 v11, 21, v11
	v_and_b32_e32 v6, 0x80000000, v6
	v_lshl_add_u32 v12, v13, 23, v12
	v_or3_b32 v6, v6, v12, v11
.LBB56_1370:
	s_or_b64 exec, exec, s[4:5]
	s_mov_b64 s[2:3], 0
	s_branch .LBB56_1376
.LBB56_1371:
	s_mov_b64 s[2:3], -1
                                        ; implicit-def: $vgpr6
	s_branch .LBB56_1382
.LBB56_1372:
	s_or_saveexec_b64 s[14:15], s[14:15]
	v_mov_b32_e32 v6, 0x7f800001
	s_xor_b64 exec, exec, s[14:15]
	s_cbranch_execz .LBB56_1355
.LBB56_1373:
	v_cmp_ne_u16_e32 vcc, 0, v11
	s_andn2_b64 s[4:5], s[4:5], exec
	s_and_b64 s[20:21], vcc, exec
	v_mov_b32_e32 v6, 0
	s_or_b64 s[4:5], s[4:5], s[20:21]
	s_or_b64 exec, exec, s[14:15]
	s_and_saveexec_b64 s[14:15], s[4:5]
	s_cbranch_execnz .LBB56_1356
	s_branch .LBB56_1357
.LBB56_1374:
	s_mov_b64 s[2:3], -1
                                        ; implicit-def: $vgpr6
	s_branch .LBB56_1379
.LBB56_1375:
	s_mov_b64 s[2:3], -1
                                        ; implicit-def: $vgpr6
.LBB56_1376:
	s_and_b64 vcc, exec, s[2:3]
	s_cbranch_vccz .LBB56_1378
; %bb.1377:
	global_load_ubyte v6, v[0:1], off
	s_mov_b32 s2, 0x7f800000
	s_waitcnt vmcnt(0)
	v_lshlrev_b32_e32 v6, 24, v6
	v_and_b32_e32 v11, 0x7f000000, v6
	v_ffbh_u32_e32 v12, v11
	v_min_u32_e32 v12, 32, v12
	v_sub_u32_e64 v12, v12, 4 clamp
	v_lshlrev_b32_e32 v14, v12, v11
	v_lshlrev_b32_e32 v12, 23, v12
	v_lshrrev_b32_e32 v14, 4, v14
	v_add_u32_e32 v13, 0x1000000, v11
	v_sub_u32_e32 v12, v14, v12
	v_ashrrev_i32_e32 v13, 8, v13
	v_add_u32_e32 v12, 0x3c000000, v12
	v_and_or_b32 v12, v13, s2, v12
	v_cmp_ne_u32_e32 vcc, 0, v11
	v_cndmask_b32_e32 v11, 0, v12, vcc
	s_brev_b32 s2, 1
	v_and_or_b32 v6, v6, s2, v11
.LBB56_1378:
	s_mov_b64 s[2:3], 0
.LBB56_1379:
	s_andn2_b64 vcc, exec, s[2:3]
	s_cbranch_vccnz .LBB56_1381
; %bb.1380:
	global_load_ubyte v6, v[0:1], off
	s_movk_i32 s2, 0x7f00
	s_brev_b32 s3, 16
	s_waitcnt vmcnt(0)
	v_lshlrev_b16_e32 v11, 8, v6
	v_lshlrev_b32_e32 v6, 25, v6
	v_lshrrev_b32_e32 v12, 4, v6
	v_and_or_b32 v13, v11, s2, 0.5
	v_or_b32_e32 v12, 0x70000000, v12
	v_add_f32_e32 v13, -0.5, v13
	v_mul_f32_e32 v12, 0x7800000, v12
	v_cmp_gt_u32_e32 vcc, s3, v6
	v_bfe_i32 v11, v11, 0, 16
	v_cndmask_b32_e32 v6, v12, v13, vcc
	s_brev_b32 s2, 1
	v_and_or_b32 v6, v11, s2, v6
.LBB56_1381:
	s_mov_b64 s[2:3], 0
	s_mov_b64 s[4:5], -1
.LBB56_1382:
	s_andn2_b64 vcc, exec, s[2:3]
	s_mov_b64 s[2:3], 0
	s_cbranch_vccnz .LBB56_1393
; %bb.1383:
	s_cmp_gt_i32 s22, 14
	s_cbranch_scc0 .LBB56_1386
; %bb.1384:
	s_cmp_eq_u32 s22, 15
	s_cbranch_scc0 .LBB56_1389
; %bb.1385:
	global_load_ushort v6, v[0:1], off
	s_mov_b64 s[0:1], 0
	s_mov_b64 s[4:5], -1
	s_waitcnt vmcnt(0)
	v_lshlrev_b32_e32 v6, 16, v6
	s_branch .LBB56_1390
.LBB56_1386:
	s_mov_b64 s[14:15], -1
                                        ; implicit-def: $vgpr6
	s_branch .LBB56_1391
.LBB56_1387:
	s_or_saveexec_b64 s[4:5], s[4:5]
	v_mov_b32_e32 v6, 0x7f800001
	s_xor_b64 exec, exec, s[4:5]
	s_cbranch_execz .LBB56_1368
.LBB56_1388:
	v_cmp_ne_u16_e32 vcc, 0, v11
	s_andn2_b64 s[2:3], s[2:3], exec
	s_and_b64 s[14:15], vcc, exec
	v_mov_b32_e32 v6, 0
	s_or_b64 s[2:3], s[2:3], s[14:15]
	s_or_b64 exec, exec, s[4:5]
	s_and_saveexec_b64 s[4:5], s[2:3]
	s_cbranch_execnz .LBB56_1369
	s_branch .LBB56_1370
.LBB56_1389:
	s_mov_b64 s[0:1], -1
                                        ; implicit-def: $vgpr6
.LBB56_1390:
	s_mov_b64 s[14:15], 0
.LBB56_1391:
	s_and_b64 vcc, exec, s[14:15]
	s_cbranch_vccz .LBB56_1393
; %bb.1392:
	s_cmp_lg_u32 s22, 11
	s_mov_b64 s[2:3], -1
	s_cselect_b64 s[0:1], -1, 0
.LBB56_1393:
	s_and_b64 vcc, exec, s[0:1]
	s_cbranch_vccnz .LBB56_1462
; %bb.1394:
	s_andn2_b64 vcc, exec, s[2:3]
	s_cbranch_vccnz .LBB56_1396
.LBB56_1395:
	global_load_ubyte v6, v[0:1], off
	s_mov_b64 s[4:5], -1
	s_waitcnt vmcnt(0)
	v_cmp_ne_u16_e32 vcc, 0, v6
	v_cndmask_b32_e64 v6, 0, 1.0, vcc
.LBB56_1396:
	s_branch .LBB56_1324
.LBB56_1397:
	s_cmp_lt_i32 s22, 5
	s_cbranch_scc1 .LBB56_1402
; %bb.1398:
	s_cmp_lt_i32 s22, 8
	s_cbranch_scc1 .LBB56_1403
; %bb.1399:
	;; [unrolled: 3-line block ×3, first 2 shown]
	s_cmp_gt_i32 s22, 9
	s_cbranch_scc0 .LBB56_1405
; %bb.1401:
	global_load_dwordx2 v[11:12], v[0:1], off
	s_mov_b64 s[0:1], 0
	s_waitcnt vmcnt(0)
	v_cvt_f32_f64_e32 v6, v[11:12]
	s_branch .LBB56_1406
.LBB56_1402:
	s_mov_b64 s[0:1], -1
                                        ; implicit-def: $vgpr6
	s_branch .LBB56_1424
.LBB56_1403:
	s_mov_b64 s[0:1], -1
                                        ; implicit-def: $vgpr6
	s_branch .LBB56_1412
.LBB56_1404:
	s_mov_b64 s[0:1], -1
                                        ; implicit-def: $vgpr6
	s_branch .LBB56_1409
.LBB56_1405:
	s_mov_b64 s[0:1], -1
                                        ; implicit-def: $vgpr6
.LBB56_1406:
	s_andn2_b64 vcc, exec, s[0:1]
	s_cbranch_vccnz .LBB56_1408
; %bb.1407:
	global_load_dword v6, v[0:1], off
.LBB56_1408:
	s_mov_b64 s[0:1], 0
.LBB56_1409:
	s_andn2_b64 vcc, exec, s[0:1]
	s_cbranch_vccnz .LBB56_1411
; %bb.1410:
	global_load_dword v6, v[0:1], off
	s_waitcnt vmcnt(0)
	v_cvt_f32_f16_e32 v6, v6
.LBB56_1411:
	s_mov_b64 s[0:1], 0
.LBB56_1412:
	s_andn2_b64 vcc, exec, s[0:1]
	s_cbranch_vccnz .LBB56_1423
; %bb.1413:
	s_cmp_lt_i32 s22, 6
	s_cbranch_scc1 .LBB56_1416
; %bb.1414:
	s_cmp_gt_i32 s22, 6
	s_cbranch_scc0 .LBB56_1417
; %bb.1415:
	global_load_dwordx2 v[11:12], v[0:1], off
	s_mov_b64 s[0:1], 0
	s_waitcnt vmcnt(0)
	v_cvt_f32_f64_e32 v6, v[11:12]
	s_branch .LBB56_1418
.LBB56_1416:
	s_mov_b64 s[0:1], -1
                                        ; implicit-def: $vgpr6
	s_branch .LBB56_1421
.LBB56_1417:
	s_mov_b64 s[0:1], -1
                                        ; implicit-def: $vgpr6
.LBB56_1418:
	s_andn2_b64 vcc, exec, s[0:1]
	s_cbranch_vccnz .LBB56_1420
; %bb.1419:
	global_load_dword v6, v[0:1], off
.LBB56_1420:
	s_mov_b64 s[0:1], 0
.LBB56_1421:
	s_andn2_b64 vcc, exec, s[0:1]
	s_cbranch_vccnz .LBB56_1423
; %bb.1422:
	global_load_ushort v6, v[0:1], off
	s_waitcnt vmcnt(0)
	v_cvt_f32_f16_e32 v6, v6
.LBB56_1423:
	s_mov_b64 s[0:1], 0
.LBB56_1424:
	s_andn2_b64 vcc, exec, s[0:1]
	s_cbranch_vccnz .LBB56_1444
; %bb.1425:
	s_cmp_lt_i32 s22, 2
	s_cbranch_scc1 .LBB56_1429
; %bb.1426:
	s_cmp_lt_i32 s22, 3
	s_cbranch_scc1 .LBB56_1430
; %bb.1427:
	s_cmp_gt_i32 s22, 3
	s_cbranch_scc0 .LBB56_1431
; %bb.1428:
	global_load_dwordx2 v[11:12], v[0:1], off
	s_mov_b64 s[0:1], 0
	s_waitcnt vmcnt(0)
	v_xor_b32_e32 v13, v11, v12
	v_ffbh_i32_e32 v6, v12
	v_ashrrev_i32_e32 v13, 31, v13
	v_add_u32_e32 v6, -1, v6
	v_add_u32_e32 v13, 32, v13
	v_min_u32_e32 v6, v6, v13
	v_lshlrev_b64 v[11:12], v6, v[11:12]
	v_sub_u32_e32 v6, 32, v6
	v_min_u32_e32 v11, 1, v11
	v_or_b32_e32 v11, v12, v11
	v_cvt_f32_i32_e32 v11, v11
	v_ldexp_f32 v6, v11, v6
	s_branch .LBB56_1432
.LBB56_1429:
	s_mov_b64 s[0:1], -1
                                        ; implicit-def: $vgpr6
	s_branch .LBB56_1438
.LBB56_1430:
	s_mov_b64 s[0:1], -1
                                        ; implicit-def: $vgpr6
	s_branch .LBB56_1435
.LBB56_1431:
	s_mov_b64 s[0:1], -1
                                        ; implicit-def: $vgpr6
.LBB56_1432:
	s_andn2_b64 vcc, exec, s[0:1]
	s_cbranch_vccnz .LBB56_1434
; %bb.1433:
	global_load_dword v6, v[0:1], off
	s_waitcnt vmcnt(0)
	v_cvt_f32_i32_e32 v6, v6
.LBB56_1434:
	s_mov_b64 s[0:1], 0
.LBB56_1435:
	s_andn2_b64 vcc, exec, s[0:1]
	s_cbranch_vccnz .LBB56_1437
; %bb.1436:
	global_load_sshort v6, v[0:1], off
	s_waitcnt vmcnt(0)
	v_cvt_f32_i32_e32 v6, v6
.LBB56_1437:
	s_mov_b64 s[0:1], 0
.LBB56_1438:
	s_andn2_b64 vcc, exec, s[0:1]
	s_cbranch_vccnz .LBB56_1444
; %bb.1439:
	s_cmp_gt_i32 s22, 0
	s_cbranch_scc0 .LBB56_1441
; %bb.1440:
	global_load_sbyte v6, v[0:1], off
	s_mov_b64 s[0:1], 0
	s_waitcnt vmcnt(0)
	v_cvt_f32_i32_e32 v6, v6
	s_branch .LBB56_1442
.LBB56_1441:
	s_mov_b64 s[0:1], -1
                                        ; implicit-def: $vgpr6
.LBB56_1442:
	s_andn2_b64 vcc, exec, s[0:1]
	s_cbranch_vccnz .LBB56_1444
; %bb.1443:
	global_load_ubyte v0, v[0:1], off
	s_waitcnt vmcnt(0)
	v_cvt_f32_ubyte0_e32 v6, v0
.LBB56_1444:
.LBB56_1445:
	s_waitcnt vmcnt(0)
	v_cmp_gt_f32_e32 vcc, 0.5, v6
	v_mov_b32_e32 v12, 0
	v_mov_b32_e32 v11, 1.0
	s_and_saveexec_b64 s[14:15], vcc
	s_cbranch_execz .LBB56_1451
; %bb.1446:
	v_mul_f32_e32 v0, 0x40490fdb, v6
	s_brev_b32 s0, 18
	v_and_b32_e32 v1, 0x7fffffff, v0
	v_cmp_nlt_f32_e64 s[0:1], |v0|, s0
                                        ; implicit-def: $vgpr11
                                        ; implicit-def: $vgpr12
	s_and_saveexec_b64 s[2:3], s[0:1]
	s_xor_b64 s[20:21], exec, s[2:3]
	s_cbranch_execz .LBB56_1448
; %bb.1447:
	v_and_b32_e32 v11, 0x7fffff, v1
	v_or_b32_e32 v20, 0x800000, v11
	s_mov_b32 s0, 0xfe5163ab
	v_mad_u64_u32 v[11:12], s[0:1], v20, s0, 0
	v_mov_b32_e32 v13, 0
	s_mov_b32 s0, 0x3c439041
	v_mad_u64_u32 v[14:15], s[0:1], v20, s0, v[12:13]
	s_mov_b32 s0, 0xdb629599
	v_not_b32_e32 v19, 63
	v_mov_b32_e32 v12, v15
	v_mad_u64_u32 v[15:16], s[0:1], v20, s0, v[12:13]
	s_mov_b32 s0, 0xf534ddc0
	v_not_b32_e32 v22, 31
	v_mov_b32_e32 v12, v16
	v_mad_u64_u32 v[16:17], s[0:1], v20, s0, v[12:13]
	v_lshrrev_b32_e32 v12, 23, v1
	v_add_u32_e32 v21, 0xffffff88, v12
	v_mov_b32_e32 v12, v17
	s_mov_b32 s0, 0xfc2757d1
	v_mad_u64_u32 v[17:18], s[0:1], v20, s0, v[12:13]
	v_cmp_lt_u32_e32 vcc, 63, v21
	v_cndmask_b32_e32 v12, 0, v19, vcc
	v_add_u32_e32 v21, v12, v21
	v_mov_b32_e32 v12, v18
	s_mov_b32 s0, 0x4e441529
	v_mad_u64_u32 v[18:19], s[0:1], v20, s0, v[12:13]
	v_cmp_lt_u32_e64 s[0:1], 31, v21
	v_cndmask_b32_e64 v12, 0, v22, s[0:1]
	v_add_u32_e32 v21, v12, v21
	v_mov_b32_e32 v12, v19
	s_mov_b32 s2, 0xa2f9836e
	v_mad_u64_u32 v[12:13], s[2:3], v20, s2, v[12:13]
	v_cmp_lt_u32_e64 s[2:3], 31, v21
	v_cndmask_b32_e64 v19, 0, v22, s[2:3]
	v_cndmask_b32_e32 v20, v18, v16, vcc
	v_cndmask_b32_e32 v12, v12, v17, vcc
	;; [unrolled: 1-line block ×3, first 2 shown]
	v_add_u32_e32 v19, v19, v21
	v_cndmask_b32_e64 v21, v12, v20, s[0:1]
	v_cndmask_b32_e64 v12, v13, v12, s[0:1]
	v_cndmask_b32_e32 v13, v17, v15, vcc
	v_cndmask_b32_e64 v17, v20, v13, s[0:1]
	v_cndmask_b32_e64 v12, v12, v21, s[2:3]
	;; [unrolled: 1-line block ×3, first 2 shown]
	v_sub_u32_e32 v20, 32, v19
	v_alignbit_b32 v21, v12, v18, v20
	v_cmp_eq_u32_e64 s[4:5], 0, v19
	v_cndmask_b32_e64 v19, v21, v12, s[4:5]
	v_cndmask_b32_e32 v12, v16, v14, vcc
	v_cndmask_b32_e64 v13, v13, v12, s[0:1]
	v_cndmask_b32_e64 v14, v17, v13, s[2:3]
	v_alignbit_b32 v16, v18, v14, v20
	v_cndmask_b32_e32 v11, v15, v11, vcc
	v_cndmask_b32_e64 v16, v16, v18, s[4:5]
	v_bfe_u32 v21, v19, 29, 1
	v_cndmask_b32_e64 v11, v12, v11, s[0:1]
	v_alignbit_b32 v17, v19, v16, 30
	v_sub_u32_e32 v22, 0, v21
	v_cndmask_b32_e64 v11, v13, v11, s[2:3]
	v_xor_b32_e32 v17, v17, v22
	v_alignbit_b32 v12, v14, v11, v20
	v_cndmask_b32_e64 v12, v12, v14, s[4:5]
	v_ffbh_u32_e32 v14, v17
	v_alignbit_b32 v13, v16, v12, 30
	v_min_u32_e32 v14, 32, v14
	v_alignbit_b32 v11, v12, v11, 30
	v_xor_b32_e32 v13, v13, v22
	v_sub_u32_e32 v15, 31, v14
	v_xor_b32_e32 v11, v11, v22
	v_alignbit_b32 v16, v17, v13, v15
	v_alignbit_b32 v11, v13, v11, v15
	;; [unrolled: 1-line block ×3, first 2 shown]
	v_ffbh_u32_e32 v13, v12
	v_min_u32_e32 v13, 32, v13
	v_lshrrev_b32_e32 v18, 29, v19
	v_not_b32_e32 v15, v13
	v_alignbit_b32 v11, v12, v11, v15
	v_lshlrev_b32_e32 v12, 31, v18
	v_or_b32_e32 v15, 0x33000000, v12
	v_add_lshl_u32 v13, v13, v14, 23
	v_lshrrev_b32_e32 v11, 9, v11
	v_sub_u32_e32 v13, v15, v13
	v_or_b32_e32 v12, 0.5, v12
	v_lshlrev_b32_e32 v14, 23, v14
	v_or_b32_e32 v11, v13, v11
	v_lshrrev_b32_e32 v13, 9, v16
	v_sub_u32_e32 v12, v12, v14
	v_or_b32_e32 v12, v13, v12
	s_mov_b32 s0, 0x3fc90fda
	v_mul_f32_e32 v13, 0x3fc90fda, v12
	v_fma_f32 v14, v12, s0, -v13
	v_fmac_f32_e32 v14, 0x33a22168, v12
	v_fmac_f32_e32 v14, 0x3fc90fda, v11
	v_lshrrev_b32_e32 v11, 30, v19
	v_add_f32_e32 v12, v13, v14
	v_add_u32_e32 v11, v21, v11
.LBB56_1448:
	s_andn2_saveexec_b64 s[0:1], s[20:21]
	s_cbranch_execz .LBB56_1450
; %bb.1449:
	s_mov_b32 s2, 0x3f22f983
	v_mul_f32_e64 v11, |v0|, s2
	v_rndne_f32_e32 v13, v11
	s_mov_b32 s2, 0xbfc90fda
	v_cvt_i32_f32_e32 v11, v13
	v_fma_f32 v12, v13, s2, |v0|
	v_fmac_f32_e32 v12, 0xb3a22168, v13
	v_fmac_f32_e32 v12, 0xa7c234c4, v13
.LBB56_1450:
	s_or_b64 exec, exec, s[0:1]
	v_mul_f32_e32 v13, v12, v12
	v_mov_b32_e32 v14, 0x3c0881c4
	v_fmac_f32_e32 v14, 0xb94c1982, v13
	v_mov_b32_e32 v15, 0xbe2aaa9d
	v_fmac_f32_e32 v15, v13, v14
	v_mul_f32_e32 v14, v13, v15
	v_fmac_f32_e32 v12, v12, v14
	v_mov_b32_e32 v14, 0xbab64f3b
	v_fmac_f32_e32 v14, 0x37d75334, v13
	v_mov_b32_e32 v15, 0x3d2aabf7
	;; [unrolled: 2-line block ×3, first 2 shown]
	v_fmac_f32_e32 v14, v13, v15
	v_fma_f32 v13, v13, v14, 1.0
	v_and_b32_e32 v14, 1, v11
	v_lshlrev_b32_e32 v11, 30, v11
	v_cmp_eq_u32_e32 vcc, 0, v14
	v_and_b32_e32 v11, 0x80000000, v11
	v_xor_b32_e32 v1, v1, v0
	v_cndmask_b32_e32 v12, v13, v12, vcc
	v_xor_b32_e32 v1, v1, v11
	s_movk_i32 s0, 0x1f8
	v_xor_b32_e32 v1, v1, v12
	v_mov_b32_e32 v11, 0x7fc00000
	v_cmp_class_f32_e64 vcc, v0, s0
	v_cndmask_b32_e32 v0, v11, v1, vcc
	v_mul_f32_e32 v0, v0, v0
	s_mov_b32 s2, 0xc11de9e7
	v_div_scale_f32 v1, s[0:1], v0, v0, s2
	v_div_scale_f32 v11, vcc, s2, v0, s2
	v_sub_f32_e32 v6, 1.0, v6
	v_rcp_f32_e32 v12, v1
	v_fma_f32 v13, -v1, v12, 1.0
	v_fmac_f32_e32 v12, v13, v12
	v_mul_f32_e32 v13, v11, v12
	v_fma_f32 v14, -v1, v13, v11
	v_fmac_f32_e32 v13, v14, v12
	v_fma_f32 v1, -v1, v13, v11
	v_div_fmas_f32 v1, v1, v12, v13
	v_mov_b32_e32 v11, -1.0
	v_div_fixup_f32 v0, v1, v0, s2
	v_add_f32_e32 v12, 0, v0
.LBB56_1451:
	s_or_b64 exec, exec, s[14:15]
	v_add_u32_e32 v0, s13, v7
	v_ashrrev_i32_e32 v1, 31, v0
	v_mov_b32_e32 v7, s11
	v_add_co_u32_e32 v0, vcc, s10, v0
	s_cmp_lt_i32 s22, 11
	v_addc_co_u32_e32 v1, vcc, v7, v1, vcc
	s_cbranch_scc1 .LBB56_1458
; %bb.1452:
	s_cmp_gt_i32 s22, 25
	s_mov_b64 s[2:3], 0
	s_cbranch_scc0 .LBB56_1459
; %bb.1453:
	s_cmp_gt_i32 s22, 28
	s_cbranch_scc0 .LBB56_1460
; %bb.1454:
	s_cmp_gt_i32 s22, 43
	;; [unrolled: 3-line block ×3, first 2 shown]
	s_cbranch_scc0 .LBB56_1463
; %bb.1456:
	s_cmp_eq_u32 s22, 46
	s_mov_b64 s[10:11], 0
	s_cbranch_scc0 .LBB56_1464
; %bb.1457:
	global_load_dword v7, v[0:1], off
	s_mov_b64 s[0:1], 0
	s_mov_b64 s[4:5], -1
	s_waitcnt vmcnt(0)
	v_lshlrev_b32_e32 v7, 16, v7
	s_branch .LBB56_1465
.LBB56_1458:
	s_mov_b64 s[0:1], -1
	s_mov_b64 s[4:5], 0
                                        ; implicit-def: $vgpr7
	s_branch .LBB56_1531
.LBB56_1459:
	s_mov_b64 s[10:11], -1
	s_mov_b64 s[4:5], 0
	s_mov_b64 s[0:1], 0
                                        ; implicit-def: $vgpr7
	s_branch .LBB56_1494
.LBB56_1460:
	s_mov_b64 s[10:11], -1
	s_mov_b64 s[4:5], 0
	s_mov_b64 s[0:1], 0
                                        ; implicit-def: $vgpr7
	s_branch .LBB56_1475
.LBB56_1461:
	s_mov_b64 s[10:11], -1
	s_mov_b64 s[4:5], 0
	s_mov_b64 s[0:1], 0
                                        ; implicit-def: $vgpr7
	s_branch .LBB56_1470
.LBB56_1462:
	s_trap 2
	s_or_b64 s[18:19], s[18:19], exec
	s_cbranch_execz .LBB56_1395
	s_branch .LBB56_1396
.LBB56_1463:
	s_mov_b64 s[10:11], -1
	s_mov_b64 s[4:5], 0
	s_mov_b64 s[0:1], 0
                                        ; implicit-def: $vgpr7
	s_branch .LBB56_1465
.LBB56_1464:
	s_mov_b64 s[0:1], -1
                                        ; implicit-def: $vgpr7
	s_mov_b64 s[4:5], 0
.LBB56_1465:
	s_and_b64 vcc, exec, s[10:11]
	s_cbranch_vccz .LBB56_1469
; %bb.1466:
	s_cmp_eq_u32 s22, 44
	s_cbranch_scc0 .LBB56_1468
; %bb.1467:
	global_load_ubyte v7, v[0:1], off
	s_movk_i32 s4, 0xff
	v_mov_b32_e32 v13, 0x7f800001
	v_mov_b32_e32 v14, 0x400000
	s_mov_b64 s[0:1], 0
	s_waitcnt vmcnt(0)
	v_lshlrev_b32_e32 v15, 23, v7
	v_cmp_ne_u32_e32 vcc, s4, v7
	v_cndmask_b32_e32 v13, v13, v15, vcc
	v_cmp_ne_u32_e32 vcc, 0, v7
	v_cndmask_b32_e32 v7, v14, v13, vcc
	s_mov_b64 s[4:5], -1
	s_branch .LBB56_1469
.LBB56_1468:
	s_mov_b64 s[0:1], -1
                                        ; implicit-def: $vgpr7
.LBB56_1469:
	s_mov_b64 s[10:11], 0
.LBB56_1470:
	s_and_b64 vcc, exec, s[10:11]
	s_cbranch_vccz .LBB56_1474
; %bb.1471:
	s_cmp_eq_u32 s22, 29
	s_cbranch_scc0 .LBB56_1473
; %bb.1472:
	global_load_dwordx2 v[13:14], v[0:1], off
	s_mov_b64 s[0:1], 0
	s_mov_b64 s[4:5], -1
	s_mov_b64 s[10:11], 0
	s_waitcnt vmcnt(0)
	v_ffbh_u32_e32 v7, v14
	v_min_u32_e32 v7, 32, v7
	v_lshlrev_b64 v[13:14], v7, v[13:14]
	v_sub_u32_e32 v7, 32, v7
	v_min_u32_e32 v13, 1, v13
	v_or_b32_e32 v13, v14, v13
	v_cvt_f32_u32_e32 v13, v13
	v_ldexp_f32 v7, v13, v7
	s_branch .LBB56_1475
.LBB56_1473:
	s_mov_b64 s[0:1], -1
                                        ; implicit-def: $vgpr7
.LBB56_1474:
	s_mov_b64 s[10:11], 0
.LBB56_1475:
	s_and_b64 vcc, exec, s[10:11]
	s_cbranch_vccz .LBB56_1493
; %bb.1476:
	s_cmp_lt_i32 s22, 27
	s_cbranch_scc1 .LBB56_1479
; %bb.1477:
	s_cmp_gt_i32 s22, 27
	s_cbranch_scc0 .LBB56_1480
; %bb.1478:
	global_load_dword v7, v[0:1], off
	s_mov_b64 s[4:5], 0
	s_waitcnt vmcnt(0)
	v_cvt_f32_u32_e32 v7, v7
	s_branch .LBB56_1481
.LBB56_1479:
	s_mov_b64 s[4:5], -1
                                        ; implicit-def: $vgpr7
	s_branch .LBB56_1484
.LBB56_1480:
	s_mov_b64 s[4:5], -1
                                        ; implicit-def: $vgpr7
.LBB56_1481:
	s_andn2_b64 vcc, exec, s[4:5]
	s_cbranch_vccnz .LBB56_1483
; %bb.1482:
	global_load_ushort v7, v[0:1], off
	s_waitcnt vmcnt(0)
	v_cvt_f32_u32_e32 v7, v7
.LBB56_1483:
	s_mov_b64 s[4:5], 0
.LBB56_1484:
	s_andn2_b64 vcc, exec, s[4:5]
	s_cbranch_vccnz .LBB56_1492
; %bb.1485:
	global_load_ubyte v13, v[0:1], off
	s_movk_i32 s4, 0x7f
	s_waitcnt vmcnt(0)
	v_cmp_lt_i16_e32 vcc, s4, v13
	s_mov_b64 s[4:5], 0
	s_and_saveexec_b64 s[10:11], vcc
	s_xor_b64 s[10:11], exec, s[10:11]
	s_cbranch_execz .LBB56_1506
; %bb.1486:
	s_movk_i32 s4, 0x80
	v_cmp_eq_u16_e32 vcc, s4, v13
	s_mov_b64 s[4:5], -1
	s_and_saveexec_b64 s[14:15], vcc
; %bb.1487:
	s_xor_b64 s[4:5], exec, -1
; %bb.1488:
	s_or_b64 exec, exec, s[14:15]
	s_and_b64 s[4:5], s[4:5], exec
	s_or_saveexec_b64 s[10:11], s[10:11]
	v_mov_b32_e32 v7, 0x7f800001
	s_xor_b64 exec, exec, s[10:11]
	s_cbranch_execnz .LBB56_1507
.LBB56_1489:
	s_or_b64 exec, exec, s[10:11]
	s_and_saveexec_b64 s[10:11], s[4:5]
	s_cbranch_execz .LBB56_1491
.LBB56_1490:
	v_lshlrev_b32_e32 v7, 24, v13
	v_and_b32_e32 v13, 0xffff, v13
	v_and_b32_e32 v14, 7, v13
	v_ffbh_u32_e32 v16, v14
	v_min_u32_e32 v16, 32, v16
	v_subrev_u32_e32 v17, 28, v16
	v_bfe_u32 v15, v13, 3, 4
	v_lshlrev_b32_e32 v13, v17, v13
	v_sub_u32_e32 v16, 29, v16
	v_and_b32_e32 v13, 7, v13
	v_cmp_eq_u32_e32 vcc, 0, v15
	v_cndmask_b32_e32 v15, v15, v16, vcc
	v_cndmask_b32_e32 v13, v14, v13, vcc
	v_mov_b32_e32 v14, 0x3b800000
	v_lshlrev_b32_e32 v13, 20, v13
	v_and_b32_e32 v7, 0x80000000, v7
	v_lshl_add_u32 v14, v15, 23, v14
	v_or3_b32 v7, v7, v14, v13
.LBB56_1491:
	s_or_b64 exec, exec, s[10:11]
.LBB56_1492:
	s_mov_b64 s[4:5], -1
.LBB56_1493:
	s_mov_b64 s[10:11], 0
.LBB56_1494:
	s_and_b64 vcc, exec, s[10:11]
	s_cbranch_vccz .LBB56_1527
; %bb.1495:
	s_cmp_gt_i32 s22, 22
	s_cbranch_scc0 .LBB56_1505
; %bb.1496:
	s_cmp_lt_i32 s22, 24
	s_cbranch_scc1 .LBB56_1508
; %bb.1497:
	s_cmp_gt_i32 s22, 24
	s_cbranch_scc0 .LBB56_1509
; %bb.1498:
	global_load_ubyte v13, v[0:1], off
	s_movk_i32 s2, 0x7f
	s_waitcnt vmcnt(0)
	v_cmp_lt_i16_e32 vcc, s2, v13
	s_mov_b64 s[2:3], 0
	s_and_saveexec_b64 s[4:5], vcc
	s_xor_b64 s[4:5], exec, s[4:5]
	s_cbranch_execz .LBB56_1521
; %bb.1499:
	s_movk_i32 s2, 0x80
	v_cmp_eq_u16_e32 vcc, s2, v13
	s_mov_b64 s[2:3], -1
	s_and_saveexec_b64 s[10:11], vcc
; %bb.1500:
	s_xor_b64 s[2:3], exec, -1
; %bb.1501:
	s_or_b64 exec, exec, s[10:11]
	s_and_b64 s[2:3], s[2:3], exec
	s_or_saveexec_b64 s[4:5], s[4:5]
	v_mov_b32_e32 v7, 0x7f800001
	s_xor_b64 exec, exec, s[4:5]
	s_cbranch_execnz .LBB56_1522
.LBB56_1502:
	s_or_b64 exec, exec, s[4:5]
	s_and_saveexec_b64 s[4:5], s[2:3]
	s_cbranch_execz .LBB56_1504
.LBB56_1503:
	v_lshlrev_b32_e32 v7, 24, v13
	v_and_b32_e32 v13, 0xffff, v13
	v_and_b32_e32 v14, 3, v13
	v_ffbh_u32_e32 v16, v14
	v_min_u32_e32 v16, 32, v16
	v_subrev_u32_e32 v17, 29, v16
	v_bfe_u32 v15, v13, 2, 5
	v_lshlrev_b32_e32 v13, v17, v13
	v_sub_u32_e32 v16, 30, v16
	v_and_b32_e32 v13, 3, v13
	v_cmp_eq_u32_e32 vcc, 0, v15
	v_cndmask_b32_e32 v15, v15, v16, vcc
	v_cndmask_b32_e32 v13, v14, v13, vcc
	v_mov_b32_e32 v14, 0x37800000
	v_lshlrev_b32_e32 v13, 21, v13
	v_and_b32_e32 v7, 0x80000000, v7
	v_lshl_add_u32 v14, v15, 23, v14
	v_or3_b32 v7, v7, v14, v13
.LBB56_1504:
	s_or_b64 exec, exec, s[4:5]
	s_mov_b64 s[2:3], 0
	s_branch .LBB56_1510
.LBB56_1505:
	s_mov_b64 s[2:3], -1
                                        ; implicit-def: $vgpr7
	s_branch .LBB56_1516
.LBB56_1506:
	s_or_saveexec_b64 s[10:11], s[10:11]
	v_mov_b32_e32 v7, 0x7f800001
	s_xor_b64 exec, exec, s[10:11]
	s_cbranch_execz .LBB56_1489
.LBB56_1507:
	v_cmp_ne_u16_e32 vcc, 0, v13
	s_andn2_b64 s[4:5], s[4:5], exec
	s_and_b64 s[14:15], vcc, exec
	v_mov_b32_e32 v7, 0
	s_or_b64 s[4:5], s[4:5], s[14:15]
	s_or_b64 exec, exec, s[10:11]
	s_and_saveexec_b64 s[10:11], s[4:5]
	s_cbranch_execnz .LBB56_1490
	s_branch .LBB56_1491
.LBB56_1508:
	s_mov_b64 s[2:3], -1
                                        ; implicit-def: $vgpr7
	s_branch .LBB56_1513
.LBB56_1509:
	s_mov_b64 s[2:3], -1
                                        ; implicit-def: $vgpr7
.LBB56_1510:
	s_and_b64 vcc, exec, s[2:3]
	s_cbranch_vccz .LBB56_1512
; %bb.1511:
	global_load_ubyte v7, v[0:1], off
	s_mov_b32 s2, 0x7f800000
	s_waitcnt vmcnt(0)
	v_lshlrev_b32_e32 v7, 24, v7
	v_and_b32_e32 v13, 0x7f000000, v7
	v_ffbh_u32_e32 v14, v13
	v_min_u32_e32 v14, 32, v14
	v_sub_u32_e64 v14, v14, 4 clamp
	v_lshlrev_b32_e32 v16, v14, v13
	v_lshlrev_b32_e32 v14, 23, v14
	v_lshrrev_b32_e32 v16, 4, v16
	v_add_u32_e32 v15, 0x1000000, v13
	v_sub_u32_e32 v14, v16, v14
	v_ashrrev_i32_e32 v15, 8, v15
	v_add_u32_e32 v14, 0x3c000000, v14
	v_and_or_b32 v14, v15, s2, v14
	v_cmp_ne_u32_e32 vcc, 0, v13
	v_cndmask_b32_e32 v13, 0, v14, vcc
	s_brev_b32 s2, 1
	v_and_or_b32 v7, v7, s2, v13
.LBB56_1512:
	s_mov_b64 s[2:3], 0
.LBB56_1513:
	s_andn2_b64 vcc, exec, s[2:3]
	s_cbranch_vccnz .LBB56_1515
; %bb.1514:
	global_load_ubyte v7, v[0:1], off
	s_movk_i32 s2, 0x7f00
	s_brev_b32 s3, 16
	s_waitcnt vmcnt(0)
	v_lshlrev_b16_e32 v13, 8, v7
	v_lshlrev_b32_e32 v7, 25, v7
	v_lshrrev_b32_e32 v14, 4, v7
	v_and_or_b32 v15, v13, s2, 0.5
	v_or_b32_e32 v14, 0x70000000, v14
	v_add_f32_e32 v15, -0.5, v15
	v_mul_f32_e32 v14, 0x7800000, v14
	v_cmp_gt_u32_e32 vcc, s3, v7
	v_bfe_i32 v13, v13, 0, 16
	v_cndmask_b32_e32 v7, v14, v15, vcc
	s_brev_b32 s2, 1
	v_and_or_b32 v7, v13, s2, v7
.LBB56_1515:
	s_mov_b64 s[2:3], 0
	s_mov_b64 s[4:5], -1
.LBB56_1516:
	s_andn2_b64 vcc, exec, s[2:3]
	s_mov_b64 s[2:3], 0
	s_cbranch_vccnz .LBB56_1527
; %bb.1517:
	s_cmp_gt_i32 s22, 14
	s_cbranch_scc0 .LBB56_1520
; %bb.1518:
	s_cmp_eq_u32 s22, 15
	s_cbranch_scc0 .LBB56_1523
; %bb.1519:
	global_load_ushort v7, v[0:1], off
	s_mov_b64 s[0:1], 0
	s_mov_b64 s[4:5], -1
	s_waitcnt vmcnt(0)
	v_lshlrev_b32_e32 v7, 16, v7
	s_branch .LBB56_1524
.LBB56_1520:
	s_mov_b64 s[10:11], -1
                                        ; implicit-def: $vgpr7
	s_branch .LBB56_1525
.LBB56_1521:
	s_or_saveexec_b64 s[4:5], s[4:5]
	v_mov_b32_e32 v7, 0x7f800001
	s_xor_b64 exec, exec, s[4:5]
	s_cbranch_execz .LBB56_1502
.LBB56_1522:
	v_cmp_ne_u16_e32 vcc, 0, v13
	s_andn2_b64 s[2:3], s[2:3], exec
	s_and_b64 s[10:11], vcc, exec
	v_mov_b32_e32 v7, 0
	s_or_b64 s[2:3], s[2:3], s[10:11]
	s_or_b64 exec, exec, s[4:5]
	s_and_saveexec_b64 s[4:5], s[2:3]
	s_cbranch_execnz .LBB56_1503
	s_branch .LBB56_1504
.LBB56_1523:
	s_mov_b64 s[0:1], -1
                                        ; implicit-def: $vgpr7
.LBB56_1524:
	s_mov_b64 s[10:11], 0
.LBB56_1525:
	s_and_b64 vcc, exec, s[10:11]
	s_cbranch_vccz .LBB56_1527
; %bb.1526:
	s_cmp_lg_u32 s22, 11
	s_mov_b64 s[2:3], -1
	s_cselect_b64 s[0:1], -1, 0
.LBB56_1527:
	s_and_b64 vcc, exec, s[0:1]
	s_cbranch_vccnz .LBB56_2066
; %bb.1528:
	s_andn2_b64 vcc, exec, s[2:3]
	s_cbranch_vccnz .LBB56_1530
.LBB56_1529:
	global_load_ubyte v7, v[0:1], off
	s_mov_b64 s[4:5], -1
	s_waitcnt vmcnt(0)
	v_cmp_ne_u16_e32 vcc, 0, v7
	v_cndmask_b32_e64 v7, 0, 1.0, vcc
.LBB56_1530:
	s_mov_b64 s[0:1], 0
.LBB56_1531:
	s_and_b64 vcc, exec, s[0:1]
	s_cbranch_vccz .LBB56_1580
; %bb.1532:
	s_cmp_lt_i32 s22, 5
	s_cbranch_scc1 .LBB56_1537
; %bb.1533:
	s_cmp_lt_i32 s22, 8
	s_cbranch_scc1 .LBB56_1538
	;; [unrolled: 3-line block ×3, first 2 shown]
; %bb.1535:
	s_cmp_gt_i32 s22, 9
	s_cbranch_scc0 .LBB56_1540
; %bb.1536:
	global_load_dwordx2 v[13:14], v[0:1], off
	s_mov_b64 s[0:1], 0
	s_waitcnt vmcnt(0)
	v_cvt_f32_f64_e32 v7, v[13:14]
	s_branch .LBB56_1541
.LBB56_1537:
	s_mov_b64 s[0:1], -1
                                        ; implicit-def: $vgpr7
	s_branch .LBB56_1559
.LBB56_1538:
	s_mov_b64 s[0:1], -1
                                        ; implicit-def: $vgpr7
	s_branch .LBB56_1547
.LBB56_1539:
	s_mov_b64 s[0:1], -1
                                        ; implicit-def: $vgpr7
	s_branch .LBB56_1544
.LBB56_1540:
	s_mov_b64 s[0:1], -1
                                        ; implicit-def: $vgpr7
.LBB56_1541:
	s_andn2_b64 vcc, exec, s[0:1]
	s_cbranch_vccnz .LBB56_1543
; %bb.1542:
	global_load_dword v7, v[0:1], off
.LBB56_1543:
	s_mov_b64 s[0:1], 0
.LBB56_1544:
	s_andn2_b64 vcc, exec, s[0:1]
	s_cbranch_vccnz .LBB56_1546
; %bb.1545:
	global_load_dword v7, v[0:1], off
	s_waitcnt vmcnt(0)
	v_cvt_f32_f16_e32 v7, v7
.LBB56_1546:
	s_mov_b64 s[0:1], 0
.LBB56_1547:
	s_andn2_b64 vcc, exec, s[0:1]
	s_cbranch_vccnz .LBB56_1558
; %bb.1548:
	s_cmp_lt_i32 s22, 6
	s_cbranch_scc1 .LBB56_1551
; %bb.1549:
	s_cmp_gt_i32 s22, 6
	s_cbranch_scc0 .LBB56_1552
; %bb.1550:
	global_load_dwordx2 v[13:14], v[0:1], off
	s_mov_b64 s[0:1], 0
	s_waitcnt vmcnt(0)
	v_cvt_f32_f64_e32 v7, v[13:14]
	s_branch .LBB56_1553
.LBB56_1551:
	s_mov_b64 s[0:1], -1
                                        ; implicit-def: $vgpr7
	s_branch .LBB56_1556
.LBB56_1552:
	s_mov_b64 s[0:1], -1
                                        ; implicit-def: $vgpr7
.LBB56_1553:
	s_andn2_b64 vcc, exec, s[0:1]
	s_cbranch_vccnz .LBB56_1555
; %bb.1554:
	global_load_dword v7, v[0:1], off
.LBB56_1555:
	s_mov_b64 s[0:1], 0
.LBB56_1556:
	s_andn2_b64 vcc, exec, s[0:1]
	s_cbranch_vccnz .LBB56_1558
; %bb.1557:
	global_load_ushort v7, v[0:1], off
	s_waitcnt vmcnt(0)
	v_cvt_f32_f16_e32 v7, v7
.LBB56_1558:
	s_mov_b64 s[0:1], 0
.LBB56_1559:
	s_andn2_b64 vcc, exec, s[0:1]
	s_cbranch_vccnz .LBB56_1579
; %bb.1560:
	s_cmp_lt_i32 s22, 2
	s_cbranch_scc1 .LBB56_1564
; %bb.1561:
	s_cmp_lt_i32 s22, 3
	s_cbranch_scc1 .LBB56_1565
; %bb.1562:
	s_cmp_gt_i32 s22, 3
	s_cbranch_scc0 .LBB56_1566
; %bb.1563:
	global_load_dwordx2 v[13:14], v[0:1], off
	s_mov_b64 s[0:1], 0
	s_waitcnt vmcnt(0)
	v_xor_b32_e32 v15, v13, v14
	v_ffbh_i32_e32 v7, v14
	v_ashrrev_i32_e32 v15, 31, v15
	v_add_u32_e32 v7, -1, v7
	v_add_u32_e32 v15, 32, v15
	v_min_u32_e32 v7, v7, v15
	v_lshlrev_b64 v[13:14], v7, v[13:14]
	v_sub_u32_e32 v7, 32, v7
	v_min_u32_e32 v13, 1, v13
	v_or_b32_e32 v13, v14, v13
	v_cvt_f32_i32_e32 v13, v13
	v_ldexp_f32 v7, v13, v7
	s_branch .LBB56_1567
.LBB56_1564:
	s_mov_b64 s[0:1], -1
                                        ; implicit-def: $vgpr7
	s_branch .LBB56_1573
.LBB56_1565:
	s_mov_b64 s[0:1], -1
                                        ; implicit-def: $vgpr7
	s_branch .LBB56_1570
.LBB56_1566:
	s_mov_b64 s[0:1], -1
                                        ; implicit-def: $vgpr7
.LBB56_1567:
	s_andn2_b64 vcc, exec, s[0:1]
	s_cbranch_vccnz .LBB56_1569
; %bb.1568:
	global_load_dword v7, v[0:1], off
	s_waitcnt vmcnt(0)
	v_cvt_f32_i32_e32 v7, v7
.LBB56_1569:
	s_mov_b64 s[0:1], 0
.LBB56_1570:
	s_andn2_b64 vcc, exec, s[0:1]
	s_cbranch_vccnz .LBB56_1572
; %bb.1571:
	global_load_sshort v7, v[0:1], off
	s_waitcnt vmcnt(0)
	v_cvt_f32_i32_e32 v7, v7
.LBB56_1572:
	s_mov_b64 s[0:1], 0
.LBB56_1573:
	s_andn2_b64 vcc, exec, s[0:1]
	s_cbranch_vccnz .LBB56_1579
; %bb.1574:
	s_cmp_gt_i32 s22, 0
	s_cbranch_scc0 .LBB56_1576
; %bb.1575:
	global_load_sbyte v7, v[0:1], off
	s_mov_b64 s[0:1], 0
	s_waitcnt vmcnt(0)
	v_cvt_f32_i32_e32 v7, v7
	s_branch .LBB56_1577
.LBB56_1576:
	s_mov_b64 s[0:1], -1
                                        ; implicit-def: $vgpr7
.LBB56_1577:
	s_andn2_b64 vcc, exec, s[0:1]
	s_cbranch_vccnz .LBB56_1579
; %bb.1578:
	global_load_ubyte v0, v[0:1], off
	s_waitcnt vmcnt(0)
	v_cvt_f32_ubyte0_e32 v7, v0
.LBB56_1579:
	s_mov_b64 s[4:5], -1
.LBB56_1580:
	s_andn2_b64 vcc, exec, s[4:5]
	s_cbranch_vccnz .LBB56_2020
; %bb.1581:
	s_waitcnt vmcnt(0)
	v_cmp_gt_f32_e32 vcc, 0.5, v7
	v_mov_b32_e32 v14, 0
	v_mov_b32_e32 v13, 1.0
	s_and_saveexec_b64 s[10:11], vcc
	s_cbranch_execz .LBB56_1587
; %bb.1582:
	v_mul_f32_e32 v0, 0x40490fdb, v7
	s_brev_b32 s0, 18
	v_and_b32_e32 v1, 0x7fffffff, v0
	v_cmp_nlt_f32_e64 s[0:1], |v0|, s0
                                        ; implicit-def: $vgpr13
                                        ; implicit-def: $vgpr14
	s_and_saveexec_b64 s[2:3], s[0:1]
	s_xor_b64 s[14:15], exec, s[2:3]
	s_cbranch_execz .LBB56_1584
; %bb.1583:
	v_and_b32_e32 v13, 0x7fffff, v1
	v_or_b32_e32 v22, 0x800000, v13
	s_mov_b32 s0, 0xfe5163ab
	v_mad_u64_u32 v[13:14], s[0:1], v22, s0, 0
	v_mov_b32_e32 v15, 0
	s_mov_b32 s0, 0x3c439041
	v_mad_u64_u32 v[16:17], s[0:1], v22, s0, v[14:15]
	s_mov_b32 s0, 0xdb629599
	v_not_b32_e32 v21, 63
	v_mov_b32_e32 v14, v17
	v_mad_u64_u32 v[17:18], s[0:1], v22, s0, v[14:15]
	s_mov_b32 s0, 0xf534ddc0
	v_not_b32_e32 v24, 31
	v_mov_b32_e32 v14, v18
	v_mad_u64_u32 v[18:19], s[0:1], v22, s0, v[14:15]
	v_lshrrev_b32_e32 v14, 23, v1
	v_add_u32_e32 v23, 0xffffff88, v14
	v_mov_b32_e32 v14, v19
	s_mov_b32 s0, 0xfc2757d1
	v_mad_u64_u32 v[19:20], s[0:1], v22, s0, v[14:15]
	v_cmp_lt_u32_e32 vcc, 63, v23
	v_cndmask_b32_e32 v14, 0, v21, vcc
	v_add_u32_e32 v23, v14, v23
	v_mov_b32_e32 v14, v20
	s_mov_b32 s0, 0x4e441529
	v_mad_u64_u32 v[20:21], s[0:1], v22, s0, v[14:15]
	v_cmp_lt_u32_e64 s[0:1], 31, v23
	v_cndmask_b32_e64 v14, 0, v24, s[0:1]
	v_add_u32_e32 v23, v14, v23
	v_mov_b32_e32 v14, v21
	s_mov_b32 s2, 0xa2f9836e
	v_mad_u64_u32 v[14:15], s[2:3], v22, s2, v[14:15]
	v_cmp_lt_u32_e64 s[2:3], 31, v23
	v_cndmask_b32_e64 v21, 0, v24, s[2:3]
	v_cndmask_b32_e32 v22, v20, v18, vcc
	v_cndmask_b32_e32 v14, v14, v19, vcc
	;; [unrolled: 1-line block ×3, first 2 shown]
	v_add_u32_e32 v21, v21, v23
	v_cndmask_b32_e64 v23, v14, v22, s[0:1]
	v_cndmask_b32_e64 v14, v15, v14, s[0:1]
	v_cndmask_b32_e32 v15, v19, v17, vcc
	v_cndmask_b32_e64 v19, v22, v15, s[0:1]
	v_cndmask_b32_e64 v14, v14, v23, s[2:3]
	v_cndmask_b32_e64 v20, v23, v19, s[2:3]
	v_sub_u32_e32 v22, 32, v21
	v_alignbit_b32 v23, v14, v20, v22
	v_cmp_eq_u32_e64 s[4:5], 0, v21
	v_cndmask_b32_e64 v21, v23, v14, s[4:5]
	v_cndmask_b32_e32 v14, v18, v16, vcc
	v_cndmask_b32_e64 v15, v15, v14, s[0:1]
	v_cndmask_b32_e64 v16, v19, v15, s[2:3]
	v_alignbit_b32 v18, v20, v16, v22
	v_cndmask_b32_e32 v13, v17, v13, vcc
	v_cndmask_b32_e64 v18, v18, v20, s[4:5]
	v_bfe_u32 v23, v21, 29, 1
	v_cndmask_b32_e64 v13, v14, v13, s[0:1]
	v_alignbit_b32 v19, v21, v18, 30
	v_sub_u32_e32 v24, 0, v23
	v_cndmask_b32_e64 v13, v15, v13, s[2:3]
	v_xor_b32_e32 v19, v19, v24
	v_alignbit_b32 v14, v16, v13, v22
	v_cndmask_b32_e64 v14, v14, v16, s[4:5]
	v_ffbh_u32_e32 v16, v19
	v_alignbit_b32 v15, v18, v14, 30
	v_min_u32_e32 v16, 32, v16
	v_alignbit_b32 v13, v14, v13, 30
	v_xor_b32_e32 v15, v15, v24
	v_sub_u32_e32 v17, 31, v16
	v_xor_b32_e32 v13, v13, v24
	v_alignbit_b32 v18, v19, v15, v17
	v_alignbit_b32 v13, v15, v13, v17
	;; [unrolled: 1-line block ×3, first 2 shown]
	v_ffbh_u32_e32 v15, v14
	v_min_u32_e32 v15, 32, v15
	v_lshrrev_b32_e32 v20, 29, v21
	v_not_b32_e32 v17, v15
	v_alignbit_b32 v13, v14, v13, v17
	v_lshlrev_b32_e32 v14, 31, v20
	v_or_b32_e32 v17, 0x33000000, v14
	v_add_lshl_u32 v15, v15, v16, 23
	v_lshrrev_b32_e32 v13, 9, v13
	v_sub_u32_e32 v15, v17, v15
	v_or_b32_e32 v14, 0.5, v14
	v_lshlrev_b32_e32 v16, 23, v16
	v_or_b32_e32 v13, v15, v13
	v_lshrrev_b32_e32 v15, 9, v18
	v_sub_u32_e32 v14, v14, v16
	v_or_b32_e32 v14, v15, v14
	s_mov_b32 s0, 0x3fc90fda
	v_mul_f32_e32 v15, 0x3fc90fda, v14
	v_fma_f32 v16, v14, s0, -v15
	v_fmac_f32_e32 v16, 0x33a22168, v14
	v_fmac_f32_e32 v16, 0x3fc90fda, v13
	v_lshrrev_b32_e32 v13, 30, v21
	v_add_f32_e32 v14, v15, v16
	v_add_u32_e32 v13, v23, v13
.LBB56_1584:
	s_andn2_saveexec_b64 s[0:1], s[14:15]
	s_cbranch_execz .LBB56_1586
; %bb.1585:
	s_mov_b32 s2, 0x3f22f983
	v_mul_f32_e64 v13, |v0|, s2
	v_rndne_f32_e32 v15, v13
	s_mov_b32 s2, 0xbfc90fda
	v_cvt_i32_f32_e32 v13, v15
	v_fma_f32 v14, v15, s2, |v0|
	v_fmac_f32_e32 v14, 0xb3a22168, v15
	v_fmac_f32_e32 v14, 0xa7c234c4, v15
.LBB56_1586:
	s_or_b64 exec, exec, s[0:1]
	v_mul_f32_e32 v15, v14, v14
	v_mov_b32_e32 v16, 0x3c0881c4
	v_fmac_f32_e32 v16, 0xb94c1982, v15
	v_mov_b32_e32 v17, 0xbe2aaa9d
	v_fmac_f32_e32 v17, v15, v16
	v_mul_f32_e32 v16, v15, v17
	v_fmac_f32_e32 v14, v14, v16
	v_mov_b32_e32 v16, 0xbab64f3b
	v_fmac_f32_e32 v16, 0x37d75334, v15
	v_mov_b32_e32 v17, 0x3d2aabf7
	;; [unrolled: 2-line block ×3, first 2 shown]
	v_fmac_f32_e32 v16, v15, v17
	v_fma_f32 v15, v15, v16, 1.0
	v_and_b32_e32 v16, 1, v13
	v_lshlrev_b32_e32 v13, 30, v13
	v_cmp_eq_u32_e32 vcc, 0, v16
	v_and_b32_e32 v13, 0x80000000, v13
	v_xor_b32_e32 v1, v1, v0
	v_cndmask_b32_e32 v14, v15, v14, vcc
	v_xor_b32_e32 v1, v1, v13
	s_movk_i32 s0, 0x1f8
	v_xor_b32_e32 v1, v1, v14
	v_mov_b32_e32 v13, 0x7fc00000
	v_cmp_class_f32_e64 vcc, v0, s0
	v_cndmask_b32_e32 v0, v13, v1, vcc
	v_mul_f32_e32 v0, v0, v0
	s_mov_b32 s2, 0xc11de9e7
	v_div_scale_f32 v1, s[0:1], v0, v0, s2
	v_div_scale_f32 v13, vcc, s2, v0, s2
	v_sub_f32_e32 v7, 1.0, v7
	v_rcp_f32_e32 v14, v1
	v_fma_f32 v15, -v1, v14, 1.0
	v_fmac_f32_e32 v14, v15, v14
	v_mul_f32_e32 v15, v13, v14
	v_fma_f32 v16, -v1, v15, v13
	v_fmac_f32_e32 v15, v16, v14
	v_fma_f32 v1, -v1, v15, v13
	v_div_fmas_f32 v1, v1, v14, v15
	v_mov_b32_e32 v13, -1.0
	v_div_fixup_f32 v0, v1, v0, s2
	v_add_f32_e32 v14, 0, v0
.LBB56_1587:
	s_or_b64 exec, exec, s[10:11]
	v_mul_f32_e32 v0, v2, v2
	v_div_scale_f32 v15, s[0:1], v0, v0, 1.0
	v_add_f32_e32 v2, 1.0, v2
	v_mul_f32_e32 v1, v2, v2
	v_div_scale_f32 v17, s[0:1], v1, v1, 1.0
	v_div_scale_f32 v16, vcc, 1.0, v0, 1.0
	v_div_scale_f32 v18, s[0:1], 1.0, v1, 1.0
	v_add_f32_e32 v19, 1.0, v2
	v_mul_f32_e32 v2, v19, v19
	v_div_scale_f32 v22, s[2:3], v2, v2, 1.0
	v_add_f32_e32 v19, 1.0, v19
	v_add_f32_e32 v27, 1.0, v19
	v_rcp_f32_e32 v20, v15
	v_mul_lo_u32 v4, s12, v4
	s_and_b32 s20, s33, 0xff
	s_cmp_lt_i32 s20, 11
	v_rcp_f32_e32 v21, v17
	v_fma_f32 v23, -v15, v20, 1.0
	v_fmac_f32_e32 v20, v23, v20
	v_mul_f32_e32 v24, v16, v20
	v_fma_f32 v23, -v17, v21, 1.0
	v_fmac_f32_e32 v21, v23, v21
	v_fma_f32 v23, -v15, v24, v16
	v_fmac_f32_e32 v24, v23, v20
	v_mul_f32_e32 v25, v18, v21
	v_fma_f32 v15, -v15, v24, v16
	v_div_fmas_f32 v15, v15, v20, v24
	v_fma_f32 v16, -v17, v25, v18
	v_div_scale_f32 v20, s[2:3], 1.0, v2, 1.0
	v_fmac_f32_e32 v25, v16, v21
	v_mul_f32_e32 v16, v19, v19
	v_div_scale_f32 v23, s[4:5], v16, v16, 1.0
	v_div_scale_f32 v26, s[4:5], 1.0, v16, 1.0
	v_rcp_f32_e32 v24, v22
	v_fma_f32 v18, -v17, v25, v18
	s_mov_b64 vcc, s[0:1]
	v_mul_f32_e32 v17, v27, v27
	v_fma_f32 v19, -v22, v24, 1.0
	v_fmac_f32_e32 v24, v19, v24
	v_div_fmas_f32 v18, v18, v21, v25
	v_div_scale_f32 v28, s[10:11], v17, v17, 1.0
	v_mul_f32_e32 v19, v20, v24
	v_fma_f32 v21, -v22, v19, v20
	v_fmac_f32_e32 v19, v21, v24
	v_rcp_f32_e32 v21, v23
	v_fma_f32 v20, -v22, v19, v20
	s_mov_b64 vcc, s[2:3]
	v_div_fmas_f32 v19, v20, v24, v19
	v_fma_f32 v20, -v23, v21, 1.0
	v_fmac_f32_e32 v21, v20, v21
	v_mul_f32_e32 v22, v26, v21
	v_div_scale_f32 v25, s[0:1], 1.0, v17, 1.0
	v_fma_f32 v20, -v23, v22, v26
	v_add_f32_e32 v27, 1.0, v27
	v_fmac_f32_e32 v22, v20, v21
	v_mul_f32_e32 v20, v27, v27
	v_div_scale_f32 v29, s[2:3], v20, v20, 1.0
	v_fma_f32 v23, -v23, v22, v26
	v_div_scale_f32 v26, s[2:3], 1.0, v20, 1.0
	v_rcp_f32_e32 v24, v28
	s_mov_b64 vcc, s[4:5]
	v_div_fmas_f32 v21, v23, v21, v22
	v_add_f32_e32 v22, 1.0, v27
	v_mul_f32_e32 v27, v22, v22
	v_div_scale_f32 v30, s[4:5], v27, v27, 1.0
	v_fma_f32 v23, -v28, v24, 1.0
	v_fmac_f32_e32 v24, v23, v24
	v_mul_f32_e32 v23, v25, v24
	v_fma_f32 v31, -v28, v23, v25
	v_fmac_f32_e32 v23, v31, v24
	v_fma_f32 v25, -v28, v23, v25
	v_rcp_f32_e32 v28, v29
	v_div_scale_f32 v31, s[4:5], 1.0, v27, 1.0
	s_mov_b64 vcc, s[0:1]
	v_div_fmas_f32 v23, v25, v24, v23
	v_add_f32_e32 v25, v22, v22
	v_div_scale_f32 v32, s[0:1], v25, v25, 1.0
	v_fma_f32 v24, -v29, v28, 1.0
	v_fmac_f32_e32 v28, v24, v28
	v_mul_f32_e32 v24, v26, v28
	v_fma_f32 v33, -v29, v24, v26
	v_fmac_f32_e32 v24, v33, v28
	v_div_scale_f32 v33, s[0:1], 1.0, v25, 1.0
	v_rcp_f32_e32 v34, v30
	v_fma_f32 v26, -v29, v24, v26
	s_mov_b64 vcc, s[2:3]
	v_div_fmas_f32 v24, v26, v28, v24
	v_fma_f32 v26, -v30, v34, 1.0
	v_fmac_f32_e32 v34, v26, v34
	v_mul_f32_e32 v26, v31, v34
	v_fma_f32 v28, -v30, v26, v31
	v_fmac_f32_e32 v26, v28, v34
	v_rcp_f32_e32 v28, v32
	v_fma_f32 v29, -v30, v26, v31
	s_mov_b64 vcc, s[4:5]
	v_div_fmas_f32 v26, v29, v34, v26
	v_fma_f32 v29, -v32, v28, 1.0
	v_fmac_f32_e32 v28, v29, v28
	v_mul_f32_e32 v29, v33, v28
	v_fma_f32 v30, -v32, v29, v33
	v_fmac_f32_e32 v29, v30, v28
	v_fma_f32 v30, -v32, v29, v33
	s_mov_b64 vcc, s[0:1]
	v_div_fmas_f32 v28, v30, v28, v29
	s_mov_b32 s0, 0x3e2aaaab
	v_div_fixup_f32 v0, v15, v0, 1.0
	v_add_f32_e32 v0, v8, v0
	v_div_fixup_f32 v1, v18, v1, 1.0
	v_add_f32_e32 v0, v0, v1
	;; [unrolled: 2-line block ×3, first 2 shown]
	v_div_fixup_f32 v26, v26, v27, 1.0
	v_mov_b32_e32 v27, 0x3d088889
	v_fmac_f32_e32 v27, 0xbcc30c31, v26
	v_fma_f32 v27, -v26, v27, s0
	v_div_fixup_f32 v1, v21, v16, 1.0
	v_add_f32_e32 v0, v0, v1
	v_div_fixup_f32 v1, v23, v17, 1.0
	v_add_f32_e32 v0, v0, v1
	v_div_fixup_f32 v25, v28, v25, 1.0
	v_add_f32_e32 v25, 1.0, v25
	v_fmac_f32_e32 v25, v26, v27
	v_div_scale_f32 v26, s[0:1], v22, v22, v25
	v_div_scale_f32 v27, vcc, v25, v22, v25
	v_div_fixup_f32 v1, v24, v20, 1.0
	v_add_f32_e32 v0, v0, v1
	v_rcp_f32_e32 v28, v26
	v_fma_f32 v29, -v26, v28, 1.0
	v_fmac_f32_e32 v28, v29, v28
	v_mul_f32_e32 v29, v27, v28
	v_fma_f32 v30, -v26, v29, v27
	v_fmac_f32_e32 v29, v30, v28
	v_fma_f32 v26, -v26, v29, v27
	v_div_fmas_f32 v26, v26, v28, v29
	v_div_fixup_f32 v1, v26, v22, v25
	v_add_f32_e32 v0, v0, v1
	v_mul_f32_e32 v2, v3, v0
	v_ashrrev_i32_e32 v1, 31, v4
	v_mov_b32_e32 v3, s9
	v_add_co_u32_e32 v0, vcc, s8, v4
	v_addc_co_u32_e32 v1, vcc, v3, v1, vcc
	s_cbranch_scc1 .LBB56_1665
; %bb.1588:
	s_and_b32 s13, 0xffff, s20
	s_mov_b64 s[10:11], -1
	s_mov_b64 s[2:3], 0
	s_cmp_gt_i32 s13, 25
	s_mov_b64 s[4:5], 0
	s_mov_b64 s[0:1], 0
	s_cbranch_scc0 .LBB56_1621
; %bb.1589:
	s_cmp_gt_i32 s13, 28
	s_cbranch_scc0 .LBB56_1604
; %bb.1590:
	s_cmp_gt_i32 s13, 43
	;; [unrolled: 3-line block ×3, first 2 shown]
	s_cbranch_scc0 .LBB56_1594
; %bb.1592:
	s_mov_b64 s[0:1], -1
	s_mov_b64 s[10:11], 0
	s_cmp_eq_u32 s13, 46
	s_cbranch_scc0 .LBB56_1594
; %bb.1593:
	v_bfe_u32 v3, v2, 16, 1
	s_movk_i32 s0, 0x7fff
	v_add3_u32 v3, v2, v3, s0
	v_cmp_o_f32_e32 vcc, v2, v2
	v_mov_b32_e32 v8, 0x7fc0
	v_cndmask_b32_sdwa v3, v8, v3, vcc dst_sel:DWORD dst_unused:UNUSED_PAD src0_sel:DWORD src1_sel:WORD_1
	global_store_dword v[0:1], v3, off
	s_mov_b64 s[0:1], 0
	s_mov_b64 s[4:5], -1
.LBB56_1594:
	s_and_b64 vcc, exec, s[10:11]
	s_cbranch_vccz .LBB56_1599
; %bb.1595:
	s_cmp_eq_u32 s13, 44
	s_mov_b64 s[0:1], -1
	s_cbranch_scc0 .LBB56_1599
; %bb.1596:
	v_bfe_u32 v3, v2, 23, 8
	s_movk_i32 s0, 0xff
	v_cmp_ne_u32_e32 vcc, s0, v3
	v_mov_b32_e32 v8, 0xff
	s_and_saveexec_b64 s[4:5], vcc
; %bb.1597:
	s_mov_b32 s0, 0x3fffff
	v_and_b32_e32 v15, 0x400000, v2
	v_and_or_b32 v3, v2, s0, v3
	v_cmp_ne_u32_e32 vcc, 0, v15
	v_cmp_ne_u32_e64 s[0:1], 0, v3
	s_and_b64 s[0:1], vcc, s[0:1]
	v_lshrrev_b32_e32 v8, 23, v2
	v_cndmask_b32_e64 v3, 0, 1, s[0:1]
	v_add_u32_e32 v8, v8, v3
; %bb.1598:
	s_or_b64 exec, exec, s[4:5]
	s_mov_b64 s[0:1], 0
	s_mov_b64 s[4:5], -1
	global_store_byte v[0:1], v8, off
.LBB56_1599:
	s_mov_b64 s[10:11], 0
.LBB56_1600:
	s_and_b64 vcc, exec, s[10:11]
	s_cbranch_vccz .LBB56_1603
; %bb.1601:
	s_cmp_eq_u32 s13, 29
	s_mov_b64 s[0:1], -1
	s_cbranch_scc0 .LBB56_1603
; %bb.1602:
	v_trunc_f32_e32 v3, v2
	v_mul_f32_e32 v8, 0x2f800000, v3
	v_floor_f32_e32 v8, v8
	v_fmac_f32_e32 v3, 0xcf800000, v8
	v_cvt_u32_f32_e32 v16, v8
	v_cvt_u32_f32_e32 v15, v3
	s_mov_b64 s[0:1], 0
	s_mov_b64 s[4:5], -1
	global_store_dwordx2 v[0:1], v[15:16], off
.LBB56_1603:
	s_mov_b64 s[10:11], 0
.LBB56_1604:
	s_and_b64 vcc, exec, s[10:11]
	s_cbranch_vccz .LBB56_1620
; %bb.1605:
	s_cmp_lt_i32 s13, 27
	s_mov_b64 s[4:5], -1
	s_cbranch_scc1 .LBB56_1611
; %bb.1606:
	v_cvt_u32_f32_e32 v3, v2
	s_cmp_gt_i32 s13, 27
	s_cbranch_scc0 .LBB56_1608
; %bb.1607:
	s_mov_b64 s[4:5], 0
	global_store_dword v[0:1], v3, off
.LBB56_1608:
	s_andn2_b64 vcc, exec, s[4:5]
	s_cbranch_vccnz .LBB56_1610
; %bb.1609:
	global_store_short v[0:1], v3, off
.LBB56_1610:
	s_mov_b64 s[4:5], 0
.LBB56_1611:
	s_andn2_b64 vcc, exec, s[4:5]
	s_cbranch_vccnz .LBB56_1619
; %bb.1612:
	v_and_b32_e32 v3, 0x7fffffff, v2
	s_mov_b32 s4, 0x43800000
	v_cmp_gt_u32_e32 vcc, s4, v3
	v_mov_b32_e32 v8, 0x80
	s_and_saveexec_b64 s[4:5], vcc
	s_cbranch_execz .LBB56_1618
; %bb.1613:
	s_mov_b32 s10, 0x3bffffff
	v_cmp_lt_u32_e32 vcc, s10, v3
	s_mov_b64 s[10:11], 0
                                        ; implicit-def: $vgpr3
	s_and_saveexec_b64 s[14:15], vcc
	s_xor_b64 s[14:15], exec, s[14:15]
	s_cbranch_execz .LBB56_2067
; %bb.1614:
	v_bfe_u32 v3, v2, 20, 1
	s_mov_b32 s21, 0x487ffff
	v_add3_u32 v3, v2, v3, s21
	s_mov_b64 s[10:11], exec
	v_lshrrev_b32_e32 v3, 20, v3
	s_andn2_saveexec_b64 s[14:15], s[14:15]
	s_cbranch_execnz .LBB56_2068
.LBB56_1615:
	s_or_b64 exec, exec, s[14:15]
	v_mov_b32_e32 v8, 0
	s_and_saveexec_b64 s[14:15], s[10:11]
.LBB56_1616:
	v_lshrrev_b32_e32 v8, 24, v2
	s_movk_i32 s10, 0x80
	v_and_or_b32 v8, v8, s10, v3
.LBB56_1617:
	s_or_b64 exec, exec, s[14:15]
.LBB56_1618:
	s_or_b64 exec, exec, s[4:5]
	global_store_byte v[0:1], v8, off
.LBB56_1619:
	s_mov_b64 s[4:5], -1
.LBB56_1620:
	s_mov_b64 s[10:11], 0
.LBB56_1621:
	s_and_b64 vcc, exec, s[10:11]
	s_cbranch_vccz .LBB56_1661
; %bb.1622:
	s_cmp_gt_i32 s13, 22
	s_mov_b64 s[2:3], -1
	s_cbranch_scc0 .LBB56_1654
; %bb.1623:
	s_cmp_lt_i32 s13, 24
	s_cbranch_scc1 .LBB56_1643
; %bb.1624:
	s_cmp_gt_i32 s13, 24
	s_cbranch_scc0 .LBB56_1632
; %bb.1625:
	v_and_b32_e32 v3, 0x7fffffff, v2
	s_mov_b32 s2, 0x47800000
	v_cmp_gt_u32_e32 vcc, s2, v3
	v_mov_b32_e32 v8, 0x80
	s_and_saveexec_b64 s[2:3], vcc
	s_cbranch_execz .LBB56_1631
; %bb.1626:
	s_mov_b32 s4, 0x37ffffff
	v_cmp_lt_u32_e32 vcc, s4, v3
	s_mov_b64 s[4:5], 0
                                        ; implicit-def: $vgpr3
	s_and_saveexec_b64 s[10:11], vcc
	s_xor_b64 s[10:11], exec, s[10:11]
	s_cbranch_execz .LBB56_2070
; %bb.1627:
	v_bfe_u32 v3, v2, 21, 1
	s_mov_b32 s14, 0x88fffff
	v_add3_u32 v3, v2, v3, s14
	s_mov_b64 s[4:5], exec
	v_lshrrev_b32_e32 v3, 21, v3
	s_andn2_saveexec_b64 s[10:11], s[10:11]
	s_cbranch_execnz .LBB56_2071
.LBB56_1628:
	s_or_b64 exec, exec, s[10:11]
	v_mov_b32_e32 v8, 0
	s_and_saveexec_b64 s[10:11], s[4:5]
.LBB56_1629:
	v_lshrrev_b32_e32 v8, 24, v2
	s_movk_i32 s4, 0x80
	v_and_or_b32 v8, v8, s4, v3
.LBB56_1630:
	s_or_b64 exec, exec, s[10:11]
.LBB56_1631:
	s_or_b64 exec, exec, s[2:3]
	s_mov_b64 s[2:3], 0
	global_store_byte v[0:1], v8, off
.LBB56_1632:
	s_and_b64 vcc, exec, s[2:3]
	s_cbranch_vccz .LBB56_1642
; %bb.1633:
	v_and_b32_e32 v8, 0x7fffffff, v2
	s_mov_b32 s2, 0x43f00000
	v_cmp_gt_u32_e32 vcc, s2, v8
                                        ; implicit-def: $vgpr3
	s_and_saveexec_b64 s[2:3], vcc
	s_xor_b64 s[2:3], exec, s[2:3]
	s_cbranch_execz .LBB56_1639
; %bb.1634:
	s_mov_b32 s4, 0x3c7fffff
	v_cmp_lt_u32_e32 vcc, s4, v8
                                        ; implicit-def: $vgpr3
	s_and_saveexec_b64 s[4:5], vcc
	s_xor_b64 s[4:5], exec, s[4:5]
; %bb.1635:
	v_bfe_u32 v3, v2, 20, 1
	s_mov_b32 s10, 0x407ffff
	v_add3_u32 v3, v2, v3, s10
	v_lshrrev_b32_e32 v8, 20, v3
	v_and_b32_e32 v3, 0xff00000, v3
	s_mov_b32 s10, 0x7f00000
	v_mov_b32_e32 v15, 0x7e
	v_cmp_ne_u32_e32 vcc, s10, v3
	v_cndmask_b32_e32 v3, v15, v8, vcc
; %bb.1636:
	s_andn2_saveexec_b64 s[4:5], s[4:5]
; %bb.1637:
	s_mov_b32 s10, 0x46800000
	v_add_f32_e64 v3, |v2|, s10
; %bb.1638:
	s_or_b64 exec, exec, s[4:5]
                                        ; implicit-def: $vgpr8
.LBB56_1639:
	s_andn2_saveexec_b64 s[2:3], s[2:3]
; %bb.1640:
	s_mov_b32 s4, 0x7f800000
	v_mov_b32_e32 v3, 0x7e
	v_mov_b32_e32 v15, 0x7f
	v_cmp_lt_u32_e32 vcc, s4, v8
	v_cndmask_b32_e32 v3, v3, v15, vcc
; %bb.1641:
	s_or_b64 exec, exec, s[2:3]
	v_lshrrev_b32_e32 v8, 24, v2
	s_movk_i32 s2, 0x80
	v_and_or_b32 v3, v8, s2, v3
	global_store_byte v[0:1], v3, off
.LBB56_1642:
	s_mov_b64 s[2:3], 0
.LBB56_1643:
	s_andn2_b64 vcc, exec, s[2:3]
	s_cbranch_vccnz .LBB56_1653
; %bb.1644:
	v_and_b32_e32 v8, 0x7fffffff, v2
	s_mov_b32 s2, 0x47800000
	v_cmp_gt_u32_e32 vcc, s2, v8
                                        ; implicit-def: $vgpr3
	s_and_saveexec_b64 s[2:3], vcc
	s_xor_b64 s[2:3], exec, s[2:3]
	s_cbranch_execz .LBB56_1650
; %bb.1645:
	s_mov_b32 s4, 0x387fffff
	v_cmp_lt_u32_e32 vcc, s4, v8
                                        ; implicit-def: $vgpr3
	s_and_saveexec_b64 s[4:5], vcc
	s_xor_b64 s[4:5], exec, s[4:5]
; %bb.1646:
	v_bfe_u32 v3, v2, 21, 1
	s_mov_b32 s10, 0x80fffff
	v_add3_u32 v3, v2, v3, s10
	v_lshrrev_b32_e32 v3, 21, v3
; %bb.1647:
	s_andn2_saveexec_b64 s[4:5], s[4:5]
; %bb.1648:
	s_mov_b32 s10, 0x43000000
	v_add_f32_e64 v3, |v2|, s10
; %bb.1649:
	s_or_b64 exec, exec, s[4:5]
                                        ; implicit-def: $vgpr8
.LBB56_1650:
	s_andn2_saveexec_b64 s[2:3], s[2:3]
; %bb.1651:
	s_mov_b32 s4, 0x7f800000
	v_mov_b32_e32 v3, 0x7c
	v_mov_b32_e32 v15, 0x7f
	v_cmp_lt_u32_e32 vcc, s4, v8
	v_cndmask_b32_e32 v3, v3, v15, vcc
; %bb.1652:
	s_or_b64 exec, exec, s[2:3]
	v_lshrrev_b32_e32 v8, 24, v2
	s_movk_i32 s2, 0x80
	v_and_or_b32 v3, v8, s2, v3
	global_store_byte v[0:1], v3, off
.LBB56_1653:
	s_mov_b64 s[2:3], 0
	s_mov_b64 s[4:5], -1
.LBB56_1654:
	s_andn2_b64 vcc, exec, s[2:3]
	s_mov_b64 s[2:3], 0
	s_cbranch_vccnz .LBB56_1661
; %bb.1655:
	s_cmp_gt_i32 s13, 14
	s_mov_b64 s[10:11], -1
	s_cbranch_scc0 .LBB56_1659
; %bb.1656:
	s_cmp_eq_u32 s13, 15
	s_mov_b64 s[0:1], -1
	s_cbranch_scc0 .LBB56_1658
; %bb.1657:
	v_bfe_u32 v3, v2, 16, 1
	s_movk_i32 s0, 0x7fff
	v_add3_u32 v3, v2, v3, s0
	v_cmp_o_f32_e32 vcc, v2, v2
	v_mov_b32_e32 v8, 0x7fc0
	v_cndmask_b32_sdwa v3, v8, v3, vcc dst_sel:DWORD dst_unused:UNUSED_PAD src0_sel:DWORD src1_sel:WORD_1
	global_store_short v[0:1], v3, off
	s_mov_b64 s[0:1], 0
	s_mov_b64 s[4:5], -1
.LBB56_1658:
	s_mov_b64 s[10:11], 0
.LBB56_1659:
	s_and_b64 vcc, exec, s[10:11]
	s_cbranch_vccz .LBB56_1661
; %bb.1660:
	s_cmp_lg_u32 s13, 11
	s_mov_b64 s[2:3], -1
	s_cselect_b64 s[0:1], -1, 0
.LBB56_1661:
	s_and_b64 vcc, exec, s[0:1]
	s_cbranch_vccnz .LBB56_2069
; %bb.1662:
	s_andn2_b64 vcc, exec, s[2:3]
	s_cbranch_vccnz .LBB56_1664
.LBB56_1663:
	v_cmp_neq_f32_e32 vcc, 0, v2
	v_cndmask_b32_e64 v3, 0, 1, vcc
	s_mov_b64 s[4:5], -1
	global_store_byte v[0:1], v3, off
.LBB56_1664:
	s_mov_b64 s[0:1], 0
	s_branch .LBB56_1666
.LBB56_1665:
	s_mov_b64 s[0:1], -1
	s_mov_b64 s[4:5], 0
.LBB56_1666:
	s_and_b64 vcc, exec, s[0:1]
	s_cbranch_vccz .LBB56_1705
; %bb.1667:
	s_and_b32 s2, 0xffff, s20
	s_cmp_lt_i32 s2, 5
	s_mov_b64 s[0:1], -1
	s_cbranch_scc1 .LBB56_1688
; %bb.1668:
	s_cmp_lt_i32 s2, 8
	s_cbranch_scc1 .LBB56_1678
; %bb.1669:
	s_cmp_lt_i32 s2, 9
	s_cbranch_scc1 .LBB56_1675
; %bb.1670:
	s_cmp_gt_i32 s2, 9
	s_cbranch_scc0 .LBB56_1672
; %bb.1671:
	v_cvt_f64_f32_e32 v[15:16], v2
	v_mov_b32_e32 v17, 0
	v_mov_b32_e32 v18, v17
	s_mov_b64 s[0:1], 0
	global_store_dwordx4 v[0:1], v[15:18], off
.LBB56_1672:
	s_andn2_b64 vcc, exec, s[0:1]
	s_cbranch_vccnz .LBB56_1674
; %bb.1673:
	v_mov_b32_e32 v3, 0
	global_store_dwordx2 v[0:1], v[2:3], off
.LBB56_1674:
	s_mov_b64 s[0:1], 0
.LBB56_1675:
	s_andn2_b64 vcc, exec, s[0:1]
	s_cbranch_vccnz .LBB56_1677
; %bb.1676:
	v_cvt_f16_f32_e32 v3, v2
	global_store_dword v[0:1], v3, off
.LBB56_1677:
	s_mov_b64 s[0:1], 0
.LBB56_1678:
	s_andn2_b64 vcc, exec, s[0:1]
	s_cbranch_vccnz .LBB56_1687
; %bb.1679:
	s_cmp_lt_i32 s2, 6
	s_mov_b64 s[0:1], -1
	s_cbranch_scc1 .LBB56_1685
; %bb.1680:
	s_cmp_gt_i32 s2, 6
	s_cbranch_scc0 .LBB56_1682
; %bb.1681:
	v_cvt_f64_f32_e32 v[15:16], v2
	s_mov_b64 s[0:1], 0
	global_store_dwordx2 v[0:1], v[15:16], off
.LBB56_1682:
	s_andn2_b64 vcc, exec, s[0:1]
	s_cbranch_vccnz .LBB56_1684
; %bb.1683:
	global_store_dword v[0:1], v2, off
.LBB56_1684:
	s_mov_b64 s[0:1], 0
.LBB56_1685:
	s_andn2_b64 vcc, exec, s[0:1]
	s_cbranch_vccnz .LBB56_1687
; %bb.1686:
	v_cvt_f16_f32_e32 v3, v2
	global_store_short v[0:1], v3, off
.LBB56_1687:
	s_mov_b64 s[0:1], 0
.LBB56_1688:
	s_andn2_b64 vcc, exec, s[0:1]
	s_cbranch_vccnz .LBB56_1704
; %bb.1689:
	s_cmp_lt_i32 s2, 2
	s_mov_b64 s[0:1], -1
	s_cbranch_scc1 .LBB56_1699
; %bb.1690:
	s_cmp_lt_i32 s2, 3
	s_cbranch_scc1 .LBB56_1696
; %bb.1691:
	s_cmp_gt_i32 s2, 3
	s_cbranch_scc0 .LBB56_1693
; %bb.1692:
	v_trunc_f32_e32 v3, v2
	s_mov_b32 s0, 0x2f800000
	v_mul_f32_e64 v8, |v3|, s0
	v_floor_f32_e32 v8, v8
	s_mov_b32 s0, 0xcf800000
	v_cvt_u32_f32_e32 v15, v8
	v_fma_f32 v8, v8, s0, |v3|
	v_cvt_u32_f32_e32 v8, v8
	v_ashrrev_i32_e32 v3, 31, v3
	v_xor_b32_e32 v16, v15, v3
	s_mov_b64 s[0:1], 0
	v_xor_b32_e32 v8, v8, v3
	v_sub_co_u32_e32 v15, vcc, v8, v3
	v_subb_co_u32_e32 v16, vcc, v16, v3, vcc
	global_store_dwordx2 v[0:1], v[15:16], off
.LBB56_1693:
	s_andn2_b64 vcc, exec, s[0:1]
	s_cbranch_vccnz .LBB56_1695
; %bb.1694:
	v_cvt_i32_f32_e32 v3, v2
	global_store_dword v[0:1], v3, off
.LBB56_1695:
	s_mov_b64 s[0:1], 0
.LBB56_1696:
	s_andn2_b64 vcc, exec, s[0:1]
	s_cbranch_vccnz .LBB56_1698
; %bb.1697:
	v_cvt_i32_f32_e32 v3, v2
	global_store_short v[0:1], v3, off
.LBB56_1698:
	s_mov_b64 s[0:1], 0
.LBB56_1699:
	s_andn2_b64 vcc, exec, s[0:1]
	s_cbranch_vccnz .LBB56_1704
; %bb.1700:
	s_cmp_gt_i32 s2, 0
	s_mov_b64 s[0:1], -1
	s_cbranch_scc0 .LBB56_1702
; %bb.1701:
	v_cvt_i32_f32_e32 v3, v2
	s_mov_b64 s[0:1], 0
	global_store_byte v[0:1], v3, off
.LBB56_1702:
	s_andn2_b64 vcc, exec, s[0:1]
	s_cbranch_vccnz .LBB56_1704
; %bb.1703:
	v_trunc_f32_e32 v2, v2
	s_mov_b32 s0, 0x2f800000
	v_mul_f32_e64 v3, |v2|, s0
	v_floor_f32_e32 v3, v3
	s_mov_b32 s0, 0xcf800000
	v_fma_f32 v3, v3, s0, |v2|
	v_cvt_u32_f32_e32 v3, v3
	v_ashrrev_i32_e32 v2, 31, v2
	v_xor_b32_e32 v3, v3, v2
	v_sub_u32_e32 v2, v3, v2
	global_store_byte v[0:1], v2, off
.LBB56_1704:
	s_mov_b64 s[4:5], -1
.LBB56_1705:
	s_andn2_b64 vcc, exec, s[4:5]
	s_cbranch_vccnz .LBB56_2020
; %bb.1706:
	v_mul_f32_e32 v0, v5, v5
	v_div_scale_f32 v3, s[0:1], v0, v0, 1.0
	v_add_f32_e32 v2, 1.0, v5
	v_mul_f32_e32 v1, v2, v2
	v_div_scale_f32 v8, s[0:1], v1, v1, 1.0
	v_div_scale_f32 v5, vcc, 1.0, v0, 1.0
	v_add_f32_e32 v15, 1.0, v2
	v_div_scale_f32 v16, s[0:1], 1.0, v1, 1.0
	v_mul_f32_e32 v2, v15, v15
	v_div_scale_f32 v17, s[2:3], v2, v2, 1.0
	v_div_scale_f32 v20, s[2:3], 1.0, v2, 1.0
	v_rcp_f32_e32 v18, v3
	v_add_f32_e32 v15, 1.0, v15
	s_lshl_b32 s14, s12, 7
	v_add_u32_e32 v4, s14, v4
	v_rcp_f32_e32 v19, v8
	v_fma_f32 v21, -v3, v18, 1.0
	v_fmac_f32_e32 v18, v21, v18
	v_mul_f32_e32 v22, v5, v18
	v_fma_f32 v23, -v3, v22, v5
	v_fma_f32 v21, -v8, v19, 1.0
	v_fmac_f32_e32 v22, v23, v18
	v_fma_f32 v3, -v3, v22, v5
	v_fmac_f32_e32 v19, v21, v19
	v_div_fmas_f32 v3, v3, v18, v22
	v_mul_f32_e32 v18, v16, v19
	v_fma_f32 v5, -v8, v18, v16
	v_rcp_f32_e32 v21, v17
	v_fmac_f32_e32 v18, v5, v19
	v_mul_f32_e32 v5, v15, v15
	v_div_scale_f32 v22, s[4:5], v5, v5, 1.0
	v_fma_f32 v8, -v8, v18, v16
	v_fma_f32 v16, -v17, v21, 1.0
	v_fmac_f32_e32 v21, v16, v21
	s_mov_b64 vcc, s[0:1]
	v_mul_f32_e32 v16, v20, v21
	v_div_fmas_f32 v8, v8, v19, v18
	v_fma_f32 v18, -v17, v16, v20
	v_fmac_f32_e32 v16, v18, v21
	v_div_scale_f32 v18, s[0:1], 1.0, v5, 1.0
	v_add_f32_e32 v19, 1.0, v15
	v_mul_f32_e32 v15, v19, v19
	v_div_scale_f32 v23, s[4:5], v15, v15, 1.0
	v_fma_f32 v17, -v17, v16, v20
	s_mov_b64 vcc, s[2:3]
	v_div_fmas_f32 v16, v17, v21, v16
	v_div_scale_f32 v17, s[2:3], 1.0, v15, 1.0
	v_rcp_f32_e32 v20, v22
	v_add_f32_e32 v19, 1.0, v19
	v_mul_f32_e32 v24, v19, v19
	v_div_scale_f32 v25, s[4:5], v24, v24, 1.0
	v_fma_f32 v21, -v22, v20, 1.0
	v_fmac_f32_e32 v20, v21, v20
	v_mul_f32_e32 v21, v18, v20
	v_fma_f32 v26, -v22, v21, v18
	v_fmac_f32_e32 v21, v26, v20
	v_rcp_f32_e32 v26, v23
	v_fma_f32 v18, -v22, v21, v18
	s_mov_b64 vcc, s[0:1]
	v_div_fmas_f32 v18, v18, v20, v21
	v_fma_f32 v20, -v23, v26, 1.0
	v_fmac_f32_e32 v26, v20, v26
	v_mul_f32_e32 v20, v17, v26
	v_fma_f32 v21, -v23, v20, v17
	v_fmac_f32_e32 v20, v21, v26
	v_div_scale_f32 v21, s[0:1], 1.0, v24, 1.0
	v_add_f32_e32 v19, 1.0, v19
	v_mul_f32_e32 v27, v19, v19
	v_div_scale_f32 v28, s[4:5], v27, v27, 1.0
	v_rcp_f32_e32 v22, v25
	v_fma_f32 v17, -v23, v20, v17
	s_mov_b64 vcc, s[2:3]
	v_div_scale_f32 v23, s[2:3], 1.0, v27, 1.0
	v_div_fmas_f32 v17, v17, v26, v20
	v_add_f32_e32 v26, v19, v19
	v_div_scale_f32 v29, s[4:5], v26, v26, 1.0
	v_fma_f32 v20, -v25, v22, 1.0
	v_fmac_f32_e32 v22, v20, v22
	v_mul_f32_e32 v20, v21, v22
	v_fma_f32 v30, -v25, v20, v21
	v_fmac_f32_e32 v20, v30, v22
	v_div_scale_f32 v30, s[4:5], 1.0, v26, 1.0
	v_rcp_f32_e32 v31, v28
	v_fma_f32 v21, -v25, v20, v21
	s_mov_b64 vcc, s[0:1]
	v_div_fmas_f32 v20, v21, v22, v20
	v_fma_f32 v21, -v28, v31, 1.0
	v_fmac_f32_e32 v31, v21, v31
	v_mul_f32_e32 v21, v23, v31
	v_fma_f32 v22, -v28, v21, v23
	v_fmac_f32_e32 v21, v22, v31
	v_rcp_f32_e32 v22, v29
	v_fma_f32 v23, -v28, v21, v23
	s_mov_b64 vcc, s[2:3]
	v_div_fmas_f32 v21, v23, v31, v21
	v_fma_f32 v23, -v29, v22, 1.0
	v_fmac_f32_e32 v22, v23, v22
	v_mul_f32_e32 v23, v30, v22
	v_fma_f32 v25, -v29, v23, v30
	v_fmac_f32_e32 v23, v25, v22
	v_fma_f32 v25, -v29, v23, v30
	s_mov_b64 vcc, s[4:5]
	v_div_fmas_f32 v22, v25, v22, v23
	v_mov_b32_e32 v23, 0x3d088889
	s_mov_b32 s0, 0x3e2aaaab
	v_div_fixup_f32 v0, v3, v0, 1.0
	v_add_f32_e32 v0, v10, v0
	v_div_fixup_f32 v1, v8, v1, 1.0
	v_add_f32_e32 v0, v0, v1
	v_div_fixup_f32 v1, v16, v2, 1.0
	v_div_fixup_f32 v21, v21, v27, 1.0
	v_fmac_f32_e32 v23, 0xbcc30c31, v21
	v_fma_f32 v23, -v21, v23, s0
	v_add_f32_e32 v0, v0, v1
	v_div_fixup_f32 v1, v18, v5, 1.0
	v_add_f32_e32 v0, v0, v1
	v_div_fixup_f32 v1, v17, v15, 1.0
	;; [unrolled: 2-line block ×3, first 2 shown]
	v_add_f32_e32 v22, 1.0, v22
	v_fmac_f32_e32 v22, v21, v23
	v_div_scale_f32 v21, s[0:1], v19, v19, v22
	v_div_scale_f32 v23, vcc, v22, v19, v22
	v_div_fixup_f32 v1, v20, v24, 1.0
	v_add_f32_e32 v0, v0, v1
	v_mov_b32_e32 v3, s9
	s_cmp_lt_i32 s20, 11
	v_rcp_f32_e32 v25, v21
	v_fma_f32 v26, -v21, v25, 1.0
	v_fmac_f32_e32 v25, v26, v25
	v_mul_f32_e32 v26, v23, v25
	v_fma_f32 v27, -v21, v26, v23
	v_fmac_f32_e32 v26, v27, v25
	v_fma_f32 v21, -v21, v26, v23
	v_div_fmas_f32 v21, v21, v25, v26
	v_div_fixup_f32 v1, v21, v19, v22
	v_add_f32_e32 v0, v0, v1
	v_mul_f32_e32 v2, v9, v0
	v_ashrrev_i32_e32 v1, 31, v4
	v_add_co_u32_e32 v0, vcc, s8, v4
	v_addc_co_u32_e32 v1, vcc, v3, v1, vcc
	s_cbranch_scc1 .LBB56_1784
; %bb.1707:
	s_and_b32 s15, 0xffff, s20
	s_mov_b64 s[10:11], -1
	s_mov_b64 s[2:3], 0
	s_cmp_gt_i32 s15, 25
	s_mov_b64 s[4:5], 0
	s_mov_b64 s[0:1], 0
	s_cbranch_scc0 .LBB56_1740
; %bb.1708:
	s_cmp_gt_i32 s15, 28
	s_cbranch_scc0 .LBB56_1723
; %bb.1709:
	s_cmp_gt_i32 s15, 43
	;; [unrolled: 3-line block ×3, first 2 shown]
	s_cbranch_scc0 .LBB56_1713
; %bb.1711:
	s_mov_b64 s[0:1], -1
	s_mov_b64 s[10:11], 0
	s_cmp_eq_u32 s15, 46
	s_cbranch_scc0 .LBB56_1713
; %bb.1712:
	v_bfe_u32 v3, v2, 16, 1
	s_movk_i32 s0, 0x7fff
	v_add3_u32 v3, v2, v3, s0
	v_cmp_o_f32_e32 vcc, v2, v2
	v_mov_b32_e32 v5, 0x7fc0
	v_cndmask_b32_sdwa v3, v5, v3, vcc dst_sel:DWORD dst_unused:UNUSED_PAD src0_sel:DWORD src1_sel:WORD_1
	global_store_dword v[0:1], v3, off
	s_mov_b64 s[0:1], 0
	s_mov_b64 s[4:5], -1
.LBB56_1713:
	s_and_b64 vcc, exec, s[10:11]
	s_cbranch_vccz .LBB56_1718
; %bb.1714:
	s_cmp_eq_u32 s15, 44
	s_mov_b64 s[0:1], -1
	s_cbranch_scc0 .LBB56_1718
; %bb.1715:
	v_bfe_u32 v3, v2, 23, 8
	s_movk_i32 s0, 0xff
	v_cmp_ne_u32_e32 vcc, s0, v3
	v_mov_b32_e32 v5, 0xff
	s_and_saveexec_b64 s[4:5], vcc
; %bb.1716:
	s_mov_b32 s0, 0x3fffff
	v_and_b32_e32 v8, 0x400000, v2
	v_and_or_b32 v3, v2, s0, v3
	v_cmp_ne_u32_e32 vcc, 0, v8
	v_cmp_ne_u32_e64 s[0:1], 0, v3
	s_and_b64 s[0:1], vcc, s[0:1]
	v_lshrrev_b32_e32 v5, 23, v2
	v_cndmask_b32_e64 v3, 0, 1, s[0:1]
	v_add_u32_e32 v5, v5, v3
; %bb.1717:
	s_or_b64 exec, exec, s[4:5]
	s_mov_b64 s[0:1], 0
	s_mov_b64 s[4:5], -1
	global_store_byte v[0:1], v5, off
.LBB56_1718:
	s_mov_b64 s[10:11], 0
.LBB56_1719:
	s_and_b64 vcc, exec, s[10:11]
	s_cbranch_vccz .LBB56_1722
; %bb.1720:
	s_cmp_eq_u32 s15, 29
	s_mov_b64 s[0:1], -1
	s_cbranch_scc0 .LBB56_1722
; %bb.1721:
	v_trunc_f32_e32 v3, v2
	v_mul_f32_e32 v5, 0x2f800000, v3
	v_floor_f32_e32 v5, v5
	v_fmac_f32_e32 v3, 0xcf800000, v5
	v_cvt_u32_f32_e32 v9, v5
	v_cvt_u32_f32_e32 v8, v3
	s_mov_b64 s[0:1], 0
	s_mov_b64 s[4:5], -1
	global_store_dwordx2 v[0:1], v[8:9], off
.LBB56_1722:
	s_mov_b64 s[10:11], 0
.LBB56_1723:
	s_and_b64 vcc, exec, s[10:11]
	s_cbranch_vccz .LBB56_1739
; %bb.1724:
	s_cmp_lt_i32 s15, 27
	s_mov_b64 s[4:5], -1
	s_cbranch_scc1 .LBB56_1730
; %bb.1725:
	v_cvt_u32_f32_e32 v3, v2
	s_cmp_gt_i32 s15, 27
	s_cbranch_scc0 .LBB56_1727
; %bb.1726:
	s_mov_b64 s[4:5], 0
	global_store_dword v[0:1], v3, off
.LBB56_1727:
	s_andn2_b64 vcc, exec, s[4:5]
	s_cbranch_vccnz .LBB56_1729
; %bb.1728:
	global_store_short v[0:1], v3, off
.LBB56_1729:
	s_mov_b64 s[4:5], 0
.LBB56_1730:
	s_andn2_b64 vcc, exec, s[4:5]
	s_cbranch_vccnz .LBB56_1738
; %bb.1731:
	v_and_b32_e32 v3, 0x7fffffff, v2
	s_mov_b32 s4, 0x43800000
	v_cmp_gt_u32_e32 vcc, s4, v3
	v_mov_b32_e32 v5, 0x80
	s_and_saveexec_b64 s[4:5], vcc
	s_cbranch_execz .LBB56_1737
; %bb.1732:
	s_mov_b32 s10, 0x3bffffff
	v_cmp_lt_u32_e32 vcc, s10, v3
	s_mov_b64 s[10:11], 0
                                        ; implicit-def: $vgpr3
	s_and_saveexec_b64 s[12:13], vcc
	s_xor_b64 s[12:13], exec, s[12:13]
	s_cbranch_execz .LBB56_2072
; %bb.1733:
	v_bfe_u32 v3, v2, 20, 1
	s_mov_b32 s21, 0x487ffff
	v_add3_u32 v3, v2, v3, s21
	s_mov_b64 s[10:11], exec
	v_lshrrev_b32_e32 v3, 20, v3
	s_andn2_saveexec_b64 s[12:13], s[12:13]
	s_cbranch_execnz .LBB56_2073
.LBB56_1734:
	s_or_b64 exec, exec, s[12:13]
	v_mov_b32_e32 v5, 0
	s_and_saveexec_b64 s[12:13], s[10:11]
.LBB56_1735:
	v_lshrrev_b32_e32 v5, 24, v2
	s_movk_i32 s10, 0x80
	v_and_or_b32 v5, v5, s10, v3
.LBB56_1736:
	s_or_b64 exec, exec, s[12:13]
.LBB56_1737:
	s_or_b64 exec, exec, s[4:5]
	global_store_byte v[0:1], v5, off
.LBB56_1738:
	s_mov_b64 s[4:5], -1
.LBB56_1739:
	s_mov_b64 s[10:11], 0
.LBB56_1740:
	s_and_b64 vcc, exec, s[10:11]
	s_cbranch_vccz .LBB56_1780
; %bb.1741:
	s_cmp_gt_i32 s15, 22
	s_mov_b64 s[2:3], -1
	s_cbranch_scc0 .LBB56_1773
; %bb.1742:
	s_cmp_lt_i32 s15, 24
	s_cbranch_scc1 .LBB56_1762
; %bb.1743:
	s_cmp_gt_i32 s15, 24
	s_cbranch_scc0 .LBB56_1751
; %bb.1744:
	v_and_b32_e32 v3, 0x7fffffff, v2
	s_mov_b32 s2, 0x47800000
	v_cmp_gt_u32_e32 vcc, s2, v3
	v_mov_b32_e32 v5, 0x80
	s_and_saveexec_b64 s[2:3], vcc
	s_cbranch_execz .LBB56_1750
; %bb.1745:
	s_mov_b32 s4, 0x37ffffff
	v_cmp_lt_u32_e32 vcc, s4, v3
	s_mov_b64 s[4:5], 0
                                        ; implicit-def: $vgpr3
	s_and_saveexec_b64 s[10:11], vcc
	s_xor_b64 s[10:11], exec, s[10:11]
	s_cbranch_execz .LBB56_2075
; %bb.1746:
	v_bfe_u32 v3, v2, 21, 1
	s_mov_b32 s12, 0x88fffff
	v_add3_u32 v3, v2, v3, s12
	s_mov_b64 s[4:5], exec
	v_lshrrev_b32_e32 v3, 21, v3
	s_andn2_saveexec_b64 s[10:11], s[10:11]
	s_cbranch_execnz .LBB56_2076
.LBB56_1747:
	s_or_b64 exec, exec, s[10:11]
	v_mov_b32_e32 v5, 0
	s_and_saveexec_b64 s[10:11], s[4:5]
.LBB56_1748:
	v_lshrrev_b32_e32 v5, 24, v2
	s_movk_i32 s4, 0x80
	v_and_or_b32 v5, v5, s4, v3
.LBB56_1749:
	s_or_b64 exec, exec, s[10:11]
.LBB56_1750:
	s_or_b64 exec, exec, s[2:3]
	s_mov_b64 s[2:3], 0
	global_store_byte v[0:1], v5, off
.LBB56_1751:
	s_and_b64 vcc, exec, s[2:3]
	s_cbranch_vccz .LBB56_1761
; %bb.1752:
	v_and_b32_e32 v5, 0x7fffffff, v2
	s_mov_b32 s2, 0x43f00000
	v_cmp_gt_u32_e32 vcc, s2, v5
                                        ; implicit-def: $vgpr3
	s_and_saveexec_b64 s[2:3], vcc
	s_xor_b64 s[2:3], exec, s[2:3]
	s_cbranch_execz .LBB56_1758
; %bb.1753:
	s_mov_b32 s4, 0x3c7fffff
	v_cmp_lt_u32_e32 vcc, s4, v5
                                        ; implicit-def: $vgpr3
	s_and_saveexec_b64 s[4:5], vcc
	s_xor_b64 s[4:5], exec, s[4:5]
; %bb.1754:
	v_bfe_u32 v3, v2, 20, 1
	s_mov_b32 s10, 0x407ffff
	v_add3_u32 v3, v2, v3, s10
	v_lshrrev_b32_e32 v5, 20, v3
	v_and_b32_e32 v3, 0xff00000, v3
	s_mov_b32 s10, 0x7f00000
	v_mov_b32_e32 v8, 0x7e
	v_cmp_ne_u32_e32 vcc, s10, v3
	v_cndmask_b32_e32 v3, v8, v5, vcc
; %bb.1755:
	s_andn2_saveexec_b64 s[4:5], s[4:5]
; %bb.1756:
	s_mov_b32 s10, 0x46800000
	v_add_f32_e64 v3, |v2|, s10
; %bb.1757:
	s_or_b64 exec, exec, s[4:5]
                                        ; implicit-def: $vgpr5
.LBB56_1758:
	s_andn2_saveexec_b64 s[2:3], s[2:3]
; %bb.1759:
	s_mov_b32 s4, 0x7f800000
	v_mov_b32_e32 v3, 0x7e
	v_mov_b32_e32 v8, 0x7f
	v_cmp_lt_u32_e32 vcc, s4, v5
	v_cndmask_b32_e32 v3, v3, v8, vcc
; %bb.1760:
	s_or_b64 exec, exec, s[2:3]
	v_lshrrev_b32_e32 v5, 24, v2
	s_movk_i32 s2, 0x80
	v_and_or_b32 v3, v5, s2, v3
	global_store_byte v[0:1], v3, off
.LBB56_1761:
	s_mov_b64 s[2:3], 0
.LBB56_1762:
	s_andn2_b64 vcc, exec, s[2:3]
	s_cbranch_vccnz .LBB56_1772
; %bb.1763:
	v_and_b32_e32 v5, 0x7fffffff, v2
	s_mov_b32 s2, 0x47800000
	v_cmp_gt_u32_e32 vcc, s2, v5
                                        ; implicit-def: $vgpr3
	s_and_saveexec_b64 s[2:3], vcc
	s_xor_b64 s[2:3], exec, s[2:3]
	s_cbranch_execz .LBB56_1769
; %bb.1764:
	s_mov_b32 s4, 0x387fffff
	v_cmp_lt_u32_e32 vcc, s4, v5
                                        ; implicit-def: $vgpr3
	s_and_saveexec_b64 s[4:5], vcc
	s_xor_b64 s[4:5], exec, s[4:5]
; %bb.1765:
	v_bfe_u32 v3, v2, 21, 1
	s_mov_b32 s10, 0x80fffff
	v_add3_u32 v3, v2, v3, s10
	v_lshrrev_b32_e32 v3, 21, v3
; %bb.1766:
	s_andn2_saveexec_b64 s[4:5], s[4:5]
; %bb.1767:
	s_mov_b32 s10, 0x43000000
	v_add_f32_e64 v3, |v2|, s10
; %bb.1768:
	s_or_b64 exec, exec, s[4:5]
                                        ; implicit-def: $vgpr5
.LBB56_1769:
	s_andn2_saveexec_b64 s[2:3], s[2:3]
; %bb.1770:
	s_mov_b32 s4, 0x7f800000
	v_mov_b32_e32 v3, 0x7c
	v_mov_b32_e32 v8, 0x7f
	v_cmp_lt_u32_e32 vcc, s4, v5
	v_cndmask_b32_e32 v3, v3, v8, vcc
; %bb.1771:
	s_or_b64 exec, exec, s[2:3]
	v_lshrrev_b32_e32 v5, 24, v2
	s_movk_i32 s2, 0x80
	v_and_or_b32 v3, v5, s2, v3
	global_store_byte v[0:1], v3, off
.LBB56_1772:
	s_mov_b64 s[2:3], 0
	s_mov_b64 s[4:5], -1
.LBB56_1773:
	s_andn2_b64 vcc, exec, s[2:3]
	s_mov_b64 s[2:3], 0
	s_cbranch_vccnz .LBB56_1780
; %bb.1774:
	s_cmp_gt_i32 s15, 14
	s_mov_b64 s[10:11], -1
	s_cbranch_scc0 .LBB56_1778
; %bb.1775:
	s_cmp_eq_u32 s15, 15
	s_mov_b64 s[0:1], -1
	s_cbranch_scc0 .LBB56_1777
; %bb.1776:
	v_bfe_u32 v3, v2, 16, 1
	s_movk_i32 s0, 0x7fff
	v_add3_u32 v3, v2, v3, s0
	v_cmp_o_f32_e32 vcc, v2, v2
	v_mov_b32_e32 v5, 0x7fc0
	v_cndmask_b32_sdwa v3, v5, v3, vcc dst_sel:DWORD dst_unused:UNUSED_PAD src0_sel:DWORD src1_sel:WORD_1
	global_store_short v[0:1], v3, off
	s_mov_b64 s[0:1], 0
	s_mov_b64 s[4:5], -1
.LBB56_1777:
	s_mov_b64 s[10:11], 0
.LBB56_1778:
	s_and_b64 vcc, exec, s[10:11]
	s_cbranch_vccz .LBB56_1780
; %bb.1779:
	s_cmp_lg_u32 s15, 11
	s_mov_b64 s[2:3], -1
	s_cselect_b64 s[0:1], -1, 0
.LBB56_1780:
	s_and_b64 vcc, exec, s[0:1]
	s_cbranch_vccnz .LBB56_2074
; %bb.1781:
	s_andn2_b64 vcc, exec, s[2:3]
	s_cbranch_vccnz .LBB56_1783
.LBB56_1782:
	v_cmp_neq_f32_e32 vcc, 0, v2
	v_cndmask_b32_e64 v3, 0, 1, vcc
	s_mov_b64 s[4:5], -1
	global_store_byte v[0:1], v3, off
.LBB56_1783:
	s_mov_b64 s[0:1], 0
	s_branch .LBB56_1785
.LBB56_1784:
	s_mov_b64 s[0:1], -1
	s_mov_b64 s[4:5], 0
.LBB56_1785:
	s_and_b64 vcc, exec, s[0:1]
	s_cbranch_vccz .LBB56_1824
; %bb.1786:
	s_and_b32 s2, 0xffff, s20
	s_cmp_lt_i32 s2, 5
	s_mov_b64 s[0:1], -1
	s_cbranch_scc1 .LBB56_1807
; %bb.1787:
	s_cmp_lt_i32 s2, 8
	s_cbranch_scc1 .LBB56_1797
; %bb.1788:
	s_cmp_lt_i32 s2, 9
	s_cbranch_scc1 .LBB56_1794
; %bb.1789:
	s_cmp_gt_i32 s2, 9
	s_cbranch_scc0 .LBB56_1791
; %bb.1790:
	v_cvt_f64_f32_e32 v[15:16], v2
	v_mov_b32_e32 v17, 0
	v_mov_b32_e32 v18, v17
	s_mov_b64 s[0:1], 0
	global_store_dwordx4 v[0:1], v[15:18], off
.LBB56_1791:
	s_andn2_b64 vcc, exec, s[0:1]
	s_cbranch_vccnz .LBB56_1793
; %bb.1792:
	v_mov_b32_e32 v3, 0
	global_store_dwordx2 v[0:1], v[2:3], off
.LBB56_1793:
	s_mov_b64 s[0:1], 0
.LBB56_1794:
	s_andn2_b64 vcc, exec, s[0:1]
	s_cbranch_vccnz .LBB56_1796
; %bb.1795:
	v_cvt_f16_f32_e32 v3, v2
	global_store_dword v[0:1], v3, off
.LBB56_1796:
	s_mov_b64 s[0:1], 0
.LBB56_1797:
	s_andn2_b64 vcc, exec, s[0:1]
	s_cbranch_vccnz .LBB56_1806
; %bb.1798:
	s_cmp_lt_i32 s2, 6
	s_mov_b64 s[0:1], -1
	s_cbranch_scc1 .LBB56_1804
; %bb.1799:
	s_cmp_gt_i32 s2, 6
	s_cbranch_scc0 .LBB56_1801
; %bb.1800:
	v_cvt_f64_f32_e32 v[8:9], v2
	s_mov_b64 s[0:1], 0
	global_store_dwordx2 v[0:1], v[8:9], off
.LBB56_1801:
	s_andn2_b64 vcc, exec, s[0:1]
	s_cbranch_vccnz .LBB56_1803
; %bb.1802:
	global_store_dword v[0:1], v2, off
.LBB56_1803:
	s_mov_b64 s[0:1], 0
.LBB56_1804:
	s_andn2_b64 vcc, exec, s[0:1]
	s_cbranch_vccnz .LBB56_1806
; %bb.1805:
	v_cvt_f16_f32_e32 v3, v2
	global_store_short v[0:1], v3, off
.LBB56_1806:
	s_mov_b64 s[0:1], 0
.LBB56_1807:
	s_andn2_b64 vcc, exec, s[0:1]
	s_cbranch_vccnz .LBB56_1823
; %bb.1808:
	s_cmp_lt_i32 s2, 2
	s_mov_b64 s[0:1], -1
	s_cbranch_scc1 .LBB56_1818
; %bb.1809:
	s_cmp_lt_i32 s2, 3
	s_cbranch_scc1 .LBB56_1815
; %bb.1810:
	s_cmp_gt_i32 s2, 3
	s_cbranch_scc0 .LBB56_1812
; %bb.1811:
	v_trunc_f32_e32 v3, v2
	s_mov_b32 s0, 0x2f800000
	v_mul_f32_e64 v5, |v3|, s0
	v_floor_f32_e32 v5, v5
	s_mov_b32 s0, 0xcf800000
	v_cvt_u32_f32_e32 v8, v5
	v_fma_f32 v5, v5, s0, |v3|
	v_cvt_u32_f32_e32 v5, v5
	v_ashrrev_i32_e32 v3, 31, v3
	v_xor_b32_e32 v9, v8, v3
	s_mov_b64 s[0:1], 0
	v_xor_b32_e32 v5, v5, v3
	v_sub_co_u32_e32 v8, vcc, v5, v3
	v_subb_co_u32_e32 v9, vcc, v9, v3, vcc
	global_store_dwordx2 v[0:1], v[8:9], off
.LBB56_1812:
	s_andn2_b64 vcc, exec, s[0:1]
	s_cbranch_vccnz .LBB56_1814
; %bb.1813:
	v_cvt_i32_f32_e32 v3, v2
	global_store_dword v[0:1], v3, off
.LBB56_1814:
	s_mov_b64 s[0:1], 0
.LBB56_1815:
	s_andn2_b64 vcc, exec, s[0:1]
	s_cbranch_vccnz .LBB56_1817
; %bb.1816:
	v_cvt_i32_f32_e32 v3, v2
	global_store_short v[0:1], v3, off
.LBB56_1817:
	s_mov_b64 s[0:1], 0
.LBB56_1818:
	s_andn2_b64 vcc, exec, s[0:1]
	s_cbranch_vccnz .LBB56_1823
; %bb.1819:
	s_cmp_gt_i32 s2, 0
	s_mov_b64 s[0:1], -1
	s_cbranch_scc0 .LBB56_1821
; %bb.1820:
	v_cvt_i32_f32_e32 v3, v2
	s_mov_b64 s[0:1], 0
	global_store_byte v[0:1], v3, off
.LBB56_1821:
	s_andn2_b64 vcc, exec, s[0:1]
	s_cbranch_vccnz .LBB56_1823
; %bb.1822:
	v_trunc_f32_e32 v2, v2
	s_mov_b32 s0, 0x2f800000
	v_mul_f32_e64 v3, |v2|, s0
	v_floor_f32_e32 v3, v3
	s_mov_b32 s0, 0xcf800000
	v_fma_f32 v3, v3, s0, |v2|
	v_cvt_u32_f32_e32 v3, v3
	v_ashrrev_i32_e32 v2, 31, v2
	v_xor_b32_e32 v3, v3, v2
	v_sub_u32_e32 v2, v3, v2
	global_store_byte v[0:1], v2, off
.LBB56_1823:
	s_mov_b64 s[4:5], -1
.LBB56_1824:
	s_andn2_b64 vcc, exec, s[4:5]
	s_cbranch_vccnz .LBB56_2020
; %bb.1825:
	v_mul_f32_e32 v0, v6, v6
	v_div_scale_f32 v3, s[0:1], v0, v0, 1.0
	v_add_f32_e32 v2, 1.0, v6
	v_mul_f32_e32 v1, v2, v2
	v_div_scale_f32 v6, s[0:1], v1, v1, 1.0
	v_div_scale_f32 v5, vcc, 1.0, v0, 1.0
	v_add_f32_e32 v8, 1.0, v2
	v_div_scale_f32 v9, s[0:1], 1.0, v1, 1.0
	v_mul_f32_e32 v2, v8, v8
	v_div_scale_f32 v10, s[2:3], v2, v2, 1.0
	v_div_scale_f32 v17, s[2:3], 1.0, v2, 1.0
	v_rcp_f32_e32 v15, v3
	v_add_f32_e32 v8, 1.0, v8
	v_add_u32_e32 v4, s14, v4
	s_cmp_lt_i32 s20, 11
	v_rcp_f32_e32 v16, v6
	v_fma_f32 v18, -v3, v15, 1.0
	v_fmac_f32_e32 v15, v18, v15
	v_mul_f32_e32 v19, v5, v15
	v_fma_f32 v20, -v3, v19, v5
	v_fma_f32 v18, -v6, v16, 1.0
	v_fmac_f32_e32 v19, v20, v15
	v_fma_f32 v3, -v3, v19, v5
	v_fmac_f32_e32 v16, v18, v16
	v_div_fmas_f32 v3, v3, v15, v19
	v_mul_f32_e32 v15, v9, v16
	v_fma_f32 v5, -v6, v15, v9
	v_rcp_f32_e32 v18, v10
	v_fmac_f32_e32 v15, v5, v16
	v_mul_f32_e32 v5, v8, v8
	v_div_scale_f32 v19, s[4:5], v5, v5, 1.0
	v_fma_f32 v6, -v6, v15, v9
	v_fma_f32 v9, -v10, v18, 1.0
	v_fmac_f32_e32 v18, v9, v18
	s_mov_b64 vcc, s[0:1]
	v_mul_f32_e32 v9, v17, v18
	v_div_fmas_f32 v6, v6, v16, v15
	v_fma_f32 v15, -v10, v9, v17
	v_fmac_f32_e32 v9, v15, v18
	v_div_scale_f32 v15, s[0:1], 1.0, v5, 1.0
	v_add_f32_e32 v16, 1.0, v8
	v_mul_f32_e32 v8, v16, v16
	v_div_scale_f32 v20, s[4:5], v8, v8, 1.0
	v_fma_f32 v10, -v10, v9, v17
	s_mov_b64 vcc, s[2:3]
	v_div_fmas_f32 v9, v10, v18, v9
	v_div_scale_f32 v10, s[2:3], 1.0, v8, 1.0
	v_rcp_f32_e32 v17, v19
	v_add_f32_e32 v16, 1.0, v16
	v_mul_f32_e32 v21, v16, v16
	v_div_scale_f32 v22, s[4:5], v21, v21, 1.0
	v_fma_f32 v18, -v19, v17, 1.0
	v_fmac_f32_e32 v17, v18, v17
	v_mul_f32_e32 v18, v15, v17
	v_fma_f32 v23, -v19, v18, v15
	v_fmac_f32_e32 v18, v23, v17
	v_rcp_f32_e32 v23, v20
	v_fma_f32 v15, -v19, v18, v15
	s_mov_b64 vcc, s[0:1]
	v_div_fmas_f32 v15, v15, v17, v18
	v_fma_f32 v17, -v20, v23, 1.0
	v_fmac_f32_e32 v23, v17, v23
	v_mul_f32_e32 v17, v10, v23
	v_fma_f32 v18, -v20, v17, v10
	v_fmac_f32_e32 v17, v18, v23
	v_div_scale_f32 v18, s[0:1], 1.0, v21, 1.0
	v_add_f32_e32 v16, 1.0, v16
	v_mul_f32_e32 v24, v16, v16
	v_div_scale_f32 v25, s[4:5], v24, v24, 1.0
	v_rcp_f32_e32 v19, v22
	v_fma_f32 v10, -v20, v17, v10
	s_mov_b64 vcc, s[2:3]
	v_div_scale_f32 v20, s[2:3], 1.0, v24, 1.0
	v_div_fmas_f32 v10, v10, v23, v17
	v_add_f32_e32 v23, v16, v16
	v_div_scale_f32 v26, s[4:5], v23, v23, 1.0
	v_fma_f32 v17, -v22, v19, 1.0
	v_fmac_f32_e32 v19, v17, v19
	v_mul_f32_e32 v17, v18, v19
	v_fma_f32 v27, -v22, v17, v18
	v_fmac_f32_e32 v17, v27, v19
	v_div_scale_f32 v27, s[4:5], 1.0, v23, 1.0
	v_rcp_f32_e32 v28, v25
	v_fma_f32 v18, -v22, v17, v18
	s_mov_b64 vcc, s[0:1]
	v_div_fmas_f32 v17, v18, v19, v17
	v_fma_f32 v18, -v25, v28, 1.0
	v_fmac_f32_e32 v28, v18, v28
	v_mul_f32_e32 v18, v20, v28
	v_fma_f32 v19, -v25, v18, v20
	v_fmac_f32_e32 v18, v19, v28
	v_rcp_f32_e32 v19, v26
	v_fma_f32 v20, -v25, v18, v20
	s_mov_b64 vcc, s[2:3]
	v_div_fmas_f32 v18, v20, v28, v18
	v_fma_f32 v20, -v26, v19, 1.0
	v_fmac_f32_e32 v19, v20, v19
	v_mul_f32_e32 v20, v27, v19
	v_fma_f32 v22, -v26, v20, v27
	v_fmac_f32_e32 v20, v22, v19
	v_fma_f32 v22, -v26, v20, v27
	s_mov_b64 vcc, s[4:5]
	v_div_fmas_f32 v19, v22, v19, v20
	v_mov_b32_e32 v20, 0x3d088889
	s_mov_b32 s0, 0x3e2aaaab
	v_div_fixup_f32 v0, v3, v0, 1.0
	v_add_f32_e32 v0, v12, v0
	v_div_fixup_f32 v1, v6, v1, 1.0
	v_add_f32_e32 v0, v0, v1
	v_div_fixup_f32 v1, v9, v2, 1.0
	v_div_fixup_f32 v18, v18, v24, 1.0
	v_fmac_f32_e32 v20, 0xbcc30c31, v18
	v_fma_f32 v20, -v18, v20, s0
	v_add_f32_e32 v0, v0, v1
	v_div_fixup_f32 v1, v15, v5, 1.0
	v_add_f32_e32 v0, v0, v1
	v_div_fixup_f32 v1, v10, v8, 1.0
	;; [unrolled: 2-line block ×3, first 2 shown]
	v_add_f32_e32 v19, 1.0, v19
	v_fmac_f32_e32 v19, v18, v20
	v_div_scale_f32 v18, s[0:1], v16, v16, v19
	v_div_scale_f32 v20, vcc, v19, v16, v19
	v_div_fixup_f32 v1, v17, v21, 1.0
	v_add_f32_e32 v0, v0, v1
	v_mov_b32_e32 v3, s9
	v_rcp_f32_e32 v22, v18
	v_fma_f32 v23, -v18, v22, 1.0
	v_fmac_f32_e32 v22, v23, v22
	v_mul_f32_e32 v23, v20, v22
	v_fma_f32 v24, -v18, v23, v20
	v_fmac_f32_e32 v23, v24, v22
	v_fma_f32 v18, -v18, v23, v20
	v_div_fmas_f32 v18, v18, v22, v23
	v_div_fixup_f32 v1, v18, v16, v19
	v_add_f32_e32 v0, v0, v1
	v_mul_f32_e32 v2, v11, v0
	v_ashrrev_i32_e32 v1, 31, v4
	v_add_co_u32_e32 v0, vcc, s8, v4
	v_addc_co_u32_e32 v1, vcc, v3, v1, vcc
	s_cbranch_scc1 .LBB56_1903
; %bb.1826:
	s_and_b32 s15, 0xffff, s20
	s_mov_b64 s[10:11], -1
	s_mov_b64 s[2:3], 0
	s_cmp_gt_i32 s15, 25
	s_mov_b64 s[4:5], 0
	s_mov_b64 s[0:1], 0
	s_cbranch_scc0 .LBB56_1859
; %bb.1827:
	s_cmp_gt_i32 s15, 28
	s_cbranch_scc0 .LBB56_1842
; %bb.1828:
	s_cmp_gt_i32 s15, 43
	;; [unrolled: 3-line block ×3, first 2 shown]
	s_cbranch_scc0 .LBB56_1832
; %bb.1830:
	s_mov_b64 s[0:1], -1
	s_mov_b64 s[10:11], 0
	s_cmp_eq_u32 s15, 46
	s_cbranch_scc0 .LBB56_1832
; %bb.1831:
	v_bfe_u32 v3, v2, 16, 1
	s_movk_i32 s0, 0x7fff
	v_add3_u32 v3, v2, v3, s0
	v_cmp_o_f32_e32 vcc, v2, v2
	v_mov_b32_e32 v5, 0x7fc0
	v_cndmask_b32_sdwa v3, v5, v3, vcc dst_sel:DWORD dst_unused:UNUSED_PAD src0_sel:DWORD src1_sel:WORD_1
	global_store_dword v[0:1], v3, off
	s_mov_b64 s[0:1], 0
	s_mov_b64 s[4:5], -1
.LBB56_1832:
	s_and_b64 vcc, exec, s[10:11]
	s_cbranch_vccz .LBB56_1837
; %bb.1833:
	s_cmp_eq_u32 s15, 44
	s_mov_b64 s[0:1], -1
	s_cbranch_scc0 .LBB56_1837
; %bb.1834:
	v_bfe_u32 v3, v2, 23, 8
	s_movk_i32 s0, 0xff
	v_cmp_ne_u32_e32 vcc, s0, v3
	v_mov_b32_e32 v5, 0xff
	s_and_saveexec_b64 s[4:5], vcc
; %bb.1835:
	s_mov_b32 s0, 0x3fffff
	v_and_b32_e32 v6, 0x400000, v2
	v_and_or_b32 v3, v2, s0, v3
	v_cmp_ne_u32_e32 vcc, 0, v6
	v_cmp_ne_u32_e64 s[0:1], 0, v3
	s_and_b64 s[0:1], vcc, s[0:1]
	v_lshrrev_b32_e32 v5, 23, v2
	v_cndmask_b32_e64 v3, 0, 1, s[0:1]
	v_add_u32_e32 v5, v5, v3
; %bb.1836:
	s_or_b64 exec, exec, s[4:5]
	s_mov_b64 s[0:1], 0
	s_mov_b64 s[4:5], -1
	global_store_byte v[0:1], v5, off
.LBB56_1837:
	s_mov_b64 s[10:11], 0
.LBB56_1838:
	s_and_b64 vcc, exec, s[10:11]
	s_cbranch_vccz .LBB56_1841
; %bb.1839:
	s_cmp_eq_u32 s15, 29
	s_mov_b64 s[0:1], -1
	s_cbranch_scc0 .LBB56_1841
; %bb.1840:
	v_trunc_f32_e32 v3, v2
	v_mul_f32_e32 v5, 0x2f800000, v3
	v_floor_f32_e32 v5, v5
	v_fmac_f32_e32 v3, 0xcf800000, v5
	v_cvt_u32_f32_e32 v6, v5
	v_cvt_u32_f32_e32 v5, v3
	s_mov_b64 s[0:1], 0
	s_mov_b64 s[4:5], -1
	global_store_dwordx2 v[0:1], v[5:6], off
.LBB56_1841:
	s_mov_b64 s[10:11], 0
.LBB56_1842:
	s_and_b64 vcc, exec, s[10:11]
	s_cbranch_vccz .LBB56_1858
; %bb.1843:
	s_cmp_lt_i32 s15, 27
	s_mov_b64 s[4:5], -1
	s_cbranch_scc1 .LBB56_1849
; %bb.1844:
	v_cvt_u32_f32_e32 v3, v2
	s_cmp_gt_i32 s15, 27
	s_cbranch_scc0 .LBB56_1846
; %bb.1845:
	s_mov_b64 s[4:5], 0
	global_store_dword v[0:1], v3, off
.LBB56_1846:
	s_andn2_b64 vcc, exec, s[4:5]
	s_cbranch_vccnz .LBB56_1848
; %bb.1847:
	global_store_short v[0:1], v3, off
.LBB56_1848:
	s_mov_b64 s[4:5], 0
.LBB56_1849:
	s_andn2_b64 vcc, exec, s[4:5]
	s_cbranch_vccnz .LBB56_1857
; %bb.1850:
	v_and_b32_e32 v3, 0x7fffffff, v2
	s_mov_b32 s4, 0x43800000
	v_cmp_gt_u32_e32 vcc, s4, v3
	v_mov_b32_e32 v5, 0x80
	s_and_saveexec_b64 s[4:5], vcc
	s_cbranch_execz .LBB56_1856
; %bb.1851:
	s_mov_b32 s10, 0x3bffffff
	v_cmp_lt_u32_e32 vcc, s10, v3
	s_mov_b64 s[10:11], 0
                                        ; implicit-def: $vgpr3
	s_and_saveexec_b64 s[12:13], vcc
	s_xor_b64 s[12:13], exec, s[12:13]
	s_cbranch_execz .LBB56_2077
; %bb.1852:
	v_bfe_u32 v3, v2, 20, 1
	s_mov_b32 s21, 0x487ffff
	v_add3_u32 v3, v2, v3, s21
	s_mov_b64 s[10:11], exec
	v_lshrrev_b32_e32 v3, 20, v3
	s_andn2_saveexec_b64 s[12:13], s[12:13]
	s_cbranch_execnz .LBB56_2078
.LBB56_1853:
	s_or_b64 exec, exec, s[12:13]
	v_mov_b32_e32 v5, 0
	s_and_saveexec_b64 s[12:13], s[10:11]
.LBB56_1854:
	v_lshrrev_b32_e32 v5, 24, v2
	s_movk_i32 s10, 0x80
	v_and_or_b32 v5, v5, s10, v3
.LBB56_1855:
	s_or_b64 exec, exec, s[12:13]
.LBB56_1856:
	s_or_b64 exec, exec, s[4:5]
	global_store_byte v[0:1], v5, off
.LBB56_1857:
	s_mov_b64 s[4:5], -1
.LBB56_1858:
	s_mov_b64 s[10:11], 0
.LBB56_1859:
	s_and_b64 vcc, exec, s[10:11]
	s_cbranch_vccz .LBB56_1899
; %bb.1860:
	s_cmp_gt_i32 s15, 22
	s_mov_b64 s[2:3], -1
	s_cbranch_scc0 .LBB56_1892
; %bb.1861:
	s_cmp_lt_i32 s15, 24
	s_cbranch_scc1 .LBB56_1881
; %bb.1862:
	s_cmp_gt_i32 s15, 24
	s_cbranch_scc0 .LBB56_1870
; %bb.1863:
	v_and_b32_e32 v3, 0x7fffffff, v2
	s_mov_b32 s2, 0x47800000
	v_cmp_gt_u32_e32 vcc, s2, v3
	v_mov_b32_e32 v5, 0x80
	s_and_saveexec_b64 s[2:3], vcc
	s_cbranch_execz .LBB56_1869
; %bb.1864:
	s_mov_b32 s4, 0x37ffffff
	v_cmp_lt_u32_e32 vcc, s4, v3
	s_mov_b64 s[4:5], 0
                                        ; implicit-def: $vgpr3
	s_and_saveexec_b64 s[10:11], vcc
	s_xor_b64 s[10:11], exec, s[10:11]
	s_cbranch_execz .LBB56_2080
; %bb.1865:
	v_bfe_u32 v3, v2, 21, 1
	s_mov_b32 s12, 0x88fffff
	v_add3_u32 v3, v2, v3, s12
	s_mov_b64 s[4:5], exec
	v_lshrrev_b32_e32 v3, 21, v3
	s_andn2_saveexec_b64 s[10:11], s[10:11]
	s_cbranch_execnz .LBB56_2081
.LBB56_1866:
	s_or_b64 exec, exec, s[10:11]
	v_mov_b32_e32 v5, 0
	s_and_saveexec_b64 s[10:11], s[4:5]
.LBB56_1867:
	v_lshrrev_b32_e32 v5, 24, v2
	s_movk_i32 s4, 0x80
	v_and_or_b32 v5, v5, s4, v3
.LBB56_1868:
	s_or_b64 exec, exec, s[10:11]
.LBB56_1869:
	s_or_b64 exec, exec, s[2:3]
	s_mov_b64 s[2:3], 0
	global_store_byte v[0:1], v5, off
.LBB56_1870:
	s_and_b64 vcc, exec, s[2:3]
	s_cbranch_vccz .LBB56_1880
; %bb.1871:
	v_and_b32_e32 v5, 0x7fffffff, v2
	s_mov_b32 s2, 0x43f00000
	v_cmp_gt_u32_e32 vcc, s2, v5
                                        ; implicit-def: $vgpr3
	s_and_saveexec_b64 s[2:3], vcc
	s_xor_b64 s[2:3], exec, s[2:3]
	s_cbranch_execz .LBB56_1877
; %bb.1872:
	s_mov_b32 s4, 0x3c7fffff
	v_cmp_lt_u32_e32 vcc, s4, v5
                                        ; implicit-def: $vgpr3
	s_and_saveexec_b64 s[4:5], vcc
	s_xor_b64 s[4:5], exec, s[4:5]
; %bb.1873:
	v_bfe_u32 v3, v2, 20, 1
	s_mov_b32 s10, 0x407ffff
	v_add3_u32 v3, v2, v3, s10
	v_lshrrev_b32_e32 v5, 20, v3
	v_and_b32_e32 v3, 0xff00000, v3
	s_mov_b32 s10, 0x7f00000
	v_mov_b32_e32 v6, 0x7e
	v_cmp_ne_u32_e32 vcc, s10, v3
	v_cndmask_b32_e32 v3, v6, v5, vcc
; %bb.1874:
	s_andn2_saveexec_b64 s[4:5], s[4:5]
; %bb.1875:
	s_mov_b32 s10, 0x46800000
	v_add_f32_e64 v3, |v2|, s10
; %bb.1876:
	s_or_b64 exec, exec, s[4:5]
                                        ; implicit-def: $vgpr5
.LBB56_1877:
	s_andn2_saveexec_b64 s[2:3], s[2:3]
; %bb.1878:
	s_mov_b32 s4, 0x7f800000
	v_mov_b32_e32 v3, 0x7e
	v_mov_b32_e32 v6, 0x7f
	v_cmp_lt_u32_e32 vcc, s4, v5
	v_cndmask_b32_e32 v3, v3, v6, vcc
; %bb.1879:
	s_or_b64 exec, exec, s[2:3]
	v_lshrrev_b32_e32 v5, 24, v2
	s_movk_i32 s2, 0x80
	v_and_or_b32 v3, v5, s2, v3
	global_store_byte v[0:1], v3, off
.LBB56_1880:
	s_mov_b64 s[2:3], 0
.LBB56_1881:
	s_andn2_b64 vcc, exec, s[2:3]
	s_cbranch_vccnz .LBB56_1891
; %bb.1882:
	v_and_b32_e32 v5, 0x7fffffff, v2
	s_mov_b32 s2, 0x47800000
	v_cmp_gt_u32_e32 vcc, s2, v5
                                        ; implicit-def: $vgpr3
	s_and_saveexec_b64 s[2:3], vcc
	s_xor_b64 s[2:3], exec, s[2:3]
	s_cbranch_execz .LBB56_1888
; %bb.1883:
	s_mov_b32 s4, 0x387fffff
	v_cmp_lt_u32_e32 vcc, s4, v5
                                        ; implicit-def: $vgpr3
	s_and_saveexec_b64 s[4:5], vcc
	s_xor_b64 s[4:5], exec, s[4:5]
; %bb.1884:
	v_bfe_u32 v3, v2, 21, 1
	s_mov_b32 s10, 0x80fffff
	v_add3_u32 v3, v2, v3, s10
	v_lshrrev_b32_e32 v3, 21, v3
; %bb.1885:
	s_andn2_saveexec_b64 s[4:5], s[4:5]
; %bb.1886:
	s_mov_b32 s10, 0x43000000
	v_add_f32_e64 v3, |v2|, s10
; %bb.1887:
	s_or_b64 exec, exec, s[4:5]
                                        ; implicit-def: $vgpr5
.LBB56_1888:
	s_andn2_saveexec_b64 s[2:3], s[2:3]
; %bb.1889:
	s_mov_b32 s4, 0x7f800000
	v_mov_b32_e32 v3, 0x7c
	v_mov_b32_e32 v6, 0x7f
	v_cmp_lt_u32_e32 vcc, s4, v5
	v_cndmask_b32_e32 v3, v3, v6, vcc
; %bb.1890:
	s_or_b64 exec, exec, s[2:3]
	v_lshrrev_b32_e32 v5, 24, v2
	s_movk_i32 s2, 0x80
	v_and_or_b32 v3, v5, s2, v3
	global_store_byte v[0:1], v3, off
.LBB56_1891:
	s_mov_b64 s[2:3], 0
	s_mov_b64 s[4:5], -1
.LBB56_1892:
	s_andn2_b64 vcc, exec, s[2:3]
	s_mov_b64 s[2:3], 0
	s_cbranch_vccnz .LBB56_1899
; %bb.1893:
	s_cmp_gt_i32 s15, 14
	s_mov_b64 s[10:11], -1
	s_cbranch_scc0 .LBB56_1897
; %bb.1894:
	s_cmp_eq_u32 s15, 15
	s_mov_b64 s[0:1], -1
	s_cbranch_scc0 .LBB56_1896
; %bb.1895:
	v_bfe_u32 v3, v2, 16, 1
	s_movk_i32 s0, 0x7fff
	v_add3_u32 v3, v2, v3, s0
	v_cmp_o_f32_e32 vcc, v2, v2
	v_mov_b32_e32 v5, 0x7fc0
	v_cndmask_b32_sdwa v3, v5, v3, vcc dst_sel:DWORD dst_unused:UNUSED_PAD src0_sel:DWORD src1_sel:WORD_1
	global_store_short v[0:1], v3, off
	s_mov_b64 s[0:1], 0
	s_mov_b64 s[4:5], -1
.LBB56_1896:
	s_mov_b64 s[10:11], 0
.LBB56_1897:
	s_and_b64 vcc, exec, s[10:11]
	s_cbranch_vccz .LBB56_1899
; %bb.1898:
	s_cmp_lg_u32 s15, 11
	s_mov_b64 s[2:3], -1
	s_cselect_b64 s[0:1], -1, 0
.LBB56_1899:
	s_and_b64 vcc, exec, s[0:1]
	s_cbranch_vccnz .LBB56_2079
; %bb.1900:
	s_andn2_b64 vcc, exec, s[2:3]
	s_cbranch_vccnz .LBB56_1902
.LBB56_1901:
	v_cmp_neq_f32_e32 vcc, 0, v2
	v_cndmask_b32_e64 v3, 0, 1, vcc
	s_mov_b64 s[4:5], -1
	global_store_byte v[0:1], v3, off
.LBB56_1902:
	s_mov_b64 s[0:1], 0
	s_branch .LBB56_1904
.LBB56_1903:
	s_mov_b64 s[0:1], -1
	s_mov_b64 s[4:5], 0
.LBB56_1904:
	s_and_b64 vcc, exec, s[0:1]
	s_cbranch_vccz .LBB56_1943
; %bb.1905:
	s_and_b32 s2, 0xffff, s20
	s_cmp_lt_i32 s2, 5
	s_mov_b64 s[0:1], -1
	s_cbranch_scc1 .LBB56_1926
; %bb.1906:
	s_cmp_lt_i32 s2, 8
	s_cbranch_scc1 .LBB56_1916
; %bb.1907:
	s_cmp_lt_i32 s2, 9
	s_cbranch_scc1 .LBB56_1913
; %bb.1908:
	s_cmp_gt_i32 s2, 9
	s_cbranch_scc0 .LBB56_1910
; %bb.1909:
	v_cvt_f64_f32_e32 v[8:9], v2
	v_mov_b32_e32 v10, 0
	v_mov_b32_e32 v11, v10
	s_mov_b64 s[0:1], 0
	global_store_dwordx4 v[0:1], v[8:11], off
.LBB56_1910:
	s_andn2_b64 vcc, exec, s[0:1]
	s_cbranch_vccnz .LBB56_1912
; %bb.1911:
	v_mov_b32_e32 v3, 0
	global_store_dwordx2 v[0:1], v[2:3], off
.LBB56_1912:
	s_mov_b64 s[0:1], 0
.LBB56_1913:
	s_andn2_b64 vcc, exec, s[0:1]
	s_cbranch_vccnz .LBB56_1915
; %bb.1914:
	v_cvt_f16_f32_e32 v3, v2
	global_store_dword v[0:1], v3, off
.LBB56_1915:
	s_mov_b64 s[0:1], 0
.LBB56_1916:
	s_andn2_b64 vcc, exec, s[0:1]
	s_cbranch_vccnz .LBB56_1925
; %bb.1917:
	s_cmp_lt_i32 s2, 6
	s_mov_b64 s[0:1], -1
	s_cbranch_scc1 .LBB56_1923
; %bb.1918:
	s_cmp_gt_i32 s2, 6
	s_cbranch_scc0 .LBB56_1920
; %bb.1919:
	v_cvt_f64_f32_e32 v[5:6], v2
	s_mov_b64 s[0:1], 0
	global_store_dwordx2 v[0:1], v[5:6], off
.LBB56_1920:
	s_andn2_b64 vcc, exec, s[0:1]
	s_cbranch_vccnz .LBB56_1922
; %bb.1921:
	global_store_dword v[0:1], v2, off
.LBB56_1922:
	s_mov_b64 s[0:1], 0
.LBB56_1923:
	s_andn2_b64 vcc, exec, s[0:1]
	s_cbranch_vccnz .LBB56_1925
; %bb.1924:
	v_cvt_f16_f32_e32 v3, v2
	global_store_short v[0:1], v3, off
.LBB56_1925:
	s_mov_b64 s[0:1], 0
.LBB56_1926:
	s_andn2_b64 vcc, exec, s[0:1]
	s_cbranch_vccnz .LBB56_1942
; %bb.1927:
	s_cmp_lt_i32 s2, 2
	s_mov_b64 s[0:1], -1
	s_cbranch_scc1 .LBB56_1937
; %bb.1928:
	s_cmp_lt_i32 s2, 3
	s_cbranch_scc1 .LBB56_1934
; %bb.1929:
	s_cmp_gt_i32 s2, 3
	s_cbranch_scc0 .LBB56_1931
; %bb.1930:
	v_trunc_f32_e32 v3, v2
	s_mov_b32 s0, 0x2f800000
	v_mul_f32_e64 v5, |v3|, s0
	v_floor_f32_e32 v5, v5
	s_mov_b32 s0, 0xcf800000
	v_cvt_u32_f32_e32 v6, v5
	v_fma_f32 v5, v5, s0, |v3|
	v_cvt_u32_f32_e32 v5, v5
	v_ashrrev_i32_e32 v3, 31, v3
	v_xor_b32_e32 v6, v6, v3
	s_mov_b64 s[0:1], 0
	v_xor_b32_e32 v5, v5, v3
	v_sub_co_u32_e32 v5, vcc, v5, v3
	v_subb_co_u32_e32 v6, vcc, v6, v3, vcc
	global_store_dwordx2 v[0:1], v[5:6], off
.LBB56_1931:
	s_andn2_b64 vcc, exec, s[0:1]
	s_cbranch_vccnz .LBB56_1933
; %bb.1932:
	v_cvt_i32_f32_e32 v3, v2
	global_store_dword v[0:1], v3, off
.LBB56_1933:
	s_mov_b64 s[0:1], 0
.LBB56_1934:
	s_andn2_b64 vcc, exec, s[0:1]
	s_cbranch_vccnz .LBB56_1936
; %bb.1935:
	v_cvt_i32_f32_e32 v3, v2
	global_store_short v[0:1], v3, off
.LBB56_1936:
	s_mov_b64 s[0:1], 0
.LBB56_1937:
	s_andn2_b64 vcc, exec, s[0:1]
	s_cbranch_vccnz .LBB56_1942
; %bb.1938:
	s_cmp_gt_i32 s2, 0
	s_mov_b64 s[0:1], -1
	s_cbranch_scc0 .LBB56_1940
; %bb.1939:
	v_cvt_i32_f32_e32 v3, v2
	s_mov_b64 s[0:1], 0
	global_store_byte v[0:1], v3, off
.LBB56_1940:
	s_andn2_b64 vcc, exec, s[0:1]
	s_cbranch_vccnz .LBB56_1942
; %bb.1941:
	v_trunc_f32_e32 v2, v2
	s_mov_b32 s0, 0x2f800000
	v_mul_f32_e64 v3, |v2|, s0
	v_floor_f32_e32 v3, v3
	s_mov_b32 s0, 0xcf800000
	v_fma_f32 v3, v3, s0, |v2|
	v_cvt_u32_f32_e32 v3, v3
	v_ashrrev_i32_e32 v2, 31, v2
	v_xor_b32_e32 v3, v3, v2
	v_sub_u32_e32 v2, v3, v2
	global_store_byte v[0:1], v2, off
.LBB56_1942:
	s_mov_b64 s[4:5], -1
.LBB56_1943:
	s_andn2_b64 vcc, exec, s[4:5]
	s_cbranch_vccnz .LBB56_2020
; %bb.1944:
	v_mul_f32_e32 v0, v7, v7
	v_div_scale_f32 v3, s[0:1], v0, v0, 1.0
	v_add_f32_e32 v2, 1.0, v7
	v_mul_f32_e32 v1, v2, v2
	v_div_scale_f32 v6, s[0:1], v1, v1, 1.0
	v_div_scale_f32 v5, vcc, 1.0, v0, 1.0
	v_add_f32_e32 v7, 1.0, v2
	v_div_scale_f32 v8, s[0:1], 1.0, v1, 1.0
	v_mul_f32_e32 v2, v7, v7
	v_div_scale_f32 v9, s[2:3], v2, v2, 1.0
	v_div_scale_f32 v12, s[2:3], 1.0, v2, 1.0
	v_rcp_f32_e32 v10, v3
	v_add_f32_e32 v7, 1.0, v7
	s_cmp_lt_i32 s20, 11
	v_rcp_f32_e32 v11, v6
	v_fma_f32 v15, -v3, v10, 1.0
	v_fmac_f32_e32 v10, v15, v10
	v_mul_f32_e32 v16, v5, v10
	v_fma_f32 v17, -v3, v16, v5
	v_fma_f32 v15, -v6, v11, 1.0
	v_fmac_f32_e32 v16, v17, v10
	v_fma_f32 v3, -v3, v16, v5
	v_fmac_f32_e32 v11, v15, v11
	v_div_fmas_f32 v3, v3, v10, v16
	v_mul_f32_e32 v10, v8, v11
	v_fma_f32 v5, -v6, v10, v8
	v_rcp_f32_e32 v15, v9
	v_fmac_f32_e32 v10, v5, v11
	v_mul_f32_e32 v5, v7, v7
	v_div_scale_f32 v16, s[4:5], v5, v5, 1.0
	v_fma_f32 v6, -v6, v10, v8
	v_fma_f32 v8, -v9, v15, 1.0
	v_fmac_f32_e32 v15, v8, v15
	s_mov_b64 vcc, s[0:1]
	v_mul_f32_e32 v8, v12, v15
	v_div_fmas_f32 v6, v6, v11, v10
	v_fma_f32 v10, -v9, v8, v12
	v_fmac_f32_e32 v8, v10, v15
	v_div_scale_f32 v10, s[0:1], 1.0, v5, 1.0
	v_add_f32_e32 v11, 1.0, v7
	v_mul_f32_e32 v7, v11, v11
	v_div_scale_f32 v17, s[4:5], v7, v7, 1.0
	v_fma_f32 v9, -v9, v8, v12
	s_mov_b64 vcc, s[2:3]
	v_div_fmas_f32 v8, v9, v15, v8
	v_div_scale_f32 v9, s[2:3], 1.0, v7, 1.0
	v_rcp_f32_e32 v12, v16
	v_add_f32_e32 v11, 1.0, v11
	v_mul_f32_e32 v18, v11, v11
	v_div_scale_f32 v19, s[4:5], v18, v18, 1.0
	v_fma_f32 v15, -v16, v12, 1.0
	v_fmac_f32_e32 v12, v15, v12
	v_mul_f32_e32 v15, v10, v12
	v_fma_f32 v20, -v16, v15, v10
	v_fmac_f32_e32 v15, v20, v12
	v_rcp_f32_e32 v20, v17
	v_fma_f32 v10, -v16, v15, v10
	s_mov_b64 vcc, s[0:1]
	v_div_fmas_f32 v10, v10, v12, v15
	v_fma_f32 v12, -v17, v20, 1.0
	v_fmac_f32_e32 v20, v12, v20
	v_mul_f32_e32 v12, v9, v20
	v_fma_f32 v15, -v17, v12, v9
	v_fmac_f32_e32 v12, v15, v20
	v_div_scale_f32 v15, s[0:1], 1.0, v18, 1.0
	v_add_f32_e32 v11, 1.0, v11
	v_mul_f32_e32 v21, v11, v11
	v_div_scale_f32 v22, s[4:5], v21, v21, 1.0
	v_rcp_f32_e32 v16, v19
	v_fma_f32 v9, -v17, v12, v9
	s_mov_b64 vcc, s[2:3]
	v_div_scale_f32 v17, s[2:3], 1.0, v21, 1.0
	v_div_fmas_f32 v9, v9, v20, v12
	v_add_f32_e32 v20, v11, v11
	v_div_scale_f32 v23, s[4:5], v20, v20, 1.0
	v_fma_f32 v12, -v19, v16, 1.0
	v_fmac_f32_e32 v16, v12, v16
	v_mul_f32_e32 v12, v15, v16
	v_fma_f32 v24, -v19, v12, v15
	v_fmac_f32_e32 v12, v24, v16
	v_div_scale_f32 v24, s[4:5], 1.0, v20, 1.0
	v_rcp_f32_e32 v25, v22
	v_fma_f32 v15, -v19, v12, v15
	s_mov_b64 vcc, s[0:1]
	v_div_fmas_f32 v12, v15, v16, v12
	v_fma_f32 v15, -v22, v25, 1.0
	v_fmac_f32_e32 v25, v15, v25
	v_mul_f32_e32 v15, v17, v25
	v_fma_f32 v16, -v22, v15, v17
	v_fmac_f32_e32 v15, v16, v25
	v_rcp_f32_e32 v16, v23
	v_fma_f32 v17, -v22, v15, v17
	s_mov_b64 vcc, s[2:3]
	v_div_fmas_f32 v15, v17, v25, v15
	v_fma_f32 v17, -v23, v16, 1.0
	v_fmac_f32_e32 v16, v17, v16
	v_mul_f32_e32 v17, v24, v16
	v_fma_f32 v19, -v23, v17, v24
	v_fmac_f32_e32 v17, v19, v16
	v_fma_f32 v19, -v23, v17, v24
	s_mov_b64 vcc, s[4:5]
	v_div_fmas_f32 v16, v19, v16, v17
	v_mov_b32_e32 v17, 0x3d088889
	s_mov_b32 s0, 0x3e2aaaab
	v_div_fixup_f32 v0, v3, v0, 1.0
	v_add_f32_e32 v0, v14, v0
	v_div_fixup_f32 v1, v6, v1, 1.0
	v_add_f32_e32 v0, v0, v1
	v_div_fixup_f32 v1, v8, v2, 1.0
	v_div_fixup_f32 v15, v15, v21, 1.0
	v_fmac_f32_e32 v17, 0xbcc30c31, v15
	v_fma_f32 v17, -v15, v17, s0
	v_add_f32_e32 v0, v0, v1
	v_div_fixup_f32 v1, v10, v5, 1.0
	v_add_f32_e32 v0, v0, v1
	v_div_fixup_f32 v1, v9, v7, 1.0
	;; [unrolled: 2-line block ×3, first 2 shown]
	v_add_f32_e32 v16, 1.0, v16
	v_fmac_f32_e32 v16, v15, v17
	v_div_scale_f32 v15, s[0:1], v11, v11, v16
	v_div_scale_f32 v17, vcc, v16, v11, v16
	v_div_fixup_f32 v1, v12, v18, 1.0
	v_add_f32_e32 v0, v0, v1
	v_mov_b32_e32 v3, s9
	v_rcp_f32_e32 v19, v15
	v_fma_f32 v20, -v15, v19, 1.0
	v_fmac_f32_e32 v19, v20, v19
	v_mul_f32_e32 v20, v17, v19
	v_fma_f32 v21, -v15, v20, v17
	v_fmac_f32_e32 v20, v21, v19
	v_fma_f32 v15, -v15, v20, v17
	v_div_fmas_f32 v15, v15, v19, v20
	v_div_fixup_f32 v1, v15, v11, v16
	v_add_f32_e32 v0, v0, v1
	v_mul_f32_e32 v2, v13, v0
	v_add_u32_e32 v0, s14, v4
	v_ashrrev_i32_e32 v1, 31, v0
	v_add_co_u32_e32 v0, vcc, s8, v0
	v_addc_co_u32_e32 v1, vcc, v3, v1, vcc
	s_cbranch_scc1 .LBB56_2065
; %bb.1945:
	s_and_b32 s12, 0xffff, s20
	s_mov_b64 s[4:5], -1
	s_mov_b64 s[2:3], 0
	s_cmp_gt_i32 s12, 25
	s_mov_b64 s[0:1], 0
	s_cbranch_scc0 .LBB56_1978
; %bb.1946:
	s_cmp_gt_i32 s12, 28
	s_cbranch_scc0 .LBB56_1962
; %bb.1947:
	s_cmp_gt_i32 s12, 43
	;; [unrolled: 3-line block ×3, first 2 shown]
	s_cbranch_scc0 .LBB56_1952
; %bb.1949:
	s_cmp_eq_u32 s12, 46
	s_mov_b64 s[0:1], -1
	s_cbranch_scc0 .LBB56_1951
; %bb.1950:
	v_bfe_u32 v3, v2, 16, 1
	s_movk_i32 s0, 0x7fff
	v_add3_u32 v3, v2, v3, s0
	v_cmp_o_f32_e32 vcc, v2, v2
	v_mov_b32_e32 v4, 0x7fc0
	v_cndmask_b32_sdwa v3, v4, v3, vcc dst_sel:DWORD dst_unused:UNUSED_PAD src0_sel:DWORD src1_sel:WORD_1
	global_store_dword v[0:1], v3, off
	s_mov_b64 s[0:1], 0
.LBB56_1951:
	s_mov_b64 s[4:5], 0
.LBB56_1952:
	s_and_b64 vcc, exec, s[4:5]
	s_cbranch_vccz .LBB56_1957
; %bb.1953:
	s_cmp_eq_u32 s12, 44
	s_mov_b64 s[0:1], -1
	s_cbranch_scc0 .LBB56_1957
; %bb.1954:
	v_bfe_u32 v3, v2, 23, 8
	s_movk_i32 s0, 0xff
	v_cmp_ne_u32_e32 vcc, s0, v3
	v_mov_b32_e32 v4, 0xff
	s_and_saveexec_b64 s[4:5], vcc
; %bb.1955:
	s_mov_b32 s0, 0x3fffff
	v_and_b32_e32 v5, 0x400000, v2
	v_and_or_b32 v3, v2, s0, v3
	v_cmp_ne_u32_e32 vcc, 0, v5
	v_cmp_ne_u32_e64 s[0:1], 0, v3
	s_and_b64 s[0:1], vcc, s[0:1]
	v_lshrrev_b32_e32 v4, 23, v2
	v_cndmask_b32_e64 v3, 0, 1, s[0:1]
	v_add_u32_e32 v4, v4, v3
; %bb.1956:
	s_or_b64 exec, exec, s[4:5]
	s_mov_b64 s[0:1], 0
	global_store_byte v[0:1], v4, off
.LBB56_1957:
	s_mov_b64 s[4:5], 0
.LBB56_1958:
	s_and_b64 vcc, exec, s[4:5]
	s_cbranch_vccz .LBB56_1961
; %bb.1959:
	s_cmp_eq_u32 s12, 29
	s_mov_b64 s[0:1], -1
	s_cbranch_scc0 .LBB56_1961
; %bb.1960:
	v_trunc_f32_e32 v3, v2
	v_mul_f32_e32 v4, 0x2f800000, v3
	v_floor_f32_e32 v5, v4
	v_fmac_f32_e32 v3, 0xcf800000, v5
	v_cvt_u32_f32_e32 v4, v5
	v_cvt_u32_f32_e32 v3, v3
	s_mov_b64 s[0:1], 0
	global_store_dwordx2 v[0:1], v[3:4], off
.LBB56_1961:
	s_mov_b64 s[4:5], 0
.LBB56_1962:
	s_and_b64 vcc, exec, s[4:5]
	s_cbranch_vccz .LBB56_1977
; %bb.1963:
	s_cmp_lt_i32 s12, 27
	s_mov_b64 s[4:5], -1
	s_cbranch_scc1 .LBB56_1969
; %bb.1964:
	v_cvt_u32_f32_e32 v3, v2
	s_cmp_gt_i32 s12, 27
	s_cbranch_scc0 .LBB56_1966
; %bb.1965:
	global_store_dword v[0:1], v3, off
	s_mov_b64 s[4:5], 0
.LBB56_1966:
	s_andn2_b64 vcc, exec, s[4:5]
	s_cbranch_vccnz .LBB56_1968
; %bb.1967:
	global_store_short v[0:1], v3, off
.LBB56_1968:
	s_mov_b64 s[4:5], 0
.LBB56_1969:
	s_andn2_b64 vcc, exec, s[4:5]
	s_cbranch_vccnz .LBB56_1977
; %bb.1970:
	v_and_b32_e32 v3, 0x7fffffff, v2
	s_mov_b32 s4, 0x43800000
	v_cmp_gt_u32_e32 vcc, s4, v3
	v_mov_b32_e32 v4, 0x80
	s_and_saveexec_b64 s[4:5], vcc
	s_cbranch_execz .LBB56_1976
; %bb.1971:
	s_mov_b32 s8, 0x3bffffff
	v_cmp_lt_u32_e32 vcc, s8, v3
	s_mov_b64 s[8:9], 0
                                        ; implicit-def: $vgpr3
	s_and_saveexec_b64 s[10:11], vcc
	s_xor_b64 s[10:11], exec, s[10:11]
	s_cbranch_execz .LBB56_2082
; %bb.1972:
	v_bfe_u32 v3, v2, 20, 1
	s_mov_b32 s13, 0x487ffff
	v_add3_u32 v3, v2, v3, s13
	s_mov_b64 s[8:9], exec
	v_lshrrev_b32_e32 v3, 20, v3
	s_andn2_saveexec_b64 s[10:11], s[10:11]
	s_cbranch_execnz .LBB56_2083
.LBB56_1973:
	s_or_b64 exec, exec, s[10:11]
	v_mov_b32_e32 v4, 0
	s_and_saveexec_b64 s[10:11], s[8:9]
.LBB56_1974:
	v_lshrrev_b32_e32 v4, 24, v2
	s_movk_i32 s8, 0x80
	v_and_or_b32 v4, v4, s8, v3
.LBB56_1975:
	s_or_b64 exec, exec, s[10:11]
.LBB56_1976:
	s_or_b64 exec, exec, s[4:5]
	global_store_byte v[0:1], v4, off
.LBB56_1977:
	s_mov_b64 s[4:5], 0
.LBB56_1978:
	s_and_b64 vcc, exec, s[4:5]
	s_cbranch_vccz .LBB56_2018
; %bb.1979:
	s_cmp_gt_i32 s12, 22
	s_mov_b64 s[2:3], -1
	s_cbranch_scc0 .LBB56_2011
; %bb.1980:
	s_cmp_lt_i32 s12, 24
	s_cbranch_scc1 .LBB56_2000
; %bb.1981:
	s_cmp_gt_i32 s12, 24
	s_cbranch_scc0 .LBB56_1989
; %bb.1982:
	v_and_b32_e32 v3, 0x7fffffff, v2
	s_mov_b32 s2, 0x47800000
	v_cmp_gt_u32_e32 vcc, s2, v3
	v_mov_b32_e32 v4, 0x80
	s_and_saveexec_b64 s[2:3], vcc
	s_cbranch_execz .LBB56_1988
; %bb.1983:
	s_mov_b32 s4, 0x37ffffff
	v_cmp_lt_u32_e32 vcc, s4, v3
	s_mov_b64 s[4:5], 0
                                        ; implicit-def: $vgpr3
	s_and_saveexec_b64 s[8:9], vcc
	s_xor_b64 s[8:9], exec, s[8:9]
	s_cbranch_execz .LBB56_2085
; %bb.1984:
	v_bfe_u32 v3, v2, 21, 1
	s_mov_b32 s10, 0x88fffff
	v_add3_u32 v3, v2, v3, s10
	s_mov_b64 s[4:5], exec
	v_lshrrev_b32_e32 v3, 21, v3
	s_andn2_saveexec_b64 s[8:9], s[8:9]
	s_cbranch_execnz .LBB56_2086
.LBB56_1985:
	s_or_b64 exec, exec, s[8:9]
	v_mov_b32_e32 v4, 0
	s_and_saveexec_b64 s[8:9], s[4:5]
.LBB56_1986:
	v_lshrrev_b32_e32 v4, 24, v2
	s_movk_i32 s4, 0x80
	v_and_or_b32 v4, v4, s4, v3
.LBB56_1987:
	s_or_b64 exec, exec, s[8:9]
.LBB56_1988:
	s_or_b64 exec, exec, s[2:3]
	s_mov_b64 s[2:3], 0
	global_store_byte v[0:1], v4, off
.LBB56_1989:
	s_and_b64 vcc, exec, s[2:3]
	s_cbranch_vccz .LBB56_1999
; %bb.1990:
	v_and_b32_e32 v4, 0x7fffffff, v2
	s_mov_b32 s2, 0x43f00000
	v_cmp_gt_u32_e32 vcc, s2, v4
                                        ; implicit-def: $vgpr3
	s_and_saveexec_b64 s[2:3], vcc
	s_xor_b64 s[2:3], exec, s[2:3]
	s_cbranch_execz .LBB56_1996
; %bb.1991:
	s_mov_b32 s4, 0x3c7fffff
	v_cmp_lt_u32_e32 vcc, s4, v4
                                        ; implicit-def: $vgpr3
	s_and_saveexec_b64 s[4:5], vcc
	s_xor_b64 s[4:5], exec, s[4:5]
; %bb.1992:
	v_bfe_u32 v3, v2, 20, 1
	s_mov_b32 s8, 0x407ffff
	v_add3_u32 v3, v2, v3, s8
	v_lshrrev_b32_e32 v4, 20, v3
	v_and_b32_e32 v3, 0xff00000, v3
	s_mov_b32 s8, 0x7f00000
	v_mov_b32_e32 v5, 0x7e
	v_cmp_ne_u32_e32 vcc, s8, v3
	v_cndmask_b32_e32 v3, v5, v4, vcc
; %bb.1993:
	s_andn2_saveexec_b64 s[4:5], s[4:5]
; %bb.1994:
	s_mov_b32 s8, 0x46800000
	v_add_f32_e64 v3, |v2|, s8
; %bb.1995:
	s_or_b64 exec, exec, s[4:5]
                                        ; implicit-def: $vgpr4
.LBB56_1996:
	s_andn2_saveexec_b64 s[2:3], s[2:3]
; %bb.1997:
	s_mov_b32 s4, 0x7f800000
	v_mov_b32_e32 v3, 0x7e
	v_mov_b32_e32 v5, 0x7f
	v_cmp_lt_u32_e32 vcc, s4, v4
	v_cndmask_b32_e32 v3, v3, v5, vcc
; %bb.1998:
	s_or_b64 exec, exec, s[2:3]
	v_lshrrev_b32_e32 v4, 24, v2
	s_movk_i32 s2, 0x80
	v_and_or_b32 v3, v4, s2, v3
	global_store_byte v[0:1], v3, off
.LBB56_1999:
	s_mov_b64 s[2:3], 0
.LBB56_2000:
	s_andn2_b64 vcc, exec, s[2:3]
	s_cbranch_vccnz .LBB56_2010
; %bb.2001:
	v_and_b32_e32 v4, 0x7fffffff, v2
	s_mov_b32 s2, 0x47800000
	v_cmp_gt_u32_e32 vcc, s2, v4
                                        ; implicit-def: $vgpr3
	s_and_saveexec_b64 s[2:3], vcc
	s_xor_b64 s[2:3], exec, s[2:3]
	s_cbranch_execz .LBB56_2007
; %bb.2002:
	s_mov_b32 s4, 0x387fffff
	v_cmp_lt_u32_e32 vcc, s4, v4
                                        ; implicit-def: $vgpr3
	s_and_saveexec_b64 s[4:5], vcc
	s_xor_b64 s[4:5], exec, s[4:5]
; %bb.2003:
	v_bfe_u32 v3, v2, 21, 1
	s_mov_b32 s8, 0x80fffff
	v_add3_u32 v3, v2, v3, s8
	v_lshrrev_b32_e32 v3, 21, v3
; %bb.2004:
	s_andn2_saveexec_b64 s[4:5], s[4:5]
; %bb.2005:
	s_mov_b32 s8, 0x43000000
	v_add_f32_e64 v3, |v2|, s8
; %bb.2006:
	s_or_b64 exec, exec, s[4:5]
                                        ; implicit-def: $vgpr4
.LBB56_2007:
	s_andn2_saveexec_b64 s[2:3], s[2:3]
; %bb.2008:
	s_mov_b32 s4, 0x7f800000
	v_mov_b32_e32 v3, 0x7c
	v_mov_b32_e32 v5, 0x7f
	v_cmp_lt_u32_e32 vcc, s4, v4
	v_cndmask_b32_e32 v3, v3, v5, vcc
; %bb.2009:
	s_or_b64 exec, exec, s[2:3]
	v_lshrrev_b32_e32 v4, 24, v2
	s_movk_i32 s2, 0x80
	v_and_or_b32 v3, v4, s2, v3
	global_store_byte v[0:1], v3, off
.LBB56_2010:
	s_mov_b64 s[2:3], 0
.LBB56_2011:
	s_andn2_b64 vcc, exec, s[2:3]
	s_mov_b64 s[2:3], 0
	s_cbranch_vccnz .LBB56_2018
; %bb.2012:
	s_cmp_gt_i32 s12, 14
	s_mov_b64 s[4:5], -1
	s_cbranch_scc0 .LBB56_2016
; %bb.2013:
	s_cmp_eq_u32 s12, 15
	s_mov_b64 s[0:1], -1
	s_cbranch_scc0 .LBB56_2015
; %bb.2014:
	v_bfe_u32 v3, v2, 16, 1
	s_movk_i32 s0, 0x7fff
	v_add3_u32 v3, v2, v3, s0
	v_cmp_o_f32_e32 vcc, v2, v2
	v_mov_b32_e32 v4, 0x7fc0
	v_cndmask_b32_sdwa v3, v4, v3, vcc dst_sel:DWORD dst_unused:UNUSED_PAD src0_sel:DWORD src1_sel:WORD_1
	global_store_short v[0:1], v3, off
	s_mov_b64 s[0:1], 0
.LBB56_2015:
	s_mov_b64 s[4:5], 0
.LBB56_2016:
	s_and_b64 vcc, exec, s[4:5]
	s_cbranch_vccz .LBB56_2018
; %bb.2017:
	s_cmp_lg_u32 s12, 11
	s_mov_b64 s[2:3], -1
	s_cselect_b64 s[0:1], -1, 0
.LBB56_2018:
	s_and_b64 vcc, exec, s[0:1]
	s_cbranch_vccnz .LBB56_2084
.LBB56_2019:
	s_mov_b64 s[0:1], 0
	s_branch .LBB56_2021
.LBB56_2020:
	s_mov_b64 s[0:1], 0
	s_mov_b64 s[2:3], 0
                                        ; implicit-def: $sgpr20
                                        ; implicit-def: $vgpr0_vgpr1
                                        ; implicit-def: $vgpr2
.LBB56_2021:
	s_and_b64 s[14:15], s[2:3], exec
	s_andn2_b64 s[2:3], s[16:17], exec
	s_and_b64 s[4:5], s[18:19], exec
	s_and_b64 s[0:1], s[0:1], exec
	s_or_b64 s[16:17], s[2:3], s[4:5]
.LBB56_2022:
	s_or_b64 exec, exec, s[6:7]
	s_and_saveexec_b64 s[2:3], s[16:17]
	s_cbranch_execz .LBB56_2025
; %bb.2023:
	; divergent unreachable
	s_or_b64 exec, exec, s[2:3]
	s_and_saveexec_b64 s[2:3], s[14:15]
	s_xor_b64 s[2:3], exec, s[2:3]
	s_cbranch_execnz .LBB56_2026
.LBB56_2024:
	s_or_b64 exec, exec, s[2:3]
	s_and_saveexec_b64 s[2:3], s[0:1]
	s_cbranch_execnz .LBB56_2027
	s_branch .LBB56_2064
.LBB56_2025:
	s_or_b64 exec, exec, s[2:3]
	s_and_saveexec_b64 s[2:3], s[14:15]
	s_xor_b64 s[2:3], exec, s[2:3]
	s_cbranch_execz .LBB56_2024
.LBB56_2026:
	s_waitcnt vmcnt(0)
	v_cmp_neq_f32_e32 vcc, 0, v2
	v_cndmask_b32_e64 v3, 0, 1, vcc
	global_store_byte v[0:1], v3, off
	s_or_b64 exec, exec, s[2:3]
	s_and_saveexec_b64 s[2:3], s[0:1]
	s_cbranch_execz .LBB56_2064
.LBB56_2027:
	s_sext_i32_i16 s2, s20
	s_cmp_lt_i32 s2, 5
	s_mov_b64 s[0:1], -1
	s_cbranch_scc1 .LBB56_2048
; %bb.2028:
	s_cmp_lt_i32 s2, 8
	s_cbranch_scc1 .LBB56_2038
; %bb.2029:
	s_cmp_lt_i32 s2, 9
	s_cbranch_scc1 .LBB56_2035
; %bb.2030:
	s_cmp_gt_i32 s2, 9
	s_cbranch_scc0 .LBB56_2032
; %bb.2031:
	s_waitcnt vmcnt(0)
	v_cvt_f64_f32_e32 v[3:4], v2
	v_mov_b32_e32 v5, 0
	v_mov_b32_e32 v6, v5
	s_mov_b64 s[0:1], 0
	global_store_dwordx4 v[0:1], v[3:6], off
.LBB56_2032:
	s_andn2_b64 vcc, exec, s[0:1]
	s_cbranch_vccnz .LBB56_2034
; %bb.2033:
	s_waitcnt vmcnt(0)
	v_mov_b32_e32 v3, 0
	global_store_dwordx2 v[0:1], v[2:3], off
.LBB56_2034:
	s_mov_b64 s[0:1], 0
.LBB56_2035:
	s_andn2_b64 vcc, exec, s[0:1]
	s_cbranch_vccnz .LBB56_2037
; %bb.2036:
	s_waitcnt vmcnt(0)
	v_cvt_f16_f32_e32 v3, v2
	global_store_dword v[0:1], v3, off
.LBB56_2037:
	s_mov_b64 s[0:1], 0
.LBB56_2038:
	s_andn2_b64 vcc, exec, s[0:1]
	s_cbranch_vccnz .LBB56_2047
; %bb.2039:
	s_sext_i32_i16 s2, s20
	s_cmp_lt_i32 s2, 6
	s_mov_b64 s[0:1], -1
	s_cbranch_scc1 .LBB56_2045
; %bb.2040:
	s_cmp_gt_i32 s2, 6
	s_cbranch_scc0 .LBB56_2042
; %bb.2041:
	s_waitcnt vmcnt(0)
	v_cvt_f64_f32_e32 v[3:4], v2
	s_mov_b64 s[0:1], 0
	global_store_dwordx2 v[0:1], v[3:4], off
.LBB56_2042:
	s_andn2_b64 vcc, exec, s[0:1]
	s_cbranch_vccnz .LBB56_2044
; %bb.2043:
	s_waitcnt vmcnt(0)
	global_store_dword v[0:1], v2, off
.LBB56_2044:
	s_mov_b64 s[0:1], 0
.LBB56_2045:
	s_andn2_b64 vcc, exec, s[0:1]
	s_cbranch_vccnz .LBB56_2047
; %bb.2046:
	s_waitcnt vmcnt(0)
	v_cvt_f16_f32_e32 v3, v2
	global_store_short v[0:1], v3, off
.LBB56_2047:
	s_mov_b64 s[0:1], 0
.LBB56_2048:
	s_andn2_b64 vcc, exec, s[0:1]
	s_cbranch_vccnz .LBB56_2064
; %bb.2049:
	s_sext_i32_i16 s2, s20
	s_cmp_lt_i32 s2, 2
	s_mov_b64 s[0:1], -1
	s_cbranch_scc1 .LBB56_2059
; %bb.2050:
	s_cmp_lt_i32 s2, 3
	s_cbranch_scc1 .LBB56_2056
; %bb.2051:
	s_cmp_gt_i32 s2, 3
	s_cbranch_scc0 .LBB56_2053
; %bb.2052:
	s_waitcnt vmcnt(0)
	v_trunc_f32_e32 v3, v2
	s_mov_b32 s0, 0x2f800000
	v_mul_f32_e64 v4, |v3|, s0
	v_floor_f32_e32 v4, v4
	s_mov_b32 s0, 0xcf800000
	v_cvt_u32_f32_e32 v5, v4
	v_fma_f32 v4, v4, s0, |v3|
	v_cvt_u32_f32_e32 v4, v4
	v_ashrrev_i32_e32 v6, 31, v3
	v_xor_b32_e32 v5, v5, v6
	s_mov_b64 s[0:1], 0
	v_xor_b32_e32 v3, v4, v6
	v_sub_co_u32_e32 v3, vcc, v3, v6
	v_subb_co_u32_e32 v4, vcc, v5, v6, vcc
	global_store_dwordx2 v[0:1], v[3:4], off
.LBB56_2053:
	s_andn2_b64 vcc, exec, s[0:1]
	s_cbranch_vccnz .LBB56_2055
; %bb.2054:
	s_waitcnt vmcnt(0)
	v_cvt_i32_f32_e32 v3, v2
	global_store_dword v[0:1], v3, off
.LBB56_2055:
	s_mov_b64 s[0:1], 0
.LBB56_2056:
	s_andn2_b64 vcc, exec, s[0:1]
	s_cbranch_vccnz .LBB56_2058
; %bb.2057:
	s_waitcnt vmcnt(0)
	v_cvt_i32_f32_e32 v3, v2
	global_store_short v[0:1], v3, off
.LBB56_2058:
	s_mov_b64 s[0:1], 0
.LBB56_2059:
	s_andn2_b64 vcc, exec, s[0:1]
	s_cbranch_vccnz .LBB56_2064
; %bb.2060:
	s_sext_i32_i16 s0, s20
	s_cmp_gt_i32 s0, 0
	s_mov_b64 s[0:1], -1
	s_cbranch_scc0 .LBB56_2062
; %bb.2061:
	s_waitcnt vmcnt(0)
	v_cvt_i32_f32_e32 v3, v2
	s_mov_b64 s[0:1], 0
	global_store_byte v[0:1], v3, off
.LBB56_2062:
	s_andn2_b64 vcc, exec, s[0:1]
	s_cbranch_vccnz .LBB56_2064
; %bb.2063:
	s_waitcnt vmcnt(0)
	v_trunc_f32_e32 v2, v2
	s_mov_b32 s0, 0x2f800000
	v_mul_f32_e64 v3, |v2|, s0
	v_floor_f32_e32 v3, v3
	s_mov_b32 s0, 0xcf800000
	v_fma_f32 v3, v3, s0, |v2|
	v_cvt_u32_f32_e32 v3, v3
	v_ashrrev_i32_e32 v2, 31, v2
	v_xor_b32_e32 v3, v3, v2
	v_sub_u32_e32 v2, v3, v2
	global_store_byte v[0:1], v2, off
	s_endpgm
.LBB56_2064:
	s_endpgm
.LBB56_2065:
	s_mov_b64 s[2:3], 0
	s_mov_b64 s[0:1], -1
	s_branch .LBB56_2021
.LBB56_2066:
	s_trap 2
	s_or_b64 s[18:19], s[18:19], exec
	s_cbranch_execz .LBB56_1529
	s_branch .LBB56_1530
.LBB56_2067:
	s_andn2_saveexec_b64 s[14:15], s[14:15]
	s_cbranch_execz .LBB56_1615
.LBB56_2068:
	s_mov_b32 s21, 0x46000000
	v_add_f32_e64 v3, |v2|, s21
	v_and_b32_e32 v3, 0xff, v3
	v_cmp_ne_u32_e32 vcc, 0, v3
	s_andn2_b64 s[10:11], s[10:11], exec
	s_and_b64 s[22:23], vcc, exec
	s_or_b64 s[10:11], s[10:11], s[22:23]
	s_or_b64 exec, exec, s[14:15]
	v_mov_b32_e32 v8, 0
	s_and_saveexec_b64 s[14:15], s[10:11]
	s_cbranch_execnz .LBB56_1616
	s_branch .LBB56_1617
.LBB56_2069:
	s_trap 2
	s_or_b64 s[18:19], s[18:19], exec
	s_cbranch_execz .LBB56_1663
	s_branch .LBB56_1664
.LBB56_2070:
	s_andn2_saveexec_b64 s[10:11], s[10:11]
	s_cbranch_execz .LBB56_1628
.LBB56_2071:
	s_mov_b32 s14, 0x42800000
	v_add_f32_e64 v3, |v2|, s14
	v_and_b32_e32 v3, 0xff, v3
	v_cmp_ne_u32_e32 vcc, 0, v3
	s_andn2_b64 s[4:5], s[4:5], exec
	s_and_b64 s[14:15], vcc, exec
	s_or_b64 s[4:5], s[4:5], s[14:15]
	s_or_b64 exec, exec, s[10:11]
	v_mov_b32_e32 v8, 0
	s_and_saveexec_b64 s[10:11], s[4:5]
	s_cbranch_execnz .LBB56_1629
	s_branch .LBB56_1630
.LBB56_2072:
	s_andn2_saveexec_b64 s[12:13], s[12:13]
	s_cbranch_execz .LBB56_1734
.LBB56_2073:
	s_mov_b32 s21, 0x46000000
	v_add_f32_e64 v3, |v2|, s21
	v_and_b32_e32 v3, 0xff, v3
	v_cmp_ne_u32_e32 vcc, 0, v3
	s_andn2_b64 s[10:11], s[10:11], exec
	s_and_b64 s[22:23], vcc, exec
	s_or_b64 s[10:11], s[10:11], s[22:23]
	s_or_b64 exec, exec, s[12:13]
	v_mov_b32_e32 v5, 0
	s_and_saveexec_b64 s[12:13], s[10:11]
	s_cbranch_execnz .LBB56_1735
	s_branch .LBB56_1736
.LBB56_2074:
	s_trap 2
	s_or_b64 s[18:19], s[18:19], exec
	s_cbranch_execz .LBB56_1782
	s_branch .LBB56_1783
.LBB56_2075:
	s_andn2_saveexec_b64 s[10:11], s[10:11]
	s_cbranch_execz .LBB56_1747
.LBB56_2076:
	s_mov_b32 s12, 0x42800000
	v_add_f32_e64 v3, |v2|, s12
	v_and_b32_e32 v3, 0xff, v3
	v_cmp_ne_u32_e32 vcc, 0, v3
	s_andn2_b64 s[4:5], s[4:5], exec
	s_and_b64 s[12:13], vcc, exec
	s_or_b64 s[4:5], s[4:5], s[12:13]
	s_or_b64 exec, exec, s[10:11]
	v_mov_b32_e32 v5, 0
	s_and_saveexec_b64 s[10:11], s[4:5]
	s_cbranch_execnz .LBB56_1748
	s_branch .LBB56_1749
.LBB56_2077:
	s_andn2_saveexec_b64 s[12:13], s[12:13]
	s_cbranch_execz .LBB56_1853
.LBB56_2078:
	s_mov_b32 s21, 0x46000000
	v_add_f32_e64 v3, |v2|, s21
	v_and_b32_e32 v3, 0xff, v3
	v_cmp_ne_u32_e32 vcc, 0, v3
	s_andn2_b64 s[10:11], s[10:11], exec
	s_and_b64 s[22:23], vcc, exec
	s_or_b64 s[10:11], s[10:11], s[22:23]
	s_or_b64 exec, exec, s[12:13]
	v_mov_b32_e32 v5, 0
	s_and_saveexec_b64 s[12:13], s[10:11]
	s_cbranch_execnz .LBB56_1854
	s_branch .LBB56_1855
.LBB56_2079:
	s_trap 2
	s_or_b64 s[18:19], s[18:19], exec
	s_cbranch_execz .LBB56_1901
	s_branch .LBB56_1902
.LBB56_2080:
	s_andn2_saveexec_b64 s[10:11], s[10:11]
	s_cbranch_execz .LBB56_1866
.LBB56_2081:
	s_mov_b32 s12, 0x42800000
	v_add_f32_e64 v3, |v2|, s12
	v_and_b32_e32 v3, 0xff, v3
	v_cmp_ne_u32_e32 vcc, 0, v3
	s_andn2_b64 s[4:5], s[4:5], exec
	s_and_b64 s[12:13], vcc, exec
	s_or_b64 s[4:5], s[4:5], s[12:13]
	s_or_b64 exec, exec, s[10:11]
	v_mov_b32_e32 v5, 0
	s_and_saveexec_b64 s[10:11], s[4:5]
	s_cbranch_execnz .LBB56_1867
	s_branch .LBB56_1868
.LBB56_2082:
	s_andn2_saveexec_b64 s[10:11], s[10:11]
	s_cbranch_execz .LBB56_1973
.LBB56_2083:
	s_mov_b32 s13, 0x46000000
	v_add_f32_e64 v3, |v2|, s13
	v_and_b32_e32 v3, 0xff, v3
	v_cmp_ne_u32_e32 vcc, 0, v3
	s_andn2_b64 s[8:9], s[8:9], exec
	s_and_b64 s[14:15], vcc, exec
	s_or_b64 s[8:9], s[8:9], s[14:15]
	s_or_b64 exec, exec, s[10:11]
	v_mov_b32_e32 v4, 0
	s_and_saveexec_b64 s[10:11], s[8:9]
	s_cbranch_execnz .LBB56_1974
	s_branch .LBB56_1975
.LBB56_2084:
	s_mov_b64 s[2:3], 0
	s_or_b64 s[18:19], s[18:19], exec
	s_trap 2
	s_branch .LBB56_2019
.LBB56_2085:
	s_andn2_saveexec_b64 s[8:9], s[8:9]
	s_cbranch_execz .LBB56_1985
.LBB56_2086:
	s_mov_b32 s10, 0x42800000
	v_add_f32_e64 v3, |v2|, s10
	v_and_b32_e32 v3, 0xff, v3
	v_cmp_ne_u32_e32 vcc, 0, v3
	s_andn2_b64 s[4:5], s[4:5], exec
	s_and_b64 s[10:11], vcc, exec
	s_or_b64 s[4:5], s[4:5], s[10:11]
	s_or_b64 exec, exec, s[8:9]
	v_mov_b32_e32 v4, 0
	s_and_saveexec_b64 s[8:9], s[4:5]
	s_cbranch_execnz .LBB56_1986
	s_branch .LBB56_1987
	.section	.rodata,"a",@progbits
	.p2align	6, 0x0
	.amdhsa_kernel _ZN2at6native32elementwise_kernel_manual_unrollILi128ELi4EZNS0_15gpu_kernel_implIZZZNS0_20trigamma_kernel_cudaERNS_18TensorIteratorBaseEENKUlvE_clEvENKUlvE0_clEvEUlfE_EEvS4_RKT_EUlibE_EEviT1_
		.amdhsa_group_segment_fixed_size 0
		.amdhsa_private_segment_fixed_size 0
		.amdhsa_kernarg_size 40
		.amdhsa_user_sgpr_count 6
		.amdhsa_user_sgpr_private_segment_buffer 1
		.amdhsa_user_sgpr_dispatch_ptr 0
		.amdhsa_user_sgpr_queue_ptr 0
		.amdhsa_user_sgpr_kernarg_segment_ptr 1
		.amdhsa_user_sgpr_dispatch_id 0
		.amdhsa_user_sgpr_flat_scratch_init 0
		.amdhsa_user_sgpr_private_segment_size 0
		.amdhsa_uses_dynamic_stack 0
		.amdhsa_system_sgpr_private_segment_wavefront_offset 0
		.amdhsa_system_sgpr_workgroup_id_x 1
		.amdhsa_system_sgpr_workgroup_id_y 0
		.amdhsa_system_sgpr_workgroup_id_z 0
		.amdhsa_system_sgpr_workgroup_info 0
		.amdhsa_system_vgpr_workitem_id 0
		.amdhsa_next_free_vgpr 35
		.amdhsa_next_free_sgpr 44
		.amdhsa_reserve_vcc 1
		.amdhsa_reserve_flat_scratch 0
		.amdhsa_float_round_mode_32 0
		.amdhsa_float_round_mode_16_64 0
		.amdhsa_float_denorm_mode_32 3
		.amdhsa_float_denorm_mode_16_64 3
		.amdhsa_dx10_clamp 1
		.amdhsa_ieee_mode 1
		.amdhsa_fp16_overflow 0
		.amdhsa_exception_fp_ieee_invalid_op 0
		.amdhsa_exception_fp_denorm_src 0
		.amdhsa_exception_fp_ieee_div_zero 0
		.amdhsa_exception_fp_ieee_overflow 0
		.amdhsa_exception_fp_ieee_underflow 0
		.amdhsa_exception_fp_ieee_inexact 0
		.amdhsa_exception_int_div_zero 0
	.end_amdhsa_kernel
	.section	.text._ZN2at6native32elementwise_kernel_manual_unrollILi128ELi4EZNS0_15gpu_kernel_implIZZZNS0_20trigamma_kernel_cudaERNS_18TensorIteratorBaseEENKUlvE_clEvENKUlvE0_clEvEUlfE_EEvS4_RKT_EUlibE_EEviT1_,"axG",@progbits,_ZN2at6native32elementwise_kernel_manual_unrollILi128ELi4EZNS0_15gpu_kernel_implIZZZNS0_20trigamma_kernel_cudaERNS_18TensorIteratorBaseEENKUlvE_clEvENKUlvE0_clEvEUlfE_EEvS4_RKT_EUlibE_EEviT1_,comdat
.Lfunc_end56:
	.size	_ZN2at6native32elementwise_kernel_manual_unrollILi128ELi4EZNS0_15gpu_kernel_implIZZZNS0_20trigamma_kernel_cudaERNS_18TensorIteratorBaseEENKUlvE_clEvENKUlvE0_clEvEUlfE_EEvS4_RKT_EUlibE_EEviT1_, .Lfunc_end56-_ZN2at6native32elementwise_kernel_manual_unrollILi128ELi4EZNS0_15gpu_kernel_implIZZZNS0_20trigamma_kernel_cudaERNS_18TensorIteratorBaseEENKUlvE_clEvENKUlvE0_clEvEUlfE_EEvS4_RKT_EUlibE_EEviT1_
                                        ; -- End function
	.set _ZN2at6native32elementwise_kernel_manual_unrollILi128ELi4EZNS0_15gpu_kernel_implIZZZNS0_20trigamma_kernel_cudaERNS_18TensorIteratorBaseEENKUlvE_clEvENKUlvE0_clEvEUlfE_EEvS4_RKT_EUlibE_EEviT1_.num_vgpr, 35
	.set _ZN2at6native32elementwise_kernel_manual_unrollILi128ELi4EZNS0_15gpu_kernel_implIZZZNS0_20trigamma_kernel_cudaERNS_18TensorIteratorBaseEENKUlvE_clEvENKUlvE0_clEvEUlfE_EEvS4_RKT_EUlibE_EEviT1_.num_agpr, 0
	.set _ZN2at6native32elementwise_kernel_manual_unrollILi128ELi4EZNS0_15gpu_kernel_implIZZZNS0_20trigamma_kernel_cudaERNS_18TensorIteratorBaseEENKUlvE_clEvENKUlvE0_clEvEUlfE_EEvS4_RKT_EUlibE_EEviT1_.numbered_sgpr, 44
	.set _ZN2at6native32elementwise_kernel_manual_unrollILi128ELi4EZNS0_15gpu_kernel_implIZZZNS0_20trigamma_kernel_cudaERNS_18TensorIteratorBaseEENKUlvE_clEvENKUlvE0_clEvEUlfE_EEvS4_RKT_EUlibE_EEviT1_.num_named_barrier, 0
	.set _ZN2at6native32elementwise_kernel_manual_unrollILi128ELi4EZNS0_15gpu_kernel_implIZZZNS0_20trigamma_kernel_cudaERNS_18TensorIteratorBaseEENKUlvE_clEvENKUlvE0_clEvEUlfE_EEvS4_RKT_EUlibE_EEviT1_.private_seg_size, 0
	.set _ZN2at6native32elementwise_kernel_manual_unrollILi128ELi4EZNS0_15gpu_kernel_implIZZZNS0_20trigamma_kernel_cudaERNS_18TensorIteratorBaseEENKUlvE_clEvENKUlvE0_clEvEUlfE_EEvS4_RKT_EUlibE_EEviT1_.uses_vcc, 1
	.set _ZN2at6native32elementwise_kernel_manual_unrollILi128ELi4EZNS0_15gpu_kernel_implIZZZNS0_20trigamma_kernel_cudaERNS_18TensorIteratorBaseEENKUlvE_clEvENKUlvE0_clEvEUlfE_EEvS4_RKT_EUlibE_EEviT1_.uses_flat_scratch, 0
	.set _ZN2at6native32elementwise_kernel_manual_unrollILi128ELi4EZNS0_15gpu_kernel_implIZZZNS0_20trigamma_kernel_cudaERNS_18TensorIteratorBaseEENKUlvE_clEvENKUlvE0_clEvEUlfE_EEvS4_RKT_EUlibE_EEviT1_.has_dyn_sized_stack, 0
	.set _ZN2at6native32elementwise_kernel_manual_unrollILi128ELi4EZNS0_15gpu_kernel_implIZZZNS0_20trigamma_kernel_cudaERNS_18TensorIteratorBaseEENKUlvE_clEvENKUlvE0_clEvEUlfE_EEvS4_RKT_EUlibE_EEviT1_.has_recursion, 0
	.set _ZN2at6native32elementwise_kernel_manual_unrollILi128ELi4EZNS0_15gpu_kernel_implIZZZNS0_20trigamma_kernel_cudaERNS_18TensorIteratorBaseEENKUlvE_clEvENKUlvE0_clEvEUlfE_EEvS4_RKT_EUlibE_EEviT1_.has_indirect_call, 0
	.section	.AMDGPU.csdata,"",@progbits
; Kernel info:
; codeLenInByte = 46380
; TotalNumSgprs: 48
; NumVgprs: 35
; ScratchSize: 0
; MemoryBound: 1
; FloatMode: 240
; IeeeMode: 1
; LDSByteSize: 0 bytes/workgroup (compile time only)
; SGPRBlocks: 5
; VGPRBlocks: 8
; NumSGPRsForWavesPerEU: 48
; NumVGPRsForWavesPerEU: 35
; Occupancy: 7
; WaveLimiterHint : 0
; COMPUTE_PGM_RSRC2:SCRATCH_EN: 0
; COMPUTE_PGM_RSRC2:USER_SGPR: 6
; COMPUTE_PGM_RSRC2:TRAP_HANDLER: 0
; COMPUTE_PGM_RSRC2:TGID_X_EN: 1
; COMPUTE_PGM_RSRC2:TGID_Y_EN: 0
; COMPUTE_PGM_RSRC2:TGID_Z_EN: 0
; COMPUTE_PGM_RSRC2:TIDIG_COMP_CNT: 0
	.section	.text._ZN2at6native32elementwise_kernel_manual_unrollILi128ELi4EZNS0_15gpu_kernel_implIZZZNS0_20trigamma_kernel_cudaERNS_18TensorIteratorBaseEENKUlvE_clEvENKUlvE0_clEvEUlfE_EEvS4_RKT_EUlibE0_EEviT1_,"axG",@progbits,_ZN2at6native32elementwise_kernel_manual_unrollILi128ELi4EZNS0_15gpu_kernel_implIZZZNS0_20trigamma_kernel_cudaERNS_18TensorIteratorBaseEENKUlvE_clEvENKUlvE0_clEvEUlfE_EEvS4_RKT_EUlibE0_EEviT1_,comdat
	.globl	_ZN2at6native32elementwise_kernel_manual_unrollILi128ELi4EZNS0_15gpu_kernel_implIZZZNS0_20trigamma_kernel_cudaERNS_18TensorIteratorBaseEENKUlvE_clEvENKUlvE0_clEvEUlfE_EEvS4_RKT_EUlibE0_EEviT1_ ; -- Begin function _ZN2at6native32elementwise_kernel_manual_unrollILi128ELi4EZNS0_15gpu_kernel_implIZZZNS0_20trigamma_kernel_cudaERNS_18TensorIteratorBaseEENKUlvE_clEvENKUlvE0_clEvEUlfE_EEvS4_RKT_EUlibE0_EEviT1_
	.p2align	8
	.type	_ZN2at6native32elementwise_kernel_manual_unrollILi128ELi4EZNS0_15gpu_kernel_implIZZZNS0_20trigamma_kernel_cudaERNS_18TensorIteratorBaseEENKUlvE_clEvENKUlvE0_clEvEUlfE_EEvS4_RKT_EUlibE0_EEviT1_,@function
_ZN2at6native32elementwise_kernel_manual_unrollILi128ELi4EZNS0_15gpu_kernel_implIZZZNS0_20trigamma_kernel_cudaERNS_18TensorIteratorBaseEENKUlvE_clEvENKUlvE0_clEvEUlfE_EEvS4_RKT_EUlibE0_EEviT1_: ; @_ZN2at6native32elementwise_kernel_manual_unrollILi128ELi4EZNS0_15gpu_kernel_implIZZZNS0_20trigamma_kernel_cudaERNS_18TensorIteratorBaseEENKUlvE_clEvENKUlvE0_clEvEUlfE_EEvS4_RKT_EUlibE0_EEviT1_
; %bb.0:
	s_load_dword s70, s[4:5], 0x0
	s_load_dword s33, s[4:5], 0x8
	s_add_u32 s34, s4, 8
	s_addc_u32 s35, s5, 0
	v_lshl_or_b32 v8, s6, 9, v0
	v_or_b32_e32 v15, 0x180, v8
	s_waitcnt lgkmcnt(0)
	s_add_i32 s72, s33, -1
	s_cmp_gt_u32 s72, 1
	v_cmp_le_i32_e32 vcc, s70, v15
	s_cselect_b64 s[42:43], -1, 0
	s_mov_b64 s[40:41], 0
	s_mov_b64 s[6:7], 0
	s_and_saveexec_b64 s[0:1], vcc
	s_xor_b64 s[44:45], exec, s[0:1]
	s_cbranch_execz .LBB57_1110
; %bb.1:
	v_mov_b32_e32 v0, 0
	global_load_ushort v0, v0, s[34:35] offset:345
	s_load_dwordx4 s[36:39], s[34:35], 0x4
	s_load_dwordx2 s[46:47], s[34:35], 0x14
	s_load_dwordx4 s[28:31], s[34:35], 0xc4
	s_load_dwordx4 s[24:27], s[34:35], 0x148
	s_cmp_lg_u32 s33, 0
	s_cselect_b64 s[52:53], -1, 0
	s_add_u32 s50, s34, 0xc4
	s_addc_u32 s51, s35, 0
	s_min_u32 s75, s72, 15
	s_cmp_gt_u32 s33, 1
	s_cselect_b64 s[48:49], -1, 0
	v_cmp_gt_i32_e32 vcc, s70, v8
	s_mov_b64 s[2:3], -1
	s_mov_b64 s[62:63], 0
	s_mov_b64 s[56:57], 0
	;; [unrolled: 1-line block ×3, first 2 shown]
	s_waitcnt vmcnt(0)
	v_readfirstlane_b32 s73, v0
	s_and_b32 s0, 0xffff, s73
	s_lshr_b32 s74, s0, 8
	s_and_saveexec_b64 s[58:59], vcc
	s_cbranch_execz .LBB57_272
; %bb.2:
	s_andn2_b64 vcc, exec, s[42:43]
	s_cbranch_vccnz .LBB57_7
; %bb.3:
	s_andn2_b64 vcc, exec, s[52:53]
	s_cbranch_vccnz .LBB57_8
; %bb.4:
	s_add_i32 s57, s75, 1
	s_cmp_eq_u32 s72, 2
	s_cbranch_scc1 .LBB57_9
; %bb.5:
	s_and_b32 s56, s57, 28
	v_mov_b32_e32 v2, 0
	s_mov_b32 s60, 0
	s_mov_b64 s[6:7], s[34:35]
	s_mov_b64 s[54:55], s[50:51]
	v_mov_b32_e32 v0, 0
	v_mov_b32_e32 v1, v8
.LBB57_6:                               ; =>This Inner Loop Header: Depth=1
	s_load_dwordx8 s[16:23], s[6:7], 0x4
	s_load_dwordx4 s[0:3], s[6:7], 0x24
	s_load_dwordx8 s[8:15], s[54:55], 0x0
	s_add_u32 s6, s6, 48
	s_addc_u32 s7, s7, 0
	s_waitcnt lgkmcnt(0)
	v_mul_hi_u32 v3, s17, v1
	s_add_i32 s60, s60, 4
	s_add_u32 s54, s54, 32
	s_addc_u32 s55, s55, 0
	v_add_u32_e32 v3, v1, v3
	v_lshrrev_b32_e32 v3, s18, v3
	v_mul_lo_u32 v4, v3, s16
	v_mul_hi_u32 v5, s20, v3
	s_cmp_lg_u32 s56, s60
	v_sub_u32_e32 v1, v1, v4
	v_add_u32_e32 v4, v3, v5
	v_mul_lo_u32 v5, v1, s8
	v_mul_lo_u32 v6, v1, s9
	v_lshrrev_b32_e32 v1, s21, v4
	v_mul_lo_u32 v4, v1, s19
	v_mul_hi_u32 v7, s23, v1
	v_sub_u32_e32 v3, v3, v4
	v_add_u32_e32 v4, v1, v7
	v_lshrrev_b32_e32 v4, s0, v4
	v_mul_hi_u32 v9, s2, v4
	v_mul_lo_u32 v10, v4, s22
	v_mul_lo_u32 v7, v3, s10
	;; [unrolled: 1-line block ×3, first 2 shown]
	v_sub_u32_e32 v10, v1, v10
	v_add_u32_e32 v1, v4, v9
	v_lshrrev_b32_e32 v1, s3, v1
	v_mul_lo_u32 v9, v1, s1
	v_mul_lo_u32 v11, v10, s12
	;; [unrolled: 1-line block ×3, first 2 shown]
	v_add3_u32 v0, v5, v0, v7
	v_sub_u32_e32 v4, v4, v9
	v_mul_lo_u32 v9, v4, s14
	v_mul_lo_u32 v4, v4, s15
	v_add3_u32 v2, v6, v2, v3
	v_add3_u32 v0, v11, v0, v9
	;; [unrolled: 1-line block ×3, first 2 shown]
	s_cbranch_scc1 .LBB57_6
	s_branch .LBB57_10
.LBB57_7:
                                        ; implicit-def: $vgpr0
                                        ; implicit-def: $vgpr2
	s_branch .LBB57_14
.LBB57_8:
	v_mov_b32_e32 v0, 0
	v_mov_b32_e32 v2, 0
	s_branch .LBB57_13
.LBB57_9:
	s_mov_b32 s56, 0
	v_mov_b32_e32 v0, 0
	v_mov_b32_e32 v2, 0
	;; [unrolled: 1-line block ×3, first 2 shown]
.LBB57_10:
	s_and_b32 s6, s57, 3
	s_cmp_eq_u32 s6, 0
	s_cbranch_scc1 .LBB57_13
; %bb.11:
	s_lshl_b32 s0, s56, 3
	s_add_u32 s0, s34, s0
	s_addc_u32 s1, s35, 0
	s_add_u32 s0, s0, 0xc4
	s_addc_u32 s1, s1, 0
	s_mul_i32 s2, s56, 12
	s_add_u32 s2, s34, s2
	s_addc_u32 s3, s35, 0
.LBB57_12:                              ; =>This Inner Loop Header: Depth=1
	s_load_dwordx2 s[8:9], s[2:3], 0x4
	s_load_dword s7, s[2:3], 0xc
	s_load_dwordx2 s[10:11], s[0:1], 0x0
	s_add_u32 s2, s2, 12
	s_addc_u32 s3, s3, 0
	s_waitcnt lgkmcnt(0)
	v_mul_hi_u32 v3, s9, v1
	s_add_u32 s0, s0, 8
	s_addc_u32 s1, s1, 0
	s_add_i32 s6, s6, -1
	v_add_u32_e32 v3, v1, v3
	v_lshrrev_b32_e32 v4, s7, v3
	v_mul_lo_u32 v3, v4, s8
	s_cmp_lg_u32 s6, 0
	v_sub_u32_e32 v3, v1, v3
	v_mad_u64_u32 v[0:1], s[8:9], v3, s10, v[0:1]
	v_mad_u64_u32 v[2:3], s[8:9], v3, s11, v[2:3]
	v_mov_b32_e32 v1, v4
	s_cbranch_scc1 .LBB57_12
.LBB57_13:
	s_cbranch_execnz .LBB57_16
.LBB57_14:
	s_waitcnt lgkmcnt(0)
	v_mul_hi_u32 v0, s37, v8
	s_andn2_b64 vcc, exec, s[48:49]
	v_add_u32_e32 v0, v8, v0
	v_lshrrev_b32_e32 v1, s38, v0
	v_mul_lo_u32 v0, v1, s36
	v_sub_u32_e32 v2, v8, v0
	v_mul_lo_u32 v0, v2, s28
	v_mul_lo_u32 v2, v2, s29
	s_cbranch_vccnz .LBB57_16
; %bb.15:
	v_mul_hi_u32 v3, s46, v1
	v_add_u32_e32 v3, v1, v3
	v_lshrrev_b32_e32 v3, s47, v3
	v_mul_lo_u32 v3, v3, s39
	v_sub_u32_e32 v3, v1, v3
	v_mad_u64_u32 v[0:1], s[0:1], v3, s30, v[0:1]
	v_mad_u64_u32 v[2:3], s[0:1], v3, s31, v[2:3]
.LBB57_16:
	s_waitcnt lgkmcnt(0)
	v_mov_b32_e32 v3, s27
	s_and_b32 s10, 0xffff, s74
	v_add_co_u32_e32 v1, vcc, s26, v2
	s_cmp_lt_i32 s10, 11
	v_addc_co_u32_e32 v2, vcc, 0, v3, vcc
	s_cbranch_scc1 .LBB57_23
; %bb.17:
	s_cmp_gt_i32 s10, 25
	s_cbranch_scc0 .LBB57_38
; %bb.18:
	s_cmp_gt_i32 s10, 28
	s_cbranch_scc0 .LBB57_41
	;; [unrolled: 3-line block ×4, first 2 shown]
; %bb.21:
	s_cmp_eq_u32 s10, 46
	s_mov_b64 s[2:3], 0
	s_cbranch_scc0 .LBB57_47
; %bb.22:
	global_load_dword v3, v[1:2], off
	s_mov_b64 s[0:1], -1
	s_mov_b64 s[8:9], 0
	s_waitcnt vmcnt(0)
	v_lshlrev_b32_e32 v3, 16, v3
	s_branch .LBB57_49
.LBB57_23:
	s_mov_b64 s[8:9], 0
                                        ; implicit-def: $vgpr3
	s_mov_b64 s[0:1], 0
	s_cbranch_execnz .LBB57_222
.LBB57_24:
	s_andn2_b64 vcc, exec, s[0:1]
	s_cbranch_vccnz .LBB57_269
.LBB57_25:
	s_waitcnt vmcnt(0)
	v_cmp_gt_f32_e32 vcc, 0.5, v3
	v_mov_b32_e32 v2, 0
	v_mov_b32_e32 v1, 1.0
	s_and_saveexec_b64 s[10:11], vcc
	s_cbranch_execz .LBB57_31
; %bb.26:
	v_mul_f32_e32 v1, 0x40490fdb, v3
	s_brev_b32 s0, 18
	v_and_b32_e32 v2, 0x7fffffff, v1
	v_cmp_nlt_f32_e64 s[0:1], |v1|, s0
                                        ; implicit-def: $vgpr4
                                        ; implicit-def: $vgpr5
	s_and_saveexec_b64 s[2:3], s[0:1]
	s_xor_b64 s[12:13], exec, s[2:3]
	s_cbranch_execz .LBB57_28
; %bb.27:
	v_and_b32_e32 v4, 0x7fffff, v2
	v_or_b32_e32 v7, 0x800000, v4
	s_mov_b32 s0, 0xfe5163ab
	v_mad_u64_u32 v[4:5], s[0:1], v7, s0, 0
	v_mov_b32_e32 v6, 0
	s_mov_b32 s0, 0x3c439041
	v_mad_u64_u32 v[9:10], s[0:1], v7, s0, v[5:6]
	s_mov_b32 s0, 0xdb629599
	v_not_b32_e32 v14, 63
	v_mov_b32_e32 v5, v10
	v_mad_u64_u32 v[10:11], s[0:1], v7, s0, v[5:6]
	s_mov_b32 s0, 0xf534ddc0
	v_not_b32_e32 v16, 31
	v_mov_b32_e32 v5, v11
	v_mad_u64_u32 v[11:12], s[0:1], v7, s0, v[5:6]
	v_lshrrev_b32_e32 v5, 23, v2
	v_add_u32_e32 v15, 0xffffff88, v5
	v_mov_b32_e32 v5, v12
	s_mov_b32 s0, 0xfc2757d1
	v_mad_u64_u32 v[12:13], s[0:1], v7, s0, v[5:6]
	v_cmp_lt_u32_e32 vcc, 63, v15
	v_cndmask_b32_e32 v5, 0, v14, vcc
	v_add_u32_e32 v15, v5, v15
	v_mov_b32_e32 v5, v13
	s_mov_b32 s0, 0x4e441529
	v_mad_u64_u32 v[13:14], s[0:1], v7, s0, v[5:6]
	v_cmp_lt_u32_e64 s[0:1], 31, v15
	v_cndmask_b32_e64 v5, 0, v16, s[0:1]
	v_add_u32_e32 v15, v5, v15
	v_mov_b32_e32 v5, v14
	s_mov_b32 s2, 0xa2f9836e
	v_mad_u64_u32 v[5:6], s[2:3], v7, s2, v[5:6]
	v_cmp_lt_u32_e64 s[2:3], 31, v15
	v_cndmask_b32_e64 v7, 0, v16, s[2:3]
	v_cndmask_b32_e32 v14, v13, v11, vcc
	v_cndmask_b32_e32 v5, v5, v12, vcc
	;; [unrolled: 1-line block ×3, first 2 shown]
	v_add_u32_e32 v7, v7, v15
	v_cndmask_b32_e64 v15, v5, v14, s[0:1]
	v_cndmask_b32_e64 v5, v6, v5, s[0:1]
	v_cndmask_b32_e32 v6, v12, v10, vcc
	v_cndmask_b32_e64 v12, v14, v6, s[0:1]
	v_cndmask_b32_e64 v5, v5, v15, s[2:3]
	;; [unrolled: 1-line block ×3, first 2 shown]
	v_sub_u32_e32 v14, 32, v7
	v_alignbit_b32 v15, v5, v13, v14
	v_cmp_eq_u32_e64 s[6:7], 0, v7
	v_cndmask_b32_e64 v7, v15, v5, s[6:7]
	v_cndmask_b32_e32 v5, v11, v9, vcc
	v_cndmask_b32_e64 v6, v6, v5, s[0:1]
	v_cndmask_b32_e64 v9, v12, v6, s[2:3]
	v_alignbit_b32 v11, v13, v9, v14
	v_cndmask_b32_e32 v4, v10, v4, vcc
	v_cndmask_b32_e64 v11, v11, v13, s[6:7]
	v_bfe_u32 v15, v7, 29, 1
	v_cndmask_b32_e64 v4, v5, v4, s[0:1]
	v_alignbit_b32 v12, v7, v11, 30
	v_sub_u32_e32 v16, 0, v15
	v_cndmask_b32_e64 v4, v6, v4, s[2:3]
	v_xor_b32_e32 v12, v12, v16
	v_alignbit_b32 v5, v9, v4, v14
	v_cndmask_b32_e64 v5, v5, v9, s[6:7]
	v_ffbh_u32_e32 v9, v12
	v_alignbit_b32 v6, v11, v5, 30
	v_min_u32_e32 v9, 32, v9
	v_alignbit_b32 v4, v5, v4, 30
	v_xor_b32_e32 v6, v6, v16
	v_sub_u32_e32 v10, 31, v9
	v_xor_b32_e32 v4, v4, v16
	v_alignbit_b32 v11, v12, v6, v10
	v_alignbit_b32 v4, v6, v4, v10
	;; [unrolled: 1-line block ×3, first 2 shown]
	v_ffbh_u32_e32 v6, v5
	v_min_u32_e32 v6, 32, v6
	v_lshrrev_b32_e32 v13, 29, v7
	v_not_b32_e32 v10, v6
	v_alignbit_b32 v4, v5, v4, v10
	v_lshlrev_b32_e32 v5, 31, v13
	v_or_b32_e32 v10, 0x33000000, v5
	v_add_lshl_u32 v6, v6, v9, 23
	v_lshrrev_b32_e32 v4, 9, v4
	v_sub_u32_e32 v6, v10, v6
	v_or_b32_e32 v5, 0.5, v5
	v_lshlrev_b32_e32 v9, 23, v9
	v_or_b32_e32 v4, v6, v4
	v_lshrrev_b32_e32 v6, 9, v11
	v_sub_u32_e32 v5, v5, v9
	v_or_b32_e32 v5, v6, v5
	s_mov_b32 s0, 0x3fc90fda
	v_mul_f32_e32 v6, 0x3fc90fda, v5
	v_fma_f32 v9, v5, s0, -v6
	v_fmac_f32_e32 v9, 0x33a22168, v5
	v_fmac_f32_e32 v9, 0x3fc90fda, v4
	v_lshrrev_b32_e32 v4, 30, v7
	v_add_f32_e32 v5, v6, v9
	v_add_u32_e32 v4, v15, v4
.LBB57_28:
	s_andn2_saveexec_b64 s[0:1], s[12:13]
	s_cbranch_execz .LBB57_30
; %bb.29:
	s_mov_b32 s2, 0x3f22f983
	v_mul_f32_e64 v4, |v1|, s2
	v_rndne_f32_e32 v6, v4
	s_mov_b32 s2, 0xbfc90fda
	v_cvt_i32_f32_e32 v4, v6
	v_fma_f32 v5, v6, s2, |v1|
	v_fmac_f32_e32 v5, 0xb3a22168, v6
	v_fmac_f32_e32 v5, 0xa7c234c4, v6
.LBB57_30:
	s_or_b64 exec, exec, s[0:1]
	v_mul_f32_e32 v6, v5, v5
	v_mov_b32_e32 v7, 0x3c0881c4
	v_fmac_f32_e32 v7, 0xb94c1982, v6
	v_mov_b32_e32 v9, 0xbe2aaa9d
	v_fmac_f32_e32 v9, v6, v7
	v_mul_f32_e32 v7, v6, v9
	v_fmac_f32_e32 v5, v5, v7
	v_mov_b32_e32 v7, 0xbab64f3b
	v_fmac_f32_e32 v7, 0x37d75334, v6
	v_mov_b32_e32 v9, 0x3d2aabf7
	v_fmac_f32_e32 v9, v6, v7
	v_mov_b32_e32 v7, 0xbf000004
	v_fmac_f32_e32 v7, v6, v9
	v_fma_f32 v6, v6, v7, 1.0
	v_and_b32_e32 v7, 1, v4
	v_lshlrev_b32_e32 v4, 30, v4
	v_cmp_eq_u32_e32 vcc, 0, v7
	v_and_b32_e32 v4, 0x80000000, v4
	v_xor_b32_e32 v2, v2, v1
	v_cndmask_b32_e32 v5, v6, v5, vcc
	v_xor_b32_e32 v2, v2, v4
	s_movk_i32 s0, 0x1f8
	v_xor_b32_e32 v2, v2, v5
	v_mov_b32_e32 v4, 0x7fc00000
	v_cmp_class_f32_e64 vcc, v1, s0
	v_cndmask_b32_e32 v1, v4, v2, vcc
	v_mul_f32_e32 v1, v1, v1
	s_mov_b32 s2, 0xc11de9e7
	v_div_scale_f32 v2, s[0:1], v1, v1, s2
	v_div_scale_f32 v4, vcc, s2, v1, s2
	v_sub_f32_e32 v3, 1.0, v3
	v_rcp_f32_e32 v5, v2
	v_fma_f32 v6, -v2, v5, 1.0
	v_fmac_f32_e32 v5, v6, v5
	v_mul_f32_e32 v6, v4, v5
	v_fma_f32 v7, -v2, v6, v4
	v_fmac_f32_e32 v6, v7, v5
	v_fma_f32 v2, -v2, v6, v4
	v_div_fmas_f32 v2, v2, v5, v6
	v_div_fixup_f32 v1, v2, v1, s2
	v_add_f32_e32 v2, 0, v1
	v_mov_b32_e32 v1, -1.0
.LBB57_31:
	s_or_b64 exec, exec, s[10:11]
	v_mul_f32_e32 v4, v3, v3
	v_div_scale_f32 v6, s[0:1], v4, v4, 1.0
	v_add_f32_e32 v5, 1.0, v3
	v_mul_f32_e32 v3, v5, v5
	v_div_scale_f32 v9, s[0:1], v3, v3, 1.0
	v_div_scale_f32 v7, vcc, 1.0, v4, 1.0
	v_add_f32_e32 v10, 1.0, v5
	v_div_scale_f32 v11, s[0:1], 1.0, v3, 1.0
	v_mul_f32_e32 v5, v10, v10
	v_div_scale_f32 v12, s[2:3], v5, v5, 1.0
	v_div_scale_f32 v15, s[2:3], 1.0, v5, 1.0
	v_rcp_f32_e32 v13, v6
	v_add_f32_e32 v10, 1.0, v10
	s_and_b32 s12, s73, 0xff
	s_cmp_lt_i32 s12, 11
	v_rcp_f32_e32 v14, v9
	v_fma_f32 v16, -v6, v13, 1.0
	v_fmac_f32_e32 v13, v16, v13
	v_mul_f32_e32 v17, v7, v13
	v_fma_f32 v18, -v6, v17, v7
	v_fma_f32 v16, -v9, v14, 1.0
	v_fmac_f32_e32 v17, v18, v13
	v_fma_f32 v6, -v6, v17, v7
	v_fmac_f32_e32 v14, v16, v14
	v_div_fmas_f32 v6, v6, v13, v17
	v_mul_f32_e32 v13, v11, v14
	v_fma_f32 v7, -v9, v13, v11
	v_rcp_f32_e32 v16, v12
	v_fmac_f32_e32 v13, v7, v14
	v_mul_f32_e32 v7, v10, v10
	v_div_scale_f32 v17, s[6:7], v7, v7, 1.0
	v_fma_f32 v9, -v9, v13, v11
	v_fma_f32 v11, -v12, v16, 1.0
	v_fmac_f32_e32 v16, v11, v16
	s_mov_b64 vcc, s[0:1]
	v_mul_f32_e32 v11, v15, v16
	v_div_fmas_f32 v9, v9, v14, v13
	v_fma_f32 v13, -v12, v11, v15
	v_fmac_f32_e32 v11, v13, v16
	v_div_scale_f32 v13, s[0:1], 1.0, v7, 1.0
	v_add_f32_e32 v14, 1.0, v10
	v_mul_f32_e32 v10, v14, v14
	v_div_scale_f32 v18, s[6:7], v10, v10, 1.0
	v_fma_f32 v12, -v12, v11, v15
	s_mov_b64 vcc, s[2:3]
	v_div_fmas_f32 v11, v12, v16, v11
	v_div_scale_f32 v12, s[2:3], 1.0, v10, 1.0
	v_rcp_f32_e32 v15, v17
	v_add_f32_e32 v14, 1.0, v14
	v_mul_f32_e32 v19, v14, v14
	v_div_scale_f32 v20, s[6:7], v19, v19, 1.0
	v_fma_f32 v16, -v17, v15, 1.0
	v_fmac_f32_e32 v15, v16, v15
	v_mul_f32_e32 v16, v13, v15
	v_fma_f32 v21, -v17, v16, v13
	v_fmac_f32_e32 v16, v21, v15
	v_rcp_f32_e32 v21, v18
	v_fma_f32 v13, -v17, v16, v13
	s_mov_b64 vcc, s[0:1]
	v_div_fmas_f32 v13, v13, v15, v16
	v_fma_f32 v15, -v18, v21, 1.0
	v_fmac_f32_e32 v21, v15, v21
	v_mul_f32_e32 v15, v12, v21
	v_fma_f32 v16, -v18, v15, v12
	v_fmac_f32_e32 v15, v16, v21
	v_div_scale_f32 v16, s[0:1], 1.0, v19, 1.0
	v_add_f32_e32 v14, 1.0, v14
	v_mul_f32_e32 v22, v14, v14
	v_div_scale_f32 v23, s[6:7], v22, v22, 1.0
	v_rcp_f32_e32 v17, v20
	v_fma_f32 v12, -v18, v15, v12
	s_mov_b64 vcc, s[2:3]
	v_div_scale_f32 v18, s[2:3], 1.0, v22, 1.0
	v_div_fmas_f32 v12, v12, v21, v15
	v_add_f32_e32 v21, v14, v14
	v_div_scale_f32 v24, s[6:7], v21, v21, 1.0
	v_fma_f32 v15, -v20, v17, 1.0
	v_fmac_f32_e32 v17, v15, v17
	v_mul_f32_e32 v15, v16, v17
	v_fma_f32 v25, -v20, v15, v16
	v_fmac_f32_e32 v15, v25, v17
	v_div_scale_f32 v25, s[6:7], 1.0, v21, 1.0
	v_rcp_f32_e32 v26, v23
	v_fma_f32 v16, -v20, v15, v16
	s_mov_b64 vcc, s[0:1]
	v_div_fmas_f32 v15, v16, v17, v15
	v_fma_f32 v16, -v23, v26, 1.0
	v_fmac_f32_e32 v26, v16, v26
	v_mul_f32_e32 v16, v18, v26
	v_fma_f32 v17, -v23, v16, v18
	v_fmac_f32_e32 v16, v17, v26
	v_rcp_f32_e32 v17, v24
	v_fma_f32 v18, -v23, v16, v18
	s_mov_b64 vcc, s[2:3]
	v_div_fmas_f32 v16, v18, v26, v16
	v_fma_f32 v18, -v24, v17, 1.0
	v_fmac_f32_e32 v17, v18, v17
	v_mul_f32_e32 v18, v25, v17
	v_fma_f32 v20, -v24, v18, v25
	v_fmac_f32_e32 v18, v20, v17
	v_fma_f32 v20, -v24, v18, v25
	s_mov_b64 vcc, s[6:7]
	v_div_fmas_f32 v17, v20, v17, v18
	v_mov_b32_e32 v18, 0x3d088889
	s_mov_b32 s0, 0x3e2aaaab
	v_div_fixup_f32 v4, v6, v4, 1.0
	v_add_f32_e32 v2, v2, v4
	v_div_fixup_f32 v3, v9, v3, 1.0
	v_add_f32_e32 v2, v2, v3
	v_div_fixup_f32 v3, v11, v5, 1.0
	v_div_fixup_f32 v16, v16, v22, 1.0
	v_fmac_f32_e32 v18, 0xbcc30c31, v16
	v_fma_f32 v18, -v16, v18, s0
	v_add_f32_e32 v2, v2, v3
	v_div_fixup_f32 v3, v13, v7, 1.0
	v_add_f32_e32 v2, v2, v3
	v_div_fixup_f32 v3, v12, v10, 1.0
	;; [unrolled: 2-line block ×3, first 2 shown]
	v_add_f32_e32 v17, 1.0, v17
	v_fmac_f32_e32 v17, v16, v18
	v_div_scale_f32 v16, s[0:1], v14, v14, v17
	v_div_scale_f32 v18, vcc, v17, v14, v17
	v_div_fixup_f32 v3, v15, v19, 1.0
	v_add_f32_e32 v2, v2, v3
	v_rcp_f32_e32 v20, v16
	v_fma_f32 v21, -v16, v20, 1.0
	v_fmac_f32_e32 v20, v21, v20
	v_mul_f32_e32 v21, v18, v20
	v_fma_f32 v22, -v16, v21, v18
	v_fmac_f32_e32 v21, v22, v20
	v_fma_f32 v16, -v16, v21, v18
	v_div_fmas_f32 v16, v16, v20, v21
	v_add_co_u32_e32 v0, vcc, s24, v0
	v_div_fixup_f32 v3, v16, v14, v17
	v_add_f32_e32 v2, v2, v3
	v_mul_f32_e32 v2, v1, v2
	v_mov_b32_e32 v1, s25
	v_addc_co_u32_e32 v1, vcc, 0, v1, vcc
	s_cbranch_scc1 .LBB57_39
; %bb.32:
	s_and_b32 s13, 0xffff, s12
	s_cmp_gt_i32 s13, 25
	s_cbranch_scc0 .LBB57_42
; %bb.33:
	s_cmp_gt_i32 s13, 28
	s_cbranch_scc0 .LBB57_44
; %bb.34:
	;; [unrolled: 3-line block ×4, first 2 shown]
	s_mov_b64 s[6:7], 0
	s_mov_b64 s[0:1], -1
	s_cmp_eq_u32 s13, 46
	s_mov_b64 s[2:3], 0
	s_cbranch_scc0 .LBB57_53
; %bb.37:
	v_bfe_u32 v3, v2, 16, 1
	s_movk_i32 s0, 0x7fff
	v_add3_u32 v3, v2, v3, s0
	v_cmp_o_f32_e32 vcc, v2, v2
	v_mov_b32_e32 v4, 0x7fc0
	v_cndmask_b32_sdwa v3, v4, v3, vcc dst_sel:DWORD dst_unused:UNUSED_PAD src0_sel:DWORD src1_sel:WORD_1
	global_store_dword v[0:1], v3, off
	s_mov_b64 s[2:3], -1
	s_mov_b64 s[0:1], 0
	s_branch .LBB57_53
.LBB57_38:
	s_mov_b64 s[8:9], 0
	s_mov_b64 s[0:1], 0
                                        ; implicit-def: $vgpr3
	s_cbranch_execnz .LBB57_187
	s_branch .LBB57_221
.LBB57_39:
	s_mov_b64 s[0:1], 0
	s_mov_b64 s[2:3], 0
	s_cbranch_execnz .LBB57_122
.LBB57_40:
	s_andn2_b64 vcc, exec, s[2:3]
	s_cbranch_vccnz .LBB57_270
	s_branch .LBB57_160
.LBB57_41:
	s_mov_b64 s[2:3], -1
	s_mov_b64 s[8:9], 0
	s_mov_b64 s[0:1], 0
                                        ; implicit-def: $vgpr3
	s_branch .LBB57_168
.LBB57_42:
	s_mov_b64 s[6:7], -1
	s_mov_b64 s[0:1], 0
	s_mov_b64 s[2:3], 0
	s_branch .LBB57_80
.LBB57_43:
	s_mov_b64 s[2:3], -1
	s_mov_b64 s[8:9], 0
	s_mov_b64 s[0:1], 0
                                        ; implicit-def: $vgpr3
	s_branch .LBB57_163
.LBB57_44:
	s_mov_b64 s[6:7], -1
	s_mov_b64 s[0:1], 0
	s_mov_b64 s[2:3], 0
	s_branch .LBB57_63
.LBB57_45:
	s_mov_b64 s[2:3], -1
	s_mov_b64 s[8:9], 0
	s_branch .LBB57_48
.LBB57_46:
	s_mov_b64 s[6:7], -1
	s_mov_b64 s[0:1], 0
	s_mov_b64 s[2:3], 0
	s_branch .LBB57_59
.LBB57_47:
	s_mov_b64 s[8:9], -1
.LBB57_48:
	s_mov_b64 s[0:1], 0
                                        ; implicit-def: $vgpr3
.LBB57_49:
	s_and_b64 vcc, exec, s[2:3]
	s_cbranch_vccz .LBB57_162
; %bb.50:
	s_cmp_eq_u32 s10, 44
	s_cbranch_scc0 .LBB57_161
; %bb.51:
	global_load_ubyte v3, v[1:2], off
	s_movk_i32 s2, 0xff
	v_mov_b32_e32 v4, 0x7f800001
	v_mov_b32_e32 v5, 0x400000
	s_mov_b64 s[0:1], -1
	s_mov_b64 s[8:9], 0
	s_waitcnt vmcnt(0)
	v_lshlrev_b32_e32 v6, 23, v3
	v_cmp_ne_u32_e32 vcc, s2, v3
	v_cndmask_b32_e32 v4, v4, v6, vcc
	v_cmp_ne_u32_e32 vcc, 0, v3
	v_cndmask_b32_e32 v3, v5, v4, vcc
	s_branch .LBB57_162
.LBB57_52:
	s_mov_b64 s[6:7], -1
	s_mov_b64 s[0:1], 0
	s_mov_b64 s[2:3], 0
.LBB57_53:
	s_and_b64 vcc, exec, s[6:7]
	s_cbranch_vccz .LBB57_58
; %bb.54:
	s_cmp_eq_u32 s13, 44
	s_mov_b64 s[0:1], -1
	s_cbranch_scc0 .LBB57_58
; %bb.55:
	v_bfe_u32 v3, v2, 23, 8
	s_movk_i32 s0, 0xff
	v_cmp_ne_u32_e32 vcc, s0, v3
	v_mov_b32_e32 v4, 0xff
	s_and_saveexec_b64 s[2:3], vcc
; %bb.56:
	s_mov_b32 s0, 0x3fffff
	v_and_b32_e32 v5, 0x400000, v2
	v_and_or_b32 v3, v2, s0, v3
	v_cmp_ne_u32_e32 vcc, 0, v5
	v_cmp_ne_u32_e64 s[0:1], 0, v3
	s_and_b64 s[0:1], vcc, s[0:1]
	v_lshrrev_b32_e32 v4, 23, v2
	v_cndmask_b32_e64 v3, 0, 1, s[0:1]
	v_add_u32_e32 v4, v4, v3
; %bb.57:
	s_or_b64 exec, exec, s[2:3]
	s_mov_b64 s[2:3], -1
	s_mov_b64 s[0:1], 0
	global_store_byte v[0:1], v4, off
.LBB57_58:
	s_mov_b64 s[6:7], 0
.LBB57_59:
	s_and_b64 vcc, exec, s[6:7]
	s_cbranch_vccz .LBB57_62
; %bb.60:
	s_cmp_eq_u32 s13, 29
	s_mov_b64 s[0:1], -1
	s_cbranch_scc0 .LBB57_62
; %bb.61:
	v_trunc_f32_e32 v3, v2
	v_mul_f32_e32 v4, 0x2f800000, v3
	v_floor_f32_e32 v5, v4
	v_fmac_f32_e32 v3, 0xcf800000, v5
	v_cvt_u32_f32_e32 v4, v5
	v_cvt_u32_f32_e32 v3, v3
	s_mov_b64 s[2:3], -1
	s_mov_b64 s[0:1], 0
	s_mov_b64 s[6:7], 0
	global_store_dwordx2 v[0:1], v[3:4], off
	s_branch .LBB57_63
.LBB57_62:
	s_mov_b64 s[6:7], 0
.LBB57_63:
	s_and_b64 vcc, exec, s[6:7]
	s_cbranch_vccz .LBB57_79
; %bb.64:
	s_cmp_lt_i32 s13, 27
	s_mov_b64 s[2:3], -1
	s_cbranch_scc1 .LBB57_70
; %bb.65:
	v_cvt_u32_f32_e32 v3, v2
	s_cmp_gt_i32 s13, 27
	s_cbranch_scc0 .LBB57_67
; %bb.66:
	s_mov_b64 s[2:3], 0
	global_store_dword v[0:1], v3, off
.LBB57_67:
	s_andn2_b64 vcc, exec, s[2:3]
	s_cbranch_vccnz .LBB57_69
; %bb.68:
	global_store_short v[0:1], v3, off
.LBB57_69:
	s_mov_b64 s[2:3], 0
.LBB57_70:
	s_andn2_b64 vcc, exec, s[2:3]
	s_cbranch_vccnz .LBB57_78
; %bb.71:
	v_and_b32_e32 v3, 0x7fffffff, v2
	s_mov_b32 s2, 0x43800000
	v_cmp_gt_u32_e32 vcc, s2, v3
	v_mov_b32_e32 v4, 0x80
	s_and_saveexec_b64 s[2:3], vcc
	s_cbranch_execz .LBB57_77
; %bb.72:
	s_mov_b32 s6, 0x3bffffff
	v_cmp_lt_u32_e32 vcc, s6, v3
	s_mov_b64 s[6:7], 0
                                        ; implicit-def: $vgpr3
	s_and_saveexec_b64 s[10:11], vcc
	s_xor_b64 s[10:11], exec, s[10:11]
	s_cbranch_execz .LBB57_319
; %bb.73:
	v_bfe_u32 v3, v2, 20, 1
	s_mov_b32 s14, 0x487ffff
	v_add3_u32 v3, v2, v3, s14
	s_mov_b64 s[6:7], exec
	v_lshrrev_b32_e32 v3, 20, v3
	s_andn2_saveexec_b64 s[10:11], s[10:11]
	s_cbranch_execnz .LBB57_320
.LBB57_74:
	s_or_b64 exec, exec, s[10:11]
	v_mov_b32_e32 v4, 0
	s_and_saveexec_b64 s[10:11], s[6:7]
.LBB57_75:
	v_lshrrev_b32_e32 v4, 24, v2
	s_movk_i32 s6, 0x80
	v_and_or_b32 v4, v4, s6, v3
.LBB57_76:
	s_or_b64 exec, exec, s[10:11]
.LBB57_77:
	s_or_b64 exec, exec, s[2:3]
	global_store_byte v[0:1], v4, off
.LBB57_78:
	s_mov_b64 s[2:3], -1
.LBB57_79:
	s_mov_b64 s[6:7], 0
.LBB57_80:
	s_and_b64 vcc, exec, s[6:7]
	s_cbranch_vccz .LBB57_121
; %bb.81:
	s_cmp_gt_i32 s13, 22
	s_mov_b64 s[6:7], -1
	s_cbranch_scc0 .LBB57_113
; %bb.82:
	s_cmp_lt_i32 s13, 24
	s_mov_b64 s[2:3], -1
	s_cbranch_scc1 .LBB57_102
; %bb.83:
	s_cmp_gt_i32 s13, 24
	s_cbranch_scc0 .LBB57_91
; %bb.84:
	v_and_b32_e32 v3, 0x7fffffff, v2
	s_mov_b32 s2, 0x47800000
	v_cmp_gt_u32_e32 vcc, s2, v3
	v_mov_b32_e32 v4, 0x80
	s_and_saveexec_b64 s[2:3], vcc
	s_cbranch_execz .LBB57_90
; %bb.85:
	s_mov_b32 s6, 0x37ffffff
	v_cmp_lt_u32_e32 vcc, s6, v3
	s_mov_b64 s[6:7], 0
                                        ; implicit-def: $vgpr3
	s_and_saveexec_b64 s[10:11], vcc
	s_xor_b64 s[10:11], exec, s[10:11]
	s_cbranch_execz .LBB57_323
; %bb.86:
	v_bfe_u32 v3, v2, 21, 1
	s_mov_b32 s14, 0x88fffff
	v_add3_u32 v3, v2, v3, s14
	s_mov_b64 s[6:7], exec
	v_lshrrev_b32_e32 v3, 21, v3
	s_andn2_saveexec_b64 s[10:11], s[10:11]
	s_cbranch_execnz .LBB57_324
.LBB57_87:
	s_or_b64 exec, exec, s[10:11]
	v_mov_b32_e32 v4, 0
	s_and_saveexec_b64 s[10:11], s[6:7]
.LBB57_88:
	v_lshrrev_b32_e32 v4, 24, v2
	s_movk_i32 s6, 0x80
	v_and_or_b32 v4, v4, s6, v3
.LBB57_89:
	s_or_b64 exec, exec, s[10:11]
.LBB57_90:
	s_or_b64 exec, exec, s[2:3]
	s_mov_b64 s[2:3], 0
	global_store_byte v[0:1], v4, off
.LBB57_91:
	s_and_b64 vcc, exec, s[2:3]
	s_cbranch_vccz .LBB57_101
; %bb.92:
	v_and_b32_e32 v4, 0x7fffffff, v2
	s_mov_b32 s2, 0x43f00000
	v_cmp_gt_u32_e32 vcc, s2, v4
                                        ; implicit-def: $vgpr3
	s_and_saveexec_b64 s[2:3], vcc
	s_xor_b64 s[2:3], exec, s[2:3]
	s_cbranch_execz .LBB57_98
; %bb.93:
	s_mov_b32 s6, 0x3c7fffff
	v_cmp_lt_u32_e32 vcc, s6, v4
                                        ; implicit-def: $vgpr3
	s_and_saveexec_b64 s[6:7], vcc
	s_xor_b64 s[6:7], exec, s[6:7]
; %bb.94:
	v_bfe_u32 v3, v2, 20, 1
	s_mov_b32 s10, 0x407ffff
	v_add3_u32 v3, v2, v3, s10
	v_lshrrev_b32_e32 v4, 20, v3
	v_and_b32_e32 v3, 0xff00000, v3
	s_mov_b32 s10, 0x7f00000
	v_mov_b32_e32 v5, 0x7e
	v_cmp_ne_u32_e32 vcc, s10, v3
	v_cndmask_b32_e32 v3, v5, v4, vcc
; %bb.95:
	s_andn2_saveexec_b64 s[6:7], s[6:7]
; %bb.96:
	s_mov_b32 s10, 0x46800000
	v_add_f32_e64 v3, |v2|, s10
; %bb.97:
	s_or_b64 exec, exec, s[6:7]
                                        ; implicit-def: $vgpr4
.LBB57_98:
	s_andn2_saveexec_b64 s[2:3], s[2:3]
; %bb.99:
	s_mov_b32 s6, 0x7f800000
	v_mov_b32_e32 v3, 0x7e
	v_mov_b32_e32 v5, 0x7f
	v_cmp_lt_u32_e32 vcc, s6, v4
	v_cndmask_b32_e32 v3, v3, v5, vcc
; %bb.100:
	s_or_b64 exec, exec, s[2:3]
	v_lshrrev_b32_e32 v4, 24, v2
	s_movk_i32 s2, 0x80
	v_and_or_b32 v3, v4, s2, v3
	global_store_byte v[0:1], v3, off
.LBB57_101:
	s_mov_b64 s[2:3], 0
.LBB57_102:
	s_andn2_b64 vcc, exec, s[2:3]
	s_cbranch_vccnz .LBB57_112
; %bb.103:
	v_and_b32_e32 v4, 0x7fffffff, v2
	s_mov_b32 s2, 0x47800000
	v_cmp_gt_u32_e32 vcc, s2, v4
                                        ; implicit-def: $vgpr3
	s_and_saveexec_b64 s[2:3], vcc
	s_xor_b64 s[2:3], exec, s[2:3]
	s_cbranch_execz .LBB57_109
; %bb.104:
	s_mov_b32 s6, 0x387fffff
	v_cmp_lt_u32_e32 vcc, s6, v4
                                        ; implicit-def: $vgpr3
	s_and_saveexec_b64 s[6:7], vcc
	s_xor_b64 s[6:7], exec, s[6:7]
; %bb.105:
	v_bfe_u32 v3, v2, 21, 1
	s_mov_b32 s10, 0x80fffff
	v_add3_u32 v3, v2, v3, s10
	v_lshrrev_b32_e32 v3, 21, v3
; %bb.106:
	s_andn2_saveexec_b64 s[6:7], s[6:7]
; %bb.107:
	s_mov_b32 s10, 0x43000000
	v_add_f32_e64 v3, |v2|, s10
; %bb.108:
	s_or_b64 exec, exec, s[6:7]
                                        ; implicit-def: $vgpr4
.LBB57_109:
	s_andn2_saveexec_b64 s[2:3], s[2:3]
; %bb.110:
	s_mov_b32 s6, 0x7f800000
	v_mov_b32_e32 v3, 0x7c
	v_mov_b32_e32 v5, 0x7f
	v_cmp_lt_u32_e32 vcc, s6, v4
	v_cndmask_b32_e32 v3, v3, v5, vcc
; %bb.111:
	s_or_b64 exec, exec, s[2:3]
	v_lshrrev_b32_e32 v4, 24, v2
	s_movk_i32 s2, 0x80
	v_and_or_b32 v3, v4, s2, v3
	global_store_byte v[0:1], v3, off
.LBB57_112:
	s_mov_b64 s[6:7], 0
	s_mov_b64 s[2:3], -1
.LBB57_113:
	s_andn2_b64 vcc, exec, s[6:7]
	s_cbranch_vccnz .LBB57_121
; %bb.114:
	s_cmp_gt_i32 s13, 14
	s_mov_b64 s[6:7], -1
	s_cbranch_scc0 .LBB57_118
; %bb.115:
	s_cmp_eq_u32 s13, 15
	s_mov_b64 s[0:1], -1
	s_cbranch_scc0 .LBB57_117
; %bb.116:
	v_bfe_u32 v3, v2, 16, 1
	s_movk_i32 s0, 0x7fff
	v_add3_u32 v3, v2, v3, s0
	v_cmp_o_f32_e32 vcc, v2, v2
	v_mov_b32_e32 v4, 0x7fc0
	v_cndmask_b32_sdwa v3, v4, v3, vcc dst_sel:DWORD dst_unused:UNUSED_PAD src0_sel:DWORD src1_sel:WORD_1
	global_store_short v[0:1], v3, off
	s_mov_b64 s[2:3], -1
	s_mov_b64 s[0:1], 0
.LBB57_117:
	s_mov_b64 s[6:7], 0
.LBB57_118:
	s_and_b64 vcc, exec, s[6:7]
	s_cbranch_vccz .LBB57_121
; %bb.119:
	s_cmp_eq_u32 s13, 11
	s_mov_b64 s[0:1], -1
	s_cbranch_scc0 .LBB57_121
; %bb.120:
	v_cmp_neq_f32_e32 vcc, 0, v2
	v_cndmask_b32_e64 v3, 0, 1, vcc
	s_mov_b64 s[2:3], -1
	s_mov_b64 s[0:1], 0
	global_store_byte v[0:1], v3, off
.LBB57_121:
	s_branch .LBB57_40
.LBB57_122:
	s_and_b32 s6, 0xffff, s12
	s_cmp_lt_i32 s6, 5
	s_mov_b64 s[2:3], -1
	s_cbranch_scc1 .LBB57_143
; %bb.123:
	s_cmp_lt_i32 s6, 8
	s_cbranch_scc1 .LBB57_133
; %bb.124:
	s_cmp_lt_i32 s6, 9
	s_cbranch_scc1 .LBB57_130
; %bb.125:
	s_cmp_gt_i32 s6, 9
	s_cbranch_scc0 .LBB57_127
; %bb.126:
	v_cvt_f64_f32_e32 v[3:4], v2
	v_mov_b32_e32 v5, 0
	v_mov_b32_e32 v6, v5
	s_mov_b64 s[2:3], 0
	global_store_dwordx4 v[0:1], v[3:6], off
.LBB57_127:
	s_andn2_b64 vcc, exec, s[2:3]
	s_cbranch_vccnz .LBB57_129
; %bb.128:
	v_mov_b32_e32 v3, 0
	global_store_dwordx2 v[0:1], v[2:3], off
.LBB57_129:
	s_mov_b64 s[2:3], 0
.LBB57_130:
	s_andn2_b64 vcc, exec, s[2:3]
	s_cbranch_vccnz .LBB57_132
; %bb.131:
	v_cvt_f16_f32_e32 v3, v2
	global_store_dword v[0:1], v3, off
.LBB57_132:
	s_mov_b64 s[2:3], 0
.LBB57_133:
	s_andn2_b64 vcc, exec, s[2:3]
	s_cbranch_vccnz .LBB57_142
; %bb.134:
	s_cmp_lt_i32 s6, 6
	s_mov_b64 s[2:3], -1
	s_cbranch_scc1 .LBB57_140
; %bb.135:
	s_cmp_gt_i32 s6, 6
	s_cbranch_scc0 .LBB57_137
; %bb.136:
	v_cvt_f64_f32_e32 v[3:4], v2
	s_mov_b64 s[2:3], 0
	global_store_dwordx2 v[0:1], v[3:4], off
.LBB57_137:
	s_andn2_b64 vcc, exec, s[2:3]
	s_cbranch_vccnz .LBB57_139
; %bb.138:
	global_store_dword v[0:1], v2, off
.LBB57_139:
	s_mov_b64 s[2:3], 0
.LBB57_140:
	s_andn2_b64 vcc, exec, s[2:3]
	s_cbranch_vccnz .LBB57_142
; %bb.141:
	v_cvt_f16_f32_e32 v3, v2
	global_store_short v[0:1], v3, off
.LBB57_142:
	s_mov_b64 s[2:3], 0
.LBB57_143:
	s_andn2_b64 vcc, exec, s[2:3]
	s_cbranch_vccnz .LBB57_159
; %bb.144:
	s_cmp_lt_i32 s6, 2
	s_mov_b64 s[2:3], -1
	s_cbranch_scc1 .LBB57_154
; %bb.145:
	s_cmp_lt_i32 s6, 3
	s_cbranch_scc1 .LBB57_151
; %bb.146:
	s_cmp_gt_i32 s6, 3
	s_cbranch_scc0 .LBB57_148
; %bb.147:
	v_trunc_f32_e32 v3, v2
	s_mov_b32 s2, 0x2f800000
	v_mul_f32_e64 v4, |v3|, s2
	v_floor_f32_e32 v4, v4
	s_mov_b32 s2, 0xcf800000
	v_cvt_u32_f32_e32 v5, v4
	v_fma_f32 v4, v4, s2, |v3|
	v_cvt_u32_f32_e32 v4, v4
	v_ashrrev_i32_e32 v6, 31, v3
	v_xor_b32_e32 v5, v5, v6
	s_mov_b64 s[2:3], 0
	v_xor_b32_e32 v3, v4, v6
	v_sub_co_u32_e32 v3, vcc, v3, v6
	v_subb_co_u32_e32 v4, vcc, v5, v6, vcc
	global_store_dwordx2 v[0:1], v[3:4], off
.LBB57_148:
	s_andn2_b64 vcc, exec, s[2:3]
	s_cbranch_vccnz .LBB57_150
; %bb.149:
	v_cvt_i32_f32_e32 v3, v2
	global_store_dword v[0:1], v3, off
.LBB57_150:
	s_mov_b64 s[2:3], 0
.LBB57_151:
	s_andn2_b64 vcc, exec, s[2:3]
	s_cbranch_vccnz .LBB57_153
; %bb.152:
	v_cvt_i32_f32_e32 v3, v2
	global_store_short v[0:1], v3, off
.LBB57_153:
	s_mov_b64 s[2:3], 0
.LBB57_154:
	s_andn2_b64 vcc, exec, s[2:3]
	s_cbranch_vccnz .LBB57_159
; %bb.155:
	s_cmp_gt_i32 s6, 0
	s_mov_b64 s[2:3], -1
	s_cbranch_scc0 .LBB57_157
; %bb.156:
	v_cvt_i32_f32_e32 v3, v2
	s_mov_b64 s[2:3], 0
	global_store_byte v[0:1], v3, off
.LBB57_157:
	s_andn2_b64 vcc, exec, s[2:3]
	s_cbranch_vccnz .LBB57_159
; %bb.158:
	v_trunc_f32_e32 v2, v2
	s_mov_b32 s2, 0x2f800000
	v_mul_f32_e64 v3, |v2|, s2
	v_floor_f32_e32 v3, v3
	s_mov_b32 s2, 0xcf800000
	v_fma_f32 v3, v3, s2, |v2|
	v_cvt_u32_f32_e32 v3, v3
	v_ashrrev_i32_e32 v2, 31, v2
	v_xor_b32_e32 v3, v3, v2
	v_sub_u32_e32 v2, v3, v2
	global_store_byte v[0:1], v2, off
.LBB57_159:
.LBB57_160:
	v_add_u32_e32 v8, 0x80, v8
	s_mov_b64 s[2:3], -1
	s_branch .LBB57_271
.LBB57_161:
	s_mov_b64 s[8:9], -1
                                        ; implicit-def: $vgpr3
.LBB57_162:
	s_mov_b64 s[2:3], 0
.LBB57_163:
	s_and_b64 vcc, exec, s[2:3]
	s_cbranch_vccz .LBB57_167
; %bb.164:
	s_cmp_eq_u32 s10, 29
	s_cbranch_scc0 .LBB57_166
; %bb.165:
	global_load_dwordx2 v[3:4], v[1:2], off
	s_mov_b64 s[0:1], -1
	s_mov_b64 s[8:9], 0
	s_mov_b64 s[2:3], 0
	s_waitcnt vmcnt(0)
	v_ffbh_u32_e32 v5, v4
	v_min_u32_e32 v5, 32, v5
	v_lshlrev_b64 v[3:4], v5, v[3:4]
	v_min_u32_e32 v3, 1, v3
	v_or_b32_e32 v3, v4, v3
	v_cvt_f32_u32_e32 v3, v3
	v_sub_u32_e32 v4, 32, v5
	v_ldexp_f32 v3, v3, v4
	s_branch .LBB57_168
.LBB57_166:
	s_mov_b64 s[8:9], -1
                                        ; implicit-def: $vgpr3
.LBB57_167:
	s_mov_b64 s[2:3], 0
.LBB57_168:
	s_and_b64 vcc, exec, s[2:3]
	s_cbranch_vccz .LBB57_186
; %bb.169:
	s_cmp_lt_i32 s10, 27
	s_cbranch_scc1 .LBB57_172
; %bb.170:
	s_cmp_gt_i32 s10, 27
	s_cbranch_scc0 .LBB57_173
; %bb.171:
	global_load_dword v3, v[1:2], off
	s_mov_b64 s[0:1], 0
	s_waitcnt vmcnt(0)
	v_cvt_f32_u32_e32 v3, v3
	s_branch .LBB57_174
.LBB57_172:
	s_mov_b64 s[0:1], -1
                                        ; implicit-def: $vgpr3
	s_branch .LBB57_177
.LBB57_173:
	s_mov_b64 s[0:1], -1
                                        ; implicit-def: $vgpr3
.LBB57_174:
	s_andn2_b64 vcc, exec, s[0:1]
	s_cbranch_vccnz .LBB57_176
; %bb.175:
	global_load_ushort v3, v[1:2], off
	s_waitcnt vmcnt(0)
	v_cvt_f32_u32_e32 v3, v3
.LBB57_176:
	s_mov_b64 s[0:1], 0
.LBB57_177:
	s_andn2_b64 vcc, exec, s[0:1]
	s_cbranch_vccnz .LBB57_185
; %bb.178:
	global_load_ubyte v4, v[1:2], off
	s_movk_i32 s0, 0x7f
	s_waitcnt vmcnt(0)
	v_cmp_lt_i16_e32 vcc, s0, v4
	s_mov_b64 s[0:1], 0
	s_and_saveexec_b64 s[2:3], vcc
	s_xor_b64 s[2:3], exec, s[2:3]
	s_cbranch_execz .LBB57_198
; %bb.179:
	s_movk_i32 s0, 0x80
	v_cmp_eq_u16_e32 vcc, s0, v4
	s_mov_b64 s[0:1], -1
	s_and_saveexec_b64 s[6:7], vcc
; %bb.180:
	s_xor_b64 s[0:1], exec, -1
; %bb.181:
	s_or_b64 exec, exec, s[6:7]
	s_and_b64 s[0:1], s[0:1], exec
	s_or_saveexec_b64 s[2:3], s[2:3]
	v_mov_b32_e32 v3, 0x7f800001
	s_xor_b64 exec, exec, s[2:3]
	s_cbranch_execnz .LBB57_199
.LBB57_182:
	s_or_b64 exec, exec, s[2:3]
	s_and_saveexec_b64 s[2:3], s[0:1]
	s_cbranch_execz .LBB57_184
.LBB57_183:
	v_lshlrev_b32_e32 v3, 24, v4
	v_and_b32_e32 v4, 0xffff, v4
	v_and_b32_e32 v5, 7, v4
	v_ffbh_u32_e32 v7, v5
	v_min_u32_e32 v7, 32, v7
	v_subrev_u32_e32 v9, 28, v7
	v_bfe_u32 v6, v4, 3, 4
	v_lshlrev_b32_e32 v4, v9, v4
	v_sub_u32_e32 v7, 29, v7
	v_and_b32_e32 v4, 7, v4
	v_cmp_eq_u32_e32 vcc, 0, v6
	v_cndmask_b32_e32 v6, v6, v7, vcc
	v_cndmask_b32_e32 v4, v5, v4, vcc
	v_mov_b32_e32 v5, 0x3b800000
	v_lshlrev_b32_e32 v4, 20, v4
	v_and_b32_e32 v3, 0x80000000, v3
	v_lshl_add_u32 v5, v6, 23, v5
	v_or3_b32 v3, v3, v5, v4
.LBB57_184:
	s_or_b64 exec, exec, s[2:3]
.LBB57_185:
	s_mov_b64 s[0:1], -1
.LBB57_186:
	s_branch .LBB57_221
.LBB57_187:
	s_cmp_gt_i32 s10, 22
	s_cbranch_scc0 .LBB57_197
; %bb.188:
	s_cmp_lt_i32 s10, 24
	s_cbranch_scc1 .LBB57_200
; %bb.189:
	s_cmp_gt_i32 s10, 24
	s_cbranch_scc0 .LBB57_201
; %bb.190:
	global_load_ubyte v4, v[1:2], off
	s_movk_i32 s0, 0x7f
	s_waitcnt vmcnt(0)
	v_cmp_lt_i16_e32 vcc, s0, v4
	s_mov_b64 s[0:1], 0
	s_and_saveexec_b64 s[2:3], vcc
	s_xor_b64 s[2:3], exec, s[2:3]
	s_cbranch_execz .LBB57_213
; %bb.191:
	s_movk_i32 s0, 0x80
	v_cmp_eq_u16_e32 vcc, s0, v4
	s_mov_b64 s[0:1], -1
	s_and_saveexec_b64 s[6:7], vcc
; %bb.192:
	s_xor_b64 s[0:1], exec, -1
; %bb.193:
	s_or_b64 exec, exec, s[6:7]
	s_and_b64 s[0:1], s[0:1], exec
	s_or_saveexec_b64 s[2:3], s[2:3]
	v_mov_b32_e32 v3, 0x7f800001
	s_xor_b64 exec, exec, s[2:3]
	s_cbranch_execnz .LBB57_214
.LBB57_194:
	s_or_b64 exec, exec, s[2:3]
	s_and_saveexec_b64 s[2:3], s[0:1]
	s_cbranch_execz .LBB57_196
.LBB57_195:
	v_lshlrev_b32_e32 v3, 24, v4
	v_and_b32_e32 v4, 0xffff, v4
	v_and_b32_e32 v5, 3, v4
	v_ffbh_u32_e32 v7, v5
	v_min_u32_e32 v7, 32, v7
	v_subrev_u32_e32 v9, 29, v7
	v_bfe_u32 v6, v4, 2, 5
	v_lshlrev_b32_e32 v4, v9, v4
	v_sub_u32_e32 v7, 30, v7
	v_and_b32_e32 v4, 3, v4
	v_cmp_eq_u32_e32 vcc, 0, v6
	v_cndmask_b32_e32 v6, v6, v7, vcc
	v_cndmask_b32_e32 v4, v5, v4, vcc
	v_mov_b32_e32 v5, 0x37800000
	v_lshlrev_b32_e32 v4, 21, v4
	v_and_b32_e32 v3, 0x80000000, v3
	v_lshl_add_u32 v5, v6, 23, v5
	v_or3_b32 v3, v3, v5, v4
.LBB57_196:
	s_or_b64 exec, exec, s[2:3]
	s_mov_b64 s[0:1], 0
	s_branch .LBB57_202
.LBB57_197:
	s_mov_b64 s[2:3], -1
                                        ; implicit-def: $vgpr3
	s_branch .LBB57_208
.LBB57_198:
	s_or_saveexec_b64 s[2:3], s[2:3]
	v_mov_b32_e32 v3, 0x7f800001
	s_xor_b64 exec, exec, s[2:3]
	s_cbranch_execz .LBB57_182
.LBB57_199:
	v_cmp_ne_u16_e32 vcc, 0, v4
	s_andn2_b64 s[0:1], s[0:1], exec
	s_and_b64 s[6:7], vcc, exec
	v_mov_b32_e32 v3, 0
	s_or_b64 s[0:1], s[0:1], s[6:7]
	s_or_b64 exec, exec, s[2:3]
	s_and_saveexec_b64 s[2:3], s[0:1]
	s_cbranch_execnz .LBB57_183
	s_branch .LBB57_184
.LBB57_200:
	s_mov_b64 s[0:1], -1
                                        ; implicit-def: $vgpr3
	s_branch .LBB57_205
.LBB57_201:
	s_mov_b64 s[0:1], -1
                                        ; implicit-def: $vgpr3
.LBB57_202:
	s_and_b64 vcc, exec, s[0:1]
	s_cbranch_vccz .LBB57_204
; %bb.203:
	global_load_ubyte v3, v[1:2], off
	s_mov_b32 s0, 0x7f800000
	s_waitcnt vmcnt(0)
	v_lshlrev_b32_e32 v3, 24, v3
	v_and_b32_e32 v4, 0x7f000000, v3
	v_ffbh_u32_e32 v5, v4
	v_min_u32_e32 v5, 32, v5
	v_sub_u32_e64 v5, v5, 4 clamp
	v_lshlrev_b32_e32 v7, v5, v4
	v_lshlrev_b32_e32 v5, 23, v5
	v_lshrrev_b32_e32 v7, 4, v7
	v_add_u32_e32 v6, 0x1000000, v4
	v_sub_u32_e32 v5, v7, v5
	v_ashrrev_i32_e32 v6, 8, v6
	v_add_u32_e32 v5, 0x3c000000, v5
	v_and_or_b32 v5, v6, s0, v5
	v_cmp_ne_u32_e32 vcc, 0, v4
	v_cndmask_b32_e32 v4, 0, v5, vcc
	s_brev_b32 s0, 1
	v_and_or_b32 v3, v3, s0, v4
.LBB57_204:
	s_mov_b64 s[0:1], 0
.LBB57_205:
	s_andn2_b64 vcc, exec, s[0:1]
	s_cbranch_vccnz .LBB57_207
; %bb.206:
	global_load_ubyte v3, v[1:2], off
	s_movk_i32 s0, 0x7f00
	s_brev_b32 s1, 16
	s_waitcnt vmcnt(0)
	v_lshlrev_b16_e32 v4, 8, v3
	v_lshlrev_b32_e32 v3, 25, v3
	v_lshrrev_b32_e32 v5, 4, v3
	v_and_or_b32 v6, v4, s0, 0.5
	v_or_b32_e32 v5, 0x70000000, v5
	v_add_f32_e32 v6, -0.5, v6
	v_mul_f32_e32 v5, 0x7800000, v5
	v_cmp_gt_u32_e32 vcc, s1, v3
	v_bfe_i32 v4, v4, 0, 16
	v_cndmask_b32_e32 v3, v5, v6, vcc
	s_brev_b32 s0, 1
	v_and_or_b32 v3, v4, s0, v3
.LBB57_207:
	s_mov_b64 s[2:3], 0
	s_mov_b64 s[0:1], -1
.LBB57_208:
	s_andn2_b64 vcc, exec, s[2:3]
	s_cbranch_vccnz .LBB57_221
; %bb.209:
	s_cmp_gt_i32 s10, 14
	s_cbranch_scc0 .LBB57_212
; %bb.210:
	s_cmp_eq_u32 s10, 15
	s_cbranch_scc0 .LBB57_215
; %bb.211:
	global_load_ushort v3, v[1:2], off
	s_mov_b64 s[0:1], -1
	s_mov_b64 s[8:9], 0
	s_waitcnt vmcnt(0)
	v_lshlrev_b32_e32 v3, 16, v3
	s_branch .LBB57_216
.LBB57_212:
	s_mov_b64 s[2:3], -1
                                        ; implicit-def: $vgpr3
	s_branch .LBB57_217
.LBB57_213:
	s_or_saveexec_b64 s[2:3], s[2:3]
	v_mov_b32_e32 v3, 0x7f800001
	s_xor_b64 exec, exec, s[2:3]
	s_cbranch_execz .LBB57_194
.LBB57_214:
	v_cmp_ne_u16_e32 vcc, 0, v4
	s_andn2_b64 s[0:1], s[0:1], exec
	s_and_b64 s[6:7], vcc, exec
	v_mov_b32_e32 v3, 0
	s_or_b64 s[0:1], s[0:1], s[6:7]
	s_or_b64 exec, exec, s[2:3]
	s_and_saveexec_b64 s[2:3], s[0:1]
	s_cbranch_execnz .LBB57_195
	s_branch .LBB57_196
.LBB57_215:
	s_mov_b64 s[8:9], -1
                                        ; implicit-def: $vgpr3
.LBB57_216:
	s_mov_b64 s[2:3], 0
.LBB57_217:
	s_and_b64 vcc, exec, s[2:3]
	s_cbranch_vccz .LBB57_221
; %bb.218:
	s_cmp_eq_u32 s10, 11
	s_cbranch_scc0 .LBB57_220
; %bb.219:
	global_load_ubyte v3, v[1:2], off
	s_mov_b64 s[0:1], -1
	s_mov_b64 s[8:9], 0
	s_waitcnt vmcnt(0)
	v_cmp_ne_u16_e32 vcc, 0, v3
	v_cndmask_b32_e64 v3, 0, 1.0, vcc
	s_branch .LBB57_221
.LBB57_220:
	s_mov_b64 s[8:9], -1
                                        ; implicit-def: $vgpr3
.LBB57_221:
	s_branch .LBB57_24
.LBB57_222:
	s_cmp_lt_i32 s10, 5
	s_cbranch_scc1 .LBB57_227
; %bb.223:
	s_cmp_lt_i32 s10, 8
	s_cbranch_scc1 .LBB57_228
; %bb.224:
	;; [unrolled: 3-line block ×3, first 2 shown]
	s_cmp_gt_i32 s10, 9
	s_cbranch_scc0 .LBB57_230
; %bb.226:
	global_load_dwordx2 v[3:4], v[1:2], off
	s_mov_b64 s[0:1], 0
	s_waitcnt vmcnt(0)
	v_cvt_f32_f64_e32 v3, v[3:4]
	s_branch .LBB57_231
.LBB57_227:
                                        ; implicit-def: $vgpr3
	s_branch .LBB57_249
.LBB57_228:
	s_mov_b64 s[0:1], -1
                                        ; implicit-def: $vgpr3
	s_branch .LBB57_237
.LBB57_229:
	s_mov_b64 s[0:1], -1
                                        ; implicit-def: $vgpr3
	s_branch .LBB57_234
.LBB57_230:
	s_mov_b64 s[0:1], -1
                                        ; implicit-def: $vgpr3
.LBB57_231:
	s_andn2_b64 vcc, exec, s[0:1]
	s_cbranch_vccnz .LBB57_233
; %bb.232:
	global_load_dword v3, v[1:2], off
.LBB57_233:
	s_mov_b64 s[0:1], 0
.LBB57_234:
	s_andn2_b64 vcc, exec, s[0:1]
	s_cbranch_vccnz .LBB57_236
; %bb.235:
	global_load_dword v3, v[1:2], off
	s_waitcnt vmcnt(0)
	v_cvt_f32_f16_e32 v3, v3
.LBB57_236:
	s_mov_b64 s[0:1], 0
.LBB57_237:
	s_andn2_b64 vcc, exec, s[0:1]
	s_cbranch_vccnz .LBB57_248
; %bb.238:
	s_cmp_lt_i32 s10, 6
	s_cbranch_scc1 .LBB57_241
; %bb.239:
	s_cmp_gt_i32 s10, 6
	s_cbranch_scc0 .LBB57_242
; %bb.240:
	global_load_dwordx2 v[3:4], v[1:2], off
	s_mov_b64 s[0:1], 0
	s_waitcnt vmcnt(0)
	v_cvt_f32_f64_e32 v3, v[3:4]
	s_branch .LBB57_243
.LBB57_241:
	s_mov_b64 s[0:1], -1
                                        ; implicit-def: $vgpr3
	s_branch .LBB57_246
.LBB57_242:
	s_mov_b64 s[0:1], -1
                                        ; implicit-def: $vgpr3
.LBB57_243:
	s_andn2_b64 vcc, exec, s[0:1]
	s_cbranch_vccnz .LBB57_245
; %bb.244:
	global_load_dword v3, v[1:2], off
.LBB57_245:
	s_mov_b64 s[0:1], 0
.LBB57_246:
	s_andn2_b64 vcc, exec, s[0:1]
	s_cbranch_vccnz .LBB57_248
; %bb.247:
	global_load_ushort v3, v[1:2], off
	s_waitcnt vmcnt(0)
	v_cvt_f32_f16_e32 v3, v3
.LBB57_248:
	s_cbranch_execnz .LBB57_268
.LBB57_249:
	s_cmp_lt_i32 s10, 2
	s_cbranch_scc1 .LBB57_253
; %bb.250:
	s_cmp_lt_i32 s10, 3
	s_cbranch_scc1 .LBB57_254
; %bb.251:
	s_cmp_gt_i32 s10, 3
	s_cbranch_scc0 .LBB57_255
; %bb.252:
	global_load_dwordx2 v[3:4], v[1:2], off
	s_mov_b64 s[0:1], 0
	s_waitcnt vmcnt(0)
	v_xor_b32_e32 v6, v3, v4
	v_ffbh_i32_e32 v5, v4
	v_ashrrev_i32_e32 v6, 31, v6
	v_add_u32_e32 v5, -1, v5
	v_add_u32_e32 v6, 32, v6
	v_min_u32_e32 v5, v5, v6
	v_lshlrev_b64 v[3:4], v5, v[3:4]
	v_min_u32_e32 v3, 1, v3
	v_or_b32_e32 v3, v4, v3
	v_cvt_f32_i32_e32 v3, v3
	v_sub_u32_e32 v4, 32, v5
	v_ldexp_f32 v3, v3, v4
	s_branch .LBB57_256
.LBB57_253:
	s_mov_b64 s[0:1], -1
                                        ; implicit-def: $vgpr3
	s_branch .LBB57_262
.LBB57_254:
	s_mov_b64 s[0:1], -1
                                        ; implicit-def: $vgpr3
	s_branch .LBB57_259
.LBB57_255:
	s_mov_b64 s[0:1], -1
                                        ; implicit-def: $vgpr3
.LBB57_256:
	s_andn2_b64 vcc, exec, s[0:1]
	s_cbranch_vccnz .LBB57_258
; %bb.257:
	global_load_dword v3, v[1:2], off
	s_waitcnt vmcnt(0)
	v_cvt_f32_i32_e32 v3, v3
.LBB57_258:
	s_mov_b64 s[0:1], 0
.LBB57_259:
	s_andn2_b64 vcc, exec, s[0:1]
	s_cbranch_vccnz .LBB57_261
; %bb.260:
	global_load_sshort v3, v[1:2], off
	s_waitcnt vmcnt(0)
	v_cvt_f32_i32_e32 v3, v3
.LBB57_261:
	s_mov_b64 s[0:1], 0
.LBB57_262:
	s_andn2_b64 vcc, exec, s[0:1]
	s_cbranch_vccnz .LBB57_268
; %bb.263:
	s_cmp_gt_i32 s10, 0
	s_cbranch_scc0 .LBB57_265
; %bb.264:
	global_load_sbyte v3, v[1:2], off
	s_mov_b64 s[0:1], 0
	s_waitcnt vmcnt(0)
	v_cvt_f32_i32_e32 v3, v3
	s_branch .LBB57_266
.LBB57_265:
	s_mov_b64 s[0:1], -1
                                        ; implicit-def: $vgpr3
.LBB57_266:
	s_andn2_b64 vcc, exec, s[0:1]
	s_cbranch_vccnz .LBB57_268
; %bb.267:
	global_load_ubyte v1, v[1:2], off
	s_waitcnt vmcnt(0)
	v_cvt_f32_ubyte0_e32 v3, v1
.LBB57_268:
	s_branch .LBB57_25
.LBB57_269:
	s_mov_b64 s[0:1], 0
.LBB57_270:
	s_mov_b64 s[2:3], 0
                                        ; implicit-def: $vgpr8
.LBB57_271:
	s_and_b64 s[54:55], s[0:1], exec
	s_and_b64 s[56:57], s[8:9], exec
	s_orn2_b64 s[2:3], s[2:3], exec
.LBB57_272:
	s_or_b64 exec, exec, s[58:59]
	s_mov_b64 s[6:7], 0
	s_mov_b64 s[0:1], 0
                                        ; implicit-def: $vgpr1_vgpr2
                                        ; implicit-def: $vgpr0
                                        ; implicit-def: $vgpr4
	s_and_saveexec_b64 s[58:59], s[2:3]
	s_cbranch_execz .LBB57_279
; %bb.273:
	v_cmp_gt_i32_e32 vcc, s70, v8
	s_mov_b64 s[0:1], -1
	s_mov_b64 s[60:61], s[56:57]
	s_mov_b64 s[62:63], s[54:55]
	s_and_saveexec_b64 s[64:65], vcc
	s_cbranch_execz .LBB57_554
; %bb.274:
	s_andn2_b64 vcc, exec, s[42:43]
	s_cbranch_vccnz .LBB57_282
; %bb.275:
	s_andn2_b64 vcc, exec, s[52:53]
	s_cbranch_vccnz .LBB57_283
; %bb.276:
	s_add_i32 s63, s75, 1
	s_cmp_eq_u32 s72, 2
	s_cbranch_scc1 .LBB57_284
; %bb.277:
	s_and_b32 s62, s63, 28
	v_mov_b32_e32 v2, 0
	s_mov_b32 s66, 0
	s_mov_b64 s[6:7], s[34:35]
	s_mov_b64 s[60:61], s[50:51]
	v_mov_b32_e32 v0, 0
	v_mov_b32_e32 v1, v8
.LBB57_278:                             ; =>This Inner Loop Header: Depth=1
	s_load_dwordx8 s[16:23], s[6:7], 0x4
	s_load_dwordx4 s[0:3], s[6:7], 0x24
	s_load_dwordx8 s[8:15], s[60:61], 0x0
	s_add_u32 s6, s6, 48
	s_addc_u32 s7, s7, 0
	s_waitcnt vmcnt(0) lgkmcnt(0)
	v_mul_hi_u32 v3, s17, v1
	s_add_i32 s66, s66, 4
	s_add_u32 s60, s60, 32
	s_addc_u32 s61, s61, 0
	v_add_u32_e32 v3, v1, v3
	v_lshrrev_b32_e32 v3, s18, v3
	v_mul_lo_u32 v4, v3, s16
	v_mul_hi_u32 v5, s20, v3
	s_cmp_eq_u32 s62, s66
	v_sub_u32_e32 v1, v1, v4
	v_add_u32_e32 v4, v3, v5
	v_mul_lo_u32 v5, v1, s8
	v_mul_lo_u32 v6, v1, s9
	v_lshrrev_b32_e32 v1, s21, v4
	v_mul_lo_u32 v4, v1, s19
	v_mul_hi_u32 v7, s23, v1
	v_sub_u32_e32 v3, v3, v4
	v_add_u32_e32 v4, v1, v7
	v_lshrrev_b32_e32 v4, s0, v4
	v_mul_hi_u32 v9, s2, v4
	v_mul_lo_u32 v10, v4, s22
	v_mul_lo_u32 v7, v3, s10
	;; [unrolled: 1-line block ×3, first 2 shown]
	v_sub_u32_e32 v10, v1, v10
	v_add_u32_e32 v1, v4, v9
	v_lshrrev_b32_e32 v1, s3, v1
	v_mul_lo_u32 v9, v1, s1
	v_mul_lo_u32 v11, v10, s12
	;; [unrolled: 1-line block ×3, first 2 shown]
	v_add3_u32 v0, v5, v0, v7
	v_sub_u32_e32 v4, v4, v9
	v_mul_lo_u32 v9, v4, s14
	v_mul_lo_u32 v4, v4, s15
	v_add3_u32 v2, v6, v2, v3
	v_add3_u32 v0, v11, v0, v9
	v_add3_u32 v2, v10, v2, v4
	s_cbranch_scc0 .LBB57_278
	s_branch .LBB57_285
.LBB57_279:
	s_or_b64 exec, exec, s[58:59]
	s_mov_b64 s[8:9], 0
	s_and_saveexec_b64 s[2:3], s[56:57]
	s_cbranch_execnz .LBB57_936
.LBB57_280:
	s_or_b64 exec, exec, s[2:3]
	s_and_saveexec_b64 s[2:3], s[62:63]
	s_xor_b64 s[2:3], exec, s[2:3]
	s_cbranch_execz .LBB57_937
.LBB57_281:
	global_load_ubyte v3, v[1:2], off
	s_or_b64 s[0:1], s[0:1], exec
	s_waitcnt vmcnt(0)
	v_cmp_ne_u16_e32 vcc, 0, v3
	v_cndmask_b32_e64 v4, 0, 1.0, vcc
	s_or_b64 exec, exec, s[2:3]
	s_and_saveexec_b64 s[2:3], s[6:7]
	s_cbranch_execz .LBB57_983
	s_branch .LBB57_938
.LBB57_282:
                                        ; implicit-def: $vgpr0
                                        ; implicit-def: $vgpr2
	s_andn2_b64 vcc, exec, s[0:1]
	s_cbranch_vccz .LBB57_289
	s_branch .LBB57_291
.LBB57_283:
	v_mov_b32_e32 v0, 0
	v_mov_b32_e32 v2, 0
	s_branch .LBB57_288
.LBB57_284:
	s_mov_b32 s62, 0
	v_mov_b32_e32 v0, 0
	v_mov_b32_e32 v2, 0
	;; [unrolled: 1-line block ×3, first 2 shown]
.LBB57_285:
	s_and_b32 s6, s63, 3
	s_cmp_eq_u32 s6, 0
	s_cbranch_scc1 .LBB57_288
; %bb.286:
	s_lshl_b32 s0, s62, 3
	s_add_u32 s0, s34, s0
	s_addc_u32 s1, s35, 0
	s_add_u32 s0, s0, 0xc4
	s_addc_u32 s1, s1, 0
	s_mul_i32 s2, s62, 12
	s_add_u32 s2, s34, s2
	s_addc_u32 s3, s35, 0
.LBB57_287:                             ; =>This Inner Loop Header: Depth=1
	s_load_dwordx2 s[8:9], s[2:3], 0x4
	s_load_dword s7, s[2:3], 0xc
	s_load_dwordx2 s[10:11], s[0:1], 0x0
	s_add_u32 s2, s2, 12
	s_addc_u32 s3, s3, 0
	s_waitcnt vmcnt(0) lgkmcnt(0)
	v_mul_hi_u32 v3, s9, v1
	s_add_u32 s0, s0, 8
	s_addc_u32 s1, s1, 0
	s_add_i32 s6, s6, -1
	v_add_u32_e32 v3, v1, v3
	v_lshrrev_b32_e32 v4, s7, v3
	v_mul_lo_u32 v3, v4, s8
	s_cmp_lg_u32 s6, 0
	v_sub_u32_e32 v3, v1, v3
	v_mad_u64_u32 v[0:1], s[8:9], v3, s10, v[0:1]
	v_mad_u64_u32 v[2:3], s[8:9], v3, s11, v[2:3]
	v_mov_b32_e32 v1, v4
	s_cbranch_scc1 .LBB57_287
.LBB57_288:
	s_cbranch_execnz .LBB57_291
.LBB57_289:
	s_waitcnt lgkmcnt(0)
	v_mul_hi_u32 v0, s37, v8
	s_andn2_b64 vcc, exec, s[48:49]
	v_add_u32_e32 v0, v8, v0
	v_lshrrev_b32_e32 v1, s38, v0
	v_mul_lo_u32 v0, v1, s36
	v_sub_u32_e32 v2, v8, v0
	v_mul_lo_u32 v0, v2, s28
	v_mul_lo_u32 v2, v2, s29
	s_cbranch_vccnz .LBB57_291
; %bb.290:
	s_waitcnt vmcnt(0)
	v_mul_hi_u32 v3, s46, v1
	v_add_u32_e32 v3, v1, v3
	v_lshrrev_b32_e32 v3, s47, v3
	v_mul_lo_u32 v3, v3, s39
	v_sub_u32_e32 v3, v1, v3
	v_mad_u64_u32 v[0:1], s[0:1], v3, s30, v[0:1]
	v_mad_u64_u32 v[2:3], s[0:1], v3, s31, v[2:3]
.LBB57_291:
	s_waitcnt vmcnt(0) lgkmcnt(0)
	v_mov_b32_e32 v3, s27
	s_and_b32 s10, 0xffff, s74
	v_add_co_u32_e32 v1, vcc, s26, v2
	s_cmp_lt_i32 s10, 11
	v_addc_co_u32_e32 v2, vcc, 0, v3, vcc
	s_cbranch_scc1 .LBB57_298
; %bb.292:
	s_cmp_gt_i32 s10, 25
	s_cbranch_scc0 .LBB57_313
; %bb.293:
	s_cmp_gt_i32 s10, 28
	s_cbranch_scc0 .LBB57_315
	;; [unrolled: 3-line block ×4, first 2 shown]
; %bb.296:
	s_cmp_eq_u32 s10, 46
	s_mov_b64 s[2:3], 0
	s_cbranch_scc0 .LBB57_325
; %bb.297:
	global_load_dword v3, v[1:2], off
	s_mov_b64 s[0:1], -1
	s_mov_b64 s[8:9], 0
	s_waitcnt vmcnt(0)
	v_lshlrev_b32_e32 v3, 16, v3
	s_branch .LBB57_326
.LBB57_298:
	s_mov_b64 s[0:1], 0
                                        ; implicit-def: $vgpr3
	s_mov_b64 s[8:9], s[56:57]
	s_cbranch_execnz .LBB57_503
.LBB57_299:
	s_andn2_b64 vcc, exec, s[0:1]
	s_cbranch_vccnz .LBB57_551
.LBB57_300:
	s_waitcnt vmcnt(0)
	v_cmp_gt_f32_e32 vcc, 0.5, v3
	v_mov_b32_e32 v2, 0
	v_mov_b32_e32 v1, 1.0
	s_and_saveexec_b64 s[10:11], vcc
	s_cbranch_execz .LBB57_306
; %bb.301:
	v_mul_f32_e32 v1, 0x40490fdb, v3
	s_brev_b32 s0, 18
	v_and_b32_e32 v2, 0x7fffffff, v1
	v_cmp_nlt_f32_e64 s[0:1], |v1|, s0
                                        ; implicit-def: $vgpr4
                                        ; implicit-def: $vgpr5
	s_and_saveexec_b64 s[2:3], s[0:1]
	s_xor_b64 s[12:13], exec, s[2:3]
	s_cbranch_execz .LBB57_303
; %bb.302:
	v_and_b32_e32 v4, 0x7fffff, v2
	v_or_b32_e32 v7, 0x800000, v4
	s_mov_b32 s0, 0xfe5163ab
	v_mad_u64_u32 v[4:5], s[0:1], v7, s0, 0
	v_mov_b32_e32 v6, 0
	s_mov_b32 s0, 0x3c439041
	v_mad_u64_u32 v[9:10], s[0:1], v7, s0, v[5:6]
	s_mov_b32 s0, 0xdb629599
	v_not_b32_e32 v14, 63
	v_mov_b32_e32 v5, v10
	v_mad_u64_u32 v[10:11], s[0:1], v7, s0, v[5:6]
	s_mov_b32 s0, 0xf534ddc0
	v_not_b32_e32 v16, 31
	v_mov_b32_e32 v5, v11
	v_mad_u64_u32 v[11:12], s[0:1], v7, s0, v[5:6]
	v_lshrrev_b32_e32 v5, 23, v2
	v_add_u32_e32 v15, 0xffffff88, v5
	v_mov_b32_e32 v5, v12
	s_mov_b32 s0, 0xfc2757d1
	v_mad_u64_u32 v[12:13], s[0:1], v7, s0, v[5:6]
	v_cmp_lt_u32_e32 vcc, 63, v15
	v_cndmask_b32_e32 v5, 0, v14, vcc
	v_add_u32_e32 v15, v5, v15
	v_mov_b32_e32 v5, v13
	s_mov_b32 s0, 0x4e441529
	v_mad_u64_u32 v[13:14], s[0:1], v7, s0, v[5:6]
	v_cmp_lt_u32_e64 s[0:1], 31, v15
	v_cndmask_b32_e64 v5, 0, v16, s[0:1]
	v_add_u32_e32 v15, v5, v15
	v_mov_b32_e32 v5, v14
	s_mov_b32 s2, 0xa2f9836e
	v_mad_u64_u32 v[5:6], s[2:3], v7, s2, v[5:6]
	v_cmp_lt_u32_e64 s[2:3], 31, v15
	v_cndmask_b32_e64 v7, 0, v16, s[2:3]
	v_cndmask_b32_e32 v14, v13, v11, vcc
	v_cndmask_b32_e32 v5, v5, v12, vcc
	;; [unrolled: 1-line block ×3, first 2 shown]
	v_add_u32_e32 v7, v7, v15
	v_cndmask_b32_e64 v15, v5, v14, s[0:1]
	v_cndmask_b32_e64 v5, v6, v5, s[0:1]
	v_cndmask_b32_e32 v6, v12, v10, vcc
	v_cndmask_b32_e64 v12, v14, v6, s[0:1]
	v_cndmask_b32_e64 v5, v5, v15, s[2:3]
	;; [unrolled: 1-line block ×3, first 2 shown]
	v_sub_u32_e32 v14, 32, v7
	v_alignbit_b32 v15, v5, v13, v14
	v_cmp_eq_u32_e64 s[6:7], 0, v7
	v_cndmask_b32_e64 v7, v15, v5, s[6:7]
	v_cndmask_b32_e32 v5, v11, v9, vcc
	v_cndmask_b32_e64 v6, v6, v5, s[0:1]
	v_cndmask_b32_e64 v9, v12, v6, s[2:3]
	v_alignbit_b32 v11, v13, v9, v14
	v_cndmask_b32_e32 v4, v10, v4, vcc
	v_cndmask_b32_e64 v11, v11, v13, s[6:7]
	v_bfe_u32 v15, v7, 29, 1
	v_cndmask_b32_e64 v4, v5, v4, s[0:1]
	v_alignbit_b32 v12, v7, v11, 30
	v_sub_u32_e32 v16, 0, v15
	v_cndmask_b32_e64 v4, v6, v4, s[2:3]
	v_xor_b32_e32 v12, v12, v16
	v_alignbit_b32 v5, v9, v4, v14
	v_cndmask_b32_e64 v5, v5, v9, s[6:7]
	v_ffbh_u32_e32 v9, v12
	v_alignbit_b32 v6, v11, v5, 30
	v_min_u32_e32 v9, 32, v9
	v_alignbit_b32 v4, v5, v4, 30
	v_xor_b32_e32 v6, v6, v16
	v_sub_u32_e32 v10, 31, v9
	v_xor_b32_e32 v4, v4, v16
	v_alignbit_b32 v11, v12, v6, v10
	v_alignbit_b32 v4, v6, v4, v10
	;; [unrolled: 1-line block ×3, first 2 shown]
	v_ffbh_u32_e32 v6, v5
	v_min_u32_e32 v6, 32, v6
	v_lshrrev_b32_e32 v13, 29, v7
	v_not_b32_e32 v10, v6
	v_alignbit_b32 v4, v5, v4, v10
	v_lshlrev_b32_e32 v5, 31, v13
	v_or_b32_e32 v10, 0x33000000, v5
	v_add_lshl_u32 v6, v6, v9, 23
	v_lshrrev_b32_e32 v4, 9, v4
	v_sub_u32_e32 v6, v10, v6
	v_or_b32_e32 v5, 0.5, v5
	v_lshlrev_b32_e32 v9, 23, v9
	v_or_b32_e32 v4, v6, v4
	v_lshrrev_b32_e32 v6, 9, v11
	v_sub_u32_e32 v5, v5, v9
	v_or_b32_e32 v5, v6, v5
	s_mov_b32 s0, 0x3fc90fda
	v_mul_f32_e32 v6, 0x3fc90fda, v5
	v_fma_f32 v9, v5, s0, -v6
	v_fmac_f32_e32 v9, 0x33a22168, v5
	v_fmac_f32_e32 v9, 0x3fc90fda, v4
	v_lshrrev_b32_e32 v4, 30, v7
	v_add_f32_e32 v5, v6, v9
	v_add_u32_e32 v4, v15, v4
.LBB57_303:
	s_andn2_saveexec_b64 s[0:1], s[12:13]
	s_cbranch_execz .LBB57_305
; %bb.304:
	s_mov_b32 s2, 0x3f22f983
	v_mul_f32_e64 v4, |v1|, s2
	v_rndne_f32_e32 v6, v4
	s_mov_b32 s2, 0xbfc90fda
	v_cvt_i32_f32_e32 v4, v6
	v_fma_f32 v5, v6, s2, |v1|
	v_fmac_f32_e32 v5, 0xb3a22168, v6
	v_fmac_f32_e32 v5, 0xa7c234c4, v6
.LBB57_305:
	s_or_b64 exec, exec, s[0:1]
	v_mul_f32_e32 v6, v5, v5
	v_mov_b32_e32 v7, 0x3c0881c4
	v_fmac_f32_e32 v7, 0xb94c1982, v6
	v_mov_b32_e32 v9, 0xbe2aaa9d
	v_fmac_f32_e32 v9, v6, v7
	v_mul_f32_e32 v7, v6, v9
	v_fmac_f32_e32 v5, v5, v7
	v_mov_b32_e32 v7, 0xbab64f3b
	v_fmac_f32_e32 v7, 0x37d75334, v6
	v_mov_b32_e32 v9, 0x3d2aabf7
	;; [unrolled: 2-line block ×3, first 2 shown]
	v_fmac_f32_e32 v7, v6, v9
	v_fma_f32 v6, v6, v7, 1.0
	v_and_b32_e32 v7, 1, v4
	v_lshlrev_b32_e32 v4, 30, v4
	v_cmp_eq_u32_e32 vcc, 0, v7
	v_and_b32_e32 v4, 0x80000000, v4
	v_xor_b32_e32 v2, v2, v1
	v_cndmask_b32_e32 v5, v6, v5, vcc
	v_xor_b32_e32 v2, v2, v4
	s_movk_i32 s0, 0x1f8
	v_xor_b32_e32 v2, v2, v5
	v_mov_b32_e32 v4, 0x7fc00000
	v_cmp_class_f32_e64 vcc, v1, s0
	v_cndmask_b32_e32 v1, v4, v2, vcc
	v_mul_f32_e32 v1, v1, v1
	s_mov_b32 s2, 0xc11de9e7
	v_div_scale_f32 v2, s[0:1], v1, v1, s2
	v_div_scale_f32 v4, vcc, s2, v1, s2
	v_sub_f32_e32 v3, 1.0, v3
	v_rcp_f32_e32 v5, v2
	v_fma_f32 v6, -v2, v5, 1.0
	v_fmac_f32_e32 v5, v6, v5
	v_mul_f32_e32 v6, v4, v5
	v_fma_f32 v7, -v2, v6, v4
	v_fmac_f32_e32 v6, v7, v5
	v_fma_f32 v2, -v2, v6, v4
	v_div_fmas_f32 v2, v2, v5, v6
	v_div_fixup_f32 v1, v2, v1, s2
	v_add_f32_e32 v2, 0, v1
	v_mov_b32_e32 v1, -1.0
.LBB57_306:
	s_or_b64 exec, exec, s[10:11]
	v_mul_f32_e32 v4, v3, v3
	v_div_scale_f32 v6, s[0:1], v4, v4, 1.0
	v_add_f32_e32 v5, 1.0, v3
	v_mul_f32_e32 v3, v5, v5
	v_div_scale_f32 v9, s[0:1], v3, v3, 1.0
	v_div_scale_f32 v7, vcc, 1.0, v4, 1.0
	v_add_f32_e32 v10, 1.0, v5
	v_div_scale_f32 v11, s[0:1], 1.0, v3, 1.0
	v_mul_f32_e32 v5, v10, v10
	v_div_scale_f32 v12, s[2:3], v5, v5, 1.0
	v_div_scale_f32 v15, s[2:3], 1.0, v5, 1.0
	v_rcp_f32_e32 v13, v6
	v_add_f32_e32 v10, 1.0, v10
	s_and_b32 s12, s73, 0xff
	s_cmp_lt_i32 s12, 11
	v_rcp_f32_e32 v14, v9
	v_fma_f32 v16, -v6, v13, 1.0
	v_fmac_f32_e32 v13, v16, v13
	v_mul_f32_e32 v17, v7, v13
	v_fma_f32 v18, -v6, v17, v7
	v_fma_f32 v16, -v9, v14, 1.0
	v_fmac_f32_e32 v17, v18, v13
	v_fma_f32 v6, -v6, v17, v7
	v_fmac_f32_e32 v14, v16, v14
	v_div_fmas_f32 v6, v6, v13, v17
	v_mul_f32_e32 v13, v11, v14
	v_fma_f32 v7, -v9, v13, v11
	v_rcp_f32_e32 v16, v12
	v_fmac_f32_e32 v13, v7, v14
	v_mul_f32_e32 v7, v10, v10
	v_div_scale_f32 v17, s[6:7], v7, v7, 1.0
	v_fma_f32 v9, -v9, v13, v11
	v_fma_f32 v11, -v12, v16, 1.0
	v_fmac_f32_e32 v16, v11, v16
	s_mov_b64 vcc, s[0:1]
	v_mul_f32_e32 v11, v15, v16
	v_div_fmas_f32 v9, v9, v14, v13
	v_fma_f32 v13, -v12, v11, v15
	v_fmac_f32_e32 v11, v13, v16
	v_div_scale_f32 v13, s[0:1], 1.0, v7, 1.0
	v_add_f32_e32 v14, 1.0, v10
	v_mul_f32_e32 v10, v14, v14
	v_div_scale_f32 v18, s[6:7], v10, v10, 1.0
	v_fma_f32 v12, -v12, v11, v15
	s_mov_b64 vcc, s[2:3]
	v_div_fmas_f32 v11, v12, v16, v11
	v_div_scale_f32 v12, s[2:3], 1.0, v10, 1.0
	v_rcp_f32_e32 v15, v17
	v_add_f32_e32 v14, 1.0, v14
	v_mul_f32_e32 v19, v14, v14
	v_div_scale_f32 v20, s[6:7], v19, v19, 1.0
	v_fma_f32 v16, -v17, v15, 1.0
	v_fmac_f32_e32 v15, v16, v15
	v_mul_f32_e32 v16, v13, v15
	v_fma_f32 v21, -v17, v16, v13
	v_fmac_f32_e32 v16, v21, v15
	v_rcp_f32_e32 v21, v18
	v_fma_f32 v13, -v17, v16, v13
	s_mov_b64 vcc, s[0:1]
	v_div_fmas_f32 v13, v13, v15, v16
	v_fma_f32 v15, -v18, v21, 1.0
	v_fmac_f32_e32 v21, v15, v21
	v_mul_f32_e32 v15, v12, v21
	v_fma_f32 v16, -v18, v15, v12
	v_fmac_f32_e32 v15, v16, v21
	v_div_scale_f32 v16, s[0:1], 1.0, v19, 1.0
	v_add_f32_e32 v14, 1.0, v14
	v_mul_f32_e32 v22, v14, v14
	v_div_scale_f32 v23, s[6:7], v22, v22, 1.0
	v_rcp_f32_e32 v17, v20
	v_fma_f32 v12, -v18, v15, v12
	s_mov_b64 vcc, s[2:3]
	v_div_scale_f32 v18, s[2:3], 1.0, v22, 1.0
	v_div_fmas_f32 v12, v12, v21, v15
	v_add_f32_e32 v21, v14, v14
	v_div_scale_f32 v24, s[6:7], v21, v21, 1.0
	v_fma_f32 v15, -v20, v17, 1.0
	v_fmac_f32_e32 v17, v15, v17
	v_mul_f32_e32 v15, v16, v17
	v_fma_f32 v25, -v20, v15, v16
	v_fmac_f32_e32 v15, v25, v17
	v_div_scale_f32 v25, s[6:7], 1.0, v21, 1.0
	v_rcp_f32_e32 v26, v23
	v_fma_f32 v16, -v20, v15, v16
	s_mov_b64 vcc, s[0:1]
	v_div_fmas_f32 v15, v16, v17, v15
	v_fma_f32 v16, -v23, v26, 1.0
	v_fmac_f32_e32 v26, v16, v26
	v_mul_f32_e32 v16, v18, v26
	v_fma_f32 v17, -v23, v16, v18
	v_fmac_f32_e32 v16, v17, v26
	v_rcp_f32_e32 v17, v24
	v_fma_f32 v18, -v23, v16, v18
	s_mov_b64 vcc, s[2:3]
	v_div_fmas_f32 v16, v18, v26, v16
	v_fma_f32 v18, -v24, v17, 1.0
	v_fmac_f32_e32 v17, v18, v17
	v_mul_f32_e32 v18, v25, v17
	v_fma_f32 v20, -v24, v18, v25
	v_fmac_f32_e32 v18, v20, v17
	v_fma_f32 v20, -v24, v18, v25
	s_mov_b64 vcc, s[6:7]
	v_div_fmas_f32 v17, v20, v17, v18
	v_mov_b32_e32 v18, 0x3d088889
	s_mov_b32 s0, 0x3e2aaaab
	v_div_fixup_f32 v4, v6, v4, 1.0
	v_add_f32_e32 v2, v2, v4
	v_div_fixup_f32 v3, v9, v3, 1.0
	v_add_f32_e32 v2, v2, v3
	v_div_fixup_f32 v3, v11, v5, 1.0
	v_div_fixup_f32 v16, v16, v22, 1.0
	v_fmac_f32_e32 v18, 0xbcc30c31, v16
	v_fma_f32 v18, -v16, v18, s0
	v_add_f32_e32 v2, v2, v3
	v_div_fixup_f32 v3, v13, v7, 1.0
	v_add_f32_e32 v2, v2, v3
	v_div_fixup_f32 v3, v12, v10, 1.0
	;; [unrolled: 2-line block ×3, first 2 shown]
	v_add_f32_e32 v17, 1.0, v17
	v_fmac_f32_e32 v17, v16, v18
	v_div_scale_f32 v16, s[0:1], v14, v14, v17
	v_div_scale_f32 v18, vcc, v17, v14, v17
	v_div_fixup_f32 v3, v15, v19, 1.0
	v_add_f32_e32 v2, v2, v3
	v_rcp_f32_e32 v20, v16
	v_fma_f32 v21, -v16, v20, 1.0
	v_fmac_f32_e32 v20, v21, v20
	v_mul_f32_e32 v21, v18, v20
	v_fma_f32 v22, -v16, v21, v18
	v_fmac_f32_e32 v21, v22, v20
	v_fma_f32 v16, -v16, v21, v18
	v_div_fmas_f32 v16, v16, v20, v21
	v_add_co_u32_e32 v0, vcc, s24, v0
	v_div_fixup_f32 v3, v16, v14, v17
	v_add_f32_e32 v2, v2, v3
	v_mul_f32_e32 v2, v1, v2
	v_mov_b32_e32 v1, s25
	v_addc_co_u32_e32 v1, vcc, 0, v1, vcc
	s_cbranch_scc1 .LBB57_314
; %bb.307:
	s_and_b32 s13, 0xffff, s12
	s_cmp_gt_i32 s13, 25
	s_cbranch_scc0 .LBB57_316
; %bb.308:
	s_cmp_gt_i32 s13, 28
	s_cbranch_scc0 .LBB57_318
; %bb.309:
	;; [unrolled: 3-line block ×4, first 2 shown]
	s_mov_b64 s[6:7], 0
	s_mov_b64 s[0:1], -1
	s_cmp_eq_u32 s13, 46
	s_mov_b64 s[2:3], 0
	s_cbranch_scc0 .LBB57_330
; %bb.312:
	v_bfe_u32 v3, v2, 16, 1
	s_movk_i32 s0, 0x7fff
	v_add3_u32 v3, v2, v3, s0
	v_cmp_o_f32_e32 vcc, v2, v2
	v_mov_b32_e32 v4, 0x7fc0
	v_cndmask_b32_sdwa v3, v4, v3, vcc dst_sel:DWORD dst_unused:UNUSED_PAD src0_sel:DWORD src1_sel:WORD_1
	global_store_dword v[0:1], v3, off
	s_mov_b64 s[2:3], -1
	s_mov_b64 s[0:1], 0
	s_branch .LBB57_330
.LBB57_313:
	s_mov_b64 s[2:3], -1
	s_mov_b64 s[0:1], 0
	s_mov_b64 s[8:9], s[56:57]
                                        ; implicit-def: $vgpr3
	s_branch .LBB57_467
.LBB57_314:
	s_mov_b64 s[6:7], -1
	s_mov_b64 s[2:3], 0
	s_mov_b64 s[0:1], s[54:55]
	s_branch .LBB57_399
.LBB57_315:
	s_mov_b64 s[2:3], -1
	s_mov_b64 s[0:1], 0
	s_mov_b64 s[8:9], s[56:57]
                                        ; implicit-def: $vgpr3
	s_branch .LBB57_448
.LBB57_316:
	s_mov_b64 s[6:7], -1
	s_mov_b64 s[2:3], 0
	s_mov_b64 s[0:1], s[54:55]
	s_branch .LBB57_357
.LBB57_317:
	s_mov_b64 s[2:3], -1
	s_mov_b64 s[0:1], 0
	s_mov_b64 s[8:9], s[56:57]
                                        ; implicit-def: $vgpr3
	s_branch .LBB57_443
.LBB57_318:
	s_mov_b64 s[6:7], -1
	s_mov_b64 s[2:3], 0
	s_mov_b64 s[0:1], s[54:55]
	s_branch .LBB57_340
.LBB57_319:
	s_andn2_saveexec_b64 s[10:11], s[10:11]
	s_cbranch_execz .LBB57_74
.LBB57_320:
	s_mov_b32 s14, 0x46000000
	v_add_f32_e64 v3, |v2|, s14
	v_and_b32_e32 v3, 0xff, v3
	v_cmp_ne_u32_e32 vcc, 0, v3
	s_andn2_b64 s[6:7], s[6:7], exec
	s_and_b64 s[14:15], vcc, exec
	s_or_b64 s[6:7], s[6:7], s[14:15]
	s_or_b64 exec, exec, s[10:11]
	v_mov_b32_e32 v4, 0
	s_and_saveexec_b64 s[10:11], s[6:7]
	s_cbranch_execnz .LBB57_75
	s_branch .LBB57_76
.LBB57_321:
	s_mov_b64 s[2:3], -1
	s_mov_b64 s[0:1], 0
	s_mov_b64 s[8:9], s[56:57]
                                        ; implicit-def: $vgpr3
	s_branch .LBB57_326
.LBB57_322:
	s_mov_b64 s[6:7], -1
	s_mov_b64 s[2:3], 0
	s_mov_b64 s[0:1], s[54:55]
	s_branch .LBB57_336
.LBB57_323:
	s_andn2_saveexec_b64 s[10:11], s[10:11]
	s_cbranch_execz .LBB57_87
.LBB57_324:
	s_mov_b32 s14, 0x42800000
	v_add_f32_e64 v3, |v2|, s14
	v_and_b32_e32 v3, 0xff, v3
	v_cmp_ne_u32_e32 vcc, 0, v3
	s_andn2_b64 s[6:7], s[6:7], exec
	s_and_b64 s[14:15], vcc, exec
	s_or_b64 s[6:7], s[6:7], s[14:15]
	s_or_b64 exec, exec, s[10:11]
	v_mov_b32_e32 v4, 0
	s_and_saveexec_b64 s[10:11], s[6:7]
	s_cbranch_execnz .LBB57_88
	s_branch .LBB57_89
.LBB57_325:
	s_mov_b64 s[8:9], -1
                                        ; implicit-def: $vgpr3
	s_mov_b64 s[0:1], 0
.LBB57_326:
	s_and_b64 vcc, exec, s[2:3]
	s_cbranch_vccz .LBB57_442
; %bb.327:
	s_cmp_eq_u32 s10, 44
	s_cbranch_scc0 .LBB57_441
; %bb.328:
	global_load_ubyte v3, v[1:2], off
	s_movk_i32 s2, 0xff
	v_mov_b32_e32 v4, 0x7f800001
	v_mov_b32_e32 v5, 0x400000
	s_mov_b64 s[0:1], -1
	s_mov_b64 s[8:9], 0
	s_waitcnt vmcnt(0)
	v_lshlrev_b32_e32 v6, 23, v3
	v_cmp_ne_u32_e32 vcc, s2, v3
	v_cndmask_b32_e32 v4, v4, v6, vcc
	v_cmp_ne_u32_e32 vcc, 0, v3
	v_cndmask_b32_e32 v3, v5, v4, vcc
	s_branch .LBB57_442
.LBB57_329:
	s_mov_b64 s[6:7], -1
	s_mov_b64 s[2:3], 0
	s_mov_b64 s[0:1], s[54:55]
.LBB57_330:
	s_and_b64 vcc, exec, s[6:7]
	s_cbranch_vccz .LBB57_335
; %bb.331:
	s_cmp_eq_u32 s13, 44
	s_mov_b64 s[0:1], -1
	s_cbranch_scc0 .LBB57_335
; %bb.332:
	v_bfe_u32 v3, v2, 23, 8
	s_movk_i32 s0, 0xff
	v_cmp_ne_u32_e32 vcc, s0, v3
	v_mov_b32_e32 v4, 0xff
	s_and_saveexec_b64 s[2:3], vcc
; %bb.333:
	s_mov_b32 s0, 0x3fffff
	v_and_b32_e32 v5, 0x400000, v2
	v_and_or_b32 v3, v2, s0, v3
	v_cmp_ne_u32_e32 vcc, 0, v5
	v_cmp_ne_u32_e64 s[0:1], 0, v3
	s_and_b64 s[0:1], vcc, s[0:1]
	v_lshrrev_b32_e32 v4, 23, v2
	v_cndmask_b32_e64 v3, 0, 1, s[0:1]
	v_add_u32_e32 v4, v4, v3
; %bb.334:
	s_or_b64 exec, exec, s[2:3]
	s_mov_b64 s[2:3], -1
	s_mov_b64 s[0:1], 0
	global_store_byte v[0:1], v4, off
.LBB57_335:
	s_mov_b64 s[6:7], 0
.LBB57_336:
	s_and_b64 vcc, exec, s[6:7]
	s_cbranch_vccz .LBB57_339
; %bb.337:
	s_cmp_eq_u32 s13, 29
	s_mov_b64 s[0:1], -1
	s_cbranch_scc0 .LBB57_339
; %bb.338:
	v_trunc_f32_e32 v3, v2
	v_mul_f32_e32 v4, 0x2f800000, v3
	v_floor_f32_e32 v5, v4
	v_fmac_f32_e32 v3, 0xcf800000, v5
	v_cvt_u32_f32_e32 v4, v5
	v_cvt_u32_f32_e32 v3, v3
	s_mov_b64 s[2:3], -1
	s_mov_b64 s[0:1], 0
	s_mov_b64 s[6:7], 0
	global_store_dwordx2 v[0:1], v[3:4], off
	s_branch .LBB57_340
.LBB57_339:
	s_mov_b64 s[6:7], 0
.LBB57_340:
	s_and_b64 vcc, exec, s[6:7]
	s_cbranch_vccz .LBB57_356
; %bb.341:
	s_cmp_lt_i32 s13, 27
	s_mov_b64 s[2:3], -1
	s_cbranch_scc1 .LBB57_347
; %bb.342:
	v_cvt_u32_f32_e32 v3, v2
	s_cmp_gt_i32 s13, 27
	s_cbranch_scc0 .LBB57_344
; %bb.343:
	s_mov_b64 s[2:3], 0
	global_store_dword v[0:1], v3, off
.LBB57_344:
	s_andn2_b64 vcc, exec, s[2:3]
	s_cbranch_vccnz .LBB57_346
; %bb.345:
	global_store_short v[0:1], v3, off
.LBB57_346:
	s_mov_b64 s[2:3], 0
.LBB57_347:
	s_andn2_b64 vcc, exec, s[2:3]
	s_cbranch_vccnz .LBB57_355
; %bb.348:
	v_and_b32_e32 v3, 0x7fffffff, v2
	s_mov_b32 s2, 0x43800000
	v_cmp_gt_u32_e32 vcc, s2, v3
	v_mov_b32_e32 v4, 0x80
	s_and_saveexec_b64 s[2:3], vcc
	s_cbranch_execz .LBB57_354
; %bb.349:
	s_mov_b32 s6, 0x3bffffff
	v_cmp_lt_u32_e32 vcc, s6, v3
	s_mov_b64 s[6:7], 0
                                        ; implicit-def: $vgpr3
	s_and_saveexec_b64 s[10:11], vcc
	s_xor_b64 s[10:11], exec, s[10:11]
	s_cbranch_execz .LBB57_582
; %bb.350:
	v_bfe_u32 v3, v2, 20, 1
	s_mov_b32 s14, 0x487ffff
	v_add3_u32 v3, v2, v3, s14
	s_mov_b64 s[6:7], exec
	v_lshrrev_b32_e32 v3, 20, v3
	s_andn2_saveexec_b64 s[10:11], s[10:11]
	s_cbranch_execnz .LBB57_583
.LBB57_351:
	s_or_b64 exec, exec, s[10:11]
	v_mov_b32_e32 v4, 0
	s_and_saveexec_b64 s[10:11], s[6:7]
.LBB57_352:
	v_lshrrev_b32_e32 v4, 24, v2
	s_movk_i32 s6, 0x80
	v_and_or_b32 v4, v4, s6, v3
.LBB57_353:
	s_or_b64 exec, exec, s[10:11]
.LBB57_354:
	s_or_b64 exec, exec, s[2:3]
	global_store_byte v[0:1], v4, off
.LBB57_355:
	s_mov_b64 s[2:3], -1
.LBB57_356:
	s_mov_b64 s[6:7], 0
.LBB57_357:
	s_and_b64 vcc, exec, s[6:7]
	s_cbranch_vccz .LBB57_398
; %bb.358:
	s_cmp_gt_i32 s13, 22
	s_mov_b64 s[6:7], -1
	s_cbranch_scc0 .LBB57_390
; %bb.359:
	s_cmp_lt_i32 s13, 24
	s_mov_b64 s[2:3], -1
	s_cbranch_scc1 .LBB57_379
; %bb.360:
	s_cmp_gt_i32 s13, 24
	s_cbranch_scc0 .LBB57_368
; %bb.361:
	v_and_b32_e32 v3, 0x7fffffff, v2
	s_mov_b32 s2, 0x47800000
	v_cmp_gt_u32_e32 vcc, s2, v3
	v_mov_b32_e32 v4, 0x80
	s_and_saveexec_b64 s[2:3], vcc
	s_cbranch_execz .LBB57_367
; %bb.362:
	s_mov_b32 s6, 0x37ffffff
	v_cmp_lt_u32_e32 vcc, s6, v3
	s_mov_b64 s[6:7], 0
                                        ; implicit-def: $vgpr3
	s_and_saveexec_b64 s[10:11], vcc
	s_xor_b64 s[10:11], exec, s[10:11]
	s_cbranch_execz .LBB57_585
; %bb.363:
	v_bfe_u32 v3, v2, 21, 1
	s_mov_b32 s14, 0x88fffff
	v_add3_u32 v3, v2, v3, s14
	s_mov_b64 s[6:7], exec
	v_lshrrev_b32_e32 v3, 21, v3
	s_andn2_saveexec_b64 s[10:11], s[10:11]
	s_cbranch_execnz .LBB57_586
.LBB57_364:
	s_or_b64 exec, exec, s[10:11]
	v_mov_b32_e32 v4, 0
	s_and_saveexec_b64 s[10:11], s[6:7]
.LBB57_365:
	v_lshrrev_b32_e32 v4, 24, v2
	s_movk_i32 s6, 0x80
	v_and_or_b32 v4, v4, s6, v3
.LBB57_366:
	s_or_b64 exec, exec, s[10:11]
.LBB57_367:
	s_or_b64 exec, exec, s[2:3]
	s_mov_b64 s[2:3], 0
	global_store_byte v[0:1], v4, off
.LBB57_368:
	s_and_b64 vcc, exec, s[2:3]
	s_cbranch_vccz .LBB57_378
; %bb.369:
	v_and_b32_e32 v4, 0x7fffffff, v2
	s_mov_b32 s2, 0x43f00000
	v_cmp_gt_u32_e32 vcc, s2, v4
                                        ; implicit-def: $vgpr3
	s_and_saveexec_b64 s[2:3], vcc
	s_xor_b64 s[2:3], exec, s[2:3]
	s_cbranch_execz .LBB57_375
; %bb.370:
	s_mov_b32 s6, 0x3c7fffff
	v_cmp_lt_u32_e32 vcc, s6, v4
                                        ; implicit-def: $vgpr3
	s_and_saveexec_b64 s[6:7], vcc
	s_xor_b64 s[6:7], exec, s[6:7]
; %bb.371:
	v_bfe_u32 v3, v2, 20, 1
	s_mov_b32 s10, 0x407ffff
	v_add3_u32 v3, v2, v3, s10
	v_lshrrev_b32_e32 v4, 20, v3
	v_and_b32_e32 v3, 0xff00000, v3
	s_mov_b32 s10, 0x7f00000
	v_mov_b32_e32 v5, 0x7e
	v_cmp_ne_u32_e32 vcc, s10, v3
	v_cndmask_b32_e32 v3, v5, v4, vcc
; %bb.372:
	s_andn2_saveexec_b64 s[6:7], s[6:7]
; %bb.373:
	s_mov_b32 s10, 0x46800000
	v_add_f32_e64 v3, |v2|, s10
; %bb.374:
	s_or_b64 exec, exec, s[6:7]
                                        ; implicit-def: $vgpr4
.LBB57_375:
	s_andn2_saveexec_b64 s[2:3], s[2:3]
; %bb.376:
	s_mov_b32 s6, 0x7f800000
	v_mov_b32_e32 v3, 0x7e
	v_mov_b32_e32 v5, 0x7f
	v_cmp_lt_u32_e32 vcc, s6, v4
	v_cndmask_b32_e32 v3, v3, v5, vcc
; %bb.377:
	s_or_b64 exec, exec, s[2:3]
	v_lshrrev_b32_e32 v4, 24, v2
	s_movk_i32 s2, 0x80
	v_and_or_b32 v3, v4, s2, v3
	global_store_byte v[0:1], v3, off
.LBB57_378:
	s_mov_b64 s[2:3], 0
.LBB57_379:
	s_andn2_b64 vcc, exec, s[2:3]
	s_cbranch_vccnz .LBB57_389
; %bb.380:
	v_and_b32_e32 v4, 0x7fffffff, v2
	s_mov_b32 s2, 0x47800000
	v_cmp_gt_u32_e32 vcc, s2, v4
                                        ; implicit-def: $vgpr3
	s_and_saveexec_b64 s[2:3], vcc
	s_xor_b64 s[2:3], exec, s[2:3]
	s_cbranch_execz .LBB57_386
; %bb.381:
	s_mov_b32 s6, 0x387fffff
	v_cmp_lt_u32_e32 vcc, s6, v4
                                        ; implicit-def: $vgpr3
	s_and_saveexec_b64 s[6:7], vcc
	s_xor_b64 s[6:7], exec, s[6:7]
; %bb.382:
	v_bfe_u32 v3, v2, 21, 1
	s_mov_b32 s10, 0x80fffff
	v_add3_u32 v3, v2, v3, s10
	v_lshrrev_b32_e32 v3, 21, v3
; %bb.383:
	s_andn2_saveexec_b64 s[6:7], s[6:7]
; %bb.384:
	s_mov_b32 s10, 0x43000000
	v_add_f32_e64 v3, |v2|, s10
; %bb.385:
	s_or_b64 exec, exec, s[6:7]
                                        ; implicit-def: $vgpr4
.LBB57_386:
	s_andn2_saveexec_b64 s[2:3], s[2:3]
; %bb.387:
	s_mov_b32 s6, 0x7f800000
	v_mov_b32_e32 v3, 0x7c
	v_mov_b32_e32 v5, 0x7f
	v_cmp_lt_u32_e32 vcc, s6, v4
	v_cndmask_b32_e32 v3, v3, v5, vcc
; %bb.388:
	s_or_b64 exec, exec, s[2:3]
	v_lshrrev_b32_e32 v4, 24, v2
	s_movk_i32 s2, 0x80
	v_and_or_b32 v3, v4, s2, v3
	global_store_byte v[0:1], v3, off
.LBB57_389:
	s_mov_b64 s[6:7], 0
	s_mov_b64 s[2:3], -1
.LBB57_390:
	s_andn2_b64 vcc, exec, s[6:7]
	s_cbranch_vccnz .LBB57_398
; %bb.391:
	s_cmp_gt_i32 s13, 14
	s_mov_b64 s[6:7], -1
	s_cbranch_scc0 .LBB57_395
; %bb.392:
	s_cmp_eq_u32 s13, 15
	s_mov_b64 s[0:1], -1
	s_cbranch_scc0 .LBB57_394
; %bb.393:
	v_bfe_u32 v3, v2, 16, 1
	s_movk_i32 s0, 0x7fff
	v_add3_u32 v3, v2, v3, s0
	v_cmp_o_f32_e32 vcc, v2, v2
	v_mov_b32_e32 v4, 0x7fc0
	v_cndmask_b32_sdwa v3, v4, v3, vcc dst_sel:DWORD dst_unused:UNUSED_PAD src0_sel:DWORD src1_sel:WORD_1
	global_store_short v[0:1], v3, off
	s_mov_b64 s[2:3], -1
	s_mov_b64 s[0:1], 0
.LBB57_394:
	s_mov_b64 s[6:7], 0
.LBB57_395:
	s_and_b64 vcc, exec, s[6:7]
	s_cbranch_vccz .LBB57_398
; %bb.396:
	s_cmp_eq_u32 s13, 11
	s_mov_b64 s[0:1], -1
	s_cbranch_scc0 .LBB57_398
; %bb.397:
	v_cmp_neq_f32_e32 vcc, 0, v2
	v_cndmask_b32_e64 v3, 0, 1, vcc
	s_mov_b64 s[2:3], -1
	s_mov_b64 s[0:1], 0
	global_store_byte v[0:1], v3, off
.LBB57_398:
	s_mov_b64 s[6:7], 0
.LBB57_399:
	s_and_b64 vcc, exec, s[6:7]
	s_cbranch_vccz .LBB57_438
; %bb.400:
	s_and_b32 s6, 0xffff, s12
	s_cmp_lt_i32 s6, 5
	s_mov_b64 s[2:3], -1
	s_cbranch_scc1 .LBB57_421
; %bb.401:
	s_cmp_lt_i32 s6, 8
	s_cbranch_scc1 .LBB57_411
; %bb.402:
	s_cmp_lt_i32 s6, 9
	s_cbranch_scc1 .LBB57_408
; %bb.403:
	s_cmp_gt_i32 s6, 9
	s_cbranch_scc0 .LBB57_405
; %bb.404:
	v_cvt_f64_f32_e32 v[3:4], v2
	v_mov_b32_e32 v5, 0
	v_mov_b32_e32 v6, v5
	s_mov_b64 s[2:3], 0
	global_store_dwordx4 v[0:1], v[3:6], off
.LBB57_405:
	s_andn2_b64 vcc, exec, s[2:3]
	s_cbranch_vccnz .LBB57_407
; %bb.406:
	v_mov_b32_e32 v3, 0
	global_store_dwordx2 v[0:1], v[2:3], off
.LBB57_407:
	s_mov_b64 s[2:3], 0
.LBB57_408:
	s_andn2_b64 vcc, exec, s[2:3]
	s_cbranch_vccnz .LBB57_410
; %bb.409:
	v_cvt_f16_f32_e32 v3, v2
	global_store_dword v[0:1], v3, off
.LBB57_410:
	s_mov_b64 s[2:3], 0
.LBB57_411:
	s_andn2_b64 vcc, exec, s[2:3]
	s_cbranch_vccnz .LBB57_420
; %bb.412:
	s_cmp_lt_i32 s6, 6
	s_mov_b64 s[2:3], -1
	s_cbranch_scc1 .LBB57_418
; %bb.413:
	s_cmp_gt_i32 s6, 6
	s_cbranch_scc0 .LBB57_415
; %bb.414:
	v_cvt_f64_f32_e32 v[3:4], v2
	s_mov_b64 s[2:3], 0
	global_store_dwordx2 v[0:1], v[3:4], off
.LBB57_415:
	s_andn2_b64 vcc, exec, s[2:3]
	s_cbranch_vccnz .LBB57_417
; %bb.416:
	global_store_dword v[0:1], v2, off
.LBB57_417:
	s_mov_b64 s[2:3], 0
.LBB57_418:
	s_andn2_b64 vcc, exec, s[2:3]
	s_cbranch_vccnz .LBB57_420
; %bb.419:
	v_cvt_f16_f32_e32 v3, v2
	global_store_short v[0:1], v3, off
.LBB57_420:
	s_mov_b64 s[2:3], 0
.LBB57_421:
	s_andn2_b64 vcc, exec, s[2:3]
	s_cbranch_vccnz .LBB57_437
; %bb.422:
	s_cmp_lt_i32 s6, 2
	s_mov_b64 s[2:3], -1
	s_cbranch_scc1 .LBB57_432
; %bb.423:
	s_cmp_lt_i32 s6, 3
	s_cbranch_scc1 .LBB57_429
; %bb.424:
	s_cmp_gt_i32 s6, 3
	s_cbranch_scc0 .LBB57_426
; %bb.425:
	v_trunc_f32_e32 v3, v2
	s_mov_b32 s2, 0x2f800000
	v_mul_f32_e64 v4, |v3|, s2
	v_floor_f32_e32 v4, v4
	s_mov_b32 s2, 0xcf800000
	v_cvt_u32_f32_e32 v5, v4
	v_fma_f32 v4, v4, s2, |v3|
	v_cvt_u32_f32_e32 v4, v4
	v_ashrrev_i32_e32 v6, 31, v3
	v_xor_b32_e32 v5, v5, v6
	s_mov_b64 s[2:3], 0
	v_xor_b32_e32 v3, v4, v6
	v_sub_co_u32_e32 v3, vcc, v3, v6
	v_subb_co_u32_e32 v4, vcc, v5, v6, vcc
	global_store_dwordx2 v[0:1], v[3:4], off
.LBB57_426:
	s_andn2_b64 vcc, exec, s[2:3]
	s_cbranch_vccnz .LBB57_428
; %bb.427:
	v_cvt_i32_f32_e32 v3, v2
	global_store_dword v[0:1], v3, off
.LBB57_428:
	s_mov_b64 s[2:3], 0
.LBB57_429:
	s_andn2_b64 vcc, exec, s[2:3]
	s_cbranch_vccnz .LBB57_431
; %bb.430:
	v_cvt_i32_f32_e32 v3, v2
	global_store_short v[0:1], v3, off
.LBB57_431:
	s_mov_b64 s[2:3], 0
.LBB57_432:
	s_andn2_b64 vcc, exec, s[2:3]
	s_cbranch_vccnz .LBB57_437
; %bb.433:
	s_cmp_gt_i32 s6, 0
	s_mov_b64 s[2:3], -1
	s_cbranch_scc0 .LBB57_435
; %bb.434:
	v_cvt_i32_f32_e32 v3, v2
	s_mov_b64 s[2:3], 0
	global_store_byte v[0:1], v3, off
.LBB57_435:
	s_andn2_b64 vcc, exec, s[2:3]
	s_cbranch_vccnz .LBB57_437
; %bb.436:
	v_trunc_f32_e32 v2, v2
	s_mov_b32 s2, 0x2f800000
	v_mul_f32_e64 v3, |v2|, s2
	v_floor_f32_e32 v3, v3
	s_mov_b32 s2, 0xcf800000
	v_fma_f32 v3, v3, s2, |v2|
	v_cvt_u32_f32_e32 v3, v3
	v_ashrrev_i32_e32 v2, 31, v2
	v_xor_b32_e32 v3, v3, v2
	v_sub_u32_e32 v2, v3, v2
	global_store_byte v[0:1], v2, off
.LBB57_437:
	s_mov_b64 s[2:3], -1
.LBB57_438:
	s_andn2_b64 vcc, exec, s[2:3]
	s_cbranch_vccnz .LBB57_440
; %bb.439:
	v_add_u32_e32 v8, 0x80, v8
	s_mov_b64 s[2:3], -1
	s_branch .LBB57_553
.LBB57_440:
	s_mov_b64 s[2:3], 0
	s_branch .LBB57_552
.LBB57_441:
	s_mov_b64 s[8:9], -1
                                        ; implicit-def: $vgpr3
.LBB57_442:
	s_mov_b64 s[2:3], 0
.LBB57_443:
	s_and_b64 vcc, exec, s[2:3]
	s_cbranch_vccz .LBB57_447
; %bb.444:
	s_cmp_eq_u32 s10, 29
	s_cbranch_scc0 .LBB57_446
; %bb.445:
	global_load_dwordx2 v[3:4], v[1:2], off
	s_mov_b64 s[0:1], -1
	s_mov_b64 s[8:9], 0
	s_mov_b64 s[2:3], 0
	s_waitcnt vmcnt(0)
	v_ffbh_u32_e32 v5, v4
	v_min_u32_e32 v5, 32, v5
	v_lshlrev_b64 v[3:4], v5, v[3:4]
	v_min_u32_e32 v3, 1, v3
	v_or_b32_e32 v3, v4, v3
	v_cvt_f32_u32_e32 v3, v3
	v_sub_u32_e32 v4, 32, v5
	v_ldexp_f32 v3, v3, v4
	s_branch .LBB57_448
.LBB57_446:
	s_mov_b64 s[8:9], -1
                                        ; implicit-def: $vgpr3
.LBB57_447:
	s_mov_b64 s[2:3], 0
.LBB57_448:
	s_and_b64 vcc, exec, s[2:3]
	s_cbranch_vccz .LBB57_466
; %bb.449:
	s_cmp_lt_i32 s10, 27
	s_cbranch_scc1 .LBB57_452
; %bb.450:
	s_cmp_gt_i32 s10, 27
	s_cbranch_scc0 .LBB57_453
; %bb.451:
	global_load_dword v3, v[1:2], off
	s_mov_b64 s[0:1], 0
	s_waitcnt vmcnt(0)
	v_cvt_f32_u32_e32 v3, v3
	s_branch .LBB57_454
.LBB57_452:
	s_mov_b64 s[0:1], -1
                                        ; implicit-def: $vgpr3
	s_branch .LBB57_457
.LBB57_453:
	s_mov_b64 s[0:1], -1
                                        ; implicit-def: $vgpr3
.LBB57_454:
	s_andn2_b64 vcc, exec, s[0:1]
	s_cbranch_vccnz .LBB57_456
; %bb.455:
	global_load_ushort v3, v[1:2], off
	s_waitcnt vmcnt(0)
	v_cvt_f32_u32_e32 v3, v3
.LBB57_456:
	s_mov_b64 s[0:1], 0
.LBB57_457:
	s_andn2_b64 vcc, exec, s[0:1]
	s_cbranch_vccnz .LBB57_465
; %bb.458:
	global_load_ubyte v4, v[1:2], off
	s_movk_i32 s0, 0x7f
	s_waitcnt vmcnt(0)
	v_cmp_lt_i16_e32 vcc, s0, v4
	s_mov_b64 s[0:1], 0
	s_and_saveexec_b64 s[2:3], vcc
	s_xor_b64 s[2:3], exec, s[2:3]
	s_cbranch_execz .LBB57_479
; %bb.459:
	s_movk_i32 s0, 0x80
	v_cmp_eq_u16_e32 vcc, s0, v4
	s_mov_b64 s[0:1], -1
	s_and_saveexec_b64 s[6:7], vcc
; %bb.460:
	s_xor_b64 s[0:1], exec, -1
; %bb.461:
	s_or_b64 exec, exec, s[6:7]
	s_and_b64 s[0:1], s[0:1], exec
	s_or_saveexec_b64 s[2:3], s[2:3]
	v_mov_b32_e32 v3, 0x7f800001
	s_xor_b64 exec, exec, s[2:3]
	s_cbranch_execnz .LBB57_480
.LBB57_462:
	s_or_b64 exec, exec, s[2:3]
	s_and_saveexec_b64 s[2:3], s[0:1]
	s_cbranch_execz .LBB57_464
.LBB57_463:
	v_lshlrev_b32_e32 v3, 24, v4
	v_and_b32_e32 v4, 0xffff, v4
	v_and_b32_e32 v5, 7, v4
	v_ffbh_u32_e32 v7, v5
	v_min_u32_e32 v7, 32, v7
	v_subrev_u32_e32 v9, 28, v7
	v_bfe_u32 v6, v4, 3, 4
	v_lshlrev_b32_e32 v4, v9, v4
	v_sub_u32_e32 v7, 29, v7
	v_and_b32_e32 v4, 7, v4
	v_cmp_eq_u32_e32 vcc, 0, v6
	v_cndmask_b32_e32 v6, v6, v7, vcc
	v_cndmask_b32_e32 v4, v5, v4, vcc
	v_mov_b32_e32 v5, 0x3b800000
	v_lshlrev_b32_e32 v4, 20, v4
	v_and_b32_e32 v3, 0x80000000, v3
	v_lshl_add_u32 v5, v6, 23, v5
	v_or3_b32 v3, v3, v5, v4
.LBB57_464:
	s_or_b64 exec, exec, s[2:3]
.LBB57_465:
	s_mov_b64 s[0:1], -1
.LBB57_466:
	s_mov_b64 s[2:3], 0
.LBB57_467:
	s_and_b64 vcc, exec, s[2:3]
	s_cbranch_vccz .LBB57_502
; %bb.468:
	s_cmp_gt_i32 s10, 22
	s_cbranch_scc0 .LBB57_478
; %bb.469:
	s_cmp_lt_i32 s10, 24
	s_cbranch_scc1 .LBB57_481
; %bb.470:
	s_cmp_gt_i32 s10, 24
	s_cbranch_scc0 .LBB57_482
; %bb.471:
	global_load_ubyte v4, v[1:2], off
	s_movk_i32 s0, 0x7f
	s_waitcnt vmcnt(0)
	v_cmp_lt_i16_e32 vcc, s0, v4
	s_mov_b64 s[0:1], 0
	s_and_saveexec_b64 s[2:3], vcc
	s_xor_b64 s[2:3], exec, s[2:3]
	s_cbranch_execz .LBB57_494
; %bb.472:
	s_movk_i32 s0, 0x80
	v_cmp_eq_u16_e32 vcc, s0, v4
	s_mov_b64 s[0:1], -1
	s_and_saveexec_b64 s[6:7], vcc
; %bb.473:
	s_xor_b64 s[0:1], exec, -1
; %bb.474:
	s_or_b64 exec, exec, s[6:7]
	s_and_b64 s[0:1], s[0:1], exec
	s_or_saveexec_b64 s[2:3], s[2:3]
	v_mov_b32_e32 v3, 0x7f800001
	s_xor_b64 exec, exec, s[2:3]
	s_cbranch_execnz .LBB57_495
.LBB57_475:
	s_or_b64 exec, exec, s[2:3]
	s_and_saveexec_b64 s[2:3], s[0:1]
	s_cbranch_execz .LBB57_477
.LBB57_476:
	v_lshlrev_b32_e32 v3, 24, v4
	v_and_b32_e32 v4, 0xffff, v4
	v_and_b32_e32 v5, 3, v4
	v_ffbh_u32_e32 v7, v5
	v_min_u32_e32 v7, 32, v7
	v_subrev_u32_e32 v9, 29, v7
	v_bfe_u32 v6, v4, 2, 5
	v_lshlrev_b32_e32 v4, v9, v4
	v_sub_u32_e32 v7, 30, v7
	v_and_b32_e32 v4, 3, v4
	v_cmp_eq_u32_e32 vcc, 0, v6
	v_cndmask_b32_e32 v6, v6, v7, vcc
	v_cndmask_b32_e32 v4, v5, v4, vcc
	v_mov_b32_e32 v5, 0x37800000
	v_lshlrev_b32_e32 v4, 21, v4
	v_and_b32_e32 v3, 0x80000000, v3
	v_lshl_add_u32 v5, v6, 23, v5
	v_or3_b32 v3, v3, v5, v4
.LBB57_477:
	s_or_b64 exec, exec, s[2:3]
	s_mov_b64 s[0:1], 0
	s_branch .LBB57_483
.LBB57_478:
	s_mov_b64 s[2:3], -1
                                        ; implicit-def: $vgpr3
	s_branch .LBB57_489
.LBB57_479:
	s_or_saveexec_b64 s[2:3], s[2:3]
	v_mov_b32_e32 v3, 0x7f800001
	s_xor_b64 exec, exec, s[2:3]
	s_cbranch_execz .LBB57_462
.LBB57_480:
	v_cmp_ne_u16_e32 vcc, 0, v4
	s_andn2_b64 s[0:1], s[0:1], exec
	s_and_b64 s[6:7], vcc, exec
	v_mov_b32_e32 v3, 0
	s_or_b64 s[0:1], s[0:1], s[6:7]
	s_or_b64 exec, exec, s[2:3]
	s_and_saveexec_b64 s[2:3], s[0:1]
	s_cbranch_execnz .LBB57_463
	s_branch .LBB57_464
.LBB57_481:
	s_mov_b64 s[0:1], -1
                                        ; implicit-def: $vgpr3
	s_branch .LBB57_486
.LBB57_482:
	s_mov_b64 s[0:1], -1
                                        ; implicit-def: $vgpr3
.LBB57_483:
	s_and_b64 vcc, exec, s[0:1]
	s_cbranch_vccz .LBB57_485
; %bb.484:
	global_load_ubyte v3, v[1:2], off
	s_mov_b32 s0, 0x7f800000
	s_waitcnt vmcnt(0)
	v_lshlrev_b32_e32 v3, 24, v3
	v_and_b32_e32 v4, 0x7f000000, v3
	v_ffbh_u32_e32 v5, v4
	v_min_u32_e32 v5, 32, v5
	v_sub_u32_e64 v5, v5, 4 clamp
	v_lshlrev_b32_e32 v7, v5, v4
	v_lshlrev_b32_e32 v5, 23, v5
	v_lshrrev_b32_e32 v7, 4, v7
	v_add_u32_e32 v6, 0x1000000, v4
	v_sub_u32_e32 v5, v7, v5
	v_ashrrev_i32_e32 v6, 8, v6
	v_add_u32_e32 v5, 0x3c000000, v5
	v_and_or_b32 v5, v6, s0, v5
	v_cmp_ne_u32_e32 vcc, 0, v4
	v_cndmask_b32_e32 v4, 0, v5, vcc
	s_brev_b32 s0, 1
	v_and_or_b32 v3, v3, s0, v4
.LBB57_485:
	s_mov_b64 s[0:1], 0
.LBB57_486:
	s_andn2_b64 vcc, exec, s[0:1]
	s_cbranch_vccnz .LBB57_488
; %bb.487:
	global_load_ubyte v3, v[1:2], off
	s_movk_i32 s0, 0x7f00
	s_brev_b32 s1, 16
	s_waitcnt vmcnt(0)
	v_lshlrev_b16_e32 v4, 8, v3
	v_lshlrev_b32_e32 v3, 25, v3
	v_lshrrev_b32_e32 v5, 4, v3
	v_and_or_b32 v6, v4, s0, 0.5
	v_or_b32_e32 v5, 0x70000000, v5
	v_add_f32_e32 v6, -0.5, v6
	v_mul_f32_e32 v5, 0x7800000, v5
	v_cmp_gt_u32_e32 vcc, s1, v3
	v_bfe_i32 v4, v4, 0, 16
	v_cndmask_b32_e32 v3, v5, v6, vcc
	s_brev_b32 s0, 1
	v_and_or_b32 v3, v4, s0, v3
.LBB57_488:
	s_mov_b64 s[2:3], 0
	s_mov_b64 s[0:1], -1
.LBB57_489:
	s_andn2_b64 vcc, exec, s[2:3]
	s_cbranch_vccnz .LBB57_502
; %bb.490:
	s_cmp_gt_i32 s10, 14
	s_cbranch_scc0 .LBB57_493
; %bb.491:
	s_cmp_eq_u32 s10, 15
	s_cbranch_scc0 .LBB57_496
; %bb.492:
	global_load_ushort v3, v[1:2], off
	s_mov_b64 s[0:1], -1
	s_mov_b64 s[8:9], 0
	s_waitcnt vmcnt(0)
	v_lshlrev_b32_e32 v3, 16, v3
	s_branch .LBB57_497
.LBB57_493:
	s_mov_b64 s[2:3], -1
                                        ; implicit-def: $vgpr3
	s_branch .LBB57_498
.LBB57_494:
	s_or_saveexec_b64 s[2:3], s[2:3]
	v_mov_b32_e32 v3, 0x7f800001
	s_xor_b64 exec, exec, s[2:3]
	s_cbranch_execz .LBB57_475
.LBB57_495:
	v_cmp_ne_u16_e32 vcc, 0, v4
	s_andn2_b64 s[0:1], s[0:1], exec
	s_and_b64 s[6:7], vcc, exec
	v_mov_b32_e32 v3, 0
	s_or_b64 s[0:1], s[0:1], s[6:7]
	s_or_b64 exec, exec, s[2:3]
	s_and_saveexec_b64 s[2:3], s[0:1]
	s_cbranch_execnz .LBB57_476
	s_branch .LBB57_477
.LBB57_496:
	s_mov_b64 s[8:9], -1
                                        ; implicit-def: $vgpr3
.LBB57_497:
	s_mov_b64 s[2:3], 0
.LBB57_498:
	s_and_b64 vcc, exec, s[2:3]
	s_cbranch_vccz .LBB57_502
; %bb.499:
	s_cmp_eq_u32 s10, 11
	s_cbranch_scc0 .LBB57_501
; %bb.500:
	global_load_ubyte v3, v[1:2], off
	s_mov_b64 s[0:1], -1
	s_mov_b64 s[8:9], 0
	s_waitcnt vmcnt(0)
	v_cmp_ne_u16_e32 vcc, 0, v3
	v_cndmask_b32_e64 v3, 0, 1.0, vcc
	s_branch .LBB57_502
.LBB57_501:
	s_mov_b64 s[8:9], -1
                                        ; implicit-def: $vgpr3
.LBB57_502:
	s_branch .LBB57_299
.LBB57_503:
	s_cmp_lt_i32 s10, 5
	s_cbranch_scc1 .LBB57_508
; %bb.504:
	s_cmp_lt_i32 s10, 8
	s_cbranch_scc1 .LBB57_509
; %bb.505:
	;; [unrolled: 3-line block ×3, first 2 shown]
	s_cmp_gt_i32 s10, 9
	s_cbranch_scc0 .LBB57_511
; %bb.507:
	global_load_dwordx2 v[3:4], v[1:2], off
	s_mov_b64 s[0:1], 0
	s_waitcnt vmcnt(0)
	v_cvt_f32_f64_e32 v3, v[3:4]
	s_branch .LBB57_512
.LBB57_508:
	s_mov_b64 s[0:1], -1
                                        ; implicit-def: $vgpr3
	s_branch .LBB57_530
.LBB57_509:
	s_mov_b64 s[0:1], -1
                                        ; implicit-def: $vgpr3
	s_branch .LBB57_518
.LBB57_510:
	s_mov_b64 s[0:1], -1
                                        ; implicit-def: $vgpr3
	s_branch .LBB57_515
.LBB57_511:
	s_mov_b64 s[0:1], -1
                                        ; implicit-def: $vgpr3
.LBB57_512:
	s_andn2_b64 vcc, exec, s[0:1]
	s_cbranch_vccnz .LBB57_514
; %bb.513:
	global_load_dword v3, v[1:2], off
.LBB57_514:
	s_mov_b64 s[0:1], 0
.LBB57_515:
	s_andn2_b64 vcc, exec, s[0:1]
	s_cbranch_vccnz .LBB57_517
; %bb.516:
	global_load_dword v3, v[1:2], off
	s_waitcnt vmcnt(0)
	v_cvt_f32_f16_e32 v3, v3
.LBB57_517:
	s_mov_b64 s[0:1], 0
.LBB57_518:
	s_andn2_b64 vcc, exec, s[0:1]
	s_cbranch_vccnz .LBB57_529
; %bb.519:
	s_cmp_lt_i32 s10, 6
	s_cbranch_scc1 .LBB57_522
; %bb.520:
	s_cmp_gt_i32 s10, 6
	s_cbranch_scc0 .LBB57_523
; %bb.521:
	global_load_dwordx2 v[3:4], v[1:2], off
	s_mov_b64 s[0:1], 0
	s_waitcnt vmcnt(0)
	v_cvt_f32_f64_e32 v3, v[3:4]
	s_branch .LBB57_524
.LBB57_522:
	s_mov_b64 s[0:1], -1
                                        ; implicit-def: $vgpr3
	s_branch .LBB57_527
.LBB57_523:
	s_mov_b64 s[0:1], -1
                                        ; implicit-def: $vgpr3
.LBB57_524:
	s_andn2_b64 vcc, exec, s[0:1]
	s_cbranch_vccnz .LBB57_526
; %bb.525:
	global_load_dword v3, v[1:2], off
.LBB57_526:
	s_mov_b64 s[0:1], 0
.LBB57_527:
	s_andn2_b64 vcc, exec, s[0:1]
	s_cbranch_vccnz .LBB57_529
; %bb.528:
	global_load_ushort v3, v[1:2], off
	s_waitcnt vmcnt(0)
	v_cvt_f32_f16_e32 v3, v3
.LBB57_529:
	s_mov_b64 s[0:1], 0
.LBB57_530:
	s_andn2_b64 vcc, exec, s[0:1]
	s_cbranch_vccnz .LBB57_550
; %bb.531:
	s_cmp_lt_i32 s10, 2
	s_cbranch_scc1 .LBB57_535
; %bb.532:
	s_cmp_lt_i32 s10, 3
	s_cbranch_scc1 .LBB57_536
; %bb.533:
	s_cmp_gt_i32 s10, 3
	s_cbranch_scc0 .LBB57_537
; %bb.534:
	global_load_dwordx2 v[3:4], v[1:2], off
	s_mov_b64 s[0:1], 0
	s_waitcnt vmcnt(0)
	v_xor_b32_e32 v6, v3, v4
	v_ffbh_i32_e32 v5, v4
	v_ashrrev_i32_e32 v6, 31, v6
	v_add_u32_e32 v5, -1, v5
	v_add_u32_e32 v6, 32, v6
	v_min_u32_e32 v5, v5, v6
	v_lshlrev_b64 v[3:4], v5, v[3:4]
	v_min_u32_e32 v3, 1, v3
	v_or_b32_e32 v3, v4, v3
	v_cvt_f32_i32_e32 v3, v3
	v_sub_u32_e32 v4, 32, v5
	v_ldexp_f32 v3, v3, v4
	s_branch .LBB57_538
.LBB57_535:
	s_mov_b64 s[0:1], -1
                                        ; implicit-def: $vgpr3
	s_branch .LBB57_544
.LBB57_536:
	s_mov_b64 s[0:1], -1
                                        ; implicit-def: $vgpr3
	s_branch .LBB57_541
.LBB57_537:
	s_mov_b64 s[0:1], -1
                                        ; implicit-def: $vgpr3
.LBB57_538:
	s_andn2_b64 vcc, exec, s[0:1]
	s_cbranch_vccnz .LBB57_540
; %bb.539:
	global_load_dword v3, v[1:2], off
	s_waitcnt vmcnt(0)
	v_cvt_f32_i32_e32 v3, v3
.LBB57_540:
	s_mov_b64 s[0:1], 0
.LBB57_541:
	s_andn2_b64 vcc, exec, s[0:1]
	s_cbranch_vccnz .LBB57_543
; %bb.542:
	global_load_sshort v3, v[1:2], off
	s_waitcnt vmcnt(0)
	v_cvt_f32_i32_e32 v3, v3
.LBB57_543:
	s_mov_b64 s[0:1], 0
.LBB57_544:
	s_andn2_b64 vcc, exec, s[0:1]
	s_cbranch_vccnz .LBB57_550
; %bb.545:
	s_cmp_gt_i32 s10, 0
	s_cbranch_scc0 .LBB57_547
; %bb.546:
	global_load_sbyte v3, v[1:2], off
	s_mov_b64 s[0:1], 0
	s_waitcnt vmcnt(0)
	v_cvt_f32_i32_e32 v3, v3
	s_branch .LBB57_548
.LBB57_547:
	s_mov_b64 s[0:1], -1
                                        ; implicit-def: $vgpr3
.LBB57_548:
	s_andn2_b64 vcc, exec, s[0:1]
	s_cbranch_vccnz .LBB57_550
; %bb.549:
	global_load_ubyte v1, v[1:2], off
	s_waitcnt vmcnt(0)
	v_cvt_f32_ubyte0_e32 v3, v1
.LBB57_550:
	s_branch .LBB57_300
.LBB57_551:
	s_mov_b64 s[2:3], 0
	s_mov_b64 s[0:1], s[54:55]
.LBB57_552:
                                        ; implicit-def: $vgpr8
.LBB57_553:
	s_andn2_b64 s[6:7], s[54:55], exec
	s_and_b64 s[0:1], s[0:1], exec
	s_or_b64 s[62:63], s[6:7], s[0:1]
	s_andn2_b64 s[0:1], s[56:57], exec
	s_and_b64 s[6:7], s[8:9], exec
	s_or_b64 s[60:61], s[0:1], s[6:7]
	s_orn2_b64 s[0:1], s[2:3], exec
.LBB57_554:
	s_or_b64 exec, exec, s[64:65]
	s_mov_b64 s[2:3], 0
	s_mov_b64 s[8:9], 0
	s_mov_b64 s[10:11], 0
                                        ; implicit-def: $vgpr1_vgpr2
                                        ; implicit-def: $vgpr0
                                        ; implicit-def: $vgpr4
	s_and_saveexec_b64 s[64:65], s[0:1]
	s_cbranch_execz .LBB57_935
; %bb.555:
	v_cmp_gt_i32_e32 vcc, s70, v8
	s_mov_b64 s[2:3], -1
	s_mov_b64 s[6:7], s[60:61]
	s_mov_b64 s[68:69], s[62:63]
	s_and_saveexec_b64 s[66:67], vcc
	s_cbranch_execz .LBB57_835
; %bb.556:
	s_andn2_b64 vcc, exec, s[42:43]
	s_cbranch_vccnz .LBB57_561
; %bb.557:
	s_andn2_b64 vcc, exec, s[52:53]
	s_cbranch_vccnz .LBB57_562
; %bb.558:
	s_add_i32 s76, s75, 1
	s_cmp_eq_u32 s72, 2
	s_cbranch_scc1 .LBB57_563
; %bb.559:
	s_and_b32 s71, s76, 28
	v_mov_b32_e32 v2, 0
	s_mov_b32 s77, 0
	s_mov_b64 s[6:7], s[34:35]
	s_mov_b64 s[68:69], s[50:51]
	v_mov_b32_e32 v0, 0
	v_mov_b32_e32 v1, v8
.LBB57_560:                             ; =>This Inner Loop Header: Depth=1
	s_load_dwordx8 s[16:23], s[6:7], 0x4
	s_load_dwordx4 s[0:3], s[6:7], 0x24
	s_load_dwordx8 s[8:15], s[68:69], 0x0
	s_add_u32 s6, s6, 48
	s_addc_u32 s7, s7, 0
	s_waitcnt vmcnt(0) lgkmcnt(0)
	v_mul_hi_u32 v3, s17, v1
	s_add_i32 s77, s77, 4
	s_add_u32 s68, s68, 32
	s_addc_u32 s69, s69, 0
	v_add_u32_e32 v3, v1, v3
	v_lshrrev_b32_e32 v3, s18, v3
	v_mul_lo_u32 v4, v3, s16
	v_mul_hi_u32 v5, s20, v3
	s_cmp_eq_u32 s71, s77
	v_sub_u32_e32 v1, v1, v4
	v_add_u32_e32 v4, v3, v5
	v_mul_lo_u32 v5, v1, s8
	v_mul_lo_u32 v6, v1, s9
	v_lshrrev_b32_e32 v1, s21, v4
	v_mul_lo_u32 v4, v1, s19
	v_mul_hi_u32 v7, s23, v1
	v_sub_u32_e32 v3, v3, v4
	v_add_u32_e32 v4, v1, v7
	v_lshrrev_b32_e32 v4, s0, v4
	v_mul_hi_u32 v9, s2, v4
	v_mul_lo_u32 v10, v4, s22
	v_mul_lo_u32 v7, v3, s10
	;; [unrolled: 1-line block ×3, first 2 shown]
	v_sub_u32_e32 v10, v1, v10
	v_add_u32_e32 v1, v4, v9
	v_lshrrev_b32_e32 v1, s3, v1
	v_mul_lo_u32 v9, v1, s1
	v_mul_lo_u32 v11, v10, s12
	;; [unrolled: 1-line block ×3, first 2 shown]
	v_add3_u32 v0, v5, v0, v7
	v_sub_u32_e32 v4, v4, v9
	v_mul_lo_u32 v9, v4, s14
	v_mul_lo_u32 v4, v4, s15
	v_add3_u32 v2, v6, v2, v3
	v_add3_u32 v0, v11, v0, v9
	;; [unrolled: 1-line block ×3, first 2 shown]
	s_cbranch_scc0 .LBB57_560
	s_branch .LBB57_564
.LBB57_561:
	s_mov_b64 s[0:1], -1
                                        ; implicit-def: $vgpr0
                                        ; implicit-def: $vgpr2
	s_branch .LBB57_568
.LBB57_562:
	v_mov_b32_e32 v0, 0
	v_mov_b32_e32 v2, 0
	s_branch .LBB57_567
.LBB57_563:
	s_mov_b32 s71, 0
	v_mov_b32_e32 v0, 0
	v_mov_b32_e32 v2, 0
	v_mov_b32_e32 v1, v8
.LBB57_564:
	s_and_b32 s6, s76, 3
	s_cmp_eq_u32 s6, 0
	s_cbranch_scc1 .LBB57_567
; %bb.565:
	s_lshl_b32 s0, s71, 3
	s_add_u32 s0, s34, s0
	s_addc_u32 s1, s35, 0
	s_add_u32 s0, s0, 0xc4
	s_addc_u32 s1, s1, 0
	s_mul_i32 s2, s71, 12
	s_add_u32 s2, s34, s2
	s_addc_u32 s3, s35, 0
.LBB57_566:                             ; =>This Inner Loop Header: Depth=1
	s_load_dwordx2 s[8:9], s[2:3], 0x4
	s_load_dword s7, s[2:3], 0xc
	s_load_dwordx2 s[10:11], s[0:1], 0x0
	s_add_u32 s2, s2, 12
	s_addc_u32 s3, s3, 0
	s_waitcnt vmcnt(0) lgkmcnt(0)
	v_mul_hi_u32 v3, s9, v1
	s_add_u32 s0, s0, 8
	s_addc_u32 s1, s1, 0
	s_add_i32 s6, s6, -1
	v_add_u32_e32 v3, v1, v3
	v_lshrrev_b32_e32 v4, s7, v3
	v_mul_lo_u32 v3, v4, s8
	s_cmp_lg_u32 s6, 0
	v_sub_u32_e32 v3, v1, v3
	v_mad_u64_u32 v[0:1], s[8:9], v3, s10, v[0:1]
	v_mad_u64_u32 v[2:3], s[8:9], v3, s11, v[2:3]
	v_mov_b32_e32 v1, v4
	s_cbranch_scc1 .LBB57_566
.LBB57_567:
	s_mov_b64 s[0:1], 0
.LBB57_568:
	s_andn2_b64 vcc, exec, s[0:1]
	s_cbranch_vccnz .LBB57_571
; %bb.569:
	s_waitcnt lgkmcnt(0)
	v_mul_hi_u32 v0, s37, v8
	s_andn2_b64 vcc, exec, s[48:49]
	v_add_u32_e32 v0, v8, v0
	v_lshrrev_b32_e32 v1, s38, v0
	v_mul_lo_u32 v0, v1, s36
	v_sub_u32_e32 v2, v8, v0
	v_mul_lo_u32 v0, v2, s28
	v_mul_lo_u32 v2, v2, s29
	s_cbranch_vccnz .LBB57_571
; %bb.570:
	s_waitcnt vmcnt(0)
	v_mul_hi_u32 v3, s46, v1
	v_add_u32_e32 v3, v1, v3
	v_lshrrev_b32_e32 v3, s47, v3
	v_mul_lo_u32 v3, v3, s39
	v_sub_u32_e32 v3, v1, v3
	v_mad_u64_u32 v[0:1], s[0:1], v3, s30, v[0:1]
	v_mad_u64_u32 v[2:3], s[0:1], v3, s31, v[2:3]
.LBB57_571:
	s_waitcnt vmcnt(0) lgkmcnt(0)
	v_mov_b32_e32 v3, s27
	s_and_b32 s10, 0xffff, s74
	v_add_co_u32_e32 v1, vcc, s26, v2
	s_cmp_lt_i32 s10, 11
	v_addc_co_u32_e32 v2, vcc, 0, v3, vcc
	s_cbranch_scc1 .LBB57_578
; %bb.572:
	s_cmp_gt_i32 s10, 25
	s_cbranch_scc0 .LBB57_579
; %bb.573:
	s_cmp_gt_i32 s10, 28
	s_cbranch_scc0 .LBB57_580
	;; [unrolled: 3-line block ×4, first 2 shown]
; %bb.576:
	s_cmp_eq_u32 s10, 46
	s_mov_b64 s[2:3], 0
	s_cbranch_scc0 .LBB57_587
; %bb.577:
	global_load_dword v3, v[1:2], off
	s_mov_b64 s[0:1], -1
	s_mov_b64 s[8:9], 0
	s_waitcnt vmcnt(0)
	v_lshlrev_b32_e32 v3, 16, v3
	s_branch .LBB57_588
.LBB57_578:
	s_mov_b64 s[2:3], -1
	s_mov_b64 s[0:1], 0
                                        ; implicit-def: $vgpr3
	s_mov_b64 s[8:9], s[60:61]
	s_branch .LBB57_653
.LBB57_579:
	s_mov_b64 s[2:3], -1
	s_mov_b64 s[0:1], 0
	s_mov_b64 s[8:9], s[60:61]
                                        ; implicit-def: $vgpr3
	s_branch .LBB57_617
.LBB57_580:
	s_mov_b64 s[2:3], -1
	s_mov_b64 s[0:1], 0
	s_mov_b64 s[8:9], s[60:61]
                                        ; implicit-def: $vgpr3
	s_branch .LBB57_598
.LBB57_581:
	s_mov_b64 s[2:3], -1
	s_mov_b64 s[0:1], 0
	s_mov_b64 s[8:9], s[60:61]
                                        ; implicit-def: $vgpr3
	s_branch .LBB57_593
.LBB57_582:
	s_andn2_saveexec_b64 s[10:11], s[10:11]
	s_cbranch_execz .LBB57_351
.LBB57_583:
	s_mov_b32 s14, 0x46000000
	v_add_f32_e64 v3, |v2|, s14
	v_and_b32_e32 v3, 0xff, v3
	v_cmp_ne_u32_e32 vcc, 0, v3
	s_andn2_b64 s[6:7], s[6:7], exec
	s_and_b64 s[14:15], vcc, exec
	s_or_b64 s[6:7], s[6:7], s[14:15]
	s_or_b64 exec, exec, s[10:11]
	v_mov_b32_e32 v4, 0
	s_and_saveexec_b64 s[10:11], s[6:7]
	s_cbranch_execnz .LBB57_352
	s_branch .LBB57_353
.LBB57_584:
	s_mov_b64 s[2:3], -1
	s_mov_b64 s[0:1], 0
	s_mov_b64 s[8:9], s[60:61]
                                        ; implicit-def: $vgpr3
	s_branch .LBB57_588
.LBB57_585:
	s_andn2_saveexec_b64 s[10:11], s[10:11]
	s_cbranch_execz .LBB57_364
.LBB57_586:
	s_mov_b32 s14, 0x42800000
	v_add_f32_e64 v3, |v2|, s14
	v_and_b32_e32 v3, 0xff, v3
	v_cmp_ne_u32_e32 vcc, 0, v3
	s_andn2_b64 s[6:7], s[6:7], exec
	s_and_b64 s[14:15], vcc, exec
	s_or_b64 s[6:7], s[6:7], s[14:15]
	s_or_b64 exec, exec, s[10:11]
	v_mov_b32_e32 v4, 0
	s_and_saveexec_b64 s[10:11], s[6:7]
	s_cbranch_execnz .LBB57_365
	s_branch .LBB57_366
.LBB57_587:
	s_mov_b64 s[8:9], -1
                                        ; implicit-def: $vgpr3
	s_mov_b64 s[0:1], 0
.LBB57_588:
	s_and_b64 vcc, exec, s[2:3]
	s_cbranch_vccz .LBB57_592
; %bb.589:
	s_cmp_eq_u32 s10, 44
	s_cbranch_scc0 .LBB57_591
; %bb.590:
	global_load_ubyte v3, v[1:2], off
	s_movk_i32 s2, 0xff
	v_mov_b32_e32 v4, 0x7f800001
	v_mov_b32_e32 v5, 0x400000
	s_mov_b64 s[0:1], -1
	s_mov_b64 s[8:9], 0
	s_waitcnt vmcnt(0)
	v_lshlrev_b32_e32 v6, 23, v3
	v_cmp_ne_u32_e32 vcc, s2, v3
	v_cndmask_b32_e32 v4, v4, v6, vcc
	v_cmp_ne_u32_e32 vcc, 0, v3
	v_cndmask_b32_e32 v3, v5, v4, vcc
	s_branch .LBB57_592
.LBB57_591:
	s_mov_b64 s[8:9], -1
                                        ; implicit-def: $vgpr3
.LBB57_592:
	s_mov_b64 s[2:3], 0
.LBB57_593:
	s_and_b64 vcc, exec, s[2:3]
	s_cbranch_vccz .LBB57_597
; %bb.594:
	s_cmp_eq_u32 s10, 29
	s_cbranch_scc0 .LBB57_596
; %bb.595:
	global_load_dwordx2 v[3:4], v[1:2], off
	s_mov_b64 s[0:1], -1
	s_mov_b64 s[8:9], 0
	s_mov_b64 s[2:3], 0
	s_waitcnt vmcnt(0)
	v_ffbh_u32_e32 v5, v4
	v_min_u32_e32 v5, 32, v5
	v_lshlrev_b64 v[3:4], v5, v[3:4]
	v_min_u32_e32 v3, 1, v3
	v_or_b32_e32 v3, v4, v3
	v_cvt_f32_u32_e32 v3, v3
	v_sub_u32_e32 v4, 32, v5
	v_ldexp_f32 v3, v3, v4
	s_branch .LBB57_598
.LBB57_596:
	s_mov_b64 s[8:9], -1
                                        ; implicit-def: $vgpr3
.LBB57_597:
	s_mov_b64 s[2:3], 0
.LBB57_598:
	s_and_b64 vcc, exec, s[2:3]
	s_cbranch_vccz .LBB57_616
; %bb.599:
	s_cmp_lt_i32 s10, 27
	s_cbranch_scc1 .LBB57_602
; %bb.600:
	s_cmp_gt_i32 s10, 27
	s_cbranch_scc0 .LBB57_603
; %bb.601:
	global_load_dword v3, v[1:2], off
	s_mov_b64 s[0:1], 0
	s_waitcnt vmcnt(0)
	v_cvt_f32_u32_e32 v3, v3
	s_branch .LBB57_604
.LBB57_602:
	s_mov_b64 s[0:1], -1
                                        ; implicit-def: $vgpr3
	s_branch .LBB57_607
.LBB57_603:
	s_mov_b64 s[0:1], -1
                                        ; implicit-def: $vgpr3
.LBB57_604:
	s_andn2_b64 vcc, exec, s[0:1]
	s_cbranch_vccnz .LBB57_606
; %bb.605:
	global_load_ushort v3, v[1:2], off
	s_waitcnt vmcnt(0)
	v_cvt_f32_u32_e32 v3, v3
.LBB57_606:
	s_mov_b64 s[0:1], 0
.LBB57_607:
	s_andn2_b64 vcc, exec, s[0:1]
	s_cbranch_vccnz .LBB57_615
; %bb.608:
	global_load_ubyte v4, v[1:2], off
	s_movk_i32 s0, 0x7f
	s_waitcnt vmcnt(0)
	v_cmp_lt_i16_e32 vcc, s0, v4
	s_mov_b64 s[0:1], 0
	s_and_saveexec_b64 s[2:3], vcc
	s_xor_b64 s[2:3], exec, s[2:3]
	s_cbranch_execz .LBB57_629
; %bb.609:
	s_movk_i32 s0, 0x80
	v_cmp_eq_u16_e32 vcc, s0, v4
	s_mov_b64 s[0:1], -1
	s_and_saveexec_b64 s[6:7], vcc
; %bb.610:
	s_xor_b64 s[0:1], exec, -1
; %bb.611:
	s_or_b64 exec, exec, s[6:7]
	s_and_b64 s[0:1], s[0:1], exec
	s_or_saveexec_b64 s[2:3], s[2:3]
	v_mov_b32_e32 v3, 0x7f800001
	s_xor_b64 exec, exec, s[2:3]
	s_cbranch_execnz .LBB57_630
.LBB57_612:
	s_or_b64 exec, exec, s[2:3]
	s_and_saveexec_b64 s[2:3], s[0:1]
	s_cbranch_execz .LBB57_614
.LBB57_613:
	v_lshlrev_b32_e32 v3, 24, v4
	v_and_b32_e32 v4, 0xffff, v4
	v_and_b32_e32 v5, 7, v4
	v_ffbh_u32_e32 v7, v5
	v_min_u32_e32 v7, 32, v7
	v_subrev_u32_e32 v9, 28, v7
	v_bfe_u32 v6, v4, 3, 4
	v_lshlrev_b32_e32 v4, v9, v4
	v_sub_u32_e32 v7, 29, v7
	v_and_b32_e32 v4, 7, v4
	v_cmp_eq_u32_e32 vcc, 0, v6
	v_cndmask_b32_e32 v6, v6, v7, vcc
	v_cndmask_b32_e32 v4, v5, v4, vcc
	v_mov_b32_e32 v5, 0x3b800000
	v_lshlrev_b32_e32 v4, 20, v4
	v_and_b32_e32 v3, 0x80000000, v3
	v_lshl_add_u32 v5, v6, 23, v5
	v_or3_b32 v3, v3, v5, v4
.LBB57_614:
	s_or_b64 exec, exec, s[2:3]
.LBB57_615:
	s_mov_b64 s[0:1], -1
.LBB57_616:
	s_mov_b64 s[2:3], 0
.LBB57_617:
	s_and_b64 vcc, exec, s[2:3]
	s_cbranch_vccz .LBB57_652
; %bb.618:
	s_cmp_gt_i32 s10, 22
	s_cbranch_scc0 .LBB57_628
; %bb.619:
	s_cmp_lt_i32 s10, 24
	s_cbranch_scc1 .LBB57_631
; %bb.620:
	s_cmp_gt_i32 s10, 24
	s_cbranch_scc0 .LBB57_632
; %bb.621:
	global_load_ubyte v4, v[1:2], off
	s_movk_i32 s0, 0x7f
	s_waitcnt vmcnt(0)
	v_cmp_lt_i16_e32 vcc, s0, v4
	s_mov_b64 s[0:1], 0
	s_and_saveexec_b64 s[2:3], vcc
	s_xor_b64 s[2:3], exec, s[2:3]
	s_cbranch_execz .LBB57_644
; %bb.622:
	s_movk_i32 s0, 0x80
	v_cmp_eq_u16_e32 vcc, s0, v4
	s_mov_b64 s[0:1], -1
	s_and_saveexec_b64 s[6:7], vcc
; %bb.623:
	s_xor_b64 s[0:1], exec, -1
; %bb.624:
	s_or_b64 exec, exec, s[6:7]
	s_and_b64 s[0:1], s[0:1], exec
	s_or_saveexec_b64 s[2:3], s[2:3]
	v_mov_b32_e32 v3, 0x7f800001
	s_xor_b64 exec, exec, s[2:3]
	s_cbranch_execnz .LBB57_645
.LBB57_625:
	s_or_b64 exec, exec, s[2:3]
	s_and_saveexec_b64 s[2:3], s[0:1]
	s_cbranch_execz .LBB57_627
.LBB57_626:
	v_lshlrev_b32_e32 v3, 24, v4
	v_and_b32_e32 v4, 0xffff, v4
	v_and_b32_e32 v5, 3, v4
	v_ffbh_u32_e32 v7, v5
	v_min_u32_e32 v7, 32, v7
	v_subrev_u32_e32 v9, 29, v7
	v_bfe_u32 v6, v4, 2, 5
	v_lshlrev_b32_e32 v4, v9, v4
	v_sub_u32_e32 v7, 30, v7
	v_and_b32_e32 v4, 3, v4
	v_cmp_eq_u32_e32 vcc, 0, v6
	v_cndmask_b32_e32 v6, v6, v7, vcc
	v_cndmask_b32_e32 v4, v5, v4, vcc
	v_mov_b32_e32 v5, 0x37800000
	v_lshlrev_b32_e32 v4, 21, v4
	v_and_b32_e32 v3, 0x80000000, v3
	v_lshl_add_u32 v5, v6, 23, v5
	v_or3_b32 v3, v3, v5, v4
.LBB57_627:
	s_or_b64 exec, exec, s[2:3]
	s_mov_b64 s[0:1], 0
	s_branch .LBB57_633
.LBB57_628:
	s_mov_b64 s[2:3], -1
                                        ; implicit-def: $vgpr3
	s_branch .LBB57_639
.LBB57_629:
	s_or_saveexec_b64 s[2:3], s[2:3]
	v_mov_b32_e32 v3, 0x7f800001
	s_xor_b64 exec, exec, s[2:3]
	s_cbranch_execz .LBB57_612
.LBB57_630:
	v_cmp_ne_u16_e32 vcc, 0, v4
	s_andn2_b64 s[0:1], s[0:1], exec
	s_and_b64 s[6:7], vcc, exec
	v_mov_b32_e32 v3, 0
	s_or_b64 s[0:1], s[0:1], s[6:7]
	s_or_b64 exec, exec, s[2:3]
	s_and_saveexec_b64 s[2:3], s[0:1]
	s_cbranch_execnz .LBB57_613
	s_branch .LBB57_614
.LBB57_631:
	s_mov_b64 s[0:1], -1
                                        ; implicit-def: $vgpr3
	s_branch .LBB57_636
.LBB57_632:
	s_mov_b64 s[0:1], -1
                                        ; implicit-def: $vgpr3
.LBB57_633:
	s_and_b64 vcc, exec, s[0:1]
	s_cbranch_vccz .LBB57_635
; %bb.634:
	global_load_ubyte v3, v[1:2], off
	s_mov_b32 s0, 0x7f800000
	s_waitcnt vmcnt(0)
	v_lshlrev_b32_e32 v3, 24, v3
	v_and_b32_e32 v4, 0x7f000000, v3
	v_ffbh_u32_e32 v5, v4
	v_min_u32_e32 v5, 32, v5
	v_sub_u32_e64 v5, v5, 4 clamp
	v_lshlrev_b32_e32 v7, v5, v4
	v_lshlrev_b32_e32 v5, 23, v5
	v_lshrrev_b32_e32 v7, 4, v7
	v_add_u32_e32 v6, 0x1000000, v4
	v_sub_u32_e32 v5, v7, v5
	v_ashrrev_i32_e32 v6, 8, v6
	v_add_u32_e32 v5, 0x3c000000, v5
	v_and_or_b32 v5, v6, s0, v5
	v_cmp_ne_u32_e32 vcc, 0, v4
	v_cndmask_b32_e32 v4, 0, v5, vcc
	s_brev_b32 s0, 1
	v_and_or_b32 v3, v3, s0, v4
.LBB57_635:
	s_mov_b64 s[0:1], 0
.LBB57_636:
	s_andn2_b64 vcc, exec, s[0:1]
	s_cbranch_vccnz .LBB57_638
; %bb.637:
	global_load_ubyte v3, v[1:2], off
	s_movk_i32 s0, 0x7f00
	s_brev_b32 s1, 16
	s_waitcnt vmcnt(0)
	v_lshlrev_b16_e32 v4, 8, v3
	v_lshlrev_b32_e32 v3, 25, v3
	v_lshrrev_b32_e32 v5, 4, v3
	v_and_or_b32 v6, v4, s0, 0.5
	v_or_b32_e32 v5, 0x70000000, v5
	v_add_f32_e32 v6, -0.5, v6
	v_mul_f32_e32 v5, 0x7800000, v5
	v_cmp_gt_u32_e32 vcc, s1, v3
	v_bfe_i32 v4, v4, 0, 16
	v_cndmask_b32_e32 v3, v5, v6, vcc
	s_brev_b32 s0, 1
	v_and_or_b32 v3, v4, s0, v3
.LBB57_638:
	s_mov_b64 s[2:3], 0
	s_mov_b64 s[0:1], -1
.LBB57_639:
	s_andn2_b64 vcc, exec, s[2:3]
	s_cbranch_vccnz .LBB57_652
; %bb.640:
	s_cmp_gt_i32 s10, 14
	s_cbranch_scc0 .LBB57_643
; %bb.641:
	s_cmp_eq_u32 s10, 15
	s_cbranch_scc0 .LBB57_646
; %bb.642:
	global_load_ushort v3, v[1:2], off
	s_mov_b64 s[0:1], -1
	s_mov_b64 s[8:9], 0
	s_waitcnt vmcnt(0)
	v_lshlrev_b32_e32 v3, 16, v3
	s_branch .LBB57_647
.LBB57_643:
	s_mov_b64 s[2:3], -1
                                        ; implicit-def: $vgpr3
	s_branch .LBB57_648
.LBB57_644:
	s_or_saveexec_b64 s[2:3], s[2:3]
	v_mov_b32_e32 v3, 0x7f800001
	s_xor_b64 exec, exec, s[2:3]
	s_cbranch_execz .LBB57_625
.LBB57_645:
	v_cmp_ne_u16_e32 vcc, 0, v4
	s_andn2_b64 s[0:1], s[0:1], exec
	s_and_b64 s[6:7], vcc, exec
	v_mov_b32_e32 v3, 0
	s_or_b64 s[0:1], s[0:1], s[6:7]
	s_or_b64 exec, exec, s[2:3]
	s_and_saveexec_b64 s[2:3], s[0:1]
	s_cbranch_execnz .LBB57_626
	s_branch .LBB57_627
.LBB57_646:
	s_mov_b64 s[8:9], -1
                                        ; implicit-def: $vgpr3
.LBB57_647:
	s_mov_b64 s[2:3], 0
.LBB57_648:
	s_and_b64 vcc, exec, s[2:3]
	s_cbranch_vccz .LBB57_652
; %bb.649:
	s_cmp_eq_u32 s10, 11
	s_cbranch_scc0 .LBB57_651
; %bb.650:
	global_load_ubyte v3, v[1:2], off
	s_mov_b64 s[0:1], -1
	s_mov_b64 s[8:9], 0
	s_waitcnt vmcnt(0)
	v_cmp_ne_u16_e32 vcc, 0, v3
	v_cndmask_b32_e64 v3, 0, 1.0, vcc
	s_branch .LBB57_652
.LBB57_651:
	s_mov_b64 s[8:9], -1
                                        ; implicit-def: $vgpr3
.LBB57_652:
	s_mov_b64 s[2:3], 0
.LBB57_653:
	s_and_b64 vcc, exec, s[2:3]
	s_cbranch_vccz .LBB57_702
; %bb.654:
	s_cmp_lt_i32 s10, 5
	s_cbranch_scc1 .LBB57_659
; %bb.655:
	s_cmp_lt_i32 s10, 8
	s_cbranch_scc1 .LBB57_660
	;; [unrolled: 3-line block ×3, first 2 shown]
; %bb.657:
	s_cmp_gt_i32 s10, 9
	s_cbranch_scc0 .LBB57_662
; %bb.658:
	global_load_dwordx2 v[3:4], v[1:2], off
	s_mov_b64 s[0:1], 0
	s_waitcnt vmcnt(0)
	v_cvt_f32_f64_e32 v3, v[3:4]
	s_branch .LBB57_663
.LBB57_659:
	s_mov_b64 s[0:1], -1
                                        ; implicit-def: $vgpr3
	s_branch .LBB57_681
.LBB57_660:
	s_mov_b64 s[0:1], -1
                                        ; implicit-def: $vgpr3
	s_branch .LBB57_669
.LBB57_661:
	s_mov_b64 s[0:1], -1
                                        ; implicit-def: $vgpr3
	s_branch .LBB57_666
.LBB57_662:
	s_mov_b64 s[0:1], -1
                                        ; implicit-def: $vgpr3
.LBB57_663:
	s_andn2_b64 vcc, exec, s[0:1]
	s_cbranch_vccnz .LBB57_665
; %bb.664:
	global_load_dword v3, v[1:2], off
.LBB57_665:
	s_mov_b64 s[0:1], 0
.LBB57_666:
	s_andn2_b64 vcc, exec, s[0:1]
	s_cbranch_vccnz .LBB57_668
; %bb.667:
	global_load_dword v3, v[1:2], off
	s_waitcnt vmcnt(0)
	v_cvt_f32_f16_e32 v3, v3
.LBB57_668:
	s_mov_b64 s[0:1], 0
.LBB57_669:
	s_andn2_b64 vcc, exec, s[0:1]
	s_cbranch_vccnz .LBB57_680
; %bb.670:
	s_cmp_lt_i32 s10, 6
	s_cbranch_scc1 .LBB57_673
; %bb.671:
	s_cmp_gt_i32 s10, 6
	s_cbranch_scc0 .LBB57_674
; %bb.672:
	global_load_dwordx2 v[3:4], v[1:2], off
	s_mov_b64 s[0:1], 0
	s_waitcnt vmcnt(0)
	v_cvt_f32_f64_e32 v3, v[3:4]
	s_branch .LBB57_675
.LBB57_673:
	s_mov_b64 s[0:1], -1
                                        ; implicit-def: $vgpr3
	s_branch .LBB57_678
.LBB57_674:
	s_mov_b64 s[0:1], -1
                                        ; implicit-def: $vgpr3
.LBB57_675:
	s_andn2_b64 vcc, exec, s[0:1]
	s_cbranch_vccnz .LBB57_677
; %bb.676:
	global_load_dword v3, v[1:2], off
.LBB57_677:
	s_mov_b64 s[0:1], 0
.LBB57_678:
	s_andn2_b64 vcc, exec, s[0:1]
	s_cbranch_vccnz .LBB57_680
; %bb.679:
	global_load_ushort v3, v[1:2], off
	s_waitcnt vmcnt(0)
	v_cvt_f32_f16_e32 v3, v3
.LBB57_680:
	s_mov_b64 s[0:1], 0
.LBB57_681:
	s_andn2_b64 vcc, exec, s[0:1]
	s_cbranch_vccnz .LBB57_701
; %bb.682:
	s_cmp_lt_i32 s10, 2
	s_cbranch_scc1 .LBB57_686
; %bb.683:
	s_cmp_lt_i32 s10, 3
	s_cbranch_scc1 .LBB57_687
; %bb.684:
	s_cmp_gt_i32 s10, 3
	s_cbranch_scc0 .LBB57_688
; %bb.685:
	global_load_dwordx2 v[3:4], v[1:2], off
	s_mov_b64 s[0:1], 0
	s_waitcnt vmcnt(0)
	v_xor_b32_e32 v6, v3, v4
	v_ffbh_i32_e32 v5, v4
	v_ashrrev_i32_e32 v6, 31, v6
	v_add_u32_e32 v5, -1, v5
	v_add_u32_e32 v6, 32, v6
	v_min_u32_e32 v5, v5, v6
	v_lshlrev_b64 v[3:4], v5, v[3:4]
	v_min_u32_e32 v3, 1, v3
	v_or_b32_e32 v3, v4, v3
	v_cvt_f32_i32_e32 v3, v3
	v_sub_u32_e32 v4, 32, v5
	v_ldexp_f32 v3, v3, v4
	s_branch .LBB57_689
.LBB57_686:
	s_mov_b64 s[0:1], -1
                                        ; implicit-def: $vgpr3
	s_branch .LBB57_695
.LBB57_687:
	s_mov_b64 s[0:1], -1
                                        ; implicit-def: $vgpr3
	s_branch .LBB57_692
.LBB57_688:
	s_mov_b64 s[0:1], -1
                                        ; implicit-def: $vgpr3
.LBB57_689:
	s_andn2_b64 vcc, exec, s[0:1]
	s_cbranch_vccnz .LBB57_691
; %bb.690:
	global_load_dword v3, v[1:2], off
	s_waitcnt vmcnt(0)
	v_cvt_f32_i32_e32 v3, v3
.LBB57_691:
	s_mov_b64 s[0:1], 0
.LBB57_692:
	s_andn2_b64 vcc, exec, s[0:1]
	s_cbranch_vccnz .LBB57_694
; %bb.693:
	global_load_sshort v3, v[1:2], off
	s_waitcnt vmcnt(0)
	v_cvt_f32_i32_e32 v3, v3
.LBB57_694:
	s_mov_b64 s[0:1], 0
.LBB57_695:
	s_andn2_b64 vcc, exec, s[0:1]
	s_cbranch_vccnz .LBB57_701
; %bb.696:
	s_cmp_gt_i32 s10, 0
	s_cbranch_scc0 .LBB57_698
; %bb.697:
	global_load_sbyte v3, v[1:2], off
	s_mov_b64 s[0:1], 0
	s_waitcnt vmcnt(0)
	v_cvt_f32_i32_e32 v3, v3
	s_branch .LBB57_699
.LBB57_698:
	s_mov_b64 s[0:1], -1
                                        ; implicit-def: $vgpr3
.LBB57_699:
	s_andn2_b64 vcc, exec, s[0:1]
	s_cbranch_vccnz .LBB57_701
; %bb.700:
	global_load_ubyte v1, v[1:2], off
	s_waitcnt vmcnt(0)
	v_cvt_f32_ubyte0_e32 v3, v1
.LBB57_701:
	s_mov_b64 s[0:1], -1
.LBB57_702:
	s_andn2_b64 vcc, exec, s[0:1]
	s_cbranch_vccnz .LBB57_716
; %bb.703:
	s_waitcnt vmcnt(0)
	v_cmp_gt_f32_e32 vcc, 0.5, v3
	v_mov_b32_e32 v2, 0
	v_mov_b32_e32 v1, 1.0
	s_and_saveexec_b64 s[10:11], vcc
	s_cbranch_execz .LBB57_709
; %bb.704:
	v_mul_f32_e32 v1, 0x40490fdb, v3
	s_brev_b32 s0, 18
	v_and_b32_e32 v2, 0x7fffffff, v1
	v_cmp_nlt_f32_e64 s[0:1], |v1|, s0
                                        ; implicit-def: $vgpr4
                                        ; implicit-def: $vgpr5
	s_and_saveexec_b64 s[2:3], s[0:1]
	s_xor_b64 s[12:13], exec, s[2:3]
	s_cbranch_execz .LBB57_706
; %bb.705:
	v_and_b32_e32 v4, 0x7fffff, v2
	v_or_b32_e32 v7, 0x800000, v4
	s_mov_b32 s0, 0xfe5163ab
	v_mad_u64_u32 v[4:5], s[0:1], v7, s0, 0
	v_mov_b32_e32 v6, 0
	s_mov_b32 s0, 0x3c439041
	v_mad_u64_u32 v[9:10], s[0:1], v7, s0, v[5:6]
	s_mov_b32 s0, 0xdb629599
	v_not_b32_e32 v14, 63
	v_mov_b32_e32 v5, v10
	v_mad_u64_u32 v[10:11], s[0:1], v7, s0, v[5:6]
	s_mov_b32 s0, 0xf534ddc0
	v_not_b32_e32 v16, 31
	v_mov_b32_e32 v5, v11
	v_mad_u64_u32 v[11:12], s[0:1], v7, s0, v[5:6]
	v_lshrrev_b32_e32 v5, 23, v2
	v_add_u32_e32 v15, 0xffffff88, v5
	v_mov_b32_e32 v5, v12
	s_mov_b32 s0, 0xfc2757d1
	v_mad_u64_u32 v[12:13], s[0:1], v7, s0, v[5:6]
	v_cmp_lt_u32_e32 vcc, 63, v15
	v_cndmask_b32_e32 v5, 0, v14, vcc
	v_add_u32_e32 v15, v5, v15
	v_mov_b32_e32 v5, v13
	s_mov_b32 s0, 0x4e441529
	v_mad_u64_u32 v[13:14], s[0:1], v7, s0, v[5:6]
	v_cmp_lt_u32_e64 s[0:1], 31, v15
	v_cndmask_b32_e64 v5, 0, v16, s[0:1]
	v_add_u32_e32 v15, v5, v15
	v_mov_b32_e32 v5, v14
	s_mov_b32 s2, 0xa2f9836e
	v_mad_u64_u32 v[5:6], s[2:3], v7, s2, v[5:6]
	v_cmp_lt_u32_e64 s[2:3], 31, v15
	v_cndmask_b32_e64 v7, 0, v16, s[2:3]
	v_cndmask_b32_e32 v14, v13, v11, vcc
	v_cndmask_b32_e32 v5, v5, v12, vcc
	;; [unrolled: 1-line block ×3, first 2 shown]
	v_add_u32_e32 v7, v7, v15
	v_cndmask_b32_e64 v15, v5, v14, s[0:1]
	v_cndmask_b32_e64 v5, v6, v5, s[0:1]
	v_cndmask_b32_e32 v6, v12, v10, vcc
	v_cndmask_b32_e64 v12, v14, v6, s[0:1]
	v_cndmask_b32_e64 v5, v5, v15, s[2:3]
	;; [unrolled: 1-line block ×3, first 2 shown]
	v_sub_u32_e32 v14, 32, v7
	v_alignbit_b32 v15, v5, v13, v14
	v_cmp_eq_u32_e64 s[6:7], 0, v7
	v_cndmask_b32_e64 v7, v15, v5, s[6:7]
	v_cndmask_b32_e32 v5, v11, v9, vcc
	v_cndmask_b32_e64 v6, v6, v5, s[0:1]
	v_cndmask_b32_e64 v9, v12, v6, s[2:3]
	v_alignbit_b32 v11, v13, v9, v14
	v_cndmask_b32_e32 v4, v10, v4, vcc
	v_cndmask_b32_e64 v11, v11, v13, s[6:7]
	v_bfe_u32 v15, v7, 29, 1
	v_cndmask_b32_e64 v4, v5, v4, s[0:1]
	v_alignbit_b32 v12, v7, v11, 30
	v_sub_u32_e32 v16, 0, v15
	v_cndmask_b32_e64 v4, v6, v4, s[2:3]
	v_xor_b32_e32 v12, v12, v16
	v_alignbit_b32 v5, v9, v4, v14
	v_cndmask_b32_e64 v5, v5, v9, s[6:7]
	v_ffbh_u32_e32 v9, v12
	v_alignbit_b32 v6, v11, v5, 30
	v_min_u32_e32 v9, 32, v9
	v_alignbit_b32 v4, v5, v4, 30
	v_xor_b32_e32 v6, v6, v16
	v_sub_u32_e32 v10, 31, v9
	v_xor_b32_e32 v4, v4, v16
	v_alignbit_b32 v11, v12, v6, v10
	v_alignbit_b32 v4, v6, v4, v10
	;; [unrolled: 1-line block ×3, first 2 shown]
	v_ffbh_u32_e32 v6, v5
	v_min_u32_e32 v6, 32, v6
	v_lshrrev_b32_e32 v13, 29, v7
	v_not_b32_e32 v10, v6
	v_alignbit_b32 v4, v5, v4, v10
	v_lshlrev_b32_e32 v5, 31, v13
	v_or_b32_e32 v10, 0x33000000, v5
	v_add_lshl_u32 v6, v6, v9, 23
	v_lshrrev_b32_e32 v4, 9, v4
	v_sub_u32_e32 v6, v10, v6
	v_or_b32_e32 v5, 0.5, v5
	v_lshlrev_b32_e32 v9, 23, v9
	v_or_b32_e32 v4, v6, v4
	v_lshrrev_b32_e32 v6, 9, v11
	v_sub_u32_e32 v5, v5, v9
	v_or_b32_e32 v5, v6, v5
	s_mov_b32 s0, 0x3fc90fda
	v_mul_f32_e32 v6, 0x3fc90fda, v5
	v_fma_f32 v9, v5, s0, -v6
	v_fmac_f32_e32 v9, 0x33a22168, v5
	v_fmac_f32_e32 v9, 0x3fc90fda, v4
	v_lshrrev_b32_e32 v4, 30, v7
	v_add_f32_e32 v5, v6, v9
	v_add_u32_e32 v4, v15, v4
.LBB57_706:
	s_andn2_saveexec_b64 s[0:1], s[12:13]
	s_cbranch_execz .LBB57_708
; %bb.707:
	s_mov_b32 s2, 0x3f22f983
	v_mul_f32_e64 v4, |v1|, s2
	v_rndne_f32_e32 v6, v4
	s_mov_b32 s2, 0xbfc90fda
	v_cvt_i32_f32_e32 v4, v6
	v_fma_f32 v5, v6, s2, |v1|
	v_fmac_f32_e32 v5, 0xb3a22168, v6
	v_fmac_f32_e32 v5, 0xa7c234c4, v6
.LBB57_708:
	s_or_b64 exec, exec, s[0:1]
	v_mul_f32_e32 v6, v5, v5
	v_mov_b32_e32 v7, 0x3c0881c4
	v_fmac_f32_e32 v7, 0xb94c1982, v6
	v_mov_b32_e32 v9, 0xbe2aaa9d
	v_fmac_f32_e32 v9, v6, v7
	v_mul_f32_e32 v7, v6, v9
	v_fmac_f32_e32 v5, v5, v7
	v_mov_b32_e32 v7, 0xbab64f3b
	v_fmac_f32_e32 v7, 0x37d75334, v6
	v_mov_b32_e32 v9, 0x3d2aabf7
	;; [unrolled: 2-line block ×3, first 2 shown]
	v_fmac_f32_e32 v7, v6, v9
	v_fma_f32 v6, v6, v7, 1.0
	v_and_b32_e32 v7, 1, v4
	v_lshlrev_b32_e32 v4, 30, v4
	v_cmp_eq_u32_e32 vcc, 0, v7
	v_and_b32_e32 v4, 0x80000000, v4
	v_xor_b32_e32 v2, v2, v1
	v_cndmask_b32_e32 v5, v6, v5, vcc
	v_xor_b32_e32 v2, v2, v4
	s_movk_i32 s0, 0x1f8
	v_xor_b32_e32 v2, v2, v5
	v_mov_b32_e32 v4, 0x7fc00000
	v_cmp_class_f32_e64 vcc, v1, s0
	v_cndmask_b32_e32 v1, v4, v2, vcc
	v_mul_f32_e32 v1, v1, v1
	s_mov_b32 s2, 0xc11de9e7
	v_div_scale_f32 v2, s[0:1], v1, v1, s2
	v_div_scale_f32 v4, vcc, s2, v1, s2
	v_sub_f32_e32 v3, 1.0, v3
	v_rcp_f32_e32 v5, v2
	v_fma_f32 v6, -v2, v5, 1.0
	v_fmac_f32_e32 v5, v6, v5
	v_mul_f32_e32 v6, v4, v5
	v_fma_f32 v7, -v2, v6, v4
	v_fmac_f32_e32 v6, v7, v5
	v_fma_f32 v2, -v2, v6, v4
	v_div_fmas_f32 v2, v2, v5, v6
	v_div_fixup_f32 v1, v2, v1, s2
	v_add_f32_e32 v2, 0, v1
	v_mov_b32_e32 v1, -1.0
.LBB57_709:
	s_or_b64 exec, exec, s[10:11]
	v_mul_f32_e32 v4, v3, v3
	v_div_scale_f32 v6, s[0:1], v4, v4, 1.0
	v_add_f32_e32 v5, 1.0, v3
	v_mul_f32_e32 v3, v5, v5
	v_div_scale_f32 v9, s[0:1], v3, v3, 1.0
	v_div_scale_f32 v7, vcc, 1.0, v4, 1.0
	v_add_f32_e32 v10, 1.0, v5
	v_div_scale_f32 v11, s[0:1], 1.0, v3, 1.0
	v_mul_f32_e32 v5, v10, v10
	v_div_scale_f32 v12, s[2:3], v5, v5, 1.0
	v_div_scale_f32 v15, s[2:3], 1.0, v5, 1.0
	v_rcp_f32_e32 v13, v6
	v_add_f32_e32 v10, 1.0, v10
	s_and_b32 s12, s73, 0xff
	s_cmp_lt_i32 s12, 11
	v_rcp_f32_e32 v14, v9
	v_fma_f32 v16, -v6, v13, 1.0
	v_fmac_f32_e32 v13, v16, v13
	v_mul_f32_e32 v17, v7, v13
	v_fma_f32 v18, -v6, v17, v7
	v_fma_f32 v16, -v9, v14, 1.0
	v_fmac_f32_e32 v17, v18, v13
	v_fma_f32 v6, -v6, v17, v7
	v_fmac_f32_e32 v14, v16, v14
	v_div_fmas_f32 v6, v6, v13, v17
	v_mul_f32_e32 v13, v11, v14
	v_fma_f32 v7, -v9, v13, v11
	v_rcp_f32_e32 v16, v12
	v_fmac_f32_e32 v13, v7, v14
	v_mul_f32_e32 v7, v10, v10
	v_div_scale_f32 v17, s[6:7], v7, v7, 1.0
	v_fma_f32 v9, -v9, v13, v11
	v_fma_f32 v11, -v12, v16, 1.0
	v_fmac_f32_e32 v16, v11, v16
	s_mov_b64 vcc, s[0:1]
	v_mul_f32_e32 v11, v15, v16
	v_div_fmas_f32 v9, v9, v14, v13
	v_fma_f32 v13, -v12, v11, v15
	v_fmac_f32_e32 v11, v13, v16
	v_div_scale_f32 v13, s[0:1], 1.0, v7, 1.0
	v_add_f32_e32 v14, 1.0, v10
	v_mul_f32_e32 v10, v14, v14
	v_div_scale_f32 v18, s[6:7], v10, v10, 1.0
	v_fma_f32 v12, -v12, v11, v15
	s_mov_b64 vcc, s[2:3]
	v_div_fmas_f32 v11, v12, v16, v11
	v_div_scale_f32 v12, s[2:3], 1.0, v10, 1.0
	v_rcp_f32_e32 v15, v17
	v_add_f32_e32 v14, 1.0, v14
	v_mul_f32_e32 v19, v14, v14
	v_div_scale_f32 v20, s[6:7], v19, v19, 1.0
	v_fma_f32 v16, -v17, v15, 1.0
	v_fmac_f32_e32 v15, v16, v15
	v_mul_f32_e32 v16, v13, v15
	v_fma_f32 v21, -v17, v16, v13
	v_fmac_f32_e32 v16, v21, v15
	v_rcp_f32_e32 v21, v18
	v_fma_f32 v13, -v17, v16, v13
	s_mov_b64 vcc, s[0:1]
	v_div_fmas_f32 v13, v13, v15, v16
	v_fma_f32 v15, -v18, v21, 1.0
	v_fmac_f32_e32 v21, v15, v21
	v_mul_f32_e32 v15, v12, v21
	v_fma_f32 v16, -v18, v15, v12
	v_fmac_f32_e32 v15, v16, v21
	v_div_scale_f32 v16, s[0:1], 1.0, v19, 1.0
	v_add_f32_e32 v14, 1.0, v14
	v_mul_f32_e32 v22, v14, v14
	v_div_scale_f32 v23, s[6:7], v22, v22, 1.0
	v_rcp_f32_e32 v17, v20
	v_fma_f32 v12, -v18, v15, v12
	s_mov_b64 vcc, s[2:3]
	v_div_scale_f32 v18, s[2:3], 1.0, v22, 1.0
	v_div_fmas_f32 v12, v12, v21, v15
	v_add_f32_e32 v21, v14, v14
	v_div_scale_f32 v24, s[6:7], v21, v21, 1.0
	v_fma_f32 v15, -v20, v17, 1.0
	v_fmac_f32_e32 v17, v15, v17
	v_mul_f32_e32 v15, v16, v17
	v_fma_f32 v25, -v20, v15, v16
	v_fmac_f32_e32 v15, v25, v17
	v_div_scale_f32 v25, s[6:7], 1.0, v21, 1.0
	v_rcp_f32_e32 v26, v23
	v_fma_f32 v16, -v20, v15, v16
	s_mov_b64 vcc, s[0:1]
	v_div_fmas_f32 v15, v16, v17, v15
	v_fma_f32 v16, -v23, v26, 1.0
	v_fmac_f32_e32 v26, v16, v26
	v_mul_f32_e32 v16, v18, v26
	v_fma_f32 v17, -v23, v16, v18
	v_fmac_f32_e32 v16, v17, v26
	v_rcp_f32_e32 v17, v24
	v_fma_f32 v18, -v23, v16, v18
	s_mov_b64 vcc, s[2:3]
	v_div_fmas_f32 v16, v18, v26, v16
	v_fma_f32 v18, -v24, v17, 1.0
	v_fmac_f32_e32 v17, v18, v17
	v_mul_f32_e32 v18, v25, v17
	v_fma_f32 v20, -v24, v18, v25
	v_fmac_f32_e32 v18, v20, v17
	v_fma_f32 v20, -v24, v18, v25
	s_mov_b64 vcc, s[6:7]
	v_div_fmas_f32 v17, v20, v17, v18
	v_mov_b32_e32 v18, 0x3d088889
	s_mov_b32 s0, 0x3e2aaaab
	v_div_fixup_f32 v4, v6, v4, 1.0
	v_add_f32_e32 v2, v2, v4
	v_div_fixup_f32 v3, v9, v3, 1.0
	v_add_f32_e32 v2, v2, v3
	v_div_fixup_f32 v3, v11, v5, 1.0
	v_div_fixup_f32 v16, v16, v22, 1.0
	v_fmac_f32_e32 v18, 0xbcc30c31, v16
	v_fma_f32 v18, -v16, v18, s0
	v_add_f32_e32 v2, v2, v3
	v_div_fixup_f32 v3, v13, v7, 1.0
	v_add_f32_e32 v2, v2, v3
	v_div_fixup_f32 v3, v12, v10, 1.0
	;; [unrolled: 2-line block ×3, first 2 shown]
	v_add_f32_e32 v17, 1.0, v17
	v_fmac_f32_e32 v17, v16, v18
	v_div_scale_f32 v16, s[0:1], v14, v14, v17
	v_div_scale_f32 v18, vcc, v17, v14, v17
	v_div_fixup_f32 v3, v15, v19, 1.0
	v_add_f32_e32 v2, v2, v3
	v_rcp_f32_e32 v20, v16
	v_fma_f32 v21, -v16, v20, 1.0
	v_fmac_f32_e32 v20, v21, v20
	v_mul_f32_e32 v21, v18, v20
	v_fma_f32 v22, -v16, v21, v18
	v_fmac_f32_e32 v21, v22, v20
	v_fma_f32 v16, -v16, v21, v18
	v_div_fmas_f32 v16, v16, v20, v21
	v_add_co_u32_e32 v0, vcc, s24, v0
	v_div_fixup_f32 v3, v16, v14, v17
	v_add_f32_e32 v2, v2, v3
	v_mul_f32_e32 v2, v1, v2
	v_mov_b32_e32 v1, s25
	v_addc_co_u32_e32 v1, vcc, 0, v1, vcc
	s_cbranch_scc1 .LBB57_717
; %bb.710:
	s_and_b32 s13, 0xffff, s12
	s_cmp_gt_i32 s13, 25
	s_cbranch_scc0 .LBB57_718
; %bb.711:
	s_cmp_gt_i32 s13, 28
	s_cbranch_scc0 .LBB57_719
; %bb.712:
	;; [unrolled: 3-line block ×4, first 2 shown]
	s_mov_b64 s[6:7], 0
	s_mov_b64 s[0:1], -1
	s_cmp_eq_u32 s13, 46
	s_mov_b64 s[2:3], 0
	s_cbranch_scc0 .LBB57_722
; %bb.715:
	v_bfe_u32 v3, v2, 16, 1
	s_movk_i32 s0, 0x7fff
	v_add3_u32 v3, v2, v3, s0
	v_cmp_o_f32_e32 vcc, v2, v2
	v_mov_b32_e32 v4, 0x7fc0
	v_cndmask_b32_sdwa v3, v4, v3, vcc dst_sel:DWORD dst_unused:UNUSED_PAD src0_sel:DWORD src1_sel:WORD_1
	global_store_dword v[0:1], v3, off
	s_mov_b64 s[2:3], -1
	s_mov_b64 s[0:1], 0
	s_branch .LBB57_722
.LBB57_716:
	s_mov_b64 s[2:3], 0
	s_mov_b64 s[0:1], s[62:63]
	s_branch .LBB57_833
.LBB57_717:
	s_mov_b64 s[6:7], -1
	s_mov_b64 s[2:3], 0
	s_mov_b64 s[0:1], s[62:63]
	s_branch .LBB57_791
.LBB57_718:
	s_mov_b64 s[6:7], -1
	s_mov_b64 s[2:3], 0
	s_mov_b64 s[0:1], s[62:63]
	s_branch .LBB57_749
.LBB57_719:
	s_mov_b64 s[6:7], -1
	s_mov_b64 s[2:3], 0
	s_mov_b64 s[0:1], s[62:63]
	s_branch .LBB57_732
.LBB57_720:
	s_mov_b64 s[6:7], -1
	s_mov_b64 s[2:3], 0
	s_mov_b64 s[0:1], s[62:63]
	s_branch .LBB57_728
.LBB57_721:
	s_mov_b64 s[6:7], -1
	s_mov_b64 s[2:3], 0
	s_mov_b64 s[0:1], s[62:63]
.LBB57_722:
	s_and_b64 vcc, exec, s[6:7]
	s_cbranch_vccz .LBB57_727
; %bb.723:
	s_cmp_eq_u32 s13, 44
	s_mov_b64 s[0:1], -1
	s_cbranch_scc0 .LBB57_727
; %bb.724:
	v_bfe_u32 v3, v2, 23, 8
	s_movk_i32 s0, 0xff
	v_cmp_ne_u32_e32 vcc, s0, v3
	v_mov_b32_e32 v4, 0xff
	s_and_saveexec_b64 s[2:3], vcc
; %bb.725:
	s_mov_b32 s0, 0x3fffff
	v_and_b32_e32 v5, 0x400000, v2
	v_and_or_b32 v3, v2, s0, v3
	v_cmp_ne_u32_e32 vcc, 0, v5
	v_cmp_ne_u32_e64 s[0:1], 0, v3
	s_and_b64 s[0:1], vcc, s[0:1]
	v_lshrrev_b32_e32 v4, 23, v2
	v_cndmask_b32_e64 v3, 0, 1, s[0:1]
	v_add_u32_e32 v4, v4, v3
; %bb.726:
	s_or_b64 exec, exec, s[2:3]
	s_mov_b64 s[2:3], -1
	s_mov_b64 s[0:1], 0
	global_store_byte v[0:1], v4, off
.LBB57_727:
	s_mov_b64 s[6:7], 0
.LBB57_728:
	s_and_b64 vcc, exec, s[6:7]
	s_cbranch_vccz .LBB57_731
; %bb.729:
	s_cmp_eq_u32 s13, 29
	s_mov_b64 s[0:1], -1
	s_cbranch_scc0 .LBB57_731
; %bb.730:
	v_trunc_f32_e32 v3, v2
	v_mul_f32_e32 v4, 0x2f800000, v3
	v_floor_f32_e32 v5, v4
	v_fmac_f32_e32 v3, 0xcf800000, v5
	v_cvt_u32_f32_e32 v4, v5
	v_cvt_u32_f32_e32 v3, v3
	s_mov_b64 s[2:3], -1
	s_mov_b64 s[0:1], 0
	s_mov_b64 s[6:7], 0
	global_store_dwordx2 v[0:1], v[3:4], off
	s_branch .LBB57_732
.LBB57_731:
	s_mov_b64 s[6:7], 0
.LBB57_732:
	s_and_b64 vcc, exec, s[6:7]
	s_cbranch_vccz .LBB57_748
; %bb.733:
	s_cmp_lt_i32 s13, 27
	s_mov_b64 s[2:3], -1
	s_cbranch_scc1 .LBB57_739
; %bb.734:
	v_cvt_u32_f32_e32 v3, v2
	s_cmp_gt_i32 s13, 27
	s_cbranch_scc0 .LBB57_736
; %bb.735:
	s_mov_b64 s[2:3], 0
	global_store_dword v[0:1], v3, off
.LBB57_736:
	s_andn2_b64 vcc, exec, s[2:3]
	s_cbranch_vccnz .LBB57_738
; %bb.737:
	global_store_short v[0:1], v3, off
.LBB57_738:
	s_mov_b64 s[2:3], 0
.LBB57_739:
	s_andn2_b64 vcc, exec, s[2:3]
	s_cbranch_vccnz .LBB57_747
; %bb.740:
	v_and_b32_e32 v3, 0x7fffffff, v2
	s_mov_b32 s2, 0x43800000
	v_cmp_gt_u32_e32 vcc, s2, v3
	v_mov_b32_e32 v4, 0x80
	s_and_saveexec_b64 s[2:3], vcc
	s_cbranch_execz .LBB57_746
; %bb.741:
	s_mov_b32 s6, 0x3bffffff
	v_cmp_lt_u32_e32 vcc, s6, v3
	s_mov_b64 s[6:7], 0
                                        ; implicit-def: $vgpr3
	s_and_saveexec_b64 s[10:11], vcc
	s_xor_b64 s[10:11], exec, s[10:11]
	s_cbranch_execz .LBB57_863
; %bb.742:
	v_bfe_u32 v3, v2, 20, 1
	s_mov_b32 s14, 0x487ffff
	v_add3_u32 v3, v2, v3, s14
	s_mov_b64 s[6:7], exec
	v_lshrrev_b32_e32 v3, 20, v3
	s_andn2_saveexec_b64 s[10:11], s[10:11]
	s_cbranch_execnz .LBB57_864
.LBB57_743:
	s_or_b64 exec, exec, s[10:11]
	v_mov_b32_e32 v4, 0
	s_and_saveexec_b64 s[10:11], s[6:7]
.LBB57_744:
	v_lshrrev_b32_e32 v4, 24, v2
	s_movk_i32 s6, 0x80
	v_and_or_b32 v4, v4, s6, v3
.LBB57_745:
	s_or_b64 exec, exec, s[10:11]
.LBB57_746:
	s_or_b64 exec, exec, s[2:3]
	global_store_byte v[0:1], v4, off
.LBB57_747:
	s_mov_b64 s[2:3], -1
.LBB57_748:
	s_mov_b64 s[6:7], 0
.LBB57_749:
	s_and_b64 vcc, exec, s[6:7]
	s_cbranch_vccz .LBB57_790
; %bb.750:
	s_cmp_gt_i32 s13, 22
	s_mov_b64 s[6:7], -1
	s_cbranch_scc0 .LBB57_782
; %bb.751:
	s_cmp_lt_i32 s13, 24
	s_mov_b64 s[2:3], -1
	s_cbranch_scc1 .LBB57_771
; %bb.752:
	s_cmp_gt_i32 s13, 24
	s_cbranch_scc0 .LBB57_760
; %bb.753:
	v_and_b32_e32 v3, 0x7fffffff, v2
	s_mov_b32 s2, 0x47800000
	v_cmp_gt_u32_e32 vcc, s2, v3
	v_mov_b32_e32 v4, 0x80
	s_and_saveexec_b64 s[2:3], vcc
	s_cbranch_execz .LBB57_759
; %bb.754:
	s_mov_b32 s6, 0x37ffffff
	v_cmp_lt_u32_e32 vcc, s6, v3
	s_mov_b64 s[6:7], 0
                                        ; implicit-def: $vgpr3
	s_and_saveexec_b64 s[10:11], vcc
	s_xor_b64 s[10:11], exec, s[10:11]
	s_cbranch_execz .LBB57_866
; %bb.755:
	v_bfe_u32 v3, v2, 21, 1
	s_mov_b32 s14, 0x88fffff
	v_add3_u32 v3, v2, v3, s14
	s_mov_b64 s[6:7], exec
	v_lshrrev_b32_e32 v3, 21, v3
	s_andn2_saveexec_b64 s[10:11], s[10:11]
	s_cbranch_execnz .LBB57_867
.LBB57_756:
	s_or_b64 exec, exec, s[10:11]
	v_mov_b32_e32 v4, 0
	s_and_saveexec_b64 s[10:11], s[6:7]
.LBB57_757:
	v_lshrrev_b32_e32 v4, 24, v2
	s_movk_i32 s6, 0x80
	v_and_or_b32 v4, v4, s6, v3
.LBB57_758:
	s_or_b64 exec, exec, s[10:11]
.LBB57_759:
	s_or_b64 exec, exec, s[2:3]
	s_mov_b64 s[2:3], 0
	global_store_byte v[0:1], v4, off
.LBB57_760:
	s_and_b64 vcc, exec, s[2:3]
	s_cbranch_vccz .LBB57_770
; %bb.761:
	v_and_b32_e32 v4, 0x7fffffff, v2
	s_mov_b32 s2, 0x43f00000
	v_cmp_gt_u32_e32 vcc, s2, v4
                                        ; implicit-def: $vgpr3
	s_and_saveexec_b64 s[2:3], vcc
	s_xor_b64 s[2:3], exec, s[2:3]
	s_cbranch_execz .LBB57_767
; %bb.762:
	s_mov_b32 s6, 0x3c7fffff
	v_cmp_lt_u32_e32 vcc, s6, v4
                                        ; implicit-def: $vgpr3
	s_and_saveexec_b64 s[6:7], vcc
	s_xor_b64 s[6:7], exec, s[6:7]
; %bb.763:
	v_bfe_u32 v3, v2, 20, 1
	s_mov_b32 s10, 0x407ffff
	v_add3_u32 v3, v2, v3, s10
	v_lshrrev_b32_e32 v4, 20, v3
	v_and_b32_e32 v3, 0xff00000, v3
	s_mov_b32 s10, 0x7f00000
	v_mov_b32_e32 v5, 0x7e
	v_cmp_ne_u32_e32 vcc, s10, v3
	v_cndmask_b32_e32 v3, v5, v4, vcc
; %bb.764:
	s_andn2_saveexec_b64 s[6:7], s[6:7]
; %bb.765:
	s_mov_b32 s10, 0x46800000
	v_add_f32_e64 v3, |v2|, s10
; %bb.766:
	s_or_b64 exec, exec, s[6:7]
                                        ; implicit-def: $vgpr4
.LBB57_767:
	s_andn2_saveexec_b64 s[2:3], s[2:3]
; %bb.768:
	s_mov_b32 s6, 0x7f800000
	v_mov_b32_e32 v3, 0x7e
	v_mov_b32_e32 v5, 0x7f
	v_cmp_lt_u32_e32 vcc, s6, v4
	v_cndmask_b32_e32 v3, v3, v5, vcc
; %bb.769:
	s_or_b64 exec, exec, s[2:3]
	v_lshrrev_b32_e32 v4, 24, v2
	s_movk_i32 s2, 0x80
	v_and_or_b32 v3, v4, s2, v3
	global_store_byte v[0:1], v3, off
.LBB57_770:
	s_mov_b64 s[2:3], 0
.LBB57_771:
	s_andn2_b64 vcc, exec, s[2:3]
	s_cbranch_vccnz .LBB57_781
; %bb.772:
	v_and_b32_e32 v4, 0x7fffffff, v2
	s_mov_b32 s2, 0x47800000
	v_cmp_gt_u32_e32 vcc, s2, v4
                                        ; implicit-def: $vgpr3
	s_and_saveexec_b64 s[2:3], vcc
	s_xor_b64 s[2:3], exec, s[2:3]
	s_cbranch_execz .LBB57_778
; %bb.773:
	s_mov_b32 s6, 0x387fffff
	v_cmp_lt_u32_e32 vcc, s6, v4
                                        ; implicit-def: $vgpr3
	s_and_saveexec_b64 s[6:7], vcc
	s_xor_b64 s[6:7], exec, s[6:7]
; %bb.774:
	v_bfe_u32 v3, v2, 21, 1
	s_mov_b32 s10, 0x80fffff
	v_add3_u32 v3, v2, v3, s10
	v_lshrrev_b32_e32 v3, 21, v3
; %bb.775:
	s_andn2_saveexec_b64 s[6:7], s[6:7]
; %bb.776:
	s_mov_b32 s10, 0x43000000
	v_add_f32_e64 v3, |v2|, s10
; %bb.777:
	s_or_b64 exec, exec, s[6:7]
                                        ; implicit-def: $vgpr4
.LBB57_778:
	s_andn2_saveexec_b64 s[2:3], s[2:3]
; %bb.779:
	s_mov_b32 s6, 0x7f800000
	v_mov_b32_e32 v3, 0x7c
	v_mov_b32_e32 v5, 0x7f
	v_cmp_lt_u32_e32 vcc, s6, v4
	v_cndmask_b32_e32 v3, v3, v5, vcc
; %bb.780:
	s_or_b64 exec, exec, s[2:3]
	v_lshrrev_b32_e32 v4, 24, v2
	s_movk_i32 s2, 0x80
	v_and_or_b32 v3, v4, s2, v3
	global_store_byte v[0:1], v3, off
.LBB57_781:
	s_mov_b64 s[6:7], 0
	s_mov_b64 s[2:3], -1
.LBB57_782:
	s_andn2_b64 vcc, exec, s[6:7]
	s_cbranch_vccnz .LBB57_790
; %bb.783:
	s_cmp_gt_i32 s13, 14
	s_mov_b64 s[6:7], -1
	s_cbranch_scc0 .LBB57_787
; %bb.784:
	s_cmp_eq_u32 s13, 15
	s_mov_b64 s[0:1], -1
	s_cbranch_scc0 .LBB57_786
; %bb.785:
	v_bfe_u32 v3, v2, 16, 1
	s_movk_i32 s0, 0x7fff
	v_add3_u32 v3, v2, v3, s0
	v_cmp_o_f32_e32 vcc, v2, v2
	v_mov_b32_e32 v4, 0x7fc0
	v_cndmask_b32_sdwa v3, v4, v3, vcc dst_sel:DWORD dst_unused:UNUSED_PAD src0_sel:DWORD src1_sel:WORD_1
	global_store_short v[0:1], v3, off
	s_mov_b64 s[2:3], -1
	s_mov_b64 s[0:1], 0
.LBB57_786:
	s_mov_b64 s[6:7], 0
.LBB57_787:
	s_and_b64 vcc, exec, s[6:7]
	s_cbranch_vccz .LBB57_790
; %bb.788:
	s_cmp_eq_u32 s13, 11
	s_mov_b64 s[0:1], -1
	s_cbranch_scc0 .LBB57_790
; %bb.789:
	v_cmp_neq_f32_e32 vcc, 0, v2
	v_cndmask_b32_e64 v3, 0, 1, vcc
	s_mov_b64 s[2:3], -1
	s_mov_b64 s[0:1], 0
	global_store_byte v[0:1], v3, off
.LBB57_790:
	s_mov_b64 s[6:7], 0
.LBB57_791:
	s_and_b64 vcc, exec, s[6:7]
	s_cbranch_vccz .LBB57_830
; %bb.792:
	s_and_b32 s6, 0xffff, s12
	s_cmp_lt_i32 s6, 5
	s_mov_b64 s[2:3], -1
	s_cbranch_scc1 .LBB57_813
; %bb.793:
	s_cmp_lt_i32 s6, 8
	s_cbranch_scc1 .LBB57_803
; %bb.794:
	s_cmp_lt_i32 s6, 9
	s_cbranch_scc1 .LBB57_800
; %bb.795:
	s_cmp_gt_i32 s6, 9
	s_cbranch_scc0 .LBB57_797
; %bb.796:
	v_cvt_f64_f32_e32 v[3:4], v2
	v_mov_b32_e32 v5, 0
	v_mov_b32_e32 v6, v5
	s_mov_b64 s[2:3], 0
	global_store_dwordx4 v[0:1], v[3:6], off
.LBB57_797:
	s_andn2_b64 vcc, exec, s[2:3]
	s_cbranch_vccnz .LBB57_799
; %bb.798:
	v_mov_b32_e32 v3, 0
	global_store_dwordx2 v[0:1], v[2:3], off
.LBB57_799:
	s_mov_b64 s[2:3], 0
.LBB57_800:
	s_andn2_b64 vcc, exec, s[2:3]
	s_cbranch_vccnz .LBB57_802
; %bb.801:
	v_cvt_f16_f32_e32 v3, v2
	global_store_dword v[0:1], v3, off
.LBB57_802:
	s_mov_b64 s[2:3], 0
.LBB57_803:
	s_andn2_b64 vcc, exec, s[2:3]
	s_cbranch_vccnz .LBB57_812
; %bb.804:
	s_cmp_lt_i32 s6, 6
	s_mov_b64 s[2:3], -1
	s_cbranch_scc1 .LBB57_810
; %bb.805:
	s_cmp_gt_i32 s6, 6
	s_cbranch_scc0 .LBB57_807
; %bb.806:
	v_cvt_f64_f32_e32 v[3:4], v2
	s_mov_b64 s[2:3], 0
	global_store_dwordx2 v[0:1], v[3:4], off
.LBB57_807:
	s_andn2_b64 vcc, exec, s[2:3]
	s_cbranch_vccnz .LBB57_809
; %bb.808:
	global_store_dword v[0:1], v2, off
.LBB57_809:
	s_mov_b64 s[2:3], 0
.LBB57_810:
	s_andn2_b64 vcc, exec, s[2:3]
	s_cbranch_vccnz .LBB57_812
; %bb.811:
	v_cvt_f16_f32_e32 v3, v2
	global_store_short v[0:1], v3, off
.LBB57_812:
	s_mov_b64 s[2:3], 0
.LBB57_813:
	s_andn2_b64 vcc, exec, s[2:3]
	s_cbranch_vccnz .LBB57_829
; %bb.814:
	s_cmp_lt_i32 s6, 2
	s_mov_b64 s[2:3], -1
	s_cbranch_scc1 .LBB57_824
; %bb.815:
	s_cmp_lt_i32 s6, 3
	s_cbranch_scc1 .LBB57_821
; %bb.816:
	s_cmp_gt_i32 s6, 3
	s_cbranch_scc0 .LBB57_818
; %bb.817:
	v_trunc_f32_e32 v3, v2
	s_mov_b32 s2, 0x2f800000
	v_mul_f32_e64 v4, |v3|, s2
	v_floor_f32_e32 v4, v4
	s_mov_b32 s2, 0xcf800000
	v_cvt_u32_f32_e32 v5, v4
	v_fma_f32 v4, v4, s2, |v3|
	v_cvt_u32_f32_e32 v4, v4
	v_ashrrev_i32_e32 v6, 31, v3
	v_xor_b32_e32 v5, v5, v6
	s_mov_b64 s[2:3], 0
	v_xor_b32_e32 v3, v4, v6
	v_sub_co_u32_e32 v3, vcc, v3, v6
	v_subb_co_u32_e32 v4, vcc, v5, v6, vcc
	global_store_dwordx2 v[0:1], v[3:4], off
.LBB57_818:
	s_andn2_b64 vcc, exec, s[2:3]
	s_cbranch_vccnz .LBB57_820
; %bb.819:
	v_cvt_i32_f32_e32 v3, v2
	global_store_dword v[0:1], v3, off
.LBB57_820:
	s_mov_b64 s[2:3], 0
.LBB57_821:
	s_andn2_b64 vcc, exec, s[2:3]
	s_cbranch_vccnz .LBB57_823
; %bb.822:
	v_cvt_i32_f32_e32 v3, v2
	global_store_short v[0:1], v3, off
.LBB57_823:
	s_mov_b64 s[2:3], 0
.LBB57_824:
	s_andn2_b64 vcc, exec, s[2:3]
	s_cbranch_vccnz .LBB57_829
; %bb.825:
	s_cmp_gt_i32 s6, 0
	s_mov_b64 s[2:3], -1
	s_cbranch_scc0 .LBB57_827
; %bb.826:
	v_cvt_i32_f32_e32 v3, v2
	s_mov_b64 s[2:3], 0
	global_store_byte v[0:1], v3, off
.LBB57_827:
	s_andn2_b64 vcc, exec, s[2:3]
	s_cbranch_vccnz .LBB57_829
; %bb.828:
	v_trunc_f32_e32 v2, v2
	s_mov_b32 s2, 0x2f800000
	v_mul_f32_e64 v3, |v2|, s2
	v_floor_f32_e32 v3, v3
	s_mov_b32 s2, 0xcf800000
	v_fma_f32 v3, v3, s2, |v2|
	v_cvt_u32_f32_e32 v3, v3
	v_ashrrev_i32_e32 v2, 31, v2
	v_xor_b32_e32 v3, v3, v2
	v_sub_u32_e32 v2, v3, v2
	global_store_byte v[0:1], v2, off
.LBB57_829:
	s_mov_b64 s[2:3], -1
.LBB57_830:
	s_andn2_b64 vcc, exec, s[2:3]
	s_cbranch_vccnz .LBB57_832
; %bb.831:
	v_add_u32_e32 v8, 0x80, v8
	s_mov_b64 s[2:3], -1
	s_branch .LBB57_834
.LBB57_832:
	s_mov_b64 s[2:3], 0
.LBB57_833:
                                        ; implicit-def: $vgpr8
.LBB57_834:
	s_andn2_b64 s[6:7], s[62:63], exec
	s_and_b64 s[0:1], s[0:1], exec
	s_or_b64 s[68:69], s[6:7], s[0:1]
	s_andn2_b64 s[0:1], s[60:61], exec
	s_and_b64 s[6:7], s[8:9], exec
	s_or_b64 s[6:7], s[0:1], s[6:7]
	s_orn2_b64 s[2:3], s[2:3], exec
.LBB57_835:
	s_or_b64 exec, exec, s[66:67]
	s_mov_b64 s[0:1], 0
	s_mov_b64 s[8:9], 0
	;; [unrolled: 1-line block ×3, first 2 shown]
                                        ; implicit-def: $vgpr1_vgpr2
                                        ; implicit-def: $vgpr0
                                        ; implicit-def: $vgpr4
	s_and_saveexec_b64 s[66:67], s[2:3]
	s_cbranch_execz .LBB57_934
; %bb.836:
	v_cmp_gt_i32_e32 vcc, s70, v8
	s_mov_b64 s[2:3], 0
	s_mov_b64 s[12:13], s[6:7]
                                        ; implicit-def: $vgpr1_vgpr2
                                        ; implicit-def: $vgpr0
                                        ; implicit-def: $vgpr4
	s_and_saveexec_b64 s[70:71], vcc
	s_cbranch_execz .LBB57_933
; %bb.837:
	s_andn2_b64 vcc, exec, s[42:43]
	s_cbranch_vccnz .LBB57_842
; %bb.838:
	s_andn2_b64 vcc, exec, s[52:53]
	s_cbranch_vccnz .LBB57_843
; %bb.839:
	s_add_i32 s76, s75, 1
	s_cmp_eq_u32 s72, 2
	s_cbranch_scc1 .LBB57_844
; %bb.840:
	s_and_b32 s75, s76, 28
	v_mov_b32_e32 v2, 0
	s_mov_b32 s77, 0
	s_mov_b64 s[52:53], s[34:35]
	v_mov_b32_e32 v0, 0
	v_mov_b32_e32 v1, v8
.LBB57_841:                             ; =>This Inner Loop Header: Depth=1
	s_load_dwordx8 s[16:23], s[52:53], 0x4
	s_load_dwordx4 s[0:3], s[52:53], 0x24
	s_load_dwordx8 s[8:15], s[50:51], 0x0
	s_add_u32 s52, s52, 48
	s_addc_u32 s53, s53, 0
	s_waitcnt vmcnt(0) lgkmcnt(0)
	v_mul_hi_u32 v3, s17, v1
	s_add_i32 s77, s77, 4
	s_add_u32 s50, s50, 32
	s_addc_u32 s51, s51, 0
	v_add_u32_e32 v3, v1, v3
	v_lshrrev_b32_e32 v3, s18, v3
	v_mul_lo_u32 v4, v3, s16
	v_mul_hi_u32 v5, s20, v3
	s_cmp_eq_u32 s75, s77
	v_sub_u32_e32 v1, v1, v4
	v_add_u32_e32 v4, v3, v5
	v_mul_lo_u32 v5, v1, s8
	v_mul_lo_u32 v6, v1, s9
	v_lshrrev_b32_e32 v1, s21, v4
	v_mul_lo_u32 v4, v1, s19
	v_mul_hi_u32 v7, s23, v1
	v_sub_u32_e32 v3, v3, v4
	v_add_u32_e32 v4, v1, v7
	v_lshrrev_b32_e32 v4, s0, v4
	v_mul_hi_u32 v9, s2, v4
	v_mul_lo_u32 v10, v4, s22
	v_mul_lo_u32 v7, v3, s10
	;; [unrolled: 1-line block ×3, first 2 shown]
	v_sub_u32_e32 v10, v1, v10
	v_add_u32_e32 v1, v4, v9
	v_lshrrev_b32_e32 v1, s3, v1
	v_mul_lo_u32 v9, v1, s1
	v_mul_lo_u32 v11, v10, s12
	;; [unrolled: 1-line block ×3, first 2 shown]
	v_add3_u32 v0, v5, v0, v7
	v_sub_u32_e32 v4, v4, v9
	v_mul_lo_u32 v9, v4, s14
	v_mul_lo_u32 v4, v4, s15
	v_add3_u32 v2, v6, v2, v3
	v_add3_u32 v0, v11, v0, v9
	;; [unrolled: 1-line block ×3, first 2 shown]
	s_cbranch_scc0 .LBB57_841
	s_branch .LBB57_845
.LBB57_842:
	s_mov_b64 s[0:1], -1
                                        ; implicit-def: $vgpr0
                                        ; implicit-def: $vgpr2
	s_branch .LBB57_849
.LBB57_843:
	v_mov_b32_e32 v0, 0
	v_mov_b32_e32 v2, 0
	s_branch .LBB57_848
.LBB57_844:
	s_mov_b32 s75, 0
	v_mov_b32_e32 v0, 0
	v_mov_b32_e32 v2, 0
	;; [unrolled: 1-line block ×3, first 2 shown]
.LBB57_845:
	s_and_b32 s8, s76, 3
	s_cmp_eq_u32 s8, 0
	s_cbranch_scc1 .LBB57_848
; %bb.846:
	s_lshl_b32 s0, s75, 3
	s_add_u32 s0, s34, s0
	s_addc_u32 s1, s35, 0
	s_add_u32 s0, s0, 0xc4
	s_addc_u32 s1, s1, 0
	s_mul_i32 s2, s75, 12
	s_add_u32 s2, s34, s2
	s_addc_u32 s3, s35, 0
.LBB57_847:                             ; =>This Inner Loop Header: Depth=1
	s_load_dwordx2 s[10:11], s[2:3], 0x4
	s_load_dword s9, s[2:3], 0xc
	s_load_dwordx2 s[12:13], s[0:1], 0x0
	s_add_u32 s2, s2, 12
	s_addc_u32 s3, s3, 0
	s_waitcnt vmcnt(0) lgkmcnt(0)
	v_mul_hi_u32 v3, s11, v1
	s_add_u32 s0, s0, 8
	s_addc_u32 s1, s1, 0
	s_add_i32 s8, s8, -1
	v_add_u32_e32 v3, v1, v3
	v_lshrrev_b32_e32 v4, s9, v3
	v_mul_lo_u32 v3, v4, s10
	s_cmp_lg_u32 s8, 0
	v_sub_u32_e32 v3, v1, v3
	v_mad_u64_u32 v[0:1], s[10:11], v3, s12, v[0:1]
	v_mad_u64_u32 v[2:3], s[10:11], v3, s13, v[2:3]
	v_mov_b32_e32 v1, v4
	s_cbranch_scc1 .LBB57_847
.LBB57_848:
	s_mov_b64 s[0:1], 0
.LBB57_849:
	s_andn2_b64 vcc, exec, s[0:1]
	s_cbranch_vccnz .LBB57_852
; %bb.850:
	s_waitcnt lgkmcnt(0)
	v_mul_hi_u32 v0, s37, v8
	s_andn2_b64 vcc, exec, s[48:49]
	v_add_u32_e32 v0, v8, v0
	v_lshrrev_b32_e32 v1, s38, v0
	v_mul_lo_u32 v0, v1, s36
	v_sub_u32_e32 v2, v8, v0
	v_mul_lo_u32 v0, v2, s28
	v_mul_lo_u32 v2, v2, s29
	s_cbranch_vccnz .LBB57_852
; %bb.851:
	s_waitcnt vmcnt(0)
	v_mul_hi_u32 v3, s46, v1
	v_add_u32_e32 v3, v1, v3
	v_lshrrev_b32_e32 v3, s47, v3
	v_mul_lo_u32 v3, v3, s39
	v_sub_u32_e32 v3, v1, v3
	v_mad_u64_u32 v[0:1], s[0:1], v3, s30, v[0:1]
	v_mad_u64_u32 v[2:3], s[0:1], v3, s31, v[2:3]
.LBB57_852:
	s_waitcnt vmcnt(0) lgkmcnt(0)
	v_mov_b32_e32 v3, s27
	s_and_b32 s14, 0xffff, s74
	v_add_co_u32_e32 v1, vcc, s26, v2
	s_cmp_lt_i32 s14, 11
	v_addc_co_u32_e32 v2, vcc, 0, v3, vcc
	s_cbranch_scc1 .LBB57_859
; %bb.853:
	s_cmp_gt_i32 s14, 25
	s_mov_b64 s[2:3], 0
	s_cbranch_scc0 .LBB57_860
; %bb.854:
	s_cmp_gt_i32 s14, 28
	s_cbranch_scc0 .LBB57_861
; %bb.855:
	s_cmp_gt_i32 s14, 43
	;; [unrolled: 3-line block ×3, first 2 shown]
	s_cbranch_scc0 .LBB57_865
; %bb.857:
	s_cmp_eq_u32 s14, 46
	s_mov_b64 s[10:11], 0
	s_cbranch_scc0 .LBB57_868
; %bb.858:
	global_load_dword v3, v[1:2], off
	s_mov_b64 s[0:1], 0
	s_mov_b64 s[8:9], -1
	s_waitcnt vmcnt(0)
	v_lshlrev_b32_e32 v4, 16, v3
	s_branch .LBB57_869
.LBB57_859:
	s_mov_b64 s[12:13], -1
	s_mov_b64 s[8:9], 0
	s_mov_b64 s[2:3], 0
	;; [unrolled: 1-line block ×3, first 2 shown]
                                        ; implicit-def: $vgpr4
	s_branch .LBB57_932
.LBB57_860:
	s_mov_b64 s[10:11], -1
	s_mov_b64 s[8:9], 0
	s_mov_b64 s[0:1], s[6:7]
                                        ; implicit-def: $vgpr4
	s_branch .LBB57_898
.LBB57_861:
	s_mov_b64 s[10:11], -1
	s_mov_b64 s[8:9], 0
	s_mov_b64 s[0:1], s[6:7]
                                        ; implicit-def: $vgpr4
	s_branch .LBB57_879
.LBB57_862:
	s_mov_b64 s[10:11], -1
	s_mov_b64 s[8:9], 0
	s_mov_b64 s[0:1], s[6:7]
                                        ; implicit-def: $vgpr4
	s_branch .LBB57_874
.LBB57_863:
	s_andn2_saveexec_b64 s[10:11], s[10:11]
	s_cbranch_execz .LBB57_743
.LBB57_864:
	s_mov_b32 s14, 0x46000000
	v_add_f32_e64 v3, |v2|, s14
	v_and_b32_e32 v3, 0xff, v3
	v_cmp_ne_u32_e32 vcc, 0, v3
	s_andn2_b64 s[6:7], s[6:7], exec
	s_and_b64 s[14:15], vcc, exec
	s_or_b64 s[6:7], s[6:7], s[14:15]
	s_or_b64 exec, exec, s[10:11]
	v_mov_b32_e32 v4, 0
	s_and_saveexec_b64 s[10:11], s[6:7]
	s_cbranch_execnz .LBB57_744
	s_branch .LBB57_745
.LBB57_865:
	s_mov_b64 s[10:11], -1
	s_mov_b64 s[8:9], 0
	s_mov_b64 s[0:1], s[6:7]
                                        ; implicit-def: $vgpr4
	s_branch .LBB57_869
.LBB57_866:
	s_andn2_saveexec_b64 s[10:11], s[10:11]
	s_cbranch_execz .LBB57_756
.LBB57_867:
	s_mov_b32 s14, 0x42800000
	v_add_f32_e64 v3, |v2|, s14
	v_and_b32_e32 v3, 0xff, v3
	v_cmp_ne_u32_e32 vcc, 0, v3
	s_andn2_b64 s[6:7], s[6:7], exec
	s_and_b64 s[14:15], vcc, exec
	s_or_b64 s[6:7], s[6:7], s[14:15]
	s_or_b64 exec, exec, s[10:11]
	v_mov_b32_e32 v4, 0
	s_and_saveexec_b64 s[10:11], s[6:7]
	s_cbranch_execnz .LBB57_757
	s_branch .LBB57_758
.LBB57_868:
	s_mov_b64 s[0:1], -1
                                        ; implicit-def: $vgpr4
	s_mov_b64 s[8:9], 0
.LBB57_869:
	s_and_b64 vcc, exec, s[10:11]
	s_cbranch_vccz .LBB57_873
; %bb.870:
	s_cmp_eq_u32 s14, 44
	s_cbranch_scc0 .LBB57_872
; %bb.871:
	global_load_ubyte v3, v[1:2], off
	s_movk_i32 s8, 0xff
	v_mov_b32_e32 v4, 0x7f800001
	v_mov_b32_e32 v5, 0x400000
	s_mov_b64 s[0:1], 0
	s_waitcnt vmcnt(0)
	v_lshlrev_b32_e32 v6, 23, v3
	v_cmp_ne_u32_e32 vcc, s8, v3
	v_cndmask_b32_e32 v4, v4, v6, vcc
	v_cmp_ne_u32_e32 vcc, 0, v3
	v_cndmask_b32_e32 v4, v5, v4, vcc
	s_mov_b64 s[8:9], -1
	s_branch .LBB57_873
.LBB57_872:
	s_mov_b64 s[0:1], -1
                                        ; implicit-def: $vgpr4
.LBB57_873:
	s_mov_b64 s[10:11], 0
.LBB57_874:
	s_and_b64 vcc, exec, s[10:11]
	s_cbranch_vccz .LBB57_878
; %bb.875:
	s_cmp_eq_u32 s14, 29
	s_cbranch_scc0 .LBB57_877
; %bb.876:
	global_load_dwordx2 v[3:4], v[1:2], off
	s_mov_b64 s[0:1], 0
	s_mov_b64 s[8:9], -1
	s_mov_b64 s[10:11], 0
	s_waitcnt vmcnt(0)
	v_ffbh_u32_e32 v5, v4
	v_min_u32_e32 v5, 32, v5
	v_lshlrev_b64 v[3:4], v5, v[3:4]
	v_min_u32_e32 v3, 1, v3
	v_or_b32_e32 v3, v4, v3
	v_cvt_f32_u32_e32 v3, v3
	v_sub_u32_e32 v4, 32, v5
	v_ldexp_f32 v4, v3, v4
	s_branch .LBB57_879
.LBB57_877:
	s_mov_b64 s[0:1], -1
                                        ; implicit-def: $vgpr4
.LBB57_878:
	s_mov_b64 s[10:11], 0
.LBB57_879:
	s_and_b64 vcc, exec, s[10:11]
	s_cbranch_vccz .LBB57_897
; %bb.880:
	s_cmp_lt_i32 s14, 27
	s_cbranch_scc1 .LBB57_883
; %bb.881:
	s_cmp_gt_i32 s14, 27
	s_cbranch_scc0 .LBB57_884
; %bb.882:
	global_load_dword v3, v[1:2], off
	s_mov_b64 s[8:9], 0
	s_waitcnt vmcnt(0)
	v_cvt_f32_u32_e32 v4, v3
	s_branch .LBB57_885
.LBB57_883:
	s_mov_b64 s[8:9], -1
                                        ; implicit-def: $vgpr4
	s_branch .LBB57_888
.LBB57_884:
	s_mov_b64 s[8:9], -1
                                        ; implicit-def: $vgpr4
.LBB57_885:
	s_andn2_b64 vcc, exec, s[8:9]
	s_cbranch_vccnz .LBB57_887
; %bb.886:
	global_load_ushort v3, v[1:2], off
	s_waitcnt vmcnt(0)
	v_cvt_f32_u32_e32 v4, v3
.LBB57_887:
	s_mov_b64 s[8:9], 0
.LBB57_888:
	s_andn2_b64 vcc, exec, s[8:9]
	s_cbranch_vccnz .LBB57_896
; %bb.889:
	global_load_ubyte v3, v[1:2], off
	s_movk_i32 s8, 0x7f
	s_waitcnt vmcnt(0)
	v_cmp_lt_i16_e32 vcc, s8, v3
	s_mov_b64 s[8:9], 0
	s_and_saveexec_b64 s[10:11], vcc
	s_xor_b64 s[10:11], exec, s[10:11]
	s_cbranch_execz .LBB57_910
; %bb.890:
	s_movk_i32 s8, 0x80
	v_cmp_eq_u16_e32 vcc, s8, v3
	s_mov_b64 s[8:9], -1
	s_and_saveexec_b64 s[12:13], vcc
; %bb.891:
	s_xor_b64 s[8:9], exec, -1
; %bb.892:
	s_or_b64 exec, exec, s[12:13]
	s_and_b64 s[8:9], s[8:9], exec
	s_or_saveexec_b64 s[10:11], s[10:11]
	v_mov_b32_e32 v4, 0x7f800001
	s_xor_b64 exec, exec, s[10:11]
	s_cbranch_execnz .LBB57_911
.LBB57_893:
	s_or_b64 exec, exec, s[10:11]
	s_and_saveexec_b64 s[10:11], s[8:9]
	s_cbranch_execz .LBB57_895
.LBB57_894:
	v_lshlrev_b32_e32 v4, 24, v3
	v_and_b32_e32 v3, 0xffff, v3
	v_and_b32_e32 v5, 7, v3
	v_ffbh_u32_e32 v7, v5
	v_min_u32_e32 v7, 32, v7
	v_subrev_u32_e32 v8, 28, v7
	v_bfe_u32 v6, v3, 3, 4
	v_lshlrev_b32_e32 v3, v8, v3
	v_sub_u32_e32 v7, 29, v7
	v_and_b32_e32 v3, 7, v3
	v_cmp_eq_u32_e32 vcc, 0, v6
	v_cndmask_b32_e32 v6, v6, v7, vcc
	v_cndmask_b32_e32 v3, v5, v3, vcc
	v_mov_b32_e32 v5, 0x3b800000
	v_lshlrev_b32_e32 v3, 20, v3
	v_and_b32_e32 v4, 0x80000000, v4
	v_lshl_add_u32 v5, v6, 23, v5
	v_or3_b32 v4, v4, v5, v3
.LBB57_895:
	s_or_b64 exec, exec, s[10:11]
.LBB57_896:
	s_mov_b64 s[8:9], -1
.LBB57_897:
	s_mov_b64 s[10:11], 0
.LBB57_898:
	s_and_b64 vcc, exec, s[10:11]
	s_cbranch_vccz .LBB57_931
; %bb.899:
	s_cmp_gt_i32 s14, 22
	s_cbranch_scc0 .LBB57_909
; %bb.900:
	s_cmp_lt_i32 s14, 24
	s_cbranch_scc1 .LBB57_912
; %bb.901:
	s_cmp_gt_i32 s14, 24
	s_cbranch_scc0 .LBB57_913
; %bb.902:
	global_load_ubyte v3, v[1:2], off
	s_movk_i32 s2, 0x7f
	s_waitcnt vmcnt(0)
	v_cmp_lt_i16_e32 vcc, s2, v3
	s_mov_b64 s[2:3], 0
	s_and_saveexec_b64 s[8:9], vcc
	s_xor_b64 s[8:9], exec, s[8:9]
	s_cbranch_execz .LBB57_925
; %bb.903:
	s_movk_i32 s2, 0x80
	v_cmp_eq_u16_e32 vcc, s2, v3
	s_mov_b64 s[2:3], -1
	s_and_saveexec_b64 s[10:11], vcc
; %bb.904:
	s_xor_b64 s[2:3], exec, -1
; %bb.905:
	s_or_b64 exec, exec, s[10:11]
	s_and_b64 s[2:3], s[2:3], exec
	s_or_saveexec_b64 s[8:9], s[8:9]
	v_mov_b32_e32 v4, 0x7f800001
	s_xor_b64 exec, exec, s[8:9]
	s_cbranch_execnz .LBB57_926
.LBB57_906:
	s_or_b64 exec, exec, s[8:9]
	s_and_saveexec_b64 s[8:9], s[2:3]
	s_cbranch_execz .LBB57_908
.LBB57_907:
	v_lshlrev_b32_e32 v4, 24, v3
	v_and_b32_e32 v3, 0xffff, v3
	v_and_b32_e32 v5, 3, v3
	v_ffbh_u32_e32 v7, v5
	v_min_u32_e32 v7, 32, v7
	v_subrev_u32_e32 v8, 29, v7
	v_bfe_u32 v6, v3, 2, 5
	v_lshlrev_b32_e32 v3, v8, v3
	v_sub_u32_e32 v7, 30, v7
	v_and_b32_e32 v3, 3, v3
	v_cmp_eq_u32_e32 vcc, 0, v6
	v_cndmask_b32_e32 v6, v6, v7, vcc
	v_cndmask_b32_e32 v3, v5, v3, vcc
	v_mov_b32_e32 v5, 0x37800000
	v_lshlrev_b32_e32 v3, 21, v3
	v_and_b32_e32 v4, 0x80000000, v4
	v_lshl_add_u32 v5, v6, 23, v5
	v_or3_b32 v4, v4, v5, v3
.LBB57_908:
	s_or_b64 exec, exec, s[8:9]
	s_mov_b64 s[2:3], 0
	s_branch .LBB57_914
.LBB57_909:
	s_mov_b64 s[2:3], -1
                                        ; implicit-def: $vgpr4
	s_branch .LBB57_920
.LBB57_910:
	s_or_saveexec_b64 s[10:11], s[10:11]
	v_mov_b32_e32 v4, 0x7f800001
	s_xor_b64 exec, exec, s[10:11]
	s_cbranch_execz .LBB57_893
.LBB57_911:
	v_cmp_ne_u16_e32 vcc, 0, v3
	s_andn2_b64 s[8:9], s[8:9], exec
	s_and_b64 s[12:13], vcc, exec
	v_mov_b32_e32 v4, 0
	s_or_b64 s[8:9], s[8:9], s[12:13]
	s_or_b64 exec, exec, s[10:11]
	s_and_saveexec_b64 s[10:11], s[8:9]
	s_cbranch_execnz .LBB57_894
	s_branch .LBB57_895
.LBB57_912:
	s_mov_b64 s[2:3], -1
                                        ; implicit-def: $vgpr4
	s_branch .LBB57_917
.LBB57_913:
	s_mov_b64 s[2:3], -1
                                        ; implicit-def: $vgpr4
.LBB57_914:
	s_and_b64 vcc, exec, s[2:3]
	s_cbranch_vccz .LBB57_916
; %bb.915:
	global_load_ubyte v3, v[1:2], off
	s_mov_b32 s2, 0x7f800000
	s_waitcnt vmcnt(0)
	v_lshlrev_b32_e32 v3, 24, v3
	v_and_b32_e32 v4, 0x7f000000, v3
	v_ffbh_u32_e32 v5, v4
	v_min_u32_e32 v5, 32, v5
	v_sub_u32_e64 v5, v5, 4 clamp
	v_lshlrev_b32_e32 v7, v5, v4
	v_lshlrev_b32_e32 v5, 23, v5
	v_lshrrev_b32_e32 v7, 4, v7
	v_add_u32_e32 v6, 0x1000000, v4
	v_sub_u32_e32 v5, v7, v5
	v_ashrrev_i32_e32 v6, 8, v6
	v_add_u32_e32 v5, 0x3c000000, v5
	v_and_or_b32 v5, v6, s2, v5
	v_cmp_ne_u32_e32 vcc, 0, v4
	v_cndmask_b32_e32 v4, 0, v5, vcc
	s_brev_b32 s2, 1
	v_and_or_b32 v4, v3, s2, v4
.LBB57_916:
	s_mov_b64 s[2:3], 0
.LBB57_917:
	s_andn2_b64 vcc, exec, s[2:3]
	s_cbranch_vccnz .LBB57_919
; %bb.918:
	global_load_ubyte v3, v[1:2], off
	s_movk_i32 s2, 0x7f00
	s_brev_b32 s3, 16
	s_waitcnt vmcnt(0)
	v_lshlrev_b16_e32 v4, 8, v3
	v_lshlrev_b32_e32 v3, 25, v3
	v_lshrrev_b32_e32 v5, 4, v3
	v_and_or_b32 v6, v4, s2, 0.5
	v_or_b32_e32 v5, 0x70000000, v5
	v_add_f32_e32 v6, -0.5, v6
	v_mul_f32_e32 v5, 0x7800000, v5
	v_cmp_gt_u32_e32 vcc, s3, v3
	v_bfe_i32 v4, v4, 0, 16
	v_cndmask_b32_e32 v3, v5, v6, vcc
	s_brev_b32 s2, 1
	v_and_or_b32 v4, v4, s2, v3
.LBB57_919:
	s_mov_b64 s[2:3], 0
	s_mov_b64 s[8:9], -1
.LBB57_920:
	s_andn2_b64 vcc, exec, s[2:3]
	s_mov_b64 s[2:3], 0
	s_cbranch_vccnz .LBB57_931
; %bb.921:
	s_cmp_gt_i32 s14, 14
	s_cbranch_scc0 .LBB57_924
; %bb.922:
	s_cmp_eq_u32 s14, 15
	s_cbranch_scc0 .LBB57_927
; %bb.923:
	global_load_ushort v3, v[1:2], off
	s_mov_b64 s[0:1], 0
	s_mov_b64 s[8:9], -1
	s_waitcnt vmcnt(0)
	v_lshlrev_b32_e32 v4, 16, v3
	s_branch .LBB57_928
.LBB57_924:
	s_mov_b64 s[10:11], -1
                                        ; implicit-def: $vgpr4
	s_branch .LBB57_929
.LBB57_925:
	s_or_saveexec_b64 s[8:9], s[8:9]
	v_mov_b32_e32 v4, 0x7f800001
	s_xor_b64 exec, exec, s[8:9]
	s_cbranch_execz .LBB57_906
.LBB57_926:
	v_cmp_ne_u16_e32 vcc, 0, v3
	s_andn2_b64 s[2:3], s[2:3], exec
	s_and_b64 s[10:11], vcc, exec
	v_mov_b32_e32 v4, 0
	s_or_b64 s[2:3], s[2:3], s[10:11]
	s_or_b64 exec, exec, s[8:9]
	s_and_saveexec_b64 s[8:9], s[2:3]
	s_cbranch_execnz .LBB57_907
	s_branch .LBB57_908
.LBB57_927:
	s_mov_b64 s[0:1], -1
                                        ; implicit-def: $vgpr4
.LBB57_928:
	s_mov_b64 s[10:11], 0
.LBB57_929:
	s_and_b64 vcc, exec, s[10:11]
	s_cbranch_vccz .LBB57_931
; %bb.930:
	s_cmp_lg_u32 s14, 11
	s_cselect_b64 s[10:11], -1, 0
	s_andn2_b64 s[0:1], s[0:1], exec
	s_and_b64 s[10:11], s[10:11], exec
	s_mov_b64 s[2:3], -1
	s_or_b64 s[0:1], s[0:1], s[10:11]
.LBB57_931:
	s_mov_b64 s[12:13], 0
.LBB57_932:
	s_and_b64 s[10:11], s[8:9], exec
	s_and_b64 s[8:9], s[12:13], exec
	s_andn2_b64 s[12:13], s[6:7], exec
	s_and_b64 s[0:1], s[0:1], exec
	s_and_b64 s[2:3], s[2:3], exec
	s_or_b64 s[12:13], s[12:13], s[0:1]
.LBB57_933:
	s_or_b64 exec, exec, s[70:71]
	s_and_b64 s[0:1], s[2:3], exec
	s_andn2_b64 s[2:3], s[6:7], exec
	s_and_b64 s[6:7], s[12:13], exec
	s_and_b64 s[10:11], s[10:11], exec
	;; [unrolled: 1-line block ×3, first 2 shown]
	s_or_b64 s[6:7], s[2:3], s[6:7]
.LBB57_934:
	s_or_b64 exec, exec, s[66:67]
	s_andn2_b64 s[2:3], s[62:63], exec
	s_and_b64 s[12:13], s[68:69], exec
	s_or_b64 s[62:63], s[2:3], s[12:13]
	s_and_b64 s[2:3], s[0:1], exec
	s_andn2_b64 s[0:1], s[60:61], exec
	s_and_b64 s[6:7], s[6:7], exec
	s_and_b64 s[10:11], s[10:11], exec
	s_and_b64 s[8:9], s[8:9], exec
	s_or_b64 s[60:61], s[0:1], s[6:7]
.LBB57_935:
	s_or_b64 exec, exec, s[64:65]
	s_andn2_b64 s[0:1], s[54:55], exec
	s_and_b64 s[6:7], s[62:63], exec
	s_or_b64 s[54:55], s[0:1], s[6:7]
	s_and_b64 s[6:7], s[8:9], exec
	s_and_b64 s[62:63], s[2:3], exec
	s_andn2_b64 s[2:3], s[56:57], exec
	s_and_b64 s[8:9], s[60:61], exec
	s_and_b64 s[0:1], s[10:11], exec
	s_or_b64 s[56:57], s[2:3], s[8:9]
	s_or_b64 exec, exec, s[58:59]
	s_mov_b64 s[8:9], 0
	s_and_saveexec_b64 s[2:3], s[56:57]
	s_cbranch_execz .LBB57_280
.LBB57_936:
	s_mov_b64 s[8:9], exec
	s_andn2_b64 s[62:63], s[62:63], exec
	s_trap 2
	s_or_b64 exec, exec, s[2:3]
	s_and_saveexec_b64 s[2:3], s[62:63]
	s_xor_b64 s[2:3], exec, s[2:3]
	s_cbranch_execnz .LBB57_281
.LBB57_937:
	s_or_b64 exec, exec, s[2:3]
	s_and_saveexec_b64 s[2:3], s[6:7]
	s_cbranch_execz .LBB57_983
.LBB57_938:
	s_sext_i32_i16 s6, s74
	s_cmp_lt_i32 s6, 5
	s_cbranch_scc1 .LBB57_943
; %bb.939:
	s_cmp_lt_i32 s6, 8
	s_cbranch_scc1 .LBB57_944
; %bb.940:
	;; [unrolled: 3-line block ×3, first 2 shown]
	s_cmp_gt_i32 s6, 9
	s_cbranch_scc0 .LBB57_946
; %bb.942:
	global_load_dwordx2 v[3:4], v[1:2], off
	s_mov_b64 s[6:7], 0
	s_waitcnt vmcnt(0)
	v_cvt_f32_f64_e32 v4, v[3:4]
	s_branch .LBB57_947
.LBB57_943:
                                        ; implicit-def: $vgpr4
	s_branch .LBB57_964
.LBB57_944:
                                        ; implicit-def: $vgpr4
	s_branch .LBB57_953
.LBB57_945:
	s_mov_b64 s[6:7], -1
                                        ; implicit-def: $vgpr4
	s_branch .LBB57_950
.LBB57_946:
	s_mov_b64 s[6:7], -1
                                        ; implicit-def: $vgpr4
.LBB57_947:
	s_andn2_b64 vcc, exec, s[6:7]
	s_cbranch_vccnz .LBB57_949
; %bb.948:
	global_load_dword v4, v[1:2], off
.LBB57_949:
	s_mov_b64 s[6:7], 0
.LBB57_950:
	s_andn2_b64 vcc, exec, s[6:7]
	s_cbranch_vccnz .LBB57_952
; %bb.951:
	global_load_dword v3, v[1:2], off
	s_waitcnt vmcnt(0)
	v_cvt_f32_f16_e32 v4, v3
.LBB57_952:
	s_cbranch_execnz .LBB57_963
.LBB57_953:
	s_sext_i32_i16 s6, s74
	s_cmp_lt_i32 s6, 6
	s_cbranch_scc1 .LBB57_956
; %bb.954:
	s_cmp_gt_i32 s6, 6
	s_cbranch_scc0 .LBB57_957
; %bb.955:
	global_load_dwordx2 v[3:4], v[1:2], off
	s_mov_b64 s[6:7], 0
	s_waitcnt vmcnt(0)
	v_cvt_f32_f64_e32 v4, v[3:4]
	s_branch .LBB57_958
.LBB57_956:
	s_mov_b64 s[6:7], -1
                                        ; implicit-def: $vgpr4
	s_branch .LBB57_961
.LBB57_957:
	s_mov_b64 s[6:7], -1
                                        ; implicit-def: $vgpr4
.LBB57_958:
	s_andn2_b64 vcc, exec, s[6:7]
	s_cbranch_vccnz .LBB57_960
; %bb.959:
	global_load_dword v4, v[1:2], off
.LBB57_960:
	s_mov_b64 s[6:7], 0
.LBB57_961:
	s_andn2_b64 vcc, exec, s[6:7]
	s_cbranch_vccnz .LBB57_963
; %bb.962:
	global_load_ushort v3, v[1:2], off
	s_waitcnt vmcnt(0)
	v_cvt_f32_f16_e32 v4, v3
.LBB57_963:
	s_cbranch_execnz .LBB57_982
.LBB57_964:
	s_sext_i32_i16 s6, s74
	s_cmp_lt_i32 s6, 2
	s_cbranch_scc1 .LBB57_968
; %bb.965:
	s_cmp_lt_i32 s6, 3
	s_cbranch_scc1 .LBB57_969
; %bb.966:
	s_cmp_gt_i32 s6, 3
	s_cbranch_scc0 .LBB57_970
; %bb.967:
	global_load_dwordx2 v[3:4], v[1:2], off
	s_mov_b64 s[6:7], 0
	s_waitcnt vmcnt(0)
	v_xor_b32_e32 v6, v3, v4
	v_ffbh_i32_e32 v5, v4
	v_ashrrev_i32_e32 v6, 31, v6
	v_add_u32_e32 v5, -1, v5
	v_add_u32_e32 v6, 32, v6
	v_min_u32_e32 v5, v5, v6
	v_lshlrev_b64 v[3:4], v5, v[3:4]
	v_min_u32_e32 v3, 1, v3
	v_or_b32_e32 v3, v4, v3
	v_cvt_f32_i32_e32 v3, v3
	v_sub_u32_e32 v4, 32, v5
	v_ldexp_f32 v4, v3, v4
	s_branch .LBB57_971
.LBB57_968:
                                        ; implicit-def: $vgpr4
	s_branch .LBB57_977
.LBB57_969:
	s_mov_b64 s[6:7], -1
                                        ; implicit-def: $vgpr4
	s_branch .LBB57_974
.LBB57_970:
	s_mov_b64 s[6:7], -1
                                        ; implicit-def: $vgpr4
.LBB57_971:
	s_andn2_b64 vcc, exec, s[6:7]
	s_cbranch_vccnz .LBB57_973
; %bb.972:
	global_load_dword v3, v[1:2], off
	s_waitcnt vmcnt(0)
	v_cvt_f32_i32_e32 v4, v3
.LBB57_973:
	s_mov_b64 s[6:7], 0
.LBB57_974:
	s_andn2_b64 vcc, exec, s[6:7]
	s_cbranch_vccnz .LBB57_976
; %bb.975:
	global_load_sshort v3, v[1:2], off
	s_waitcnt vmcnt(0)
	v_cvt_f32_i32_e32 v4, v3
.LBB57_976:
	s_cbranch_execnz .LBB57_982
.LBB57_977:
	s_sext_i32_i16 s6, s74
	s_cmp_gt_i32 s6, 0
	s_cbranch_scc0 .LBB57_979
; %bb.978:
	global_load_sbyte v3, v[1:2], off
	s_mov_b64 s[6:7], 0
	s_waitcnt vmcnt(0)
	v_cvt_f32_i32_e32 v4, v3
	s_branch .LBB57_980
.LBB57_979:
	s_mov_b64 s[6:7], -1
                                        ; implicit-def: $vgpr4
.LBB57_980:
	s_andn2_b64 vcc, exec, s[6:7]
	s_cbranch_vccnz .LBB57_982
; %bb.981:
	global_load_ubyte v1, v[1:2], off
	s_waitcnt vmcnt(0)
	v_cvt_f32_ubyte0_e32 v4, v1
.LBB57_982:
	s_or_b64 s[0:1], s[0:1], exec
.LBB57_983:
	s_or_b64 exec, exec, s[2:3]
	s_mov_b64 s[6:7], 0
	s_mov_b64 s[2:3], 0
                                        ; implicit-def: $sgpr16
                                        ; implicit-def: $vgpr1_vgpr2
                                        ; implicit-def: $vgpr3
	s_and_saveexec_b64 s[10:11], s[0:1]
	s_cbranch_execz .LBB57_1007
; %bb.984:
	s_waitcnt vmcnt(0)
	v_cmp_gt_f32_e32 vcc, 0.5, v4
	v_mov_b32_e32 v2, 0
	v_mov_b32_e32 v1, 1.0
	s_and_saveexec_b64 s[12:13], vcc
	s_cbranch_execz .LBB57_990
; %bb.985:
	v_mul_f32_e32 v1, 0x40490fdb, v4
	s_brev_b32 s0, 18
	v_and_b32_e32 v2, 0x7fffffff, v1
	v_cmp_nlt_f32_e64 s[0:1], |v1|, s0
                                        ; implicit-def: $vgpr3
                                        ; implicit-def: $vgpr5
	s_and_saveexec_b64 s[2:3], s[0:1]
	s_xor_b64 s[14:15], exec, s[2:3]
	s_cbranch_execz .LBB57_987
; %bb.986:
	v_and_b32_e32 v3, 0x7fffff, v2
	v_or_b32_e32 v3, 0x800000, v3
	s_mov_b32 s0, 0xfe5163ab
	v_mad_u64_u32 v[5:6], s[0:1], v3, s0, 0
	v_mov_b32_e32 v7, 0
	s_mov_b32 s0, 0x3c439041
	v_mad_u64_u32 v[8:9], s[0:1], v3, s0, v[6:7]
	s_mov_b32 s0, 0xdb629599
	v_not_b32_e32 v13, 63
	v_mov_b32_e32 v6, v9
	v_mad_u64_u32 v[9:10], s[0:1], v3, s0, v[6:7]
	s_mov_b32 s0, 0xf534ddc0
	v_not_b32_e32 v15, 31
	v_mov_b32_e32 v6, v10
	v_mad_u64_u32 v[10:11], s[0:1], v3, s0, v[6:7]
	v_lshrrev_b32_e32 v6, 23, v2
	v_add_u32_e32 v14, 0xffffff88, v6
	v_mov_b32_e32 v6, v11
	s_mov_b32 s0, 0xfc2757d1
	v_mad_u64_u32 v[11:12], s[0:1], v3, s0, v[6:7]
	v_cmp_lt_u32_e32 vcc, 63, v14
	v_cndmask_b32_e32 v6, 0, v13, vcc
	v_add_u32_e32 v14, v6, v14
	v_mov_b32_e32 v6, v12
	s_mov_b32 s0, 0x4e441529
	v_mad_u64_u32 v[12:13], s[0:1], v3, s0, v[6:7]
	v_cmp_lt_u32_e64 s[0:1], 31, v14
	v_cndmask_b32_e64 v6, 0, v15, s[0:1]
	v_add_u32_e32 v14, v6, v14
	v_mov_b32_e32 v6, v13
	s_mov_b32 s2, 0xa2f9836e
	v_mad_u64_u32 v[6:7], s[2:3], v3, s2, v[6:7]
	v_cmp_lt_u32_e64 s[2:3], 31, v14
	v_cndmask_b32_e64 v3, 0, v15, s[2:3]
	v_cndmask_b32_e32 v13, v12, v10, vcc
	v_cndmask_b32_e32 v6, v6, v11, vcc
	;; [unrolled: 1-line block ×3, first 2 shown]
	v_add_u32_e32 v3, v3, v14
	v_cndmask_b32_e64 v14, v6, v13, s[0:1]
	v_cndmask_b32_e64 v6, v7, v6, s[0:1]
	v_cndmask_b32_e32 v7, v11, v9, vcc
	v_cndmask_b32_e64 v11, v13, v7, s[0:1]
	v_cndmask_b32_e64 v6, v6, v14, s[2:3]
	v_cndmask_b32_e64 v12, v14, v11, s[2:3]
	v_sub_u32_e32 v13, 32, v3
	v_alignbit_b32 v14, v6, v12, v13
	v_cmp_eq_u32_e64 s[6:7], 0, v3
	v_cndmask_b32_e64 v3, v14, v6, s[6:7]
	v_cndmask_b32_e32 v6, v10, v8, vcc
	v_cndmask_b32_e64 v7, v7, v6, s[0:1]
	v_cndmask_b32_e64 v8, v11, v7, s[2:3]
	v_alignbit_b32 v10, v12, v8, v13
	v_cndmask_b32_e32 v5, v9, v5, vcc
	v_cndmask_b32_e64 v10, v10, v12, s[6:7]
	v_bfe_u32 v14, v3, 29, 1
	v_cndmask_b32_e64 v5, v6, v5, s[0:1]
	v_alignbit_b32 v11, v3, v10, 30
	v_sub_u32_e32 v15, 0, v14
	v_cndmask_b32_e64 v5, v7, v5, s[2:3]
	v_xor_b32_e32 v11, v11, v15
	v_alignbit_b32 v6, v8, v5, v13
	v_cndmask_b32_e64 v6, v6, v8, s[6:7]
	v_ffbh_u32_e32 v8, v11
	v_alignbit_b32 v7, v10, v6, 30
	v_min_u32_e32 v8, 32, v8
	v_alignbit_b32 v5, v6, v5, 30
	v_xor_b32_e32 v7, v7, v15
	v_sub_u32_e32 v9, 31, v8
	v_xor_b32_e32 v5, v5, v15
	v_alignbit_b32 v10, v11, v7, v9
	v_alignbit_b32 v5, v7, v5, v9
	;; [unrolled: 1-line block ×3, first 2 shown]
	v_ffbh_u32_e32 v7, v6
	v_min_u32_e32 v7, 32, v7
	v_lshrrev_b32_e32 v12, 29, v3
	v_not_b32_e32 v9, v7
	v_alignbit_b32 v5, v6, v5, v9
	v_lshlrev_b32_e32 v6, 31, v12
	v_or_b32_e32 v9, 0x33000000, v6
	v_add_lshl_u32 v7, v7, v8, 23
	v_lshrrev_b32_e32 v5, 9, v5
	v_sub_u32_e32 v7, v9, v7
	v_or_b32_e32 v6, 0.5, v6
	v_lshlrev_b32_e32 v8, 23, v8
	v_or_b32_e32 v5, v7, v5
	v_lshrrev_b32_e32 v7, 9, v10
	v_sub_u32_e32 v6, v6, v8
	v_or_b32_e32 v6, v7, v6
	s_mov_b32 s0, 0x3fc90fda
	v_mul_f32_e32 v7, 0x3fc90fda, v6
	v_fma_f32 v8, v6, s0, -v7
	v_fmac_f32_e32 v8, 0x33a22168, v6
	v_fmac_f32_e32 v8, 0x3fc90fda, v5
	v_lshrrev_b32_e32 v3, 30, v3
	v_add_f32_e32 v5, v7, v8
	v_add_u32_e32 v3, v14, v3
.LBB57_987:
	s_andn2_saveexec_b64 s[0:1], s[14:15]
	s_cbranch_execz .LBB57_989
; %bb.988:
	s_mov_b32 s2, 0x3f22f983
	v_mul_f32_e64 v3, |v1|, s2
	v_rndne_f32_e32 v6, v3
	s_mov_b32 s2, 0xbfc90fda
	v_cvt_i32_f32_e32 v3, v6
	v_fma_f32 v5, v6, s2, |v1|
	v_fmac_f32_e32 v5, 0xb3a22168, v6
	v_fmac_f32_e32 v5, 0xa7c234c4, v6
.LBB57_989:
	s_or_b64 exec, exec, s[0:1]
	v_mul_f32_e32 v6, v5, v5
	v_mov_b32_e32 v7, 0x3c0881c4
	v_fmac_f32_e32 v7, 0xb94c1982, v6
	v_mov_b32_e32 v8, 0xbe2aaa9d
	v_fmac_f32_e32 v8, v6, v7
	v_mul_f32_e32 v7, v6, v8
	v_fmac_f32_e32 v5, v5, v7
	v_mov_b32_e32 v7, 0xbab64f3b
	v_fmac_f32_e32 v7, 0x37d75334, v6
	v_mov_b32_e32 v8, 0x3d2aabf7
	v_fmac_f32_e32 v8, v6, v7
	v_mov_b32_e32 v7, 0xbf000004
	v_fmac_f32_e32 v7, v6, v8
	v_fma_f32 v6, v6, v7, 1.0
	v_and_b32_e32 v7, 1, v3
	v_lshlrev_b32_e32 v3, 30, v3
	v_cmp_eq_u32_e32 vcc, 0, v7
	v_and_b32_e32 v3, 0x80000000, v3
	v_xor_b32_e32 v2, v2, v1
	v_cndmask_b32_e32 v5, v6, v5, vcc
	v_xor_b32_e32 v2, v2, v3
	s_movk_i32 s0, 0x1f8
	v_xor_b32_e32 v2, v2, v5
	v_mov_b32_e32 v3, 0x7fc00000
	v_cmp_class_f32_e64 vcc, v1, s0
	v_cndmask_b32_e32 v1, v3, v2, vcc
	v_mul_f32_e32 v1, v1, v1
	s_mov_b32 s2, 0xc11de9e7
	v_div_scale_f32 v2, s[0:1], v1, v1, s2
	v_div_scale_f32 v3, vcc, s2, v1, s2
	v_sub_f32_e32 v4, 1.0, v4
	v_rcp_f32_e32 v5, v2
	v_fma_f32 v6, -v2, v5, 1.0
	v_fmac_f32_e32 v5, v6, v5
	v_mul_f32_e32 v6, v3, v5
	v_fma_f32 v7, -v2, v6, v3
	v_fmac_f32_e32 v6, v7, v5
	v_fma_f32 v2, -v2, v6, v3
	v_div_fmas_f32 v2, v2, v5, v6
	v_div_fixup_f32 v1, v2, v1, s2
	v_add_f32_e32 v2, 0, v1
	v_mov_b32_e32 v1, -1.0
.LBB57_990:
	s_or_b64 exec, exec, s[12:13]
	v_mul_f32_e32 v3, v4, v4
	v_div_scale_f32 v6, s[0:1], v3, v3, 1.0
	v_add_f32_e32 v5, 1.0, v4
	v_mul_f32_e32 v4, v5, v5
	v_div_scale_f32 v8, s[0:1], v4, v4, 1.0
	v_div_scale_f32 v7, vcc, 1.0, v3, 1.0
	v_add_f32_e32 v9, 1.0, v5
	v_div_scale_f32 v10, s[0:1], 1.0, v4, 1.0
	v_mul_f32_e32 v5, v9, v9
	v_div_scale_f32 v11, s[2:3], v5, v5, 1.0
	v_div_scale_f32 v14, s[2:3], 1.0, v5, 1.0
	v_rcp_f32_e32 v12, v6
	v_add_f32_e32 v9, 1.0, v9
	s_and_b32 s16, s73, 0xff
	s_cmp_lt_i32 s16, 11
	v_rcp_f32_e32 v13, v8
	v_fma_f32 v15, -v6, v12, 1.0
	v_fmac_f32_e32 v12, v15, v12
	v_mul_f32_e32 v16, v7, v12
	v_fma_f32 v17, -v6, v16, v7
	v_fma_f32 v15, -v8, v13, 1.0
	v_fmac_f32_e32 v16, v17, v12
	v_fma_f32 v6, -v6, v16, v7
	v_fmac_f32_e32 v13, v15, v13
	v_div_fmas_f32 v6, v6, v12, v16
	v_mul_f32_e32 v12, v10, v13
	v_fma_f32 v7, -v8, v12, v10
	v_rcp_f32_e32 v15, v11
	v_fmac_f32_e32 v12, v7, v13
	v_mul_f32_e32 v7, v9, v9
	v_div_scale_f32 v16, s[6:7], v7, v7, 1.0
	v_fma_f32 v8, -v8, v12, v10
	v_fma_f32 v10, -v11, v15, 1.0
	v_fmac_f32_e32 v15, v10, v15
	s_mov_b64 vcc, s[0:1]
	v_mul_f32_e32 v10, v14, v15
	v_div_fmas_f32 v8, v8, v13, v12
	v_fma_f32 v12, -v11, v10, v14
	v_fmac_f32_e32 v10, v12, v15
	v_div_scale_f32 v12, s[0:1], 1.0, v7, 1.0
	v_add_f32_e32 v13, 1.0, v9
	v_mul_f32_e32 v9, v13, v13
	v_div_scale_f32 v17, s[6:7], v9, v9, 1.0
	v_fma_f32 v11, -v11, v10, v14
	s_mov_b64 vcc, s[2:3]
	v_div_fmas_f32 v10, v11, v15, v10
	v_div_scale_f32 v11, s[2:3], 1.0, v9, 1.0
	v_rcp_f32_e32 v14, v16
	v_add_f32_e32 v13, 1.0, v13
	v_mul_f32_e32 v18, v13, v13
	v_div_scale_f32 v19, s[6:7], v18, v18, 1.0
	v_fma_f32 v15, -v16, v14, 1.0
	v_fmac_f32_e32 v14, v15, v14
	v_mul_f32_e32 v15, v12, v14
	v_fma_f32 v20, -v16, v15, v12
	v_fmac_f32_e32 v15, v20, v14
	v_rcp_f32_e32 v20, v17
	v_fma_f32 v12, -v16, v15, v12
	s_mov_b64 vcc, s[0:1]
	v_div_fmas_f32 v12, v12, v14, v15
	v_fma_f32 v14, -v17, v20, 1.0
	v_fmac_f32_e32 v20, v14, v20
	v_mul_f32_e32 v14, v11, v20
	v_fma_f32 v15, -v17, v14, v11
	v_fmac_f32_e32 v14, v15, v20
	v_div_scale_f32 v15, s[0:1], 1.0, v18, 1.0
	v_add_f32_e32 v13, 1.0, v13
	v_mul_f32_e32 v21, v13, v13
	v_div_scale_f32 v22, s[6:7], v21, v21, 1.0
	v_rcp_f32_e32 v16, v19
	v_fma_f32 v11, -v17, v14, v11
	s_mov_b64 vcc, s[2:3]
	v_div_scale_f32 v17, s[2:3], 1.0, v21, 1.0
	v_div_fmas_f32 v11, v11, v20, v14
	v_add_f32_e32 v20, v13, v13
	v_div_scale_f32 v23, s[6:7], v20, v20, 1.0
	v_fma_f32 v14, -v19, v16, 1.0
	v_fmac_f32_e32 v16, v14, v16
	v_mul_f32_e32 v14, v15, v16
	v_fma_f32 v24, -v19, v14, v15
	v_fmac_f32_e32 v14, v24, v16
	v_div_scale_f32 v24, s[6:7], 1.0, v20, 1.0
	v_rcp_f32_e32 v25, v22
	v_fma_f32 v15, -v19, v14, v15
	s_mov_b64 vcc, s[0:1]
	v_div_fmas_f32 v14, v15, v16, v14
	v_fma_f32 v15, -v22, v25, 1.0
	v_fmac_f32_e32 v25, v15, v25
	v_mul_f32_e32 v15, v17, v25
	v_fma_f32 v16, -v22, v15, v17
	v_fmac_f32_e32 v15, v16, v25
	v_rcp_f32_e32 v16, v23
	v_fma_f32 v17, -v22, v15, v17
	s_mov_b64 vcc, s[2:3]
	v_div_fmas_f32 v15, v17, v25, v15
	v_fma_f32 v17, -v23, v16, 1.0
	v_fmac_f32_e32 v16, v17, v16
	v_mul_f32_e32 v17, v24, v16
	v_fma_f32 v19, -v23, v17, v24
	v_fmac_f32_e32 v17, v19, v16
	v_fma_f32 v19, -v23, v17, v24
	s_mov_b64 vcc, s[6:7]
	v_div_fmas_f32 v16, v19, v16, v17
	v_mov_b32_e32 v17, 0x3d088889
	s_mov_b32 s0, 0x3e2aaaab
	v_div_fixup_f32 v3, v6, v3, 1.0
	v_add_f32_e32 v2, v2, v3
	v_div_fixup_f32 v3, v8, v4, 1.0
	v_add_f32_e32 v2, v2, v3
	v_div_fixup_f32 v3, v10, v5, 1.0
	v_div_fixup_f32 v15, v15, v21, 1.0
	v_fmac_f32_e32 v17, 0xbcc30c31, v15
	v_fma_f32 v17, -v15, v17, s0
	v_add_f32_e32 v2, v2, v3
	v_div_fixup_f32 v3, v12, v7, 1.0
	v_add_f32_e32 v2, v2, v3
	v_div_fixup_f32 v3, v11, v9, 1.0
	;; [unrolled: 2-line block ×3, first 2 shown]
	v_add_f32_e32 v16, 1.0, v16
	v_fmac_f32_e32 v16, v15, v17
	v_div_scale_f32 v15, s[0:1], v13, v13, v16
	v_div_scale_f32 v17, vcc, v16, v13, v16
	v_div_fixup_f32 v3, v14, v18, 1.0
	v_add_f32_e32 v2, v2, v3
	v_rcp_f32_e32 v19, v15
	v_fma_f32 v20, -v15, v19, 1.0
	v_fmac_f32_e32 v19, v20, v19
	v_mul_f32_e32 v20, v17, v19
	v_fma_f32 v21, -v15, v20, v17
	v_fmac_f32_e32 v20, v21, v19
	v_fma_f32 v15, -v15, v20, v17
	v_div_fmas_f32 v15, v15, v19, v20
	v_div_fixup_f32 v3, v15, v13, v16
	v_add_f32_e32 v2, v2, v3
	v_mul_f32_e32 v3, v1, v2
	s_waitcnt lgkmcnt(0)
	v_mov_b32_e32 v2, s25
	v_add_co_u32_e32 v1, vcc, s24, v0
	v_addc_co_u32_e32 v2, vcc, 0, v2, vcc
	s_cbranch_scc1 .LBB57_1010
; %bb.991:
	s_and_b32 s17, 0xffff, s16
	s_mov_b64 s[6:7], -1
	s_cmp_gt_i32 s17, 25
	s_mov_b64 s[0:1], s[54:55]
	s_cbranch_scc0 .LBB57_1028
; %bb.992:
	s_mov_b64 s[2:3], -1
	s_cmp_gt_i32 s17, 28
	s_mov_b64 s[0:1], s[54:55]
	s_cbranch_scc0 .LBB57_1012
; %bb.993:
	s_cmp_gt_i32 s17, 43
	s_mov_b64 s[0:1], s[54:55]
	s_cbranch_scc0 .LBB57_1004
; %bb.994:
	;; [unrolled: 4-line block ×3, first 2 shown]
	s_cmp_eq_u32 s17, 46
	s_mov_b64 s[0:1], -1
	s_cbranch_scc0 .LBB57_997
; %bb.996:
	v_bfe_u32 v0, v3, 16, 1
	s_movk_i32 s0, 0x7fff
	v_add3_u32 v0, v3, v0, s0
	v_cmp_o_f32_e32 vcc, v3, v3
	v_mov_b32_e32 v4, 0x7fc0
	v_cndmask_b32_sdwa v0, v4, v0, vcc dst_sel:DWORD dst_unused:UNUSED_PAD src0_sel:DWORD src1_sel:WORD_1
	global_store_dword v[1:2], v0, off
	s_mov_b64 s[0:1], 0
.LBB57_997:
	s_mov_b64 s[2:3], 0
.LBB57_998:
	s_and_b64 vcc, exec, s[2:3]
	s_cbranch_vccz .LBB57_1003
; %bb.999:
	s_cmp_eq_u32 s17, 44
	s_mov_b64 s[0:1], -1
	s_cbranch_scc0 .LBB57_1003
; %bb.1000:
	v_bfe_u32 v0, v3, 23, 8
	s_movk_i32 s0, 0xff
	v_cmp_ne_u32_e32 vcc, s0, v0
	v_mov_b32_e32 v4, 0xff
	s_and_saveexec_b64 s[2:3], vcc
; %bb.1001:
	s_mov_b32 s0, 0x3fffff
	v_and_b32_e32 v5, 0x400000, v3
	v_and_or_b32 v0, v3, s0, v0
	v_cmp_ne_u32_e32 vcc, 0, v5
	v_cmp_ne_u32_e64 s[0:1], 0, v0
	s_and_b64 s[0:1], vcc, s[0:1]
	v_lshrrev_b32_e32 v4, 23, v3
	v_cndmask_b32_e64 v0, 0, 1, s[0:1]
	v_add_u32_e32 v4, v4, v0
; %bb.1002:
	s_or_b64 exec, exec, s[2:3]
	s_mov_b64 s[0:1], 0
	global_store_byte v[1:2], v4, off
.LBB57_1003:
	s_mov_b64 s[2:3], 0
.LBB57_1004:
	s_and_b64 vcc, exec, s[2:3]
	s_cbranch_vccz .LBB57_1011
; %bb.1005:
	s_cmp_eq_u32 s17, 29
	s_mov_b64 s[0:1], -1
	s_cbranch_scc0 .LBB57_1011
; %bb.1006:
	v_trunc_f32_e32 v0, v3
	v_mul_f32_e32 v4, 0x2f800000, v0
	v_floor_f32_e32 v4, v4
	v_fmac_f32_e32 v0, 0xcf800000, v4
	v_cvt_u32_f32_e32 v5, v4
	v_cvt_u32_f32_e32 v4, v0
	s_mov_b64 s[0:1], 0
	s_mov_b64 s[2:3], 0
	global_store_dwordx2 v[1:2], v[4:5], off
	s_branch .LBB57_1012
.LBB57_1007:
	s_or_b64 exec, exec, s[10:11]
	s_and_saveexec_b64 s[0:1], s[54:55]
	s_cbranch_execnz .LBB57_1070
.LBB57_1008:
	s_or_b64 exec, exec, s[0:1]
	s_and_saveexec_b64 s[0:1], s[6:7]
	s_xor_b64 s[0:1], exec, s[0:1]
	s_cbranch_execz .LBB57_1071
.LBB57_1009:
	s_waitcnt vmcnt(0)
	v_cmp_neq_f32_e32 vcc, 0, v3
	v_cndmask_b32_e64 v0, 0, 1, vcc
	global_store_byte v[1:2], v0, off
	s_or_b64 exec, exec, s[0:1]
	s_and_saveexec_b64 s[0:1], s[2:3]
	s_xor_b64 s[0:1], exec, s[0:1]
	s_cbranch_execz .LBB57_1109
	s_branch .LBB57_1072
.LBB57_1010:
	s_mov_b64 s[6:7], 0
	s_mov_b64 s[2:3], -1
	s_mov_b64 s[0:1], s[54:55]
	s_branch .LBB57_1069
.LBB57_1011:
	s_mov_b64 s[2:3], 0
.LBB57_1012:
	s_and_b64 vcc, exec, s[2:3]
	s_cbranch_vccz .LBB57_1027
; %bb.1013:
	s_cmp_lt_i32 s17, 27
	s_mov_b64 s[2:3], -1
	s_cbranch_scc1 .LBB57_1019
; %bb.1014:
	s_cmp_gt_i32 s17, 27
	s_cbranch_scc0 .LBB57_1016
; %bb.1015:
	v_cvt_u32_f32_e32 v0, v3
	s_mov_b64 s[2:3], 0
	global_store_dword v[1:2], v0, off
.LBB57_1016:
	s_andn2_b64 vcc, exec, s[2:3]
	s_cbranch_vccnz .LBB57_1018
; %bb.1017:
	v_cvt_u32_f32_e32 v0, v3
	global_store_short v[1:2], v0, off
.LBB57_1018:
	s_mov_b64 s[2:3], 0
.LBB57_1019:
	s_andn2_b64 vcc, exec, s[2:3]
	s_cbranch_vccnz .LBB57_1027
; %bb.1020:
	v_and_b32_e32 v0, 0x7fffffff, v3
	s_mov_b32 s2, 0x43800000
	v_cmp_gt_u32_e32 vcc, s2, v0
	v_mov_b32_e32 v4, 0x80
	s_and_saveexec_b64 s[2:3], vcc
	s_cbranch_execz .LBB57_1026
; %bb.1021:
	s_mov_b32 s6, 0x3bffffff
	v_cmp_lt_u32_e32 vcc, s6, v0
	s_mov_b64 s[6:7], 0
                                        ; implicit-def: $vgpr0
	s_and_saveexec_b64 s[12:13], vcc
	s_xor_b64 s[12:13], exec, s[12:13]
	s_cbranch_execz .LBB57_1180
; %bb.1022:
	v_bfe_u32 v0, v3, 20, 1
	s_mov_b32 s14, 0x487ffff
	v_add3_u32 v0, v3, v0, s14
	s_mov_b64 s[6:7], exec
	v_lshrrev_b32_e32 v0, 20, v0
	s_andn2_saveexec_b64 s[12:13], s[12:13]
	s_cbranch_execnz .LBB57_1181
.LBB57_1023:
	s_or_b64 exec, exec, s[12:13]
	v_mov_b32_e32 v4, 0
	s_and_saveexec_b64 s[12:13], s[6:7]
.LBB57_1024:
	v_lshrrev_b32_e32 v4, 24, v3
	s_movk_i32 s6, 0x80
	v_and_or_b32 v4, v4, s6, v0
.LBB57_1025:
	s_or_b64 exec, exec, s[12:13]
.LBB57_1026:
	s_or_b64 exec, exec, s[2:3]
	global_store_byte v[1:2], v4, off
.LBB57_1027:
	s_mov_b64 s[6:7], 0
.LBB57_1028:
	s_mov_b64 s[2:3], 0
	s_and_b64 vcc, exec, s[6:7]
	s_cbranch_vccz .LBB57_1068
; %bb.1029:
	s_cmp_gt_i32 s17, 22
	s_mov_b64 s[6:7], -1
	s_cbranch_scc0 .LBB57_1061
; %bb.1030:
	s_cmp_lt_i32 s17, 24
	s_cbranch_scc1 .LBB57_1050
; %bb.1031:
	s_cmp_gt_i32 s17, 24
	s_cbranch_scc0 .LBB57_1039
; %bb.1032:
	v_and_b32_e32 v0, 0x7fffffff, v3
	s_mov_b32 s6, 0x47800000
	v_cmp_gt_u32_e32 vcc, s6, v0
	v_mov_b32_e32 v4, 0x80
	s_and_saveexec_b64 s[6:7], vcc
	s_cbranch_execz .LBB57_1038
; %bb.1033:
	s_mov_b32 s12, 0x37ffffff
	v_cmp_lt_u32_e32 vcc, s12, v0
	s_mov_b64 s[12:13], 0
                                        ; implicit-def: $vgpr0
	s_and_saveexec_b64 s[14:15], vcc
	s_xor_b64 s[14:15], exec, s[14:15]
	s_cbranch_execz .LBB57_1311
; %bb.1034:
	v_bfe_u32 v0, v3, 21, 1
	s_mov_b32 s18, 0x88fffff
	v_add3_u32 v0, v3, v0, s18
	s_mov_b64 s[12:13], exec
	v_lshrrev_b32_e32 v0, 21, v0
	s_andn2_saveexec_b64 s[14:15], s[14:15]
	s_cbranch_execnz .LBB57_1312
.LBB57_1035:
	s_or_b64 exec, exec, s[14:15]
	v_mov_b32_e32 v4, 0
	s_and_saveexec_b64 s[14:15], s[12:13]
.LBB57_1036:
	v_lshrrev_b32_e32 v4, 24, v3
	s_movk_i32 s12, 0x80
	v_and_or_b32 v4, v4, s12, v0
.LBB57_1037:
	s_or_b64 exec, exec, s[14:15]
.LBB57_1038:
	s_or_b64 exec, exec, s[6:7]
	s_mov_b64 s[6:7], 0
	global_store_byte v[1:2], v4, off
.LBB57_1039:
	s_and_b64 vcc, exec, s[6:7]
	s_cbranch_vccz .LBB57_1049
; %bb.1040:
	v_and_b32_e32 v4, 0x7fffffff, v3
	s_mov_b32 s6, 0x43f00000
	v_cmp_gt_u32_e32 vcc, s6, v4
                                        ; implicit-def: $vgpr0
	s_and_saveexec_b64 s[6:7], vcc
	s_xor_b64 s[6:7], exec, s[6:7]
	s_cbranch_execz .LBB57_1046
; %bb.1041:
	s_mov_b32 s12, 0x3c7fffff
	v_cmp_lt_u32_e32 vcc, s12, v4
                                        ; implicit-def: $vgpr0
	s_and_saveexec_b64 s[12:13], vcc
	s_xor_b64 s[12:13], exec, s[12:13]
; %bb.1042:
	v_bfe_u32 v0, v3, 20, 1
	s_mov_b32 s14, 0x407ffff
	v_add3_u32 v0, v3, v0, s14
	v_lshrrev_b32_e32 v4, 20, v0
	v_and_b32_e32 v0, 0xff00000, v0
	s_mov_b32 s14, 0x7f00000
	v_mov_b32_e32 v5, 0x7e
	v_cmp_ne_u32_e32 vcc, s14, v0
	v_cndmask_b32_e32 v0, v5, v4, vcc
; %bb.1043:
	s_andn2_saveexec_b64 s[12:13], s[12:13]
; %bb.1044:
	s_mov_b32 s14, 0x46800000
	v_add_f32_e64 v0, |v3|, s14
; %bb.1045:
	s_or_b64 exec, exec, s[12:13]
                                        ; implicit-def: $vgpr4
.LBB57_1046:
	s_andn2_saveexec_b64 s[6:7], s[6:7]
; %bb.1047:
	s_mov_b32 s12, 0x7f800000
	v_mov_b32_e32 v0, 0x7e
	v_mov_b32_e32 v5, 0x7f
	v_cmp_lt_u32_e32 vcc, s12, v4
	v_cndmask_b32_e32 v0, v0, v5, vcc
; %bb.1048:
	s_or_b64 exec, exec, s[6:7]
	v_lshrrev_b32_e32 v4, 24, v3
	s_movk_i32 s6, 0x80
	v_and_or_b32 v0, v4, s6, v0
	global_store_byte v[1:2], v0, off
.LBB57_1049:
	s_mov_b64 s[6:7], 0
.LBB57_1050:
	s_andn2_b64 vcc, exec, s[6:7]
	s_cbranch_vccnz .LBB57_1060
; %bb.1051:
	v_and_b32_e32 v4, 0x7fffffff, v3
	s_mov_b32 s6, 0x47800000
	v_cmp_gt_u32_e32 vcc, s6, v4
                                        ; implicit-def: $vgpr0
	s_and_saveexec_b64 s[6:7], vcc
	s_xor_b64 s[6:7], exec, s[6:7]
	s_cbranch_execz .LBB57_1057
; %bb.1052:
	s_mov_b32 s12, 0x387fffff
	v_cmp_lt_u32_e32 vcc, s12, v4
                                        ; implicit-def: $vgpr0
	s_and_saveexec_b64 s[12:13], vcc
	s_xor_b64 s[12:13], exec, s[12:13]
; %bb.1053:
	v_bfe_u32 v0, v3, 21, 1
	s_mov_b32 s14, 0x80fffff
	v_add3_u32 v0, v3, v0, s14
	v_lshrrev_b32_e32 v0, 21, v0
; %bb.1054:
	s_andn2_saveexec_b64 s[12:13], s[12:13]
; %bb.1055:
	s_mov_b32 s14, 0x43000000
	v_add_f32_e64 v0, |v3|, s14
; %bb.1056:
	s_or_b64 exec, exec, s[12:13]
                                        ; implicit-def: $vgpr4
.LBB57_1057:
	s_andn2_saveexec_b64 s[6:7], s[6:7]
; %bb.1058:
	s_mov_b32 s12, 0x7f800000
	v_mov_b32_e32 v0, 0x7c
	v_mov_b32_e32 v5, 0x7f
	v_cmp_lt_u32_e32 vcc, s12, v4
	v_cndmask_b32_e32 v0, v0, v5, vcc
; %bb.1059:
	s_or_b64 exec, exec, s[6:7]
	v_lshrrev_b32_e32 v4, 24, v3
	s_movk_i32 s6, 0x80
	v_and_or_b32 v0, v4, s6, v0
	global_store_byte v[1:2], v0, off
.LBB57_1060:
	s_mov_b64 s[6:7], 0
.LBB57_1061:
	s_andn2_b64 vcc, exec, s[6:7]
	s_mov_b64 s[6:7], 0
	s_cbranch_vccnz .LBB57_1069
; %bb.1062:
	s_cmp_gt_i32 s17, 14
	s_mov_b64 s[12:13], -1
	s_cbranch_scc0 .LBB57_1066
; %bb.1063:
	s_cmp_eq_u32 s17, 15
	s_mov_b64 s[0:1], -1
	s_cbranch_scc0 .LBB57_1065
; %bb.1064:
	v_bfe_u32 v0, v3, 16, 1
	s_movk_i32 s0, 0x7fff
	v_add3_u32 v0, v3, v0, s0
	v_cmp_o_f32_e32 vcc, v3, v3
	v_mov_b32_e32 v4, 0x7fc0
	v_cndmask_b32_sdwa v0, v4, v0, vcc dst_sel:DWORD dst_unused:UNUSED_PAD src0_sel:DWORD src1_sel:WORD_1
	global_store_short v[1:2], v0, off
	s_mov_b64 s[0:1], 0
.LBB57_1065:
	s_mov_b64 s[12:13], 0
.LBB57_1066:
	s_and_b64 vcc, exec, s[12:13]
	s_cbranch_vccz .LBB57_1069
; %bb.1067:
	s_cmp_lg_u32 s17, 11
	s_cselect_b64 s[12:13], -1, 0
	s_andn2_b64 s[0:1], s[0:1], exec
	s_and_b64 s[12:13], s[12:13], exec
	s_mov_b64 s[6:7], -1
	s_or_b64 s[0:1], s[0:1], s[12:13]
	s_branch .LBB57_1069
.LBB57_1068:
	s_mov_b64 s[6:7], 0
.LBB57_1069:
	s_andn2_b64 s[12:13], s[54:55], exec
	s_and_b64 s[0:1], s[0:1], exec
	s_and_b64 s[2:3], s[2:3], exec
	;; [unrolled: 1-line block ×3, first 2 shown]
	s_or_b64 s[54:55], s[12:13], s[0:1]
	s_or_b64 exec, exec, s[10:11]
	s_and_saveexec_b64 s[0:1], s[54:55]
	s_cbranch_execz .LBB57_1008
.LBB57_1070:
	s_or_b64 s[8:9], s[8:9], exec
	s_andn2_b64 s[6:7], s[6:7], exec
	s_trap 2
	s_or_b64 exec, exec, s[0:1]
	s_and_saveexec_b64 s[0:1], s[6:7]
	s_xor_b64 s[0:1], exec, s[0:1]
	s_cbranch_execnz .LBB57_1009
.LBB57_1071:
	s_or_b64 exec, exec, s[0:1]
	s_and_saveexec_b64 s[0:1], s[2:3]
	s_xor_b64 s[0:1], exec, s[0:1]
	s_cbranch_execz .LBB57_1109
.LBB57_1072:
	s_sext_i32_i16 s6, s16
	s_cmp_lt_i32 s6, 5
	s_mov_b64 s[2:3], -1
	s_cbranch_scc1 .LBB57_1093
; %bb.1073:
	s_cmp_lt_i32 s6, 8
	s_cbranch_scc1 .LBB57_1083
; %bb.1074:
	s_cmp_lt_i32 s6, 9
	s_cbranch_scc1 .LBB57_1080
; %bb.1075:
	s_cmp_gt_i32 s6, 9
	s_cbranch_scc0 .LBB57_1077
; %bb.1076:
	s_waitcnt vmcnt(0)
	v_cvt_f64_f32_e32 v[4:5], v3
	v_mov_b32_e32 v6, 0
	v_mov_b32_e32 v7, v6
	s_mov_b64 s[2:3], 0
	global_store_dwordx4 v[1:2], v[4:7], off
.LBB57_1077:
	s_andn2_b64 vcc, exec, s[2:3]
	s_cbranch_vccnz .LBB57_1079
; %bb.1078:
	s_waitcnt vmcnt(0)
	v_mov_b32_e32 v4, 0
	global_store_dwordx2 v[1:2], v[3:4], off
.LBB57_1079:
	s_mov_b64 s[2:3], 0
.LBB57_1080:
	s_andn2_b64 vcc, exec, s[2:3]
	s_cbranch_vccnz .LBB57_1082
; %bb.1081:
	s_waitcnt vmcnt(0)
	v_cvt_f16_f32_e32 v0, v3
	global_store_dword v[1:2], v0, off
.LBB57_1082:
	s_mov_b64 s[2:3], 0
.LBB57_1083:
	s_andn2_b64 vcc, exec, s[2:3]
	s_cbranch_vccnz .LBB57_1092
; %bb.1084:
	s_sext_i32_i16 s6, s16
	s_cmp_lt_i32 s6, 6
	s_mov_b64 s[2:3], -1
	s_cbranch_scc1 .LBB57_1090
; %bb.1085:
	s_cmp_gt_i32 s6, 6
	s_cbranch_scc0 .LBB57_1087
; %bb.1086:
	s_waitcnt vmcnt(0)
	v_cvt_f64_f32_e32 v[4:5], v3
	s_mov_b64 s[2:3], 0
	global_store_dwordx2 v[1:2], v[4:5], off
.LBB57_1087:
	s_andn2_b64 vcc, exec, s[2:3]
	s_cbranch_vccnz .LBB57_1089
; %bb.1088:
	s_waitcnt vmcnt(0)
	global_store_dword v[1:2], v3, off
.LBB57_1089:
	s_mov_b64 s[2:3], 0
.LBB57_1090:
	s_andn2_b64 vcc, exec, s[2:3]
	s_cbranch_vccnz .LBB57_1092
; %bb.1091:
	s_waitcnt vmcnt(0)
	v_cvt_f16_f32_e32 v0, v3
	global_store_short v[1:2], v0, off
.LBB57_1092:
	s_mov_b64 s[2:3], 0
.LBB57_1093:
	s_andn2_b64 vcc, exec, s[2:3]
	s_cbranch_vccnz .LBB57_1109
; %bb.1094:
	s_sext_i32_i16 s6, s16
	s_cmp_lt_i32 s6, 2
	s_mov_b64 s[2:3], -1
	s_cbranch_scc1 .LBB57_1104
; %bb.1095:
	s_cmp_lt_i32 s6, 3
	s_cbranch_scc1 .LBB57_1101
; %bb.1096:
	s_cmp_gt_i32 s6, 3
	s_cbranch_scc0 .LBB57_1098
; %bb.1097:
	s_waitcnt vmcnt(0)
	v_trunc_f32_e32 v0, v3
	s_mov_b32 s2, 0x2f800000
	v_mul_f32_e64 v4, |v0|, s2
	v_floor_f32_e32 v4, v4
	s_mov_b32 s2, 0xcf800000
	v_cvt_u32_f32_e32 v5, v4
	v_fma_f32 v4, v4, s2, |v0|
	v_cvt_u32_f32_e32 v4, v4
	v_ashrrev_i32_e32 v0, 31, v0
	v_xor_b32_e32 v5, v5, v0
	s_mov_b64 s[2:3], 0
	v_xor_b32_e32 v4, v4, v0
	v_sub_co_u32_e32 v4, vcc, v4, v0
	v_subb_co_u32_e32 v5, vcc, v5, v0, vcc
	global_store_dwordx2 v[1:2], v[4:5], off
.LBB57_1098:
	s_andn2_b64 vcc, exec, s[2:3]
	s_cbranch_vccnz .LBB57_1100
; %bb.1099:
	s_waitcnt vmcnt(0)
	v_cvt_i32_f32_e32 v0, v3
	global_store_dword v[1:2], v0, off
.LBB57_1100:
	s_mov_b64 s[2:3], 0
.LBB57_1101:
	s_andn2_b64 vcc, exec, s[2:3]
	s_cbranch_vccnz .LBB57_1103
; %bb.1102:
	s_waitcnt vmcnt(0)
	v_cvt_i32_f32_e32 v0, v3
	global_store_short v[1:2], v0, off
.LBB57_1103:
	s_mov_b64 s[2:3], 0
.LBB57_1104:
	s_andn2_b64 vcc, exec, s[2:3]
	s_cbranch_vccnz .LBB57_1109
; %bb.1105:
	s_sext_i32_i16 s2, s16
	s_cmp_gt_i32 s2, 0
	s_mov_b64 s[2:3], -1
	s_cbranch_scc0 .LBB57_1107
; %bb.1106:
	s_waitcnt vmcnt(0)
	v_cvt_i32_f32_e32 v0, v3
	s_mov_b64 s[2:3], 0
	global_store_byte v[1:2], v0, off
.LBB57_1107:
	s_andn2_b64 vcc, exec, s[2:3]
	s_cbranch_vccnz .LBB57_1109
; %bb.1108:
	s_waitcnt vmcnt(0)
	v_trunc_f32_e32 v0, v3
	s_mov_b32 s2, 0x2f800000
	v_mul_f32_e64 v3, |v0|, s2
	v_floor_f32_e32 v3, v3
	s_mov_b32 s2, 0xcf800000
	v_fma_f32 v3, v3, s2, |v0|
	v_cvt_u32_f32_e32 v3, v3
	v_ashrrev_i32_e32 v0, 31, v0
	v_xor_b32_e32 v3, v3, v0
	v_sub_u32_e32 v0, v3, v0
	global_store_byte v[1:2], v0, off
.LBB57_1109:
	s_or_b64 exec, exec, s[0:1]
	s_and_b64 s[6:7], s[8:9], exec
                                        ; implicit-def: $vgpr15
                                        ; implicit-def: $vgpr8
.LBB57_1110:
	s_waitcnt lgkmcnt(0)
	s_or_saveexec_b64 s[28:29], s[44:45]
	s_mov_b64 s[0:1], 0
                                        ; implicit-def: $vgpr0_vgpr1
                                        ; implicit-def: $sgpr16
                                        ; implicit-def: $vgpr2
	s_xor_b64 exec, exec, s[28:29]
	s_cbranch_execz .LBB57_2138
; %bb.1111:
	v_cndmask_b32_e64 v0, 0, 1, s[42:43]
	v_cmp_ne_u32_e64 s[0:1], 1, v0
	s_andn2_b64 vcc, exec, s[42:43]
	s_cbranch_vccnz .LBB57_1117
; %bb.1112:
	s_cmp_lg_u32 s33, 0
	s_mov_b32 s36, 0
	s_cbranch_scc0 .LBB57_1118
; %bb.1113:
	s_min_u32 s37, s72, 15
	s_add_i32 s37, s37, 1
	s_cmp_eq_u32 s72, 2
	s_cbranch_scc1 .LBB57_1119
; %bb.1114:
	s_and_b32 s36, s37, 28
	s_add_u32 s2, s34, 0xc4
	s_addc_u32 s3, s35, 0
	v_mov_b32_e32 v13, 0
	s_mov_b32 s38, 0
	s_mov_b64 s[30:31], s[34:35]
	v_mov_b32_e32 v6, 0
	v_mov_b32_e32 v0, v8
.LBB57_1115:                            ; =>This Inner Loop Header: Depth=1
	s_load_dwordx8 s[16:23], s[30:31], 0x4
	s_load_dwordx4 s[24:27], s[30:31], 0x24
	s_load_dwordx8 s[8:15], s[2:3], 0x0
	s_add_u32 s30, s30, 48
	s_addc_u32 s31, s31, 0
	s_waitcnt lgkmcnt(0)
	v_mul_hi_u32 v1, s17, v0
	s_add_i32 s38, s38, 4
	s_add_u32 s2, s2, 32
	s_addc_u32 s3, s3, 0
	v_add_u32_e32 v1, v0, v1
	v_lshrrev_b32_e32 v1, s18, v1
	v_mul_lo_u32 v2, v1, s16
	s_waitcnt vmcnt(0)
	v_mul_hi_u32 v3, s20, v1
	s_cmp_lg_u32 s36, s38
	v_sub_u32_e32 v0, v0, v2
	v_add_u32_e32 v2, v1, v3
	v_mul_lo_u32 v3, v0, s8
	v_mul_lo_u32 v4, v0, s9
	v_lshrrev_b32_e32 v0, s21, v2
	v_mul_lo_u32 v2, v0, s19
	v_mul_hi_u32 v5, s23, v0
	v_sub_u32_e32 v1, v1, v2
	v_add_u32_e32 v2, v0, v5
	v_lshrrev_b32_e32 v2, s24, v2
	v_mul_hi_u32 v7, s26, v2
	v_mul_lo_u32 v9, v2, s22
	v_mul_lo_u32 v5, v1, s10
	;; [unrolled: 1-line block ×3, first 2 shown]
	v_sub_u32_e32 v9, v0, v9
	v_add_u32_e32 v0, v2, v7
	v_lshrrev_b32_e32 v0, s27, v0
	v_mul_lo_u32 v7, v0, s25
	v_mul_lo_u32 v10, v9, s12
	;; [unrolled: 1-line block ×3, first 2 shown]
	v_add3_u32 v3, v3, v6, v5
	v_sub_u32_e32 v2, v2, v7
	v_mul_lo_u32 v7, v2, s14
	v_mul_lo_u32 v2, v2, s15
	v_add3_u32 v1, v4, v13, v1
	v_add3_u32 v6, v10, v3, v7
	v_add3_u32 v13, v9, v1, v2
	s_cbranch_scc1 .LBB57_1115
; %bb.1116:
	s_and_b32 s10, s37, 3
	s_cmp_eq_u32 s10, 0
	s_cbranch_scc0 .LBB57_1120
	s_branch .LBB57_1122
.LBB57_1117:
                                        ; implicit-def: $vgpr6
                                        ; implicit-def: $vgpr13
	s_branch .LBB57_1123
.LBB57_1118:
	v_mov_b32_e32 v6, 0
	v_mov_b32_e32 v13, 0
	s_branch .LBB57_1122
.LBB57_1119:
	v_mov_b32_e32 v6, 0
	v_mov_b32_e32 v13, 0
	;; [unrolled: 1-line block ×3, first 2 shown]
	s_and_b32 s10, s37, 3
	s_cmp_eq_u32 s10, 0
	s_cbranch_scc1 .LBB57_1122
.LBB57_1120:
	s_lshl_b32 s2, s36, 3
	s_add_u32 s2, s34, s2
	s_addc_u32 s3, s35, 0
	s_add_u32 s2, s2, 0xc4
	s_addc_u32 s3, s3, 0
	s_mul_i32 s8, s36, 12
	s_add_u32 s8, s34, s8
	s_addc_u32 s9, s35, 0
.LBB57_1121:                            ; =>This Inner Loop Header: Depth=1
	s_load_dwordx2 s[12:13], s[8:9], 0x4
	s_load_dword s11, s[8:9], 0xc
	s_load_dwordx2 s[14:15], s[2:3], 0x0
	s_add_u32 s8, s8, 12
	s_addc_u32 s9, s9, 0
	s_waitcnt lgkmcnt(0)
	v_mul_hi_u32 v1, s13, v0
	s_add_u32 s2, s2, 8
	s_addc_u32 s3, s3, 0
	s_add_i32 s10, s10, -1
	v_add_u32_e32 v1, v0, v1
	v_lshrrev_b32_e32 v1, s11, v1
	v_mul_lo_u32 v2, v1, s12
	s_cmp_lg_u32 s10, 0
	v_sub_u32_e32 v0, v0, v2
	v_mad_u64_u32 v[6:7], s[12:13], v0, s14, v[6:7]
	v_mad_u64_u32 v[13:14], s[12:13], v0, s15, v[13:14]
	v_mov_b32_e32 v0, v1
	s_cbranch_scc1 .LBB57_1121
.LBB57_1122:
	s_cbranch_execnz .LBB57_1125
.LBB57_1123:
	s_load_dwordx4 s[8:11], s[34:35], 0x4
	s_load_dwordx2 s[2:3], s[34:35], 0xc4
	s_cmp_lt_u32 s33, 2
	s_waitcnt lgkmcnt(0)
	v_mul_hi_u32 v0, s9, v8
	v_add_u32_e32 v0, v8, v0
	v_lshrrev_b32_e32 v0, s10, v0
	v_mul_lo_u32 v1, v0, s8
	v_sub_u32_e32 v1, v8, v1
	v_mul_lo_u32 v6, v1, s2
	v_mul_lo_u32 v13, v1, s3
	s_cbranch_scc1 .LBB57_1125
; %bb.1124:
	s_load_dwordx4 s[8:11], s[34:35], 0x10
	s_load_dwordx2 s[2:3], s[34:35], 0xcc
	s_waitcnt lgkmcnt(0)
	v_mul_hi_u32 v1, s9, v0
	v_add_u32_e32 v1, v0, v1
	v_lshrrev_b32_e32 v1, s10, v1
	v_mul_lo_u32 v1, v1, s8
	v_sub_u32_e32 v0, v0, v1
	v_mad_u64_u32 v[6:7], s[8:9], v0, s2, v[6:7]
	v_mad_u64_u32 v[13:14], s[2:3], v0, s3, v[13:14]
.LBB57_1125:
	s_and_b64 vcc, exec, s[0:1]
	v_add_u32_e32 v0, 0x80, v8
	s_cbranch_vccnz .LBB57_1131
; %bb.1126:
	s_cmp_lg_u32 s33, 0
	s_mov_b32 s36, 0
	s_cbranch_scc0 .LBB57_1132
; %bb.1127:
	s_min_u32 s37, s72, 15
	s_add_i32 s37, s37, 1
	s_cmp_eq_u32 s72, 2
	s_cbranch_scc1 .LBB57_1133
; %bb.1128:
	s_and_b32 s36, s37, 28
	s_add_u32 s2, s34, 0xc4
	s_addc_u32 s3, s35, 0
	v_mov_b32_e32 v11, 0
	s_mov_b32 s38, 0
	s_mov_b64 s[30:31], s[34:35]
	s_waitcnt vmcnt(0)
	v_mov_b32_e32 v4, 0
	v_mov_b32_e32 v1, v0
.LBB57_1129:                            ; =>This Inner Loop Header: Depth=1
	s_load_dwordx8 s[16:23], s[30:31], 0x4
	s_load_dwordx4 s[24:27], s[30:31], 0x24
	s_load_dwordx8 s[8:15], s[2:3], 0x0
	s_add_u32 s30, s30, 48
	s_addc_u32 s31, s31, 0
	s_waitcnt lgkmcnt(0)
	v_mul_hi_u32 v2, s17, v1
	s_add_i32 s38, s38, 4
	s_add_u32 s2, s2, 32
	s_addc_u32 s3, s3, 0
	v_add_u32_e32 v2, v1, v2
	v_lshrrev_b32_e32 v2, s18, v2
	v_mul_lo_u32 v3, v2, s16
	v_mul_hi_u32 v5, s20, v2
	s_cmp_lg_u32 s36, s38
	v_sub_u32_e32 v1, v1, v3
	v_add_u32_e32 v3, v2, v5
	v_mul_lo_u32 v5, v1, s8
	v_mul_lo_u32 v7, v1, s9
	v_lshrrev_b32_e32 v1, s21, v3
	v_mul_lo_u32 v3, v1, s19
	v_mul_hi_u32 v9, s23, v1
	v_sub_u32_e32 v2, v2, v3
	v_add_u32_e32 v3, v1, v9
	v_lshrrev_b32_e32 v3, s24, v3
	v_mul_hi_u32 v10, s26, v3
	v_mul_lo_u32 v12, v3, s22
	v_mul_lo_u32 v9, v2, s10
	v_mul_lo_u32 v2, v2, s11
	v_sub_u32_e32 v12, v1, v12
	v_add_u32_e32 v1, v3, v10
	v_lshrrev_b32_e32 v1, s27, v1
	v_mul_lo_u32 v10, v1, s25
	v_mul_lo_u32 v14, v12, s12
	;; [unrolled: 1-line block ×3, first 2 shown]
	v_add3_u32 v4, v5, v4, v9
	v_sub_u32_e32 v3, v3, v10
	v_mul_lo_u32 v10, v3, s14
	v_mul_lo_u32 v3, v3, s15
	v_add3_u32 v2, v7, v11, v2
	v_add3_u32 v4, v14, v4, v10
	v_add3_u32 v11, v12, v2, v3
	s_cbranch_scc1 .LBB57_1129
; %bb.1130:
	s_and_b32 s10, s37, 3
	s_cmp_eq_u32 s10, 0
	s_cbranch_scc0 .LBB57_1134
	s_branch .LBB57_1136
.LBB57_1131:
                                        ; implicit-def: $vgpr4
                                        ; implicit-def: $vgpr11
	s_branch .LBB57_1137
.LBB57_1132:
	s_waitcnt vmcnt(0)
	v_mov_b32_e32 v4, 0
	v_mov_b32_e32 v11, 0
	s_branch .LBB57_1136
.LBB57_1133:
	s_waitcnt vmcnt(0)
	v_mov_b32_e32 v4, 0
	v_mov_b32_e32 v11, 0
	;; [unrolled: 1-line block ×3, first 2 shown]
	s_and_b32 s10, s37, 3
	s_cmp_eq_u32 s10, 0
	s_cbranch_scc1 .LBB57_1136
.LBB57_1134:
	s_lshl_b32 s2, s36, 3
	s_add_u32 s2, s34, s2
	s_addc_u32 s3, s35, 0
	s_add_u32 s2, s2, 0xc4
	s_addc_u32 s3, s3, 0
	s_mul_i32 s8, s36, 12
	s_add_u32 s8, s34, s8
	s_addc_u32 s9, s35, 0
.LBB57_1135:                            ; =>This Inner Loop Header: Depth=1
	s_load_dwordx2 s[12:13], s[8:9], 0x4
	s_load_dword s11, s[8:9], 0xc
	s_load_dwordx2 s[14:15], s[2:3], 0x0
	s_add_u32 s8, s8, 12
	s_addc_u32 s9, s9, 0
	s_waitcnt lgkmcnt(0)
	v_mul_hi_u32 v2, s13, v1
	s_add_u32 s2, s2, 8
	s_addc_u32 s3, s3, 0
	s_add_i32 s10, s10, -1
	v_add_u32_e32 v2, v1, v2
	v_lshrrev_b32_e32 v2, s11, v2
	v_mul_lo_u32 v3, v2, s12
	s_cmp_lg_u32 s10, 0
	v_sub_u32_e32 v1, v1, v3
	v_mad_u64_u32 v[4:5], s[12:13], v1, s14, v[4:5]
	v_mad_u64_u32 v[11:12], s[12:13], v1, s15, v[11:12]
	v_mov_b32_e32 v1, v2
	s_cbranch_scc1 .LBB57_1135
.LBB57_1136:
	s_cbranch_execnz .LBB57_1139
.LBB57_1137:
	s_load_dwordx4 s[8:11], s[34:35], 0x4
	s_load_dwordx2 s[2:3], s[34:35], 0xc4
	s_cmp_lt_u32 s33, 2
	s_waitcnt lgkmcnt(0)
	v_mul_hi_u32 v1, s9, v0
	v_add_u32_e32 v1, v0, v1
	v_lshrrev_b32_e32 v1, s10, v1
	v_mul_lo_u32 v2, v1, s8
	v_sub_u32_e32 v0, v0, v2
	s_waitcnt vmcnt(0)
	v_mul_lo_u32 v4, v0, s2
	v_mul_lo_u32 v11, v0, s3
	s_cbranch_scc1 .LBB57_1139
; %bb.1138:
	s_load_dwordx4 s[8:11], s[34:35], 0x10
	s_load_dwordx2 s[2:3], s[34:35], 0xcc
	s_waitcnt lgkmcnt(0)
	v_mul_hi_u32 v0, s9, v1
	v_add_u32_e32 v0, v1, v0
	v_lshrrev_b32_e32 v0, s10, v0
	v_mul_lo_u32 v0, v0, s8
	v_sub_u32_e32 v0, v1, v0
	v_mad_u64_u32 v[4:5], s[8:9], v0, s2, v[4:5]
	v_mad_u64_u32 v[11:12], s[2:3], v0, s3, v[11:12]
.LBB57_1139:
	s_and_b64 vcc, exec, s[0:1]
	v_add_u32_e32 v0, 0x100, v8
	s_cbranch_vccnz .LBB57_1145
; %bb.1140:
	s_cmp_lg_u32 s33, 0
	s_mov_b32 s36, 0
	s_cbranch_scc0 .LBB57_1146
; %bb.1141:
	s_min_u32 s37, s72, 15
	s_add_i32 s37, s37, 1
	s_cmp_eq_u32 s72, 2
	s_cbranch_scc1 .LBB57_1147
; %bb.1142:
	s_and_b32 s36, s37, 28
	s_add_u32 s2, s34, 0xc4
	s_addc_u32 s3, s35, 0
	v_mov_b32_e32 v9, 0
	s_mov_b32 s38, 0
	s_mov_b64 s[30:31], s[34:35]
	v_mov_b32_e32 v2, 0
	v_mov_b32_e32 v1, v0
.LBB57_1143:                            ; =>This Inner Loop Header: Depth=1
	s_load_dwordx8 s[16:23], s[30:31], 0x4
	s_load_dwordx4 s[24:27], s[30:31], 0x24
	s_load_dwordx8 s[8:15], s[2:3], 0x0
	s_add_u32 s30, s30, 48
	s_addc_u32 s31, s31, 0
	s_waitcnt vmcnt(0) lgkmcnt(0)
	v_mul_hi_u32 v3, s17, v1
	s_add_i32 s38, s38, 4
	s_add_u32 s2, s2, 32
	s_addc_u32 s3, s3, 0
	v_add_u32_e32 v3, v1, v3
	v_lshrrev_b32_e32 v3, s18, v3
	v_mul_lo_u32 v5, v3, s16
	v_mul_hi_u32 v7, s20, v3
	s_cmp_lg_u32 s36, s38
	v_sub_u32_e32 v1, v1, v5
	v_add_u32_e32 v5, v3, v7
	v_mul_lo_u32 v7, v1, s8
	v_mul_lo_u32 v8, v1, s9
	v_lshrrev_b32_e32 v1, s21, v5
	v_mul_lo_u32 v5, v1, s19
	v_mul_hi_u32 v10, s23, v1
	v_sub_u32_e32 v3, v3, v5
	v_add_u32_e32 v5, v1, v10
	v_lshrrev_b32_e32 v5, s24, v5
	v_mul_hi_u32 v12, s26, v5
	v_mul_lo_u32 v14, v5, s22
	v_mul_lo_u32 v10, v3, s10
	;; [unrolled: 1-line block ×3, first 2 shown]
	v_sub_u32_e32 v14, v1, v14
	v_add_u32_e32 v1, v5, v12
	v_lshrrev_b32_e32 v1, s27, v1
	v_mul_lo_u32 v12, v1, s25
	v_mul_lo_u32 v16, v14, s12
	v_mul_lo_u32 v14, v14, s13
	v_add3_u32 v2, v7, v2, v10
	v_sub_u32_e32 v5, v5, v12
	v_mul_lo_u32 v12, v5, s14
	v_mul_lo_u32 v5, v5, s15
	v_add3_u32 v3, v8, v9, v3
	v_add3_u32 v2, v16, v2, v12
	;; [unrolled: 1-line block ×3, first 2 shown]
	s_cbranch_scc1 .LBB57_1143
; %bb.1144:
	s_and_b32 s10, s37, 3
	s_cmp_eq_u32 s10, 0
	s_cbranch_scc0 .LBB57_1148
	s_branch .LBB57_1150
.LBB57_1145:
                                        ; implicit-def: $vgpr2
                                        ; implicit-def: $vgpr9
	s_branch .LBB57_1151
.LBB57_1146:
	v_mov_b32_e32 v2, 0
	v_mov_b32_e32 v9, 0
	s_branch .LBB57_1150
.LBB57_1147:
	v_mov_b32_e32 v2, 0
	v_mov_b32_e32 v9, 0
	;; [unrolled: 1-line block ×3, first 2 shown]
	s_and_b32 s10, s37, 3
	s_cmp_eq_u32 s10, 0
	s_cbranch_scc1 .LBB57_1150
.LBB57_1148:
	s_lshl_b32 s2, s36, 3
	s_add_u32 s2, s34, s2
	s_addc_u32 s3, s35, 0
	s_add_u32 s2, s2, 0xc4
	s_addc_u32 s3, s3, 0
	s_mul_i32 s8, s36, 12
	s_add_u32 s8, s34, s8
	s_addc_u32 s9, s35, 0
.LBB57_1149:                            ; =>This Inner Loop Header: Depth=1
	s_load_dwordx2 s[12:13], s[8:9], 0x4
	s_load_dword s11, s[8:9], 0xc
	s_load_dwordx2 s[14:15], s[2:3], 0x0
	s_add_u32 s8, s8, 12
	s_addc_u32 s9, s9, 0
	s_waitcnt vmcnt(0) lgkmcnt(0)
	v_mul_hi_u32 v3, s13, v1
	s_add_u32 s2, s2, 8
	s_addc_u32 s3, s3, 0
	s_add_i32 s10, s10, -1
	v_add_u32_e32 v3, v1, v3
	v_lshrrev_b32_e32 v5, s11, v3
	v_mul_lo_u32 v3, v5, s12
	s_cmp_lg_u32 s10, 0
	v_sub_u32_e32 v1, v1, v3
	v_mad_u64_u32 v[2:3], s[12:13], v1, s14, v[2:3]
	v_mad_u64_u32 v[9:10], s[12:13], v1, s15, v[9:10]
	v_mov_b32_e32 v1, v5
	s_cbranch_scc1 .LBB57_1149
.LBB57_1150:
	s_cbranch_execnz .LBB57_1153
.LBB57_1151:
	s_load_dwordx4 s[8:11], s[34:35], 0x4
	s_load_dwordx2 s[2:3], s[34:35], 0xc4
	s_cmp_lt_u32 s33, 2
	s_waitcnt lgkmcnt(0)
	v_mul_hi_u32 v1, s9, v0
	v_add_u32_e32 v1, v0, v1
	v_lshrrev_b32_e32 v1, s10, v1
	v_mul_lo_u32 v2, v1, s8
	v_sub_u32_e32 v0, v0, v2
	v_mul_lo_u32 v2, v0, s2
	v_mul_lo_u32 v9, v0, s3
	s_cbranch_scc1 .LBB57_1153
; %bb.1152:
	s_load_dwordx4 s[8:11], s[34:35], 0x10
	s_load_dwordx2 s[2:3], s[34:35], 0xcc
	s_waitcnt lgkmcnt(0)
	v_mul_hi_u32 v0, s9, v1
	v_add_u32_e32 v0, v1, v0
	v_lshrrev_b32_e32 v0, s10, v0
	v_mul_lo_u32 v0, v0, s8
	v_sub_u32_e32 v0, v1, v0
	s_waitcnt vmcnt(0)
	v_mad_u64_u32 v[2:3], s[8:9], v0, s2, v[2:3]
	v_mad_u64_u32 v[9:10], s[2:3], v0, s3, v[9:10]
.LBB57_1153:
	s_and_b64 vcc, exec, s[0:1]
	s_cbranch_vccnz .LBB57_1159
; %bb.1154:
	s_cmp_lg_u32 s33, 0
	s_mov_b32 s30, 0
	s_cbranch_scc0 .LBB57_1160
; %bb.1155:
	s_min_u32 s31, s72, 15
	s_add_i32 s31, s31, 1
	s_cmp_eq_u32 s72, 2
	s_cbranch_scc1 .LBB57_1161
; %bb.1156:
	s_and_b32 s30, s31, 28
	s_add_u32 s24, s34, 0xc4
	s_addc_u32 s25, s35, 0
	v_mov_b32_e32 v7, 0
	s_mov_b32 s36, 0
	s_mov_b64 s[26:27], s[34:35]
	v_mov_b32_e32 v0, 0
	v_mov_b32_e32 v1, v15
.LBB57_1157:                            ; =>This Inner Loop Header: Depth=1
	s_load_dwordx8 s[16:23], s[26:27], 0x4
	s_load_dwordx4 s[0:3], s[26:27], 0x24
	s_load_dwordx8 s[8:15], s[24:25], 0x0
	s_add_u32 s26, s26, 48
	s_addc_u32 s27, s27, 0
	s_waitcnt vmcnt(0) lgkmcnt(0)
	v_mul_hi_u32 v3, s17, v1
	s_add_i32 s36, s36, 4
	s_add_u32 s24, s24, 32
	s_addc_u32 s25, s25, 0
	v_add_u32_e32 v3, v1, v3
	v_lshrrev_b32_e32 v3, s18, v3
	v_mul_lo_u32 v5, v3, s16
	v_mul_hi_u32 v8, s20, v3
	s_cmp_lg_u32 s30, s36
	v_sub_u32_e32 v1, v1, v5
	v_add_u32_e32 v5, v3, v8
	v_mul_lo_u32 v8, v1, s8
	v_mul_lo_u32 v10, v1, s9
	v_lshrrev_b32_e32 v1, s21, v5
	v_mul_lo_u32 v5, v1, s19
	v_mul_hi_u32 v12, s23, v1
	v_sub_u32_e32 v3, v3, v5
	v_add_u32_e32 v5, v1, v12
	v_lshrrev_b32_e32 v5, s0, v5
	v_mul_hi_u32 v14, s2, v5
	v_mul_lo_u32 v16, v5, s22
	v_mul_lo_u32 v12, v3, s10
	;; [unrolled: 1-line block ×3, first 2 shown]
	v_sub_u32_e32 v16, v1, v16
	v_add_u32_e32 v1, v5, v14
	v_lshrrev_b32_e32 v1, s3, v1
	v_mul_lo_u32 v14, v1, s1
	v_mul_lo_u32 v17, v16, s12
	;; [unrolled: 1-line block ×3, first 2 shown]
	v_add3_u32 v0, v8, v0, v12
	v_sub_u32_e32 v5, v5, v14
	v_mul_lo_u32 v14, v5, s14
	v_mul_lo_u32 v5, v5, s15
	v_add3_u32 v3, v10, v7, v3
	v_add3_u32 v0, v17, v0, v14
	;; [unrolled: 1-line block ×3, first 2 shown]
	s_cbranch_scc1 .LBB57_1157
; %bb.1158:
	s_and_b32 s8, s31, 3
	s_cmp_eq_u32 s8, 0
	s_cbranch_scc0 .LBB57_1162
	s_branch .LBB57_1164
.LBB57_1159:
                                        ; implicit-def: $vgpr0
                                        ; implicit-def: $vgpr7
	s_branch .LBB57_1165
.LBB57_1160:
	v_mov_b32_e32 v0, 0
	v_mov_b32_e32 v7, 0
	s_branch .LBB57_1164
.LBB57_1161:
	v_mov_b32_e32 v0, 0
	v_mov_b32_e32 v7, 0
	;; [unrolled: 1-line block ×3, first 2 shown]
	s_and_b32 s8, s31, 3
	s_cmp_eq_u32 s8, 0
	s_cbranch_scc1 .LBB57_1164
.LBB57_1162:
	s_lshl_b32 s0, s30, 3
	s_add_u32 s0, s34, s0
	s_addc_u32 s1, s35, 0
	s_add_u32 s0, s0, 0xc4
	s_addc_u32 s1, s1, 0
	s_mul_i32 s2, s30, 12
	s_add_u32 s2, s34, s2
	s_addc_u32 s3, s35, 0
.LBB57_1163:                            ; =>This Inner Loop Header: Depth=1
	s_load_dwordx2 s[10:11], s[2:3], 0x4
	s_load_dword s9, s[2:3], 0xc
	s_load_dwordx2 s[12:13], s[0:1], 0x0
	s_add_u32 s2, s2, 12
	s_addc_u32 s3, s3, 0
	s_waitcnt vmcnt(0) lgkmcnt(0)
	v_mul_hi_u32 v3, s11, v1
	s_add_u32 s0, s0, 8
	s_addc_u32 s1, s1, 0
	s_add_i32 s8, s8, -1
	v_add_u32_e32 v3, v1, v3
	v_lshrrev_b32_e32 v3, s9, v3
	v_mul_lo_u32 v5, v3, s10
	s_cmp_lg_u32 s8, 0
	v_sub_u32_e32 v5, v1, v5
	v_mad_u64_u32 v[0:1], s[10:11], v5, s12, v[0:1]
	v_mad_u64_u32 v[7:8], s[10:11], v5, s13, v[7:8]
	v_mov_b32_e32 v1, v3
	s_cbranch_scc1 .LBB57_1163
.LBB57_1164:
	s_cbranch_execnz .LBB57_1167
.LBB57_1165:
	s_load_dwordx4 s[0:3], s[34:35], 0x4
	s_load_dwordx2 s[8:9], s[34:35], 0xc4
	s_cmp_lt_u32 s33, 2
	s_waitcnt lgkmcnt(0)
	v_mul_hi_u32 v0, s1, v15
	v_add_u32_e32 v0, v15, v0
	v_lshrrev_b32_e32 v1, s2, v0
	v_mul_lo_u32 v0, v1, s0
	s_waitcnt vmcnt(0)
	v_sub_u32_e32 v3, v15, v0
	v_mul_lo_u32 v0, v3, s8
	v_mul_lo_u32 v7, v3, s9
	s_cbranch_scc1 .LBB57_1167
; %bb.1166:
	s_load_dwordx4 s[0:3], s[34:35], 0x10
	s_load_dwordx2 s[8:9], s[34:35], 0xcc
	s_waitcnt lgkmcnt(0)
	v_mul_hi_u32 v3, s1, v1
	v_add_u32_e32 v3, v1, v3
	v_lshrrev_b32_e32 v3, s2, v3
	v_mul_lo_u32 v3, v3, s0
	v_sub_u32_e32 v3, v1, v3
	v_mad_u64_u32 v[0:1], s[0:1], v3, s8, v[0:1]
	v_mad_u64_u32 v[7:8], s[0:1], v3, s9, v[7:8]
.LBB57_1167:
	s_load_dwordx4 s[8:11], s[34:35], 0x148
	s_load_dword s18, s[4:5], 0x160
	s_waitcnt lgkmcnt(0)
	v_mov_b32_e32 v1, s11
	s_bfe_u32 s16, s18, 0x80010
	v_add_co_u32_e32 v12, vcc, s10, v13
	s_cmp_lt_i32 s16, 11
	v_addc_co_u32_e32 v13, vcc, 0, v1, vcc
	s_cbranch_scc1 .LBB57_1174
; %bb.1168:
	s_and_b32 s17, 0xffff, s16
	s_cmp_gt_i32 s17, 25
	s_mov_b64 s[2:3], 0
	s_cbranch_scc0 .LBB57_1176
; %bb.1169:
	s_cmp_gt_i32 s17, 28
	s_cbranch_scc0 .LBB57_1177
; %bb.1170:
	s_cmp_gt_i32 s17, 43
	;; [unrolled: 3-line block ×3, first 2 shown]
	s_cbranch_scc0 .LBB57_1179
; %bb.1172:
	s_cmp_eq_u32 s17, 46
	s_mov_b64 s[12:13], 0
	s_cbranch_scc0 .LBB57_1182
; %bb.1173:
	global_load_dword v1, v[12:13], off
	s_mov_b64 s[0:1], 0
	s_mov_b64 s[4:5], -1
	s_waitcnt vmcnt(0)
	v_lshlrev_b32_e32 v1, 16, v1
	s_branch .LBB57_1183
.LBB57_1174:
	s_mov_b64 s[4:5], 0
                                        ; implicit-def: $vgpr1
	s_mov_b64 s[12:13], s[6:7]
	s_cbranch_execnz .LBB57_1246
.LBB57_1175:
	s_andn2_b64 vcc, exec, s[4:5]
	s_cbranch_vccz .LBB57_1291
	s_branch .LBB57_2136
.LBB57_1176:
	s_mov_b64 s[4:5], 0
	s_mov_b64 s[0:1], 0
                                        ; implicit-def: $vgpr1
	s_cbranch_execnz .LBB57_1211
	s_branch .LBB57_1242
.LBB57_1177:
	s_mov_b64 s[12:13], -1
	s_mov_b64 s[4:5], 0
	s_mov_b64 s[0:1], 0
                                        ; implicit-def: $vgpr1
	s_branch .LBB57_1192
.LBB57_1178:
	s_mov_b64 s[4:5], 0
	s_mov_b64 s[0:1], 0
                                        ; implicit-def: $vgpr1
	s_cbranch_execnz .LBB57_1188
	s_branch .LBB57_1191
.LBB57_1179:
	s_mov_b64 s[12:13], -1
	s_mov_b64 s[4:5], 0
	s_mov_b64 s[0:1], 0
                                        ; implicit-def: $vgpr1
	s_branch .LBB57_1183
.LBB57_1180:
	s_andn2_saveexec_b64 s[12:13], s[12:13]
	s_cbranch_execz .LBB57_1023
.LBB57_1181:
	s_mov_b32 s14, 0x46000000
	v_add_f32_e64 v0, |v3|, s14
	v_and_b32_e32 v0, 0xff, v0
	v_cmp_ne_u32_e32 vcc, 0, v0
	s_andn2_b64 s[6:7], s[6:7], exec
	s_and_b64 s[14:15], vcc, exec
	s_or_b64 s[6:7], s[6:7], s[14:15]
	s_or_b64 exec, exec, s[12:13]
	v_mov_b32_e32 v4, 0
	s_and_saveexec_b64 s[12:13], s[6:7]
	s_cbranch_execnz .LBB57_1024
	s_branch .LBB57_1025
.LBB57_1182:
	s_mov_b64 s[0:1], -1
                                        ; implicit-def: $vgpr1
	s_mov_b64 s[4:5], 0
.LBB57_1183:
	s_and_b64 vcc, exec, s[12:13]
	s_cbranch_vccz .LBB57_1186
; %bb.1184:
	s_cmp_eq_u32 s17, 44
	s_cbranch_scc0 .LBB57_1187
; %bb.1185:
	global_load_ubyte v1, v[12:13], off
	s_movk_i32 s4, 0xff
	s_waitcnt vmcnt(1)
	v_mov_b32_e32 v3, 0x7f800001
	v_mov_b32_e32 v5, 0x400000
	s_mov_b64 s[0:1], 0
	s_waitcnt vmcnt(0)
	v_lshlrev_b32_e32 v8, 23, v1
	v_cmp_ne_u32_e32 vcc, s4, v1
	v_cndmask_b32_e32 v3, v3, v8, vcc
	v_cmp_ne_u32_e32 vcc, 0, v1
	v_cndmask_b32_e32 v1, v5, v3, vcc
	s_mov_b64 s[4:5], -1
.LBB57_1186:
	s_branch .LBB57_1191
.LBB57_1187:
	s_mov_b64 s[0:1], -1
                                        ; implicit-def: $vgpr1
	s_branch .LBB57_1191
.LBB57_1188:
	s_cmp_eq_u32 s17, 29
	s_cbranch_scc0 .LBB57_1190
; %bb.1189:
	global_load_dwordx2 v[14:15], v[12:13], off
	s_mov_b64 s[0:1], 0
	s_mov_b64 s[4:5], -1
	s_mov_b64 s[12:13], 0
	s_waitcnt vmcnt(0)
	v_ffbh_u32_e32 v1, v15
	v_min_u32_e32 v1, 32, v1
	v_lshlrev_b64 v[14:15], v1, v[14:15]
	v_sub_u32_e32 v1, 32, v1
	v_min_u32_e32 v3, 1, v14
	v_or_b32_e32 v3, v15, v3
	v_cvt_f32_u32_e32 v3, v3
	v_ldexp_f32 v1, v3, v1
	s_branch .LBB57_1192
.LBB57_1190:
	s_mov_b64 s[0:1], -1
                                        ; implicit-def: $vgpr1
.LBB57_1191:
	s_mov_b64 s[12:13], 0
.LBB57_1192:
	s_and_b64 vcc, exec, s[12:13]
	s_cbranch_vccz .LBB57_1210
; %bb.1193:
	s_cmp_lt_i32 s17, 27
	s_cbranch_scc1 .LBB57_1196
; %bb.1194:
	s_cmp_gt_i32 s17, 27
	s_cbranch_scc0 .LBB57_1197
; %bb.1195:
	global_load_dword v1, v[12:13], off
	s_mov_b64 s[4:5], 0
	s_waitcnt vmcnt(0)
	v_cvt_f32_u32_e32 v1, v1
	s_branch .LBB57_1198
.LBB57_1196:
	s_mov_b64 s[4:5], -1
                                        ; implicit-def: $vgpr1
	s_branch .LBB57_1201
.LBB57_1197:
	s_mov_b64 s[4:5], -1
                                        ; implicit-def: $vgpr1
.LBB57_1198:
	s_andn2_b64 vcc, exec, s[4:5]
	s_cbranch_vccnz .LBB57_1200
; %bb.1199:
	global_load_ushort v1, v[12:13], off
	s_waitcnt vmcnt(0)
	v_cvt_f32_u32_e32 v1, v1
.LBB57_1200:
	s_mov_b64 s[4:5], 0
.LBB57_1201:
	s_andn2_b64 vcc, exec, s[4:5]
	s_cbranch_vccnz .LBB57_1209
; %bb.1202:
	global_load_ubyte v3, v[12:13], off
	s_movk_i32 s4, 0x7f
	s_waitcnt vmcnt(0)
	v_cmp_lt_i16_e32 vcc, s4, v3
	s_mov_b64 s[4:5], 0
	s_and_saveexec_b64 s[12:13], vcc
	s_xor_b64 s[12:13], exec, s[12:13]
	s_cbranch_execz .LBB57_1222
; %bb.1203:
	s_movk_i32 s4, 0x80
	v_cmp_eq_u16_e32 vcc, s4, v3
	s_mov_b64 s[4:5], -1
	s_and_saveexec_b64 s[14:15], vcc
; %bb.1204:
	s_xor_b64 s[4:5], exec, -1
; %bb.1205:
	s_or_b64 exec, exec, s[14:15]
	s_and_b64 s[4:5], s[4:5], exec
	s_or_saveexec_b64 s[12:13], s[12:13]
	v_mov_b32_e32 v1, 0x7f800001
	s_xor_b64 exec, exec, s[12:13]
	s_cbranch_execnz .LBB57_1223
.LBB57_1206:
	s_or_b64 exec, exec, s[12:13]
	s_and_saveexec_b64 s[12:13], s[4:5]
	s_cbranch_execz .LBB57_1208
.LBB57_1207:
	v_lshlrev_b32_e32 v1, 24, v3
	v_and_b32_e32 v3, 0xffff, v3
	v_and_b32_e32 v5, 7, v3
	v_ffbh_u32_e32 v10, v5
	v_min_u32_e32 v10, 32, v10
	v_subrev_u32_e32 v14, 28, v10
	v_bfe_u32 v8, v3, 3, 4
	v_lshlrev_b32_e32 v3, v14, v3
	v_sub_u32_e32 v10, 29, v10
	v_and_b32_e32 v3, 7, v3
	v_cmp_eq_u32_e32 vcc, 0, v8
	v_cndmask_b32_e32 v8, v8, v10, vcc
	v_cndmask_b32_e32 v3, v5, v3, vcc
	v_mov_b32_e32 v5, 0x3b800000
	v_lshlrev_b32_e32 v3, 20, v3
	v_and_b32_e32 v1, 0x80000000, v1
	v_lshl_add_u32 v5, v8, 23, v5
	v_or3_b32 v1, v1, v5, v3
.LBB57_1208:
	s_or_b64 exec, exec, s[12:13]
.LBB57_1209:
	s_mov_b64 s[4:5], -1
.LBB57_1210:
	s_branch .LBB57_1242
.LBB57_1211:
	s_cmp_gt_i32 s17, 22
	s_cbranch_scc0 .LBB57_1221
; %bb.1212:
	s_cmp_lt_i32 s17, 24
	s_cbranch_scc1 .LBB57_1224
; %bb.1213:
	s_cmp_gt_i32 s17, 24
	s_cbranch_scc0 .LBB57_1225
; %bb.1214:
	global_load_ubyte v3, v[12:13], off
	s_movk_i32 s2, 0x7f
	s_waitcnt vmcnt(0)
	v_cmp_lt_i16_e32 vcc, s2, v3
	s_mov_b64 s[2:3], 0
	s_and_saveexec_b64 s[4:5], vcc
	s_xor_b64 s[4:5], exec, s[4:5]
	s_cbranch_execz .LBB57_1236
; %bb.1215:
	s_movk_i32 s2, 0x80
	v_cmp_eq_u16_e32 vcc, s2, v3
	s_mov_b64 s[2:3], -1
	s_and_saveexec_b64 s[12:13], vcc
; %bb.1216:
	s_xor_b64 s[2:3], exec, -1
; %bb.1217:
	s_or_b64 exec, exec, s[12:13]
	s_and_b64 s[2:3], s[2:3], exec
	s_or_saveexec_b64 s[4:5], s[4:5]
	v_mov_b32_e32 v1, 0x7f800001
	s_xor_b64 exec, exec, s[4:5]
	s_cbranch_execnz .LBB57_1237
.LBB57_1218:
	s_or_b64 exec, exec, s[4:5]
	s_and_saveexec_b64 s[4:5], s[2:3]
	s_cbranch_execz .LBB57_1220
.LBB57_1219:
	v_lshlrev_b32_e32 v1, 24, v3
	v_and_b32_e32 v3, 0xffff, v3
	v_and_b32_e32 v5, 3, v3
	v_ffbh_u32_e32 v10, v5
	v_min_u32_e32 v10, 32, v10
	v_subrev_u32_e32 v14, 29, v10
	v_bfe_u32 v8, v3, 2, 5
	v_lshlrev_b32_e32 v3, v14, v3
	v_sub_u32_e32 v10, 30, v10
	v_and_b32_e32 v3, 3, v3
	v_cmp_eq_u32_e32 vcc, 0, v8
	v_cndmask_b32_e32 v8, v8, v10, vcc
	v_cndmask_b32_e32 v3, v5, v3, vcc
	v_mov_b32_e32 v5, 0x37800000
	v_lshlrev_b32_e32 v3, 21, v3
	v_and_b32_e32 v1, 0x80000000, v1
	v_lshl_add_u32 v5, v8, 23, v5
	v_or3_b32 v1, v1, v5, v3
.LBB57_1220:
	s_or_b64 exec, exec, s[4:5]
	s_mov_b64 s[2:3], 0
	s_branch .LBB57_1226
.LBB57_1221:
                                        ; implicit-def: $vgpr1
	s_mov_b64 s[2:3], 0
	s_branch .LBB57_1232
.LBB57_1222:
	s_or_saveexec_b64 s[12:13], s[12:13]
	v_mov_b32_e32 v1, 0x7f800001
	s_xor_b64 exec, exec, s[12:13]
	s_cbranch_execz .LBB57_1206
.LBB57_1223:
	v_cmp_ne_u16_e32 vcc, 0, v3
	s_andn2_b64 s[4:5], s[4:5], exec
	s_and_b64 s[14:15], vcc, exec
	v_mov_b32_e32 v1, 0
	s_or_b64 s[4:5], s[4:5], s[14:15]
	s_or_b64 exec, exec, s[12:13]
	s_and_saveexec_b64 s[12:13], s[4:5]
	s_cbranch_execnz .LBB57_1207
	s_branch .LBB57_1208
.LBB57_1224:
	s_mov_b64 s[2:3], -1
                                        ; implicit-def: $vgpr1
	s_branch .LBB57_1229
.LBB57_1225:
	s_mov_b64 s[2:3], -1
                                        ; implicit-def: $vgpr1
.LBB57_1226:
	s_and_b64 vcc, exec, s[2:3]
	s_cbranch_vccz .LBB57_1228
; %bb.1227:
	global_load_ubyte v1, v[12:13], off
	s_mov_b32 s2, 0x7f800000
	s_waitcnt vmcnt(0)
	v_lshlrev_b32_e32 v1, 24, v1
	v_and_b32_e32 v3, 0x7f000000, v1
	v_ffbh_u32_e32 v5, v3
	v_min_u32_e32 v5, 32, v5
	v_sub_u32_e64 v5, v5, 4 clamp
	v_lshlrev_b32_e32 v10, v5, v3
	v_lshlrev_b32_e32 v5, 23, v5
	v_lshrrev_b32_e32 v10, 4, v10
	v_add_u32_e32 v8, 0x1000000, v3
	v_sub_u32_e32 v5, v10, v5
	v_ashrrev_i32_e32 v8, 8, v8
	v_add_u32_e32 v5, 0x3c000000, v5
	v_and_or_b32 v5, v8, s2, v5
	v_cmp_ne_u32_e32 vcc, 0, v3
	v_cndmask_b32_e32 v3, 0, v5, vcc
	s_brev_b32 s2, 1
	v_and_or_b32 v1, v1, s2, v3
.LBB57_1228:
	s_mov_b64 s[2:3], 0
.LBB57_1229:
	s_andn2_b64 vcc, exec, s[2:3]
	s_cbranch_vccnz .LBB57_1231
; %bb.1230:
	global_load_ubyte v1, v[12:13], off
	s_movk_i32 s2, 0x7f00
	s_brev_b32 s3, 16
	s_waitcnt vmcnt(0)
	v_lshlrev_b16_e32 v3, 8, v1
	v_lshlrev_b32_e32 v1, 25, v1
	v_lshrrev_b32_e32 v5, 4, v1
	v_and_or_b32 v8, v3, s2, 0.5
	v_or_b32_e32 v5, 0x70000000, v5
	v_add_f32_e32 v8, -0.5, v8
	v_mul_f32_e32 v5, 0x7800000, v5
	v_cmp_gt_u32_e32 vcc, s3, v1
	v_bfe_i32 v3, v3, 0, 16
	v_cndmask_b32_e32 v1, v5, v8, vcc
	s_brev_b32 s2, 1
	v_and_or_b32 v1, v3, s2, v1
.LBB57_1231:
	s_mov_b64 s[4:5], -1
	s_mov_b64 s[2:3], 0
	s_cbranch_execnz .LBB57_1242
.LBB57_1232:
	s_cmp_gt_i32 s17, 14
	s_cbranch_scc0 .LBB57_1235
; %bb.1233:
	s_cmp_eq_u32 s17, 15
	s_cbranch_scc0 .LBB57_1238
; %bb.1234:
	global_load_ushort v1, v[12:13], off
	s_mov_b64 s[0:1], 0
	s_mov_b64 s[4:5], -1
	s_waitcnt vmcnt(0)
	v_lshlrev_b32_e32 v1, 16, v1
	s_branch .LBB57_1239
.LBB57_1235:
	s_mov_b64 s[12:13], -1
                                        ; implicit-def: $vgpr1
	s_branch .LBB57_1240
.LBB57_1236:
	s_or_saveexec_b64 s[4:5], s[4:5]
	v_mov_b32_e32 v1, 0x7f800001
	s_xor_b64 exec, exec, s[4:5]
	s_cbranch_execz .LBB57_1218
.LBB57_1237:
	v_cmp_ne_u16_e32 vcc, 0, v3
	s_andn2_b64 s[2:3], s[2:3], exec
	s_and_b64 s[12:13], vcc, exec
	v_mov_b32_e32 v1, 0
	s_or_b64 s[2:3], s[2:3], s[12:13]
	s_or_b64 exec, exec, s[4:5]
	s_and_saveexec_b64 s[4:5], s[2:3]
	s_cbranch_execnz .LBB57_1219
	s_branch .LBB57_1220
.LBB57_1238:
	s_mov_b64 s[0:1], -1
                                        ; implicit-def: $vgpr1
.LBB57_1239:
	s_mov_b64 s[12:13], 0
.LBB57_1240:
	s_and_b64 vcc, exec, s[12:13]
	s_cbranch_vccz .LBB57_1242
; %bb.1241:
	s_cmp_lg_u32 s17, 11
	s_mov_b64 s[2:3], -1
	s_cselect_b64 s[0:1], -1, 0
.LBB57_1242:
	s_and_b64 vcc, exec, s[0:1]
	s_mov_b64 s[12:13], s[6:7]
	s_cbranch_vccnz .LBB57_1309
; %bb.1243:
	s_andn2_b64 vcc, exec, s[2:3]
	s_cbranch_vccnz .LBB57_1245
.LBB57_1244:
	global_load_ubyte v1, v[12:13], off
	s_mov_b64 s[4:5], -1
	s_waitcnt vmcnt(0)
	v_cmp_ne_u16_e32 vcc, 0, v1
	v_cndmask_b32_e64 v1, 0, 1.0, vcc
.LBB57_1245:
	s_branch .LBB57_1175
.LBB57_1246:
	s_and_b32 s2, 0xffff, s16
	s_cmp_lt_i32 s2, 5
	s_cbranch_scc1 .LBB57_1251
; %bb.1247:
	s_cmp_lt_i32 s2, 8
	s_cbranch_scc1 .LBB57_1252
; %bb.1248:
	;; [unrolled: 3-line block ×3, first 2 shown]
	s_cmp_gt_i32 s2, 9
	s_cbranch_scc0 .LBB57_1254
; %bb.1250:
	global_load_dwordx2 v[14:15], v[12:13], off
	s_mov_b64 s[0:1], 0
	s_waitcnt vmcnt(0)
	v_cvt_f32_f64_e32 v1, v[14:15]
	s_branch .LBB57_1255
.LBB57_1251:
                                        ; implicit-def: $vgpr1
	s_branch .LBB57_1272
.LBB57_1252:
                                        ; implicit-def: $vgpr1
	s_branch .LBB57_1261
.LBB57_1253:
	s_mov_b64 s[0:1], -1
                                        ; implicit-def: $vgpr1
	s_branch .LBB57_1258
.LBB57_1254:
	s_mov_b64 s[0:1], -1
                                        ; implicit-def: $vgpr1
.LBB57_1255:
	s_andn2_b64 vcc, exec, s[0:1]
	s_cbranch_vccnz .LBB57_1257
; %bb.1256:
	global_load_dword v1, v[12:13], off
.LBB57_1257:
	s_mov_b64 s[0:1], 0
.LBB57_1258:
	s_andn2_b64 vcc, exec, s[0:1]
	s_cbranch_vccnz .LBB57_1260
; %bb.1259:
	global_load_dword v1, v[12:13], off
	s_waitcnt vmcnt(0)
	v_cvt_f32_f16_e32 v1, v1
.LBB57_1260:
	s_cbranch_execnz .LBB57_1271
.LBB57_1261:
	s_cmp_lt_i32 s2, 6
	s_cbranch_scc1 .LBB57_1264
; %bb.1262:
	s_cmp_gt_i32 s2, 6
	s_cbranch_scc0 .LBB57_1265
; %bb.1263:
	global_load_dwordx2 v[14:15], v[12:13], off
	s_mov_b64 s[0:1], 0
	s_waitcnt vmcnt(0)
	v_cvt_f32_f64_e32 v1, v[14:15]
	s_branch .LBB57_1266
.LBB57_1264:
	s_mov_b64 s[0:1], -1
                                        ; implicit-def: $vgpr1
	s_branch .LBB57_1269
.LBB57_1265:
	s_mov_b64 s[0:1], -1
                                        ; implicit-def: $vgpr1
.LBB57_1266:
	s_andn2_b64 vcc, exec, s[0:1]
	s_cbranch_vccnz .LBB57_1268
; %bb.1267:
	global_load_dword v1, v[12:13], off
.LBB57_1268:
	s_mov_b64 s[0:1], 0
.LBB57_1269:
	s_andn2_b64 vcc, exec, s[0:1]
	s_cbranch_vccnz .LBB57_1271
; %bb.1270:
	global_load_ushort v1, v[12:13], off
	s_waitcnt vmcnt(0)
	v_cvt_f32_f16_e32 v1, v1
.LBB57_1271:
	s_cbranch_execnz .LBB57_1290
.LBB57_1272:
	s_cmp_lt_i32 s2, 2
	s_cbranch_scc1 .LBB57_1276
; %bb.1273:
	s_cmp_lt_i32 s2, 3
	s_cbranch_scc1 .LBB57_1277
; %bb.1274:
	s_cmp_gt_i32 s2, 3
	s_cbranch_scc0 .LBB57_1278
; %bb.1275:
	global_load_dwordx2 v[14:15], v[12:13], off
	s_mov_b64 s[0:1], 0
	s_waitcnt vmcnt(0)
	v_xor_b32_e32 v3, v14, v15
	v_ffbh_i32_e32 v1, v15
	v_ashrrev_i32_e32 v3, 31, v3
	v_add_u32_e32 v1, -1, v1
	v_add_u32_e32 v3, 32, v3
	v_min_u32_e32 v1, v1, v3
	v_lshlrev_b64 v[14:15], v1, v[14:15]
	v_sub_u32_e32 v1, 32, v1
	v_min_u32_e32 v3, 1, v14
	v_or_b32_e32 v3, v15, v3
	v_cvt_f32_i32_e32 v3, v3
	v_ldexp_f32 v1, v3, v1
	s_branch .LBB57_1279
.LBB57_1276:
                                        ; implicit-def: $vgpr1
	s_branch .LBB57_1285
.LBB57_1277:
	s_mov_b64 s[0:1], -1
                                        ; implicit-def: $vgpr1
	s_branch .LBB57_1282
.LBB57_1278:
	s_mov_b64 s[0:1], -1
                                        ; implicit-def: $vgpr1
.LBB57_1279:
	s_andn2_b64 vcc, exec, s[0:1]
	s_cbranch_vccnz .LBB57_1281
; %bb.1280:
	global_load_dword v1, v[12:13], off
	s_waitcnt vmcnt(0)
	v_cvt_f32_i32_e32 v1, v1
.LBB57_1281:
	s_mov_b64 s[0:1], 0
.LBB57_1282:
	s_andn2_b64 vcc, exec, s[0:1]
	s_cbranch_vccnz .LBB57_1284
; %bb.1283:
	global_load_sshort v1, v[12:13], off
	s_waitcnt vmcnt(0)
	v_cvt_f32_i32_e32 v1, v1
.LBB57_1284:
	s_cbranch_execnz .LBB57_1290
.LBB57_1285:
	s_cmp_gt_i32 s2, 0
	s_cbranch_scc0 .LBB57_1287
; %bb.1286:
	global_load_sbyte v1, v[12:13], off
	s_mov_b64 s[0:1], 0
	s_waitcnt vmcnt(0)
	v_cvt_f32_i32_e32 v1, v1
	s_branch .LBB57_1288
.LBB57_1287:
	s_mov_b64 s[0:1], -1
                                        ; implicit-def: $vgpr1
.LBB57_1288:
	s_andn2_b64 vcc, exec, s[0:1]
	s_cbranch_vccnz .LBB57_1290
; %bb.1289:
	global_load_ubyte v1, v[12:13], off
	s_waitcnt vmcnt(0)
	v_cvt_f32_ubyte0_e32 v1, v1
.LBB57_1290:
.LBB57_1291:
	s_waitcnt vmcnt(0)
	v_cmp_gt_f32_e32 vcc, 0.5, v1
	v_mov_b32_e32 v12, 0
	v_mov_b32_e32 v5, 1.0
	s_and_saveexec_b64 s[14:15], vcc
	s_cbranch_execz .LBB57_1297
; %bb.1292:
	v_mul_f32_e32 v3, 0x40490fdb, v1
	s_brev_b32 s0, 18
	v_and_b32_e32 v5, 0x7fffffff, v3
	v_cmp_nlt_f32_e64 s[0:1], |v3|, s0
                                        ; implicit-def: $vgpr8
                                        ; implicit-def: $vgpr10
	s_and_saveexec_b64 s[2:3], s[0:1]
	s_xor_b64 s[16:17], exec, s[2:3]
	s_cbranch_execz .LBB57_1294
; %bb.1293:
	v_and_b32_e32 v8, 0x7fffff, v5
	v_or_b32_e32 v8, 0x800000, v8
	s_mov_b32 s0, 0xfe5163ab
	v_mad_u64_u32 v[12:13], s[0:1], v8, s0, 0
	v_mov_b32_e32 v14, 0
	s_mov_b32 s0, 0x3c439041
	v_mad_u64_u32 v[15:16], s[0:1], v8, s0, v[13:14]
	s_mov_b32 s0, 0xdb629599
	v_lshrrev_b32_e32 v10, 23, v5
	v_mov_b32_e32 v13, v16
	v_mad_u64_u32 v[16:17], s[0:1], v8, s0, v[13:14]
	s_mov_b32 s0, 0xf534ddc0
	v_add_u32_e32 v10, 0xffffff88, v10
	v_mov_b32_e32 v13, v17
	v_mad_u64_u32 v[17:18], s[0:1], v8, s0, v[13:14]
	s_mov_b32 s0, 0xfc2757d1
	v_not_b32_e32 v20, 63
	v_mov_b32_e32 v13, v18
	v_mad_u64_u32 v[18:19], s[0:1], v8, s0, v[13:14]
	v_cmp_lt_u32_e32 vcc, 63, v10
	v_cndmask_b32_e32 v13, 0, v20, vcc
	v_add_u32_e32 v10, v13, v10
	v_mov_b32_e32 v13, v19
	s_mov_b32 s0, 0x4e441529
	v_mad_u64_u32 v[19:20], s[0:1], v8, s0, v[13:14]
	v_not_b32_e32 v21, 31
	v_cmp_lt_u32_e64 s[0:1], 31, v10
	v_cndmask_b32_e64 v13, 0, v21, s[0:1]
	v_add_u32_e32 v10, v13, v10
	v_mov_b32_e32 v13, v20
	s_mov_b32 s2, 0xa2f9836e
	v_mad_u64_u32 v[13:14], s[2:3], v8, s2, v[13:14]
	v_cmp_lt_u32_e64 s[2:3], 31, v10
	v_cndmask_b32_e64 v8, 0, v21, s[2:3]
	v_add_u32_e32 v8, v8, v10
	v_cndmask_b32_e32 v10, v19, v17, vcc
	v_cndmask_b32_e32 v13, v13, v18, vcc
	;; [unrolled: 1-line block ×3, first 2 shown]
	v_cndmask_b32_e64 v20, v13, v10, s[0:1]
	v_cndmask_b32_e64 v13, v14, v13, s[0:1]
	v_cndmask_b32_e32 v14, v18, v16, vcc
	v_cndmask_b32_e64 v10, v10, v14, s[0:1]
	v_cndmask_b32_e64 v13, v13, v20, s[2:3]
	;; [unrolled: 1-line block ×3, first 2 shown]
	v_sub_u32_e32 v19, 32, v8
	v_alignbit_b32 v20, v13, v18, v19
	v_cmp_eq_u32_e64 s[4:5], 0, v8
	v_cndmask_b32_e64 v8, v20, v13, s[4:5]
	v_cndmask_b32_e32 v13, v17, v15, vcc
	v_cndmask_b32_e64 v14, v14, v13, s[0:1]
	v_cndmask_b32_e64 v10, v10, v14, s[2:3]
	v_alignbit_b32 v15, v18, v10, v19
	v_cndmask_b32_e32 v12, v16, v12, vcc
	v_cndmask_b32_e64 v15, v15, v18, s[4:5]
	v_bfe_u32 v20, v8, 29, 1
	v_cndmask_b32_e64 v12, v13, v12, s[0:1]
	v_alignbit_b32 v17, v8, v15, 30
	v_sub_u32_e32 v21, 0, v20
	v_cndmask_b32_e64 v12, v14, v12, s[2:3]
	v_xor_b32_e32 v17, v17, v21
	v_alignbit_b32 v13, v10, v12, v19
	v_cndmask_b32_e64 v10, v13, v10, s[4:5]
	v_ffbh_u32_e32 v14, v17
	v_alignbit_b32 v13, v15, v10, 30
	v_min_u32_e32 v14, 32, v14
	v_alignbit_b32 v10, v10, v12, 30
	v_xor_b32_e32 v13, v13, v21
	v_sub_u32_e32 v15, 31, v14
	v_xor_b32_e32 v10, v10, v21
	v_alignbit_b32 v16, v17, v13, v15
	v_alignbit_b32 v10, v13, v10, v15
	v_alignbit_b32 v12, v16, v10, 9
	v_ffbh_u32_e32 v13, v12
	v_min_u32_e32 v13, 32, v13
	v_lshrrev_b32_e32 v18, 29, v8
	v_not_b32_e32 v15, v13
	v_alignbit_b32 v10, v12, v10, v15
	v_lshlrev_b32_e32 v12, 31, v18
	v_or_b32_e32 v15, 0x33000000, v12
	v_add_lshl_u32 v13, v13, v14, 23
	v_lshrrev_b32_e32 v10, 9, v10
	v_sub_u32_e32 v13, v15, v13
	v_or_b32_e32 v12, 0.5, v12
	v_lshlrev_b32_e32 v14, 23, v14
	v_or_b32_e32 v10, v13, v10
	v_lshrrev_b32_e32 v13, 9, v16
	v_sub_u32_e32 v12, v12, v14
	v_or_b32_e32 v12, v13, v12
	s_mov_b32 s0, 0x3fc90fda
	v_mul_f32_e32 v13, 0x3fc90fda, v12
	v_fma_f32 v14, v12, s0, -v13
	v_fmac_f32_e32 v14, 0x33a22168, v12
	v_fmac_f32_e32 v14, 0x3fc90fda, v10
	v_lshrrev_b32_e32 v8, 30, v8
	v_add_f32_e32 v10, v13, v14
	v_add_u32_e32 v8, v20, v8
.LBB57_1294:
	s_andn2_saveexec_b64 s[0:1], s[16:17]
	s_cbranch_execz .LBB57_1296
; %bb.1295:
	s_mov_b32 s2, 0x3f22f983
	v_mul_f32_e64 v8, |v3|, s2
	v_rndne_f32_e32 v12, v8
	s_mov_b32 s2, 0xbfc90fda
	v_cvt_i32_f32_e32 v8, v12
	v_fma_f32 v10, v12, s2, |v3|
	v_fmac_f32_e32 v10, 0xb3a22168, v12
	v_fmac_f32_e32 v10, 0xa7c234c4, v12
.LBB57_1296:
	s_or_b64 exec, exec, s[0:1]
	v_mul_f32_e32 v12, v10, v10
	v_mov_b32_e32 v13, 0x3c0881c4
	v_fmac_f32_e32 v13, 0xb94c1982, v12
	v_mov_b32_e32 v14, 0xbe2aaa9d
	v_fmac_f32_e32 v14, v12, v13
	v_mul_f32_e32 v13, v12, v14
	v_fmac_f32_e32 v10, v10, v13
	v_mov_b32_e32 v13, 0xbab64f3b
	v_fmac_f32_e32 v13, 0x37d75334, v12
	v_mov_b32_e32 v14, 0x3d2aabf7
	;; [unrolled: 2-line block ×3, first 2 shown]
	v_fmac_f32_e32 v13, v12, v14
	v_fma_f32 v12, v12, v13, 1.0
	v_and_b32_e32 v13, 1, v8
	v_lshlrev_b32_e32 v8, 30, v8
	v_cmp_eq_u32_e32 vcc, 0, v13
	v_and_b32_e32 v8, 0x80000000, v8
	v_xor_b32_e32 v5, v5, v3
	v_cndmask_b32_e32 v10, v12, v10, vcc
	v_xor_b32_e32 v5, v5, v8
	s_movk_i32 s0, 0x1f8
	v_xor_b32_e32 v5, v5, v10
	v_mov_b32_e32 v8, 0x7fc00000
	v_cmp_class_f32_e64 vcc, v3, s0
	v_cndmask_b32_e32 v3, v8, v5, vcc
	v_mul_f32_e32 v3, v3, v3
	s_mov_b32 s2, 0xc11de9e7
	v_div_scale_f32 v5, s[0:1], v3, v3, s2
	v_div_scale_f32 v8, vcc, s2, v3, s2
	v_sub_f32_e32 v1, 1.0, v1
	v_rcp_f32_e32 v10, v5
	v_fma_f32 v12, -v5, v10, 1.0
	v_fmac_f32_e32 v10, v12, v10
	v_mul_f32_e32 v12, v8, v10
	v_fma_f32 v13, -v5, v12, v8
	v_fmac_f32_e32 v12, v13, v10
	v_fma_f32 v5, -v5, v12, v8
	v_div_fmas_f32 v5, v5, v10, v12
	v_div_fixup_f32 v3, v5, v3, s2
	v_add_f32_e32 v12, 0, v3
	v_mov_b32_e32 v5, -1.0
.LBB57_1297:
	s_or_b64 exec, exec, s[14:15]
	s_lshr_b32 s0, s18, 16
	v_mov_b32_e32 v3, s11
	s_and_b32 s19, s0, 0xff
	v_add_co_u32_e32 v10, vcc, s10, v11
	s_cmp_lt_i32 s19, 11
	v_addc_co_u32_e32 v11, vcc, 0, v3, vcc
	s_cbranch_scc1 .LBB57_1304
; %bb.1298:
	s_and_b32 s20, 0xffff, s19
	s_cmp_gt_i32 s20, 25
	s_mov_b64 s[2:3], 0
	s_cbranch_scc0 .LBB57_1306
; %bb.1299:
	s_cmp_gt_i32 s20, 28
	s_cbranch_scc0 .LBB57_1307
; %bb.1300:
	s_cmp_gt_i32 s20, 43
	;; [unrolled: 3-line block ×3, first 2 shown]
	s_cbranch_scc0 .LBB57_1310
; %bb.1302:
	s_cmp_eq_u32 s20, 46
	s_mov_b64 s[14:15], 0
	s_cbranch_scc0 .LBB57_1313
; %bb.1303:
	global_load_dword v3, v[10:11], off
	s_mov_b64 s[0:1], 0
	s_mov_b64 s[4:5], -1
	s_waitcnt vmcnt(0)
	v_lshlrev_b32_e32 v3, 16, v3
	s_branch .LBB57_1314
.LBB57_1304:
	s_mov_b64 s[4:5], 0
                                        ; implicit-def: $vgpr3
	s_cbranch_execnz .LBB57_1379
.LBB57_1305:
	s_andn2_b64 vcc, exec, s[4:5]
	s_cbranch_vccnz .LBB57_2136
	s_branch .LBB57_1426
.LBB57_1306:
	s_mov_b64 s[4:5], 0
	s_mov_b64 s[0:1], 0
                                        ; implicit-def: $vgpr3
	s_cbranch_execnz .LBB57_1343
	s_branch .LBB57_1375
.LBB57_1307:
	s_mov_b64 s[14:15], -1
	s_mov_b64 s[4:5], 0
	s_mov_b64 s[0:1], 0
                                        ; implicit-def: $vgpr3
	s_branch .LBB57_1324
.LBB57_1308:
	s_mov_b64 s[14:15], -1
	s_mov_b64 s[4:5], 0
	s_mov_b64 s[0:1], 0
                                        ; implicit-def: $vgpr3
	s_branch .LBB57_1319
.LBB57_1309:
	s_or_b64 s[12:13], s[6:7], exec
	s_trap 2
	s_cbranch_execz .LBB57_1244
	s_branch .LBB57_1245
.LBB57_1310:
	s_mov_b64 s[14:15], -1
	s_mov_b64 s[4:5], 0
	s_mov_b64 s[0:1], 0
                                        ; implicit-def: $vgpr3
	s_branch .LBB57_1314
.LBB57_1311:
	s_andn2_saveexec_b64 s[14:15], s[14:15]
	s_cbranch_execz .LBB57_1035
.LBB57_1312:
	s_mov_b32 s18, 0x42800000
	v_add_f32_e64 v0, |v3|, s18
	v_and_b32_e32 v0, 0xff, v0
	v_cmp_ne_u32_e32 vcc, 0, v0
	s_andn2_b64 s[12:13], s[12:13], exec
	s_and_b64 s[18:19], vcc, exec
	s_or_b64 s[12:13], s[12:13], s[18:19]
	s_or_b64 exec, exec, s[14:15]
	v_mov_b32_e32 v4, 0
	s_and_saveexec_b64 s[14:15], s[12:13]
	s_cbranch_execnz .LBB57_1036
	s_branch .LBB57_1037
.LBB57_1313:
	s_mov_b64 s[0:1], -1
                                        ; implicit-def: $vgpr3
	s_mov_b64 s[4:5], 0
.LBB57_1314:
	s_and_b64 vcc, exec, s[14:15]
	s_cbranch_vccz .LBB57_1318
; %bb.1315:
	s_cmp_eq_u32 s20, 44
	s_cbranch_scc0 .LBB57_1317
; %bb.1316:
	global_load_ubyte v3, v[10:11], off
	s_movk_i32 s4, 0xff
	v_mov_b32_e32 v8, 0x7f800001
	v_mov_b32_e32 v13, 0x400000
	s_mov_b64 s[0:1], 0
	s_waitcnt vmcnt(0)
	v_lshlrev_b32_e32 v14, 23, v3
	v_cmp_ne_u32_e32 vcc, s4, v3
	v_cndmask_b32_e32 v8, v8, v14, vcc
	v_cmp_ne_u32_e32 vcc, 0, v3
	v_cndmask_b32_e32 v3, v13, v8, vcc
	s_mov_b64 s[4:5], -1
	s_branch .LBB57_1318
.LBB57_1317:
	s_mov_b64 s[0:1], -1
                                        ; implicit-def: $vgpr3
.LBB57_1318:
	s_mov_b64 s[14:15], 0
.LBB57_1319:
	s_and_b64 vcc, exec, s[14:15]
	s_cbranch_vccz .LBB57_1323
; %bb.1320:
	s_cmp_eq_u32 s20, 29
	s_cbranch_scc0 .LBB57_1322
; %bb.1321:
	global_load_dwordx2 v[13:14], v[10:11], off
	s_mov_b64 s[0:1], 0
	s_mov_b64 s[4:5], -1
	s_mov_b64 s[14:15], 0
	s_waitcnt vmcnt(0)
	v_ffbh_u32_e32 v3, v14
	v_min_u32_e32 v3, 32, v3
	v_lshlrev_b64 v[13:14], v3, v[13:14]
	v_sub_u32_e32 v3, 32, v3
	v_min_u32_e32 v8, 1, v13
	v_or_b32_e32 v8, v14, v8
	v_cvt_f32_u32_e32 v8, v8
	v_ldexp_f32 v3, v8, v3
	s_branch .LBB57_1324
.LBB57_1322:
	s_mov_b64 s[0:1], -1
                                        ; implicit-def: $vgpr3
.LBB57_1323:
	s_mov_b64 s[14:15], 0
.LBB57_1324:
	s_and_b64 vcc, exec, s[14:15]
	s_cbranch_vccz .LBB57_1342
; %bb.1325:
	s_cmp_lt_i32 s20, 27
	s_cbranch_scc1 .LBB57_1328
; %bb.1326:
	s_cmp_gt_i32 s20, 27
	s_cbranch_scc0 .LBB57_1329
; %bb.1327:
	global_load_dword v3, v[10:11], off
	s_mov_b64 s[4:5], 0
	s_waitcnt vmcnt(0)
	v_cvt_f32_u32_e32 v3, v3
	s_branch .LBB57_1330
.LBB57_1328:
	s_mov_b64 s[4:5], -1
                                        ; implicit-def: $vgpr3
	s_branch .LBB57_1333
.LBB57_1329:
	s_mov_b64 s[4:5], -1
                                        ; implicit-def: $vgpr3
.LBB57_1330:
	s_andn2_b64 vcc, exec, s[4:5]
	s_cbranch_vccnz .LBB57_1332
; %bb.1331:
	global_load_ushort v3, v[10:11], off
	s_waitcnt vmcnt(0)
	v_cvt_f32_u32_e32 v3, v3
.LBB57_1332:
	s_mov_b64 s[4:5], 0
.LBB57_1333:
	s_andn2_b64 vcc, exec, s[4:5]
	s_cbranch_vccnz .LBB57_1341
; %bb.1334:
	global_load_ubyte v8, v[10:11], off
	s_movk_i32 s4, 0x7f
	s_waitcnt vmcnt(0)
	v_cmp_lt_i16_e32 vcc, s4, v8
	s_mov_b64 s[4:5], 0
	s_and_saveexec_b64 s[14:15], vcc
	s_xor_b64 s[14:15], exec, s[14:15]
	s_cbranch_execz .LBB57_1354
; %bb.1335:
	s_movk_i32 s4, 0x80
	v_cmp_eq_u16_e32 vcc, s4, v8
	s_mov_b64 s[4:5], -1
	s_and_saveexec_b64 s[16:17], vcc
; %bb.1336:
	s_xor_b64 s[4:5], exec, -1
; %bb.1337:
	s_or_b64 exec, exec, s[16:17]
	s_and_b64 s[4:5], s[4:5], exec
	s_or_saveexec_b64 s[14:15], s[14:15]
	v_mov_b32_e32 v3, 0x7f800001
	s_xor_b64 exec, exec, s[14:15]
	s_cbranch_execnz .LBB57_1355
.LBB57_1338:
	s_or_b64 exec, exec, s[14:15]
	s_and_saveexec_b64 s[14:15], s[4:5]
	s_cbranch_execz .LBB57_1340
.LBB57_1339:
	v_lshlrev_b32_e32 v3, 24, v8
	v_and_b32_e32 v8, 0xffff, v8
	v_and_b32_e32 v13, 7, v8
	v_ffbh_u32_e32 v15, v13
	v_min_u32_e32 v15, 32, v15
	v_subrev_u32_e32 v16, 28, v15
	v_bfe_u32 v14, v8, 3, 4
	v_lshlrev_b32_e32 v8, v16, v8
	v_sub_u32_e32 v15, 29, v15
	v_and_b32_e32 v8, 7, v8
	v_cmp_eq_u32_e32 vcc, 0, v14
	v_cndmask_b32_e32 v14, v14, v15, vcc
	v_cndmask_b32_e32 v8, v13, v8, vcc
	v_mov_b32_e32 v13, 0x3b800000
	v_lshlrev_b32_e32 v8, 20, v8
	v_and_b32_e32 v3, 0x80000000, v3
	v_lshl_add_u32 v13, v14, 23, v13
	v_or3_b32 v3, v3, v13, v8
.LBB57_1340:
	s_or_b64 exec, exec, s[14:15]
.LBB57_1341:
	s_mov_b64 s[4:5], -1
.LBB57_1342:
	s_branch .LBB57_1375
.LBB57_1343:
	s_cmp_gt_i32 s20, 22
	s_cbranch_scc0 .LBB57_1353
; %bb.1344:
	s_cmp_lt_i32 s20, 24
	s_cbranch_scc1 .LBB57_1356
; %bb.1345:
	s_cmp_gt_i32 s20, 24
	s_cbranch_scc0 .LBB57_1357
; %bb.1346:
	global_load_ubyte v8, v[10:11], off
	s_movk_i32 s2, 0x7f
	s_waitcnt vmcnt(0)
	v_cmp_lt_i16_e32 vcc, s2, v8
	s_mov_b64 s[2:3], 0
	s_and_saveexec_b64 s[4:5], vcc
	s_xor_b64 s[4:5], exec, s[4:5]
	s_cbranch_execz .LBB57_1369
; %bb.1347:
	s_movk_i32 s2, 0x80
	v_cmp_eq_u16_e32 vcc, s2, v8
	s_mov_b64 s[2:3], -1
	s_and_saveexec_b64 s[14:15], vcc
; %bb.1348:
	s_xor_b64 s[2:3], exec, -1
; %bb.1349:
	s_or_b64 exec, exec, s[14:15]
	s_and_b64 s[2:3], s[2:3], exec
	s_or_saveexec_b64 s[4:5], s[4:5]
	v_mov_b32_e32 v3, 0x7f800001
	s_xor_b64 exec, exec, s[4:5]
	s_cbranch_execnz .LBB57_1370
.LBB57_1350:
	s_or_b64 exec, exec, s[4:5]
	s_and_saveexec_b64 s[4:5], s[2:3]
	s_cbranch_execz .LBB57_1352
.LBB57_1351:
	v_lshlrev_b32_e32 v3, 24, v8
	v_and_b32_e32 v8, 0xffff, v8
	v_and_b32_e32 v13, 3, v8
	v_ffbh_u32_e32 v15, v13
	v_min_u32_e32 v15, 32, v15
	v_subrev_u32_e32 v16, 29, v15
	v_bfe_u32 v14, v8, 2, 5
	v_lshlrev_b32_e32 v8, v16, v8
	v_sub_u32_e32 v15, 30, v15
	v_and_b32_e32 v8, 3, v8
	v_cmp_eq_u32_e32 vcc, 0, v14
	v_cndmask_b32_e32 v14, v14, v15, vcc
	v_cndmask_b32_e32 v8, v13, v8, vcc
	v_mov_b32_e32 v13, 0x37800000
	v_lshlrev_b32_e32 v8, 21, v8
	v_and_b32_e32 v3, 0x80000000, v3
	v_lshl_add_u32 v13, v14, 23, v13
	v_or3_b32 v3, v3, v13, v8
.LBB57_1352:
	s_or_b64 exec, exec, s[4:5]
	s_mov_b64 s[2:3], 0
	s_branch .LBB57_1358
.LBB57_1353:
	s_mov_b64 s[2:3], -1
                                        ; implicit-def: $vgpr3
	s_branch .LBB57_1364
.LBB57_1354:
	s_or_saveexec_b64 s[14:15], s[14:15]
	v_mov_b32_e32 v3, 0x7f800001
	s_xor_b64 exec, exec, s[14:15]
	s_cbranch_execz .LBB57_1338
.LBB57_1355:
	v_cmp_ne_u16_e32 vcc, 0, v8
	s_andn2_b64 s[4:5], s[4:5], exec
	s_and_b64 s[16:17], vcc, exec
	v_mov_b32_e32 v3, 0
	s_or_b64 s[4:5], s[4:5], s[16:17]
	s_or_b64 exec, exec, s[14:15]
	s_and_saveexec_b64 s[14:15], s[4:5]
	s_cbranch_execnz .LBB57_1339
	s_branch .LBB57_1340
.LBB57_1356:
	s_mov_b64 s[2:3], -1
                                        ; implicit-def: $vgpr3
	s_branch .LBB57_1361
.LBB57_1357:
	s_mov_b64 s[2:3], -1
                                        ; implicit-def: $vgpr3
.LBB57_1358:
	s_and_b64 vcc, exec, s[2:3]
	s_cbranch_vccz .LBB57_1360
; %bb.1359:
	global_load_ubyte v3, v[10:11], off
	s_mov_b32 s2, 0x7f800000
	s_waitcnt vmcnt(0)
	v_lshlrev_b32_e32 v3, 24, v3
	v_and_b32_e32 v8, 0x7f000000, v3
	v_ffbh_u32_e32 v13, v8
	v_min_u32_e32 v13, 32, v13
	v_sub_u32_e64 v13, v13, 4 clamp
	v_lshlrev_b32_e32 v15, v13, v8
	v_lshlrev_b32_e32 v13, 23, v13
	v_lshrrev_b32_e32 v15, 4, v15
	v_add_u32_e32 v14, 0x1000000, v8
	v_sub_u32_e32 v13, v15, v13
	v_ashrrev_i32_e32 v14, 8, v14
	v_add_u32_e32 v13, 0x3c000000, v13
	v_and_or_b32 v13, v14, s2, v13
	v_cmp_ne_u32_e32 vcc, 0, v8
	v_cndmask_b32_e32 v8, 0, v13, vcc
	s_brev_b32 s2, 1
	v_and_or_b32 v3, v3, s2, v8
.LBB57_1360:
	s_mov_b64 s[2:3], 0
.LBB57_1361:
	s_andn2_b64 vcc, exec, s[2:3]
	s_cbranch_vccnz .LBB57_1363
; %bb.1362:
	global_load_ubyte v3, v[10:11], off
	s_movk_i32 s2, 0x7f00
	s_brev_b32 s3, 16
	s_waitcnt vmcnt(0)
	v_lshlrev_b16_e32 v8, 8, v3
	v_lshlrev_b32_e32 v3, 25, v3
	v_lshrrev_b32_e32 v13, 4, v3
	v_and_or_b32 v14, v8, s2, 0.5
	v_or_b32_e32 v13, 0x70000000, v13
	v_add_f32_e32 v14, -0.5, v14
	v_mul_f32_e32 v13, 0x7800000, v13
	v_cmp_gt_u32_e32 vcc, s3, v3
	v_bfe_i32 v8, v8, 0, 16
	v_cndmask_b32_e32 v3, v13, v14, vcc
	s_brev_b32 s2, 1
	v_and_or_b32 v3, v8, s2, v3
.LBB57_1363:
	s_mov_b64 s[2:3], 0
	s_mov_b64 s[4:5], -1
.LBB57_1364:
	s_andn2_b64 vcc, exec, s[2:3]
	s_mov_b64 s[2:3], 0
	s_cbranch_vccnz .LBB57_1375
; %bb.1365:
	s_cmp_gt_i32 s20, 14
	s_cbranch_scc0 .LBB57_1368
; %bb.1366:
	s_cmp_eq_u32 s20, 15
	s_cbranch_scc0 .LBB57_1371
; %bb.1367:
	global_load_ushort v3, v[10:11], off
	s_mov_b64 s[0:1], 0
	s_mov_b64 s[4:5], -1
	s_waitcnt vmcnt(0)
	v_lshlrev_b32_e32 v3, 16, v3
	s_branch .LBB57_1372
.LBB57_1368:
	s_mov_b64 s[14:15], -1
                                        ; implicit-def: $vgpr3
	s_branch .LBB57_1373
.LBB57_1369:
	s_or_saveexec_b64 s[4:5], s[4:5]
	v_mov_b32_e32 v3, 0x7f800001
	s_xor_b64 exec, exec, s[4:5]
	s_cbranch_execz .LBB57_1350
.LBB57_1370:
	v_cmp_ne_u16_e32 vcc, 0, v8
	s_andn2_b64 s[2:3], s[2:3], exec
	s_and_b64 s[14:15], vcc, exec
	v_mov_b32_e32 v3, 0
	s_or_b64 s[2:3], s[2:3], s[14:15]
	s_or_b64 exec, exec, s[4:5]
	s_and_saveexec_b64 s[4:5], s[2:3]
	s_cbranch_execnz .LBB57_1351
	s_branch .LBB57_1352
.LBB57_1371:
	s_mov_b64 s[0:1], -1
                                        ; implicit-def: $vgpr3
.LBB57_1372:
	s_mov_b64 s[14:15], 0
.LBB57_1373:
	s_and_b64 vcc, exec, s[14:15]
	s_cbranch_vccz .LBB57_1375
; %bb.1374:
	s_cmp_lg_u32 s20, 11
	s_mov_b64 s[2:3], -1
	s_cselect_b64 s[0:1], -1, 0
.LBB57_1375:
	s_and_b64 vcc, exec, s[0:1]
	s_cbranch_vccnz .LBB57_1444
; %bb.1376:
	s_andn2_b64 vcc, exec, s[2:3]
	s_cbranch_vccnz .LBB57_1378
.LBB57_1377:
	global_load_ubyte v3, v[10:11], off
	s_mov_b64 s[4:5], -1
	s_waitcnt vmcnt(0)
	v_cmp_ne_u16_e32 vcc, 0, v3
	v_cndmask_b32_e64 v3, 0, 1.0, vcc
.LBB57_1378:
	s_branch .LBB57_1305
.LBB57_1379:
	s_and_b32 s2, 0xffff, s19
	s_cmp_lt_i32 s2, 5
	s_cbranch_scc1 .LBB57_1384
; %bb.1380:
	s_cmp_lt_i32 s2, 8
	s_cbranch_scc1 .LBB57_1385
; %bb.1381:
	s_cmp_lt_i32 s2, 9
	s_cbranch_scc1 .LBB57_1386
; %bb.1382:
	s_cmp_gt_i32 s2, 9
	s_cbranch_scc0 .LBB57_1387
; %bb.1383:
	global_load_dwordx2 v[13:14], v[10:11], off
	s_mov_b64 s[0:1], 0
	s_waitcnt vmcnt(0)
	v_cvt_f32_f64_e32 v3, v[13:14]
	s_branch .LBB57_1388
.LBB57_1384:
                                        ; implicit-def: $vgpr3
	s_branch .LBB57_1406
.LBB57_1385:
	s_mov_b64 s[0:1], -1
                                        ; implicit-def: $vgpr3
	s_branch .LBB57_1394
.LBB57_1386:
	s_mov_b64 s[0:1], -1
                                        ; implicit-def: $vgpr3
	s_branch .LBB57_1391
.LBB57_1387:
	s_mov_b64 s[0:1], -1
                                        ; implicit-def: $vgpr3
.LBB57_1388:
	s_andn2_b64 vcc, exec, s[0:1]
	s_cbranch_vccnz .LBB57_1390
; %bb.1389:
	global_load_dword v3, v[10:11], off
.LBB57_1390:
	s_mov_b64 s[0:1], 0
.LBB57_1391:
	s_andn2_b64 vcc, exec, s[0:1]
	s_cbranch_vccnz .LBB57_1393
; %bb.1392:
	global_load_dword v3, v[10:11], off
	s_waitcnt vmcnt(0)
	v_cvt_f32_f16_e32 v3, v3
.LBB57_1393:
	s_mov_b64 s[0:1], 0
.LBB57_1394:
	s_andn2_b64 vcc, exec, s[0:1]
	s_cbranch_vccnz .LBB57_1405
; %bb.1395:
	s_cmp_lt_i32 s2, 6
	s_cbranch_scc1 .LBB57_1398
; %bb.1396:
	s_cmp_gt_i32 s2, 6
	s_cbranch_scc0 .LBB57_1399
; %bb.1397:
	global_load_dwordx2 v[13:14], v[10:11], off
	s_mov_b64 s[0:1], 0
	s_waitcnt vmcnt(0)
	v_cvt_f32_f64_e32 v3, v[13:14]
	s_branch .LBB57_1400
.LBB57_1398:
	s_mov_b64 s[0:1], -1
                                        ; implicit-def: $vgpr3
	s_branch .LBB57_1403
.LBB57_1399:
	s_mov_b64 s[0:1], -1
                                        ; implicit-def: $vgpr3
.LBB57_1400:
	s_andn2_b64 vcc, exec, s[0:1]
	s_cbranch_vccnz .LBB57_1402
; %bb.1401:
	global_load_dword v3, v[10:11], off
.LBB57_1402:
	s_mov_b64 s[0:1], 0
.LBB57_1403:
	s_andn2_b64 vcc, exec, s[0:1]
	s_cbranch_vccnz .LBB57_1405
; %bb.1404:
	global_load_ushort v3, v[10:11], off
	s_waitcnt vmcnt(0)
	v_cvt_f32_f16_e32 v3, v3
.LBB57_1405:
	s_cbranch_execnz .LBB57_1425
.LBB57_1406:
	s_cmp_lt_i32 s2, 2
	s_cbranch_scc1 .LBB57_1410
; %bb.1407:
	s_cmp_lt_i32 s2, 3
	s_cbranch_scc1 .LBB57_1411
; %bb.1408:
	s_cmp_gt_i32 s2, 3
	s_cbranch_scc0 .LBB57_1412
; %bb.1409:
	global_load_dwordx2 v[13:14], v[10:11], off
	s_mov_b64 s[0:1], 0
	s_waitcnt vmcnt(0)
	v_xor_b32_e32 v8, v13, v14
	v_ffbh_i32_e32 v3, v14
	v_ashrrev_i32_e32 v8, 31, v8
	v_add_u32_e32 v3, -1, v3
	v_add_u32_e32 v8, 32, v8
	v_min_u32_e32 v3, v3, v8
	v_lshlrev_b64 v[13:14], v3, v[13:14]
	v_sub_u32_e32 v3, 32, v3
	v_min_u32_e32 v8, 1, v13
	v_or_b32_e32 v8, v14, v8
	v_cvt_f32_i32_e32 v8, v8
	v_ldexp_f32 v3, v8, v3
	s_branch .LBB57_1413
.LBB57_1410:
	s_mov_b64 s[0:1], -1
                                        ; implicit-def: $vgpr3
	s_branch .LBB57_1419
.LBB57_1411:
	s_mov_b64 s[0:1], -1
                                        ; implicit-def: $vgpr3
	s_branch .LBB57_1416
.LBB57_1412:
	s_mov_b64 s[0:1], -1
                                        ; implicit-def: $vgpr3
.LBB57_1413:
	s_andn2_b64 vcc, exec, s[0:1]
	s_cbranch_vccnz .LBB57_1415
; %bb.1414:
	global_load_dword v3, v[10:11], off
	s_waitcnt vmcnt(0)
	v_cvt_f32_i32_e32 v3, v3
.LBB57_1415:
	s_mov_b64 s[0:1], 0
.LBB57_1416:
	s_andn2_b64 vcc, exec, s[0:1]
	s_cbranch_vccnz .LBB57_1418
; %bb.1417:
	global_load_sshort v3, v[10:11], off
	s_waitcnt vmcnt(0)
	v_cvt_f32_i32_e32 v3, v3
.LBB57_1418:
	s_mov_b64 s[0:1], 0
.LBB57_1419:
	s_andn2_b64 vcc, exec, s[0:1]
	s_cbranch_vccnz .LBB57_1425
; %bb.1420:
	s_cmp_gt_i32 s2, 0
	s_cbranch_scc0 .LBB57_1422
; %bb.1421:
	global_load_sbyte v3, v[10:11], off
	s_mov_b64 s[0:1], 0
	s_waitcnt vmcnt(0)
	v_cvt_f32_i32_e32 v3, v3
	s_branch .LBB57_1423
.LBB57_1422:
	s_mov_b64 s[0:1], -1
                                        ; implicit-def: $vgpr3
.LBB57_1423:
	s_andn2_b64 vcc, exec, s[0:1]
	s_cbranch_vccnz .LBB57_1425
; %bb.1424:
	global_load_ubyte v3, v[10:11], off
	s_waitcnt vmcnt(0)
	v_cvt_f32_ubyte0_e32 v3, v3
.LBB57_1425:
.LBB57_1426:
	s_waitcnt vmcnt(0)
	v_cmp_gt_f32_e32 vcc, 0.5, v3
	v_mov_b32_e32 v13, 0
	v_mov_b32_e32 v11, 1.0
	s_and_saveexec_b64 s[14:15], vcc
	s_cbranch_execz .LBB57_1432
; %bb.1427:
	v_mul_f32_e32 v8, 0x40490fdb, v3
	s_brev_b32 s0, 18
	v_and_b32_e32 v10, 0x7fffffff, v8
	v_cmp_nlt_f32_e64 s[0:1], |v8|, s0
                                        ; implicit-def: $vgpr11
                                        ; implicit-def: $vgpr13
	s_and_saveexec_b64 s[2:3], s[0:1]
	s_xor_b64 s[16:17], exec, s[2:3]
	s_cbranch_execz .LBB57_1429
; %bb.1428:
	v_and_b32_e32 v11, 0x7fffff, v10
	v_or_b32_e32 v11, 0x800000, v11
	s_mov_b32 s0, 0xfe5163ab
	v_mad_u64_u32 v[13:14], s[0:1], v11, s0, 0
	v_mov_b32_e32 v15, 0
	s_mov_b32 s0, 0x3c439041
	v_mad_u64_u32 v[16:17], s[0:1], v11, s0, v[14:15]
	s_mov_b32 s0, 0xdb629599
	v_not_b32_e32 v21, 63
	v_mov_b32_e32 v14, v17
	v_mad_u64_u32 v[17:18], s[0:1], v11, s0, v[14:15]
	s_mov_b32 s0, 0xf534ddc0
	v_not_b32_e32 v23, 31
	v_mov_b32_e32 v14, v18
	v_mad_u64_u32 v[18:19], s[0:1], v11, s0, v[14:15]
	v_lshrrev_b32_e32 v14, 23, v10
	v_add_u32_e32 v22, 0xffffff88, v14
	v_mov_b32_e32 v14, v19
	s_mov_b32 s0, 0xfc2757d1
	v_mad_u64_u32 v[19:20], s[0:1], v11, s0, v[14:15]
	v_cmp_lt_u32_e32 vcc, 63, v22
	v_cndmask_b32_e32 v14, 0, v21, vcc
	v_add_u32_e32 v22, v14, v22
	v_mov_b32_e32 v14, v20
	s_mov_b32 s0, 0x4e441529
	v_mad_u64_u32 v[20:21], s[0:1], v11, s0, v[14:15]
	v_cmp_lt_u32_e64 s[0:1], 31, v22
	v_cndmask_b32_e64 v14, 0, v23, s[0:1]
	v_add_u32_e32 v22, v14, v22
	v_mov_b32_e32 v14, v21
	s_mov_b32 s2, 0xa2f9836e
	v_mad_u64_u32 v[14:15], s[2:3], v11, s2, v[14:15]
	v_cmp_lt_u32_e64 s[2:3], 31, v22
	v_cndmask_b32_e64 v11, 0, v23, s[2:3]
	v_cndmask_b32_e32 v21, v20, v18, vcc
	v_cndmask_b32_e32 v14, v14, v19, vcc
	;; [unrolled: 1-line block ×3, first 2 shown]
	v_add_u32_e32 v11, v11, v22
	v_cndmask_b32_e64 v22, v14, v21, s[0:1]
	v_cndmask_b32_e64 v14, v15, v14, s[0:1]
	v_cndmask_b32_e32 v15, v19, v17, vcc
	v_cndmask_b32_e64 v19, v21, v15, s[0:1]
	v_cndmask_b32_e64 v14, v14, v22, s[2:3]
	;; [unrolled: 1-line block ×3, first 2 shown]
	v_sub_u32_e32 v21, 32, v11
	v_alignbit_b32 v22, v14, v20, v21
	v_cmp_eq_u32_e64 s[4:5], 0, v11
	v_cndmask_b32_e64 v11, v22, v14, s[4:5]
	v_cndmask_b32_e32 v14, v18, v16, vcc
	v_cndmask_b32_e64 v15, v15, v14, s[0:1]
	v_cndmask_b32_e64 v16, v19, v15, s[2:3]
	v_alignbit_b32 v18, v20, v16, v21
	v_cndmask_b32_e32 v13, v17, v13, vcc
	v_cndmask_b32_e64 v18, v18, v20, s[4:5]
	v_bfe_u32 v22, v11, 29, 1
	v_cndmask_b32_e64 v13, v14, v13, s[0:1]
	v_alignbit_b32 v19, v11, v18, 30
	v_sub_u32_e32 v23, 0, v22
	v_cndmask_b32_e64 v13, v15, v13, s[2:3]
	v_xor_b32_e32 v19, v19, v23
	v_alignbit_b32 v14, v16, v13, v21
	v_cndmask_b32_e64 v14, v14, v16, s[4:5]
	v_ffbh_u32_e32 v16, v19
	v_alignbit_b32 v15, v18, v14, 30
	v_min_u32_e32 v16, 32, v16
	v_alignbit_b32 v13, v14, v13, 30
	v_xor_b32_e32 v15, v15, v23
	v_sub_u32_e32 v17, 31, v16
	v_xor_b32_e32 v13, v13, v23
	v_alignbit_b32 v18, v19, v15, v17
	v_alignbit_b32 v13, v15, v13, v17
	;; [unrolled: 1-line block ×3, first 2 shown]
	v_ffbh_u32_e32 v15, v14
	v_min_u32_e32 v15, 32, v15
	v_lshrrev_b32_e32 v20, 29, v11
	v_not_b32_e32 v17, v15
	v_alignbit_b32 v13, v14, v13, v17
	v_lshlrev_b32_e32 v14, 31, v20
	v_or_b32_e32 v17, 0x33000000, v14
	v_add_lshl_u32 v15, v15, v16, 23
	v_lshrrev_b32_e32 v13, 9, v13
	v_sub_u32_e32 v15, v17, v15
	v_or_b32_e32 v14, 0.5, v14
	v_lshlrev_b32_e32 v16, 23, v16
	v_or_b32_e32 v13, v15, v13
	v_lshrrev_b32_e32 v15, 9, v18
	v_sub_u32_e32 v14, v14, v16
	v_or_b32_e32 v14, v15, v14
	s_mov_b32 s0, 0x3fc90fda
	v_mul_f32_e32 v15, 0x3fc90fda, v14
	v_fma_f32 v16, v14, s0, -v15
	v_fmac_f32_e32 v16, 0x33a22168, v14
	v_fmac_f32_e32 v16, 0x3fc90fda, v13
	v_lshrrev_b32_e32 v11, 30, v11
	v_add_f32_e32 v13, v15, v16
	v_add_u32_e32 v11, v22, v11
.LBB57_1429:
	s_andn2_saveexec_b64 s[0:1], s[16:17]
	s_cbranch_execz .LBB57_1431
; %bb.1430:
	s_mov_b32 s2, 0x3f22f983
	v_mul_f32_e64 v11, |v8|, s2
	v_rndne_f32_e32 v14, v11
	s_mov_b32 s2, 0xbfc90fda
	v_cvt_i32_f32_e32 v11, v14
	v_fma_f32 v13, v14, s2, |v8|
	v_fmac_f32_e32 v13, 0xb3a22168, v14
	v_fmac_f32_e32 v13, 0xa7c234c4, v14
.LBB57_1431:
	s_or_b64 exec, exec, s[0:1]
	v_mul_f32_e32 v14, v13, v13
	v_mov_b32_e32 v15, 0x3c0881c4
	v_fmac_f32_e32 v15, 0xb94c1982, v14
	v_mov_b32_e32 v16, 0xbe2aaa9d
	v_fmac_f32_e32 v16, v14, v15
	v_mul_f32_e32 v15, v14, v16
	v_fmac_f32_e32 v13, v13, v15
	v_mov_b32_e32 v15, 0xbab64f3b
	v_fmac_f32_e32 v15, 0x37d75334, v14
	v_mov_b32_e32 v16, 0x3d2aabf7
	;; [unrolled: 2-line block ×3, first 2 shown]
	v_fmac_f32_e32 v15, v14, v16
	v_fma_f32 v14, v14, v15, 1.0
	v_and_b32_e32 v15, 1, v11
	v_lshlrev_b32_e32 v11, 30, v11
	v_cmp_eq_u32_e32 vcc, 0, v15
	v_and_b32_e32 v11, 0x80000000, v11
	v_xor_b32_e32 v10, v10, v8
	v_cndmask_b32_e32 v13, v14, v13, vcc
	v_xor_b32_e32 v10, v10, v11
	s_movk_i32 s0, 0x1f8
	v_xor_b32_e32 v10, v10, v13
	v_mov_b32_e32 v11, 0x7fc00000
	v_cmp_class_f32_e64 vcc, v8, s0
	v_cndmask_b32_e32 v8, v11, v10, vcc
	v_mul_f32_e32 v8, v8, v8
	s_mov_b32 s2, 0xc11de9e7
	v_div_scale_f32 v10, s[0:1], v8, v8, s2
	v_div_scale_f32 v11, vcc, s2, v8, s2
	v_sub_f32_e32 v3, 1.0, v3
	v_rcp_f32_e32 v13, v10
	v_fma_f32 v14, -v10, v13, 1.0
	v_fmac_f32_e32 v13, v14, v13
	v_mul_f32_e32 v14, v11, v13
	v_fma_f32 v15, -v10, v14, v11
	v_fmac_f32_e32 v14, v15, v13
	v_fma_f32 v10, -v10, v14, v11
	v_div_fmas_f32 v10, v10, v13, v14
	v_mov_b32_e32 v11, -1.0
	v_div_fixup_f32 v8, v10, v8, s2
	v_add_f32_e32 v13, 0, v8
.LBB57_1432:
	s_or_b64 exec, exec, s[14:15]
	v_mov_b32_e32 v10, s11
	v_add_co_u32_e32 v8, vcc, s10, v9
	s_cmp_lt_i32 s19, 11
	v_addc_co_u32_e32 v9, vcc, 0, v10, vcc
	s_cbranch_scc1 .LBB57_1439
; %bb.1433:
	s_and_b32 s20, 0xffff, s19
	s_cmp_gt_i32 s20, 25
	s_mov_b64 s[2:3], 0
	s_cbranch_scc0 .LBB57_1441
; %bb.1434:
	s_cmp_gt_i32 s20, 28
	s_cbranch_scc0 .LBB57_1442
; %bb.1435:
	s_cmp_gt_i32 s20, 43
	;; [unrolled: 3-line block ×3, first 2 shown]
	s_cbranch_scc0 .LBB57_1445
; %bb.1437:
	s_cmp_eq_u32 s20, 46
	s_mov_b64 s[14:15], 0
	s_cbranch_scc0 .LBB57_1446
; %bb.1438:
	global_load_dword v10, v[8:9], off
	s_mov_b64 s[0:1], 0
	s_mov_b64 s[4:5], -1
	s_waitcnt vmcnt(0)
	v_lshlrev_b32_e32 v10, 16, v10
	s_branch .LBB57_1447
.LBB57_1439:
	s_mov_b64 s[4:5], 0
                                        ; implicit-def: $vgpr10
	s_cbranch_execnz .LBB57_1513
.LBB57_1440:
	s_andn2_b64 vcc, exec, s[4:5]
	s_cbranch_vccnz .LBB57_2136
	s_branch .LBB57_1561
.LBB57_1441:
	s_mov_b64 s[14:15], -1
	s_mov_b64 s[4:5], 0
	s_mov_b64 s[0:1], 0
                                        ; implicit-def: $vgpr10
	s_branch .LBB57_1476
.LBB57_1442:
	s_mov_b64 s[14:15], -1
	s_mov_b64 s[4:5], 0
	s_mov_b64 s[0:1], 0
                                        ; implicit-def: $vgpr10
	s_branch .LBB57_1457
.LBB57_1443:
	s_mov_b64 s[14:15], -1
	s_mov_b64 s[4:5], 0
	s_mov_b64 s[0:1], 0
                                        ; implicit-def: $vgpr10
	s_branch .LBB57_1452
.LBB57_1444:
	s_trap 2
	s_or_b64 s[12:13], s[12:13], exec
	s_cbranch_execz .LBB57_1377
	s_branch .LBB57_1378
.LBB57_1445:
	s_mov_b64 s[14:15], -1
	s_mov_b64 s[4:5], 0
	s_mov_b64 s[0:1], 0
                                        ; implicit-def: $vgpr10
	s_branch .LBB57_1447
.LBB57_1446:
	s_mov_b64 s[0:1], -1
                                        ; implicit-def: $vgpr10
	s_mov_b64 s[4:5], 0
.LBB57_1447:
	s_and_b64 vcc, exec, s[14:15]
	s_cbranch_vccz .LBB57_1451
; %bb.1448:
	s_cmp_eq_u32 s20, 44
	s_cbranch_scc0 .LBB57_1450
; %bb.1449:
	global_load_ubyte v10, v[8:9], off
	s_movk_i32 s4, 0xff
	v_mov_b32_e32 v14, 0x7f800001
	v_mov_b32_e32 v15, 0x400000
	s_mov_b64 s[0:1], 0
	s_waitcnt vmcnt(0)
	v_lshlrev_b32_e32 v16, 23, v10
	v_cmp_ne_u32_e32 vcc, s4, v10
	v_cndmask_b32_e32 v14, v14, v16, vcc
	v_cmp_ne_u32_e32 vcc, 0, v10
	v_cndmask_b32_e32 v10, v15, v14, vcc
	s_mov_b64 s[4:5], -1
	s_branch .LBB57_1451
.LBB57_1450:
	s_mov_b64 s[0:1], -1
                                        ; implicit-def: $vgpr10
.LBB57_1451:
	s_mov_b64 s[14:15], 0
.LBB57_1452:
	s_and_b64 vcc, exec, s[14:15]
	s_cbranch_vccz .LBB57_1456
; %bb.1453:
	s_cmp_eq_u32 s20, 29
	s_cbranch_scc0 .LBB57_1455
; %bb.1454:
	global_load_dwordx2 v[14:15], v[8:9], off
	s_mov_b64 s[0:1], 0
	s_mov_b64 s[4:5], -1
	s_mov_b64 s[14:15], 0
	s_waitcnt vmcnt(0)
	v_ffbh_u32_e32 v10, v15
	v_min_u32_e32 v10, 32, v10
	v_lshlrev_b64 v[14:15], v10, v[14:15]
	v_sub_u32_e32 v10, 32, v10
	v_min_u32_e32 v14, 1, v14
	v_or_b32_e32 v14, v15, v14
	v_cvt_f32_u32_e32 v14, v14
	v_ldexp_f32 v10, v14, v10
	s_branch .LBB57_1457
.LBB57_1455:
	s_mov_b64 s[0:1], -1
                                        ; implicit-def: $vgpr10
.LBB57_1456:
	s_mov_b64 s[14:15], 0
.LBB57_1457:
	s_and_b64 vcc, exec, s[14:15]
	s_cbranch_vccz .LBB57_1475
; %bb.1458:
	s_cmp_lt_i32 s20, 27
	s_cbranch_scc1 .LBB57_1461
; %bb.1459:
	s_cmp_gt_i32 s20, 27
	s_cbranch_scc0 .LBB57_1462
; %bb.1460:
	global_load_dword v10, v[8:9], off
	s_mov_b64 s[4:5], 0
	s_waitcnt vmcnt(0)
	v_cvt_f32_u32_e32 v10, v10
	s_branch .LBB57_1463
.LBB57_1461:
	s_mov_b64 s[4:5], -1
                                        ; implicit-def: $vgpr10
	s_branch .LBB57_1466
.LBB57_1462:
	s_mov_b64 s[4:5], -1
                                        ; implicit-def: $vgpr10
.LBB57_1463:
	s_andn2_b64 vcc, exec, s[4:5]
	s_cbranch_vccnz .LBB57_1465
; %bb.1464:
	global_load_ushort v10, v[8:9], off
	s_waitcnt vmcnt(0)
	v_cvt_f32_u32_e32 v10, v10
.LBB57_1465:
	s_mov_b64 s[4:5], 0
.LBB57_1466:
	s_andn2_b64 vcc, exec, s[4:5]
	s_cbranch_vccnz .LBB57_1474
; %bb.1467:
	global_load_ubyte v14, v[8:9], off
	s_movk_i32 s4, 0x7f
	s_waitcnt vmcnt(0)
	v_cmp_lt_i16_e32 vcc, s4, v14
	s_mov_b64 s[4:5], 0
	s_and_saveexec_b64 s[14:15], vcc
	s_xor_b64 s[14:15], exec, s[14:15]
	s_cbranch_execz .LBB57_1488
; %bb.1468:
	s_movk_i32 s4, 0x80
	v_cmp_eq_u16_e32 vcc, s4, v14
	s_mov_b64 s[4:5], -1
	s_and_saveexec_b64 s[16:17], vcc
; %bb.1469:
	s_xor_b64 s[4:5], exec, -1
; %bb.1470:
	s_or_b64 exec, exec, s[16:17]
	s_and_b64 s[4:5], s[4:5], exec
	s_or_saveexec_b64 s[14:15], s[14:15]
	v_mov_b32_e32 v10, 0x7f800001
	s_xor_b64 exec, exec, s[14:15]
	s_cbranch_execnz .LBB57_1489
.LBB57_1471:
	s_or_b64 exec, exec, s[14:15]
	s_and_saveexec_b64 s[14:15], s[4:5]
	s_cbranch_execz .LBB57_1473
.LBB57_1472:
	v_lshlrev_b32_e32 v10, 24, v14
	v_and_b32_e32 v14, 0xffff, v14
	v_and_b32_e32 v15, 7, v14
	v_ffbh_u32_e32 v17, v15
	v_min_u32_e32 v17, 32, v17
	v_subrev_u32_e32 v18, 28, v17
	v_bfe_u32 v16, v14, 3, 4
	v_lshlrev_b32_e32 v14, v18, v14
	v_sub_u32_e32 v17, 29, v17
	v_and_b32_e32 v14, 7, v14
	v_cmp_eq_u32_e32 vcc, 0, v16
	v_cndmask_b32_e32 v16, v16, v17, vcc
	v_cndmask_b32_e32 v14, v15, v14, vcc
	v_mov_b32_e32 v15, 0x3b800000
	v_lshlrev_b32_e32 v14, 20, v14
	v_and_b32_e32 v10, 0x80000000, v10
	v_lshl_add_u32 v15, v16, 23, v15
	v_or3_b32 v10, v10, v15, v14
.LBB57_1473:
	s_or_b64 exec, exec, s[14:15]
.LBB57_1474:
	s_mov_b64 s[4:5], -1
.LBB57_1475:
	s_mov_b64 s[14:15], 0
.LBB57_1476:
	s_and_b64 vcc, exec, s[14:15]
	s_cbranch_vccz .LBB57_1509
; %bb.1477:
	s_cmp_gt_i32 s20, 22
	s_cbranch_scc0 .LBB57_1487
; %bb.1478:
	s_cmp_lt_i32 s20, 24
	s_cbranch_scc1 .LBB57_1490
; %bb.1479:
	s_cmp_gt_i32 s20, 24
	s_cbranch_scc0 .LBB57_1491
; %bb.1480:
	global_load_ubyte v14, v[8:9], off
	s_movk_i32 s2, 0x7f
	s_waitcnt vmcnt(0)
	v_cmp_lt_i16_e32 vcc, s2, v14
	s_mov_b64 s[2:3], 0
	s_and_saveexec_b64 s[4:5], vcc
	s_xor_b64 s[4:5], exec, s[4:5]
	s_cbranch_execz .LBB57_1503
; %bb.1481:
	s_movk_i32 s2, 0x80
	v_cmp_eq_u16_e32 vcc, s2, v14
	s_mov_b64 s[2:3], -1
	s_and_saveexec_b64 s[14:15], vcc
; %bb.1482:
	s_xor_b64 s[2:3], exec, -1
; %bb.1483:
	s_or_b64 exec, exec, s[14:15]
	s_and_b64 s[2:3], s[2:3], exec
	s_or_saveexec_b64 s[4:5], s[4:5]
	v_mov_b32_e32 v10, 0x7f800001
	s_xor_b64 exec, exec, s[4:5]
	s_cbranch_execnz .LBB57_1504
.LBB57_1484:
	s_or_b64 exec, exec, s[4:5]
	s_and_saveexec_b64 s[4:5], s[2:3]
	s_cbranch_execz .LBB57_1486
.LBB57_1485:
	v_lshlrev_b32_e32 v10, 24, v14
	v_and_b32_e32 v14, 0xffff, v14
	v_and_b32_e32 v15, 3, v14
	v_ffbh_u32_e32 v17, v15
	v_min_u32_e32 v17, 32, v17
	v_subrev_u32_e32 v18, 29, v17
	v_bfe_u32 v16, v14, 2, 5
	v_lshlrev_b32_e32 v14, v18, v14
	v_sub_u32_e32 v17, 30, v17
	v_and_b32_e32 v14, 3, v14
	v_cmp_eq_u32_e32 vcc, 0, v16
	v_cndmask_b32_e32 v16, v16, v17, vcc
	v_cndmask_b32_e32 v14, v15, v14, vcc
	v_mov_b32_e32 v15, 0x37800000
	v_lshlrev_b32_e32 v14, 21, v14
	v_and_b32_e32 v10, 0x80000000, v10
	v_lshl_add_u32 v15, v16, 23, v15
	v_or3_b32 v10, v10, v15, v14
.LBB57_1486:
	s_or_b64 exec, exec, s[4:5]
	s_mov_b64 s[2:3], 0
	s_branch .LBB57_1492
.LBB57_1487:
	s_mov_b64 s[2:3], -1
                                        ; implicit-def: $vgpr10
	s_branch .LBB57_1498
.LBB57_1488:
	s_or_saveexec_b64 s[14:15], s[14:15]
	v_mov_b32_e32 v10, 0x7f800001
	s_xor_b64 exec, exec, s[14:15]
	s_cbranch_execz .LBB57_1471
.LBB57_1489:
	v_cmp_ne_u16_e32 vcc, 0, v14
	s_andn2_b64 s[4:5], s[4:5], exec
	s_and_b64 s[16:17], vcc, exec
	v_mov_b32_e32 v10, 0
	s_or_b64 s[4:5], s[4:5], s[16:17]
	s_or_b64 exec, exec, s[14:15]
	s_and_saveexec_b64 s[14:15], s[4:5]
	s_cbranch_execnz .LBB57_1472
	s_branch .LBB57_1473
.LBB57_1490:
	s_mov_b64 s[2:3], -1
                                        ; implicit-def: $vgpr10
	s_branch .LBB57_1495
.LBB57_1491:
	s_mov_b64 s[2:3], -1
                                        ; implicit-def: $vgpr10
.LBB57_1492:
	s_and_b64 vcc, exec, s[2:3]
	s_cbranch_vccz .LBB57_1494
; %bb.1493:
	global_load_ubyte v10, v[8:9], off
	s_mov_b32 s2, 0x7f800000
	s_waitcnt vmcnt(0)
	v_lshlrev_b32_e32 v10, 24, v10
	v_and_b32_e32 v14, 0x7f000000, v10
	v_ffbh_u32_e32 v15, v14
	v_min_u32_e32 v15, 32, v15
	v_sub_u32_e64 v15, v15, 4 clamp
	v_lshlrev_b32_e32 v17, v15, v14
	v_lshlrev_b32_e32 v15, 23, v15
	v_lshrrev_b32_e32 v17, 4, v17
	v_add_u32_e32 v16, 0x1000000, v14
	v_sub_u32_e32 v15, v17, v15
	v_ashrrev_i32_e32 v16, 8, v16
	v_add_u32_e32 v15, 0x3c000000, v15
	v_and_or_b32 v15, v16, s2, v15
	v_cmp_ne_u32_e32 vcc, 0, v14
	v_cndmask_b32_e32 v14, 0, v15, vcc
	s_brev_b32 s2, 1
	v_and_or_b32 v10, v10, s2, v14
.LBB57_1494:
	s_mov_b64 s[2:3], 0
.LBB57_1495:
	s_andn2_b64 vcc, exec, s[2:3]
	s_cbranch_vccnz .LBB57_1497
; %bb.1496:
	global_load_ubyte v10, v[8:9], off
	s_movk_i32 s2, 0x7f00
	s_brev_b32 s3, 16
	s_waitcnt vmcnt(0)
	v_lshlrev_b16_e32 v14, 8, v10
	v_lshlrev_b32_e32 v10, 25, v10
	v_lshrrev_b32_e32 v15, 4, v10
	v_and_or_b32 v16, v14, s2, 0.5
	v_or_b32_e32 v15, 0x70000000, v15
	v_add_f32_e32 v16, -0.5, v16
	v_mul_f32_e32 v15, 0x7800000, v15
	v_cmp_gt_u32_e32 vcc, s3, v10
	v_bfe_i32 v14, v14, 0, 16
	v_cndmask_b32_e32 v10, v15, v16, vcc
	s_brev_b32 s2, 1
	v_and_or_b32 v10, v14, s2, v10
.LBB57_1497:
	s_mov_b64 s[2:3], 0
	s_mov_b64 s[4:5], -1
.LBB57_1498:
	s_andn2_b64 vcc, exec, s[2:3]
	s_mov_b64 s[2:3], 0
	s_cbranch_vccnz .LBB57_1509
; %bb.1499:
	s_cmp_gt_i32 s20, 14
	s_cbranch_scc0 .LBB57_1502
; %bb.1500:
	s_cmp_eq_u32 s20, 15
	s_cbranch_scc0 .LBB57_1505
; %bb.1501:
	global_load_ushort v10, v[8:9], off
	s_mov_b64 s[0:1], 0
	s_mov_b64 s[4:5], -1
	s_waitcnt vmcnt(0)
	v_lshlrev_b32_e32 v10, 16, v10
	s_branch .LBB57_1506
.LBB57_1502:
	s_mov_b64 s[14:15], -1
                                        ; implicit-def: $vgpr10
	s_branch .LBB57_1507
.LBB57_1503:
	s_or_saveexec_b64 s[4:5], s[4:5]
	v_mov_b32_e32 v10, 0x7f800001
	s_xor_b64 exec, exec, s[4:5]
	s_cbranch_execz .LBB57_1484
.LBB57_1504:
	v_cmp_ne_u16_e32 vcc, 0, v14
	s_andn2_b64 s[2:3], s[2:3], exec
	s_and_b64 s[14:15], vcc, exec
	v_mov_b32_e32 v10, 0
	s_or_b64 s[2:3], s[2:3], s[14:15]
	s_or_b64 exec, exec, s[4:5]
	s_and_saveexec_b64 s[4:5], s[2:3]
	s_cbranch_execnz .LBB57_1485
	s_branch .LBB57_1486
.LBB57_1505:
	s_mov_b64 s[0:1], -1
                                        ; implicit-def: $vgpr10
.LBB57_1506:
	s_mov_b64 s[14:15], 0
.LBB57_1507:
	s_and_b64 vcc, exec, s[14:15]
	s_cbranch_vccz .LBB57_1509
; %bb.1508:
	s_cmp_lg_u32 s20, 11
	s_mov_b64 s[2:3], -1
	s_cselect_b64 s[0:1], -1, 0
.LBB57_1509:
	s_and_b64 vcc, exec, s[0:1]
	s_cbranch_vccnz .LBB57_1578
; %bb.1510:
	s_andn2_b64 vcc, exec, s[2:3]
	s_cbranch_vccnz .LBB57_1512
.LBB57_1511:
	global_load_ubyte v10, v[8:9], off
	s_mov_b64 s[4:5], -1
	s_waitcnt vmcnt(0)
	v_cmp_ne_u16_e32 vcc, 0, v10
	v_cndmask_b32_e64 v10, 0, 1.0, vcc
.LBB57_1512:
	s_branch .LBB57_1440
.LBB57_1513:
	s_and_b32 s2, 0xffff, s19
	s_cmp_lt_i32 s2, 5
	s_cbranch_scc1 .LBB57_1518
; %bb.1514:
	s_cmp_lt_i32 s2, 8
	s_cbranch_scc1 .LBB57_1519
; %bb.1515:
	;; [unrolled: 3-line block ×3, first 2 shown]
	s_cmp_gt_i32 s2, 9
	s_cbranch_scc0 .LBB57_1521
; %bb.1517:
	global_load_dwordx2 v[14:15], v[8:9], off
	s_mov_b64 s[0:1], 0
	s_waitcnt vmcnt(0)
	v_cvt_f32_f64_e32 v10, v[14:15]
	s_branch .LBB57_1522
.LBB57_1518:
	s_mov_b64 s[0:1], -1
                                        ; implicit-def: $vgpr10
	s_branch .LBB57_1540
.LBB57_1519:
	s_mov_b64 s[0:1], -1
                                        ; implicit-def: $vgpr10
	s_branch .LBB57_1528
.LBB57_1520:
	s_mov_b64 s[0:1], -1
                                        ; implicit-def: $vgpr10
	s_branch .LBB57_1525
.LBB57_1521:
	s_mov_b64 s[0:1], -1
                                        ; implicit-def: $vgpr10
.LBB57_1522:
	s_andn2_b64 vcc, exec, s[0:1]
	s_cbranch_vccnz .LBB57_1524
; %bb.1523:
	global_load_dword v10, v[8:9], off
.LBB57_1524:
	s_mov_b64 s[0:1], 0
.LBB57_1525:
	s_andn2_b64 vcc, exec, s[0:1]
	s_cbranch_vccnz .LBB57_1527
; %bb.1526:
	global_load_dword v10, v[8:9], off
	s_waitcnt vmcnt(0)
	v_cvt_f32_f16_e32 v10, v10
.LBB57_1527:
	s_mov_b64 s[0:1], 0
.LBB57_1528:
	s_andn2_b64 vcc, exec, s[0:1]
	s_cbranch_vccnz .LBB57_1539
; %bb.1529:
	s_cmp_lt_i32 s2, 6
	s_cbranch_scc1 .LBB57_1532
; %bb.1530:
	s_cmp_gt_i32 s2, 6
	s_cbranch_scc0 .LBB57_1533
; %bb.1531:
	global_load_dwordx2 v[14:15], v[8:9], off
	s_mov_b64 s[0:1], 0
	s_waitcnt vmcnt(0)
	v_cvt_f32_f64_e32 v10, v[14:15]
	s_branch .LBB57_1534
.LBB57_1532:
	s_mov_b64 s[0:1], -1
                                        ; implicit-def: $vgpr10
	s_branch .LBB57_1537
.LBB57_1533:
	s_mov_b64 s[0:1], -1
                                        ; implicit-def: $vgpr10
.LBB57_1534:
	s_andn2_b64 vcc, exec, s[0:1]
	s_cbranch_vccnz .LBB57_1536
; %bb.1535:
	global_load_dword v10, v[8:9], off
.LBB57_1536:
	s_mov_b64 s[0:1], 0
.LBB57_1537:
	s_andn2_b64 vcc, exec, s[0:1]
	s_cbranch_vccnz .LBB57_1539
; %bb.1538:
	global_load_ushort v10, v[8:9], off
	s_waitcnt vmcnt(0)
	v_cvt_f32_f16_e32 v10, v10
.LBB57_1539:
	s_mov_b64 s[0:1], 0
.LBB57_1540:
	s_andn2_b64 vcc, exec, s[0:1]
	s_cbranch_vccnz .LBB57_1560
; %bb.1541:
	s_cmp_lt_i32 s2, 2
	s_cbranch_scc1 .LBB57_1545
; %bb.1542:
	s_cmp_lt_i32 s2, 3
	s_cbranch_scc1 .LBB57_1546
; %bb.1543:
	s_cmp_gt_i32 s2, 3
	s_cbranch_scc0 .LBB57_1547
; %bb.1544:
	global_load_dwordx2 v[14:15], v[8:9], off
	s_mov_b64 s[0:1], 0
	s_waitcnt vmcnt(0)
	v_xor_b32_e32 v16, v14, v15
	v_ffbh_i32_e32 v10, v15
	v_ashrrev_i32_e32 v16, 31, v16
	v_add_u32_e32 v10, -1, v10
	v_add_u32_e32 v16, 32, v16
	v_min_u32_e32 v10, v10, v16
	v_lshlrev_b64 v[14:15], v10, v[14:15]
	v_sub_u32_e32 v10, 32, v10
	v_min_u32_e32 v14, 1, v14
	v_or_b32_e32 v14, v15, v14
	v_cvt_f32_i32_e32 v14, v14
	v_ldexp_f32 v10, v14, v10
	s_branch .LBB57_1548
.LBB57_1545:
	s_mov_b64 s[0:1], -1
                                        ; implicit-def: $vgpr10
	s_branch .LBB57_1554
.LBB57_1546:
	s_mov_b64 s[0:1], -1
                                        ; implicit-def: $vgpr10
	s_branch .LBB57_1551
.LBB57_1547:
	s_mov_b64 s[0:1], -1
                                        ; implicit-def: $vgpr10
.LBB57_1548:
	s_andn2_b64 vcc, exec, s[0:1]
	s_cbranch_vccnz .LBB57_1550
; %bb.1549:
	global_load_dword v10, v[8:9], off
	s_waitcnt vmcnt(0)
	v_cvt_f32_i32_e32 v10, v10
.LBB57_1550:
	s_mov_b64 s[0:1], 0
.LBB57_1551:
	s_andn2_b64 vcc, exec, s[0:1]
	s_cbranch_vccnz .LBB57_1553
; %bb.1552:
	global_load_sshort v10, v[8:9], off
	s_waitcnt vmcnt(0)
	v_cvt_f32_i32_e32 v10, v10
.LBB57_1553:
	s_mov_b64 s[0:1], 0
.LBB57_1554:
	s_andn2_b64 vcc, exec, s[0:1]
	s_cbranch_vccnz .LBB57_1560
; %bb.1555:
	s_cmp_gt_i32 s2, 0
	s_cbranch_scc0 .LBB57_1557
; %bb.1556:
	global_load_sbyte v10, v[8:9], off
	s_mov_b64 s[0:1], 0
	s_waitcnt vmcnt(0)
	v_cvt_f32_i32_e32 v10, v10
	s_branch .LBB57_1558
.LBB57_1557:
	s_mov_b64 s[0:1], -1
                                        ; implicit-def: $vgpr10
.LBB57_1558:
	s_andn2_b64 vcc, exec, s[0:1]
	s_cbranch_vccnz .LBB57_1560
; %bb.1559:
	global_load_ubyte v8, v[8:9], off
	s_waitcnt vmcnt(0)
	v_cvt_f32_ubyte0_e32 v10, v8
.LBB57_1560:
.LBB57_1561:
	s_waitcnt vmcnt(0)
	v_cmp_gt_f32_e32 vcc, 0.5, v10
	v_mov_b32_e32 v15, 0
	v_mov_b32_e32 v14, 1.0
	s_and_saveexec_b64 s[14:15], vcc
	s_cbranch_execz .LBB57_1567
; %bb.1562:
	v_mul_f32_e32 v8, 0x40490fdb, v10
	s_brev_b32 s0, 18
	v_and_b32_e32 v9, 0x7fffffff, v8
	v_cmp_nlt_f32_e64 s[0:1], |v8|, s0
                                        ; implicit-def: $vgpr14
                                        ; implicit-def: $vgpr15
	s_and_saveexec_b64 s[2:3], s[0:1]
	s_xor_b64 s[16:17], exec, s[2:3]
	s_cbranch_execz .LBB57_1564
; %bb.1563:
	v_and_b32_e32 v14, 0x7fffff, v9
	v_or_b32_e32 v23, 0x800000, v14
	s_mov_b32 s0, 0xfe5163ab
	v_mad_u64_u32 v[14:15], s[0:1], v23, s0, 0
	v_mov_b32_e32 v16, 0
	s_mov_b32 s0, 0x3c439041
	v_mad_u64_u32 v[17:18], s[0:1], v23, s0, v[15:16]
	s_mov_b32 s0, 0xdb629599
	v_not_b32_e32 v22, 63
	v_mov_b32_e32 v15, v18
	v_mad_u64_u32 v[18:19], s[0:1], v23, s0, v[15:16]
	s_mov_b32 s0, 0xf534ddc0
	v_not_b32_e32 v25, 31
	v_mov_b32_e32 v15, v19
	v_mad_u64_u32 v[19:20], s[0:1], v23, s0, v[15:16]
	v_lshrrev_b32_e32 v15, 23, v9
	v_add_u32_e32 v24, 0xffffff88, v15
	v_mov_b32_e32 v15, v20
	s_mov_b32 s0, 0xfc2757d1
	v_mad_u64_u32 v[20:21], s[0:1], v23, s0, v[15:16]
	v_cmp_lt_u32_e32 vcc, 63, v24
	v_cndmask_b32_e32 v15, 0, v22, vcc
	v_add_u32_e32 v24, v15, v24
	v_mov_b32_e32 v15, v21
	s_mov_b32 s0, 0x4e441529
	v_mad_u64_u32 v[21:22], s[0:1], v23, s0, v[15:16]
	v_cmp_lt_u32_e64 s[0:1], 31, v24
	v_cndmask_b32_e64 v15, 0, v25, s[0:1]
	v_add_u32_e32 v24, v15, v24
	v_mov_b32_e32 v15, v22
	s_mov_b32 s2, 0xa2f9836e
	v_mad_u64_u32 v[15:16], s[2:3], v23, s2, v[15:16]
	v_cmp_lt_u32_e64 s[2:3], 31, v24
	v_cndmask_b32_e64 v22, 0, v25, s[2:3]
	v_cndmask_b32_e32 v23, v21, v19, vcc
	v_cndmask_b32_e32 v15, v15, v20, vcc
	;; [unrolled: 1-line block ×3, first 2 shown]
	v_add_u32_e32 v22, v22, v24
	v_cndmask_b32_e64 v24, v15, v23, s[0:1]
	v_cndmask_b32_e64 v15, v16, v15, s[0:1]
	v_cndmask_b32_e32 v16, v20, v18, vcc
	v_cndmask_b32_e64 v20, v23, v16, s[0:1]
	v_cndmask_b32_e64 v15, v15, v24, s[2:3]
	;; [unrolled: 1-line block ×3, first 2 shown]
	v_sub_u32_e32 v23, 32, v22
	v_alignbit_b32 v24, v15, v21, v23
	v_cmp_eq_u32_e64 s[4:5], 0, v22
	v_cndmask_b32_e64 v22, v24, v15, s[4:5]
	v_cndmask_b32_e32 v15, v19, v17, vcc
	v_cndmask_b32_e64 v16, v16, v15, s[0:1]
	v_cndmask_b32_e64 v17, v20, v16, s[2:3]
	v_alignbit_b32 v19, v21, v17, v23
	v_cndmask_b32_e32 v14, v18, v14, vcc
	v_cndmask_b32_e64 v19, v19, v21, s[4:5]
	v_bfe_u32 v24, v22, 29, 1
	v_cndmask_b32_e64 v14, v15, v14, s[0:1]
	v_alignbit_b32 v20, v22, v19, 30
	v_sub_u32_e32 v25, 0, v24
	v_cndmask_b32_e64 v14, v16, v14, s[2:3]
	v_xor_b32_e32 v20, v20, v25
	v_alignbit_b32 v15, v17, v14, v23
	v_cndmask_b32_e64 v15, v15, v17, s[4:5]
	v_ffbh_u32_e32 v17, v20
	v_alignbit_b32 v16, v19, v15, 30
	v_min_u32_e32 v17, 32, v17
	v_alignbit_b32 v14, v15, v14, 30
	v_xor_b32_e32 v16, v16, v25
	v_sub_u32_e32 v18, 31, v17
	v_xor_b32_e32 v14, v14, v25
	v_alignbit_b32 v19, v20, v16, v18
	v_alignbit_b32 v14, v16, v14, v18
	;; [unrolled: 1-line block ×3, first 2 shown]
	v_ffbh_u32_e32 v16, v15
	v_min_u32_e32 v16, 32, v16
	v_lshrrev_b32_e32 v21, 29, v22
	v_not_b32_e32 v18, v16
	v_alignbit_b32 v14, v15, v14, v18
	v_lshlrev_b32_e32 v15, 31, v21
	v_or_b32_e32 v18, 0x33000000, v15
	v_add_lshl_u32 v16, v16, v17, 23
	v_lshrrev_b32_e32 v14, 9, v14
	v_sub_u32_e32 v16, v18, v16
	v_or_b32_e32 v15, 0.5, v15
	v_lshlrev_b32_e32 v17, 23, v17
	v_or_b32_e32 v14, v16, v14
	v_lshrrev_b32_e32 v16, 9, v19
	v_sub_u32_e32 v15, v15, v17
	v_or_b32_e32 v15, v16, v15
	s_mov_b32 s0, 0x3fc90fda
	v_mul_f32_e32 v16, 0x3fc90fda, v15
	v_fma_f32 v17, v15, s0, -v16
	v_fmac_f32_e32 v17, 0x33a22168, v15
	v_fmac_f32_e32 v17, 0x3fc90fda, v14
	v_lshrrev_b32_e32 v14, 30, v22
	v_add_f32_e32 v15, v16, v17
	v_add_u32_e32 v14, v24, v14
.LBB57_1564:
	s_andn2_saveexec_b64 s[0:1], s[16:17]
	s_cbranch_execz .LBB57_1566
; %bb.1565:
	s_mov_b32 s2, 0x3f22f983
	v_mul_f32_e64 v14, |v8|, s2
	v_rndne_f32_e32 v16, v14
	s_mov_b32 s2, 0xbfc90fda
	v_cvt_i32_f32_e32 v14, v16
	v_fma_f32 v15, v16, s2, |v8|
	v_fmac_f32_e32 v15, 0xb3a22168, v16
	v_fmac_f32_e32 v15, 0xa7c234c4, v16
.LBB57_1566:
	s_or_b64 exec, exec, s[0:1]
	v_mul_f32_e32 v16, v15, v15
	v_mov_b32_e32 v17, 0x3c0881c4
	v_fmac_f32_e32 v17, 0xb94c1982, v16
	v_mov_b32_e32 v18, 0xbe2aaa9d
	v_fmac_f32_e32 v18, v16, v17
	v_mul_f32_e32 v17, v16, v18
	v_fmac_f32_e32 v15, v15, v17
	v_mov_b32_e32 v17, 0xbab64f3b
	v_fmac_f32_e32 v17, 0x37d75334, v16
	v_mov_b32_e32 v18, 0x3d2aabf7
	;; [unrolled: 2-line block ×3, first 2 shown]
	v_fmac_f32_e32 v17, v16, v18
	v_fma_f32 v16, v16, v17, 1.0
	v_and_b32_e32 v17, 1, v14
	v_lshlrev_b32_e32 v14, 30, v14
	v_cmp_eq_u32_e32 vcc, 0, v17
	v_and_b32_e32 v14, 0x80000000, v14
	v_xor_b32_e32 v9, v9, v8
	v_cndmask_b32_e32 v15, v16, v15, vcc
	v_xor_b32_e32 v9, v9, v14
	s_movk_i32 s0, 0x1f8
	v_xor_b32_e32 v9, v9, v15
	v_mov_b32_e32 v14, 0x7fc00000
	v_cmp_class_f32_e64 vcc, v8, s0
	v_cndmask_b32_e32 v8, v14, v9, vcc
	v_mul_f32_e32 v8, v8, v8
	s_mov_b32 s2, 0xc11de9e7
	v_div_scale_f32 v9, s[0:1], v8, v8, s2
	v_div_scale_f32 v14, vcc, s2, v8, s2
	v_sub_f32_e32 v10, 1.0, v10
	v_rcp_f32_e32 v15, v9
	v_fma_f32 v16, -v9, v15, 1.0
	v_fmac_f32_e32 v15, v16, v15
	v_mul_f32_e32 v16, v14, v15
	v_fma_f32 v17, -v9, v16, v14
	v_fmac_f32_e32 v16, v17, v15
	v_fma_f32 v9, -v9, v16, v14
	v_div_fmas_f32 v9, v9, v15, v16
	v_mov_b32_e32 v14, -1.0
	v_div_fixup_f32 v8, v9, v8, s2
	v_add_f32_e32 v15, 0, v8
.LBB57_1567:
	s_or_b64 exec, exec, s[14:15]
	v_mov_b32_e32 v8, s11
	v_add_co_u32_e32 v7, vcc, s10, v7
	s_cmp_lt_i32 s19, 11
	v_addc_co_u32_e32 v8, vcc, 0, v8, vcc
	s_cbranch_scc1 .LBB57_1574
; %bb.1568:
	s_and_b32 s16, 0xffff, s19
	s_cmp_gt_i32 s16, 25
	s_mov_b64 s[2:3], 0
	s_cbranch_scc0 .LBB57_1575
; %bb.1569:
	s_cmp_gt_i32 s16, 28
	s_cbranch_scc0 .LBB57_1576
; %bb.1570:
	s_cmp_gt_i32 s16, 43
	;; [unrolled: 3-line block ×3, first 2 shown]
	s_cbranch_scc0 .LBB57_1579
; %bb.1572:
	s_cmp_eq_u32 s16, 46
	s_mov_b64 s[10:11], 0
	s_cbranch_scc0 .LBB57_1580
; %bb.1573:
	global_load_dword v9, v[7:8], off
	s_mov_b64 s[0:1], 0
	s_mov_b64 s[4:5], -1
	s_waitcnt vmcnt(0)
	v_lshlrev_b32_e32 v9, 16, v9
	s_branch .LBB57_1581
.LBB57_1574:
	s_mov_b64 s[0:1], -1
	s_mov_b64 s[4:5], 0
                                        ; implicit-def: $vgpr9
	s_branch .LBB57_1647
.LBB57_1575:
	s_mov_b64 s[10:11], -1
	s_mov_b64 s[4:5], 0
	s_mov_b64 s[0:1], 0
                                        ; implicit-def: $vgpr9
	s_branch .LBB57_1610
.LBB57_1576:
	s_mov_b64 s[10:11], -1
	s_mov_b64 s[4:5], 0
	s_mov_b64 s[0:1], 0
                                        ; implicit-def: $vgpr9
	s_branch .LBB57_1591
.LBB57_1577:
	s_mov_b64 s[10:11], -1
	s_mov_b64 s[4:5], 0
	s_mov_b64 s[0:1], 0
                                        ; implicit-def: $vgpr9
	s_branch .LBB57_1586
.LBB57_1578:
	s_trap 2
	s_or_b64 s[12:13], s[12:13], exec
	s_cbranch_execz .LBB57_1511
	s_branch .LBB57_1512
.LBB57_1579:
	s_mov_b64 s[10:11], -1
	s_mov_b64 s[4:5], 0
	s_mov_b64 s[0:1], 0
                                        ; implicit-def: $vgpr9
	s_branch .LBB57_1581
.LBB57_1580:
	s_mov_b64 s[0:1], -1
                                        ; implicit-def: $vgpr9
	s_mov_b64 s[4:5], 0
.LBB57_1581:
	s_and_b64 vcc, exec, s[10:11]
	s_cbranch_vccz .LBB57_1585
; %bb.1582:
	s_cmp_eq_u32 s16, 44
	s_cbranch_scc0 .LBB57_1584
; %bb.1583:
	global_load_ubyte v9, v[7:8], off
	s_movk_i32 s4, 0xff
	v_mov_b32_e32 v16, 0x7f800001
	v_mov_b32_e32 v17, 0x400000
	s_mov_b64 s[0:1], 0
	s_waitcnt vmcnt(0)
	v_lshlrev_b32_e32 v18, 23, v9
	v_cmp_ne_u32_e32 vcc, s4, v9
	v_cndmask_b32_e32 v16, v16, v18, vcc
	v_cmp_ne_u32_e32 vcc, 0, v9
	v_cndmask_b32_e32 v9, v17, v16, vcc
	s_mov_b64 s[4:5], -1
	s_branch .LBB57_1585
.LBB57_1584:
	s_mov_b64 s[0:1], -1
                                        ; implicit-def: $vgpr9
.LBB57_1585:
	s_mov_b64 s[10:11], 0
.LBB57_1586:
	s_and_b64 vcc, exec, s[10:11]
	s_cbranch_vccz .LBB57_1590
; %bb.1587:
	s_cmp_eq_u32 s16, 29
	s_cbranch_scc0 .LBB57_1589
; %bb.1588:
	global_load_dwordx2 v[16:17], v[7:8], off
	s_mov_b64 s[0:1], 0
	s_mov_b64 s[4:5], -1
	s_mov_b64 s[10:11], 0
	s_waitcnt vmcnt(0)
	v_ffbh_u32_e32 v9, v17
	v_min_u32_e32 v9, 32, v9
	v_lshlrev_b64 v[16:17], v9, v[16:17]
	v_sub_u32_e32 v9, 32, v9
	v_min_u32_e32 v16, 1, v16
	v_or_b32_e32 v16, v17, v16
	v_cvt_f32_u32_e32 v16, v16
	v_ldexp_f32 v9, v16, v9
	s_branch .LBB57_1591
.LBB57_1589:
	s_mov_b64 s[0:1], -1
                                        ; implicit-def: $vgpr9
.LBB57_1590:
	s_mov_b64 s[10:11], 0
.LBB57_1591:
	s_and_b64 vcc, exec, s[10:11]
	s_cbranch_vccz .LBB57_1609
; %bb.1592:
	s_cmp_lt_i32 s16, 27
	s_cbranch_scc1 .LBB57_1595
; %bb.1593:
	s_cmp_gt_i32 s16, 27
	s_cbranch_scc0 .LBB57_1596
; %bb.1594:
	global_load_dword v9, v[7:8], off
	s_mov_b64 s[4:5], 0
	s_waitcnt vmcnt(0)
	v_cvt_f32_u32_e32 v9, v9
	s_branch .LBB57_1597
.LBB57_1595:
	s_mov_b64 s[4:5], -1
                                        ; implicit-def: $vgpr9
	s_branch .LBB57_1600
.LBB57_1596:
	s_mov_b64 s[4:5], -1
                                        ; implicit-def: $vgpr9
.LBB57_1597:
	s_andn2_b64 vcc, exec, s[4:5]
	s_cbranch_vccnz .LBB57_1599
; %bb.1598:
	global_load_ushort v9, v[7:8], off
	s_waitcnt vmcnt(0)
	v_cvt_f32_u32_e32 v9, v9
.LBB57_1599:
	s_mov_b64 s[4:5], 0
.LBB57_1600:
	s_andn2_b64 vcc, exec, s[4:5]
	s_cbranch_vccnz .LBB57_1608
; %bb.1601:
	global_load_ubyte v16, v[7:8], off
	s_movk_i32 s4, 0x7f
	s_waitcnt vmcnt(0)
	v_cmp_lt_i16_e32 vcc, s4, v16
	s_mov_b64 s[4:5], 0
	s_and_saveexec_b64 s[10:11], vcc
	s_xor_b64 s[10:11], exec, s[10:11]
	s_cbranch_execz .LBB57_1622
; %bb.1602:
	s_movk_i32 s4, 0x80
	v_cmp_eq_u16_e32 vcc, s4, v16
	s_mov_b64 s[4:5], -1
	s_and_saveexec_b64 s[14:15], vcc
; %bb.1603:
	s_xor_b64 s[4:5], exec, -1
; %bb.1604:
	s_or_b64 exec, exec, s[14:15]
	s_and_b64 s[4:5], s[4:5], exec
	s_or_saveexec_b64 s[10:11], s[10:11]
	v_mov_b32_e32 v9, 0x7f800001
	s_xor_b64 exec, exec, s[10:11]
	s_cbranch_execnz .LBB57_1623
.LBB57_1605:
	s_or_b64 exec, exec, s[10:11]
	s_and_saveexec_b64 s[10:11], s[4:5]
	s_cbranch_execz .LBB57_1607
.LBB57_1606:
	v_lshlrev_b32_e32 v9, 24, v16
	v_and_b32_e32 v16, 0xffff, v16
	v_and_b32_e32 v17, 7, v16
	v_ffbh_u32_e32 v19, v17
	v_min_u32_e32 v19, 32, v19
	v_subrev_u32_e32 v20, 28, v19
	v_bfe_u32 v18, v16, 3, 4
	v_lshlrev_b32_e32 v16, v20, v16
	v_sub_u32_e32 v19, 29, v19
	v_and_b32_e32 v16, 7, v16
	v_cmp_eq_u32_e32 vcc, 0, v18
	v_cndmask_b32_e32 v18, v18, v19, vcc
	v_cndmask_b32_e32 v16, v17, v16, vcc
	v_mov_b32_e32 v17, 0x3b800000
	v_lshlrev_b32_e32 v16, 20, v16
	v_and_b32_e32 v9, 0x80000000, v9
	v_lshl_add_u32 v17, v18, 23, v17
	v_or3_b32 v9, v9, v17, v16
.LBB57_1607:
	s_or_b64 exec, exec, s[10:11]
.LBB57_1608:
	s_mov_b64 s[4:5], -1
.LBB57_1609:
	s_mov_b64 s[10:11], 0
.LBB57_1610:
	s_and_b64 vcc, exec, s[10:11]
	s_cbranch_vccz .LBB57_1643
; %bb.1611:
	s_cmp_gt_i32 s16, 22
	s_cbranch_scc0 .LBB57_1621
; %bb.1612:
	s_cmp_lt_i32 s16, 24
	s_cbranch_scc1 .LBB57_1624
; %bb.1613:
	s_cmp_gt_i32 s16, 24
	s_cbranch_scc0 .LBB57_1625
; %bb.1614:
	global_load_ubyte v16, v[7:8], off
	s_movk_i32 s2, 0x7f
	s_waitcnt vmcnt(0)
	v_cmp_lt_i16_e32 vcc, s2, v16
	s_mov_b64 s[2:3], 0
	s_and_saveexec_b64 s[4:5], vcc
	s_xor_b64 s[4:5], exec, s[4:5]
	s_cbranch_execz .LBB57_1637
; %bb.1615:
	s_movk_i32 s2, 0x80
	v_cmp_eq_u16_e32 vcc, s2, v16
	s_mov_b64 s[2:3], -1
	s_and_saveexec_b64 s[10:11], vcc
; %bb.1616:
	s_xor_b64 s[2:3], exec, -1
; %bb.1617:
	s_or_b64 exec, exec, s[10:11]
	s_and_b64 s[2:3], s[2:3], exec
	s_or_saveexec_b64 s[4:5], s[4:5]
	v_mov_b32_e32 v9, 0x7f800001
	s_xor_b64 exec, exec, s[4:5]
	s_cbranch_execnz .LBB57_1638
.LBB57_1618:
	s_or_b64 exec, exec, s[4:5]
	s_and_saveexec_b64 s[4:5], s[2:3]
	s_cbranch_execz .LBB57_1620
.LBB57_1619:
	v_lshlrev_b32_e32 v9, 24, v16
	v_and_b32_e32 v16, 0xffff, v16
	v_and_b32_e32 v17, 3, v16
	v_ffbh_u32_e32 v19, v17
	v_min_u32_e32 v19, 32, v19
	v_subrev_u32_e32 v20, 29, v19
	v_bfe_u32 v18, v16, 2, 5
	v_lshlrev_b32_e32 v16, v20, v16
	v_sub_u32_e32 v19, 30, v19
	v_and_b32_e32 v16, 3, v16
	v_cmp_eq_u32_e32 vcc, 0, v18
	v_cndmask_b32_e32 v18, v18, v19, vcc
	v_cndmask_b32_e32 v16, v17, v16, vcc
	v_mov_b32_e32 v17, 0x37800000
	v_lshlrev_b32_e32 v16, 21, v16
	v_and_b32_e32 v9, 0x80000000, v9
	v_lshl_add_u32 v17, v18, 23, v17
	v_or3_b32 v9, v9, v17, v16
.LBB57_1620:
	s_or_b64 exec, exec, s[4:5]
	s_mov_b64 s[2:3], 0
	s_branch .LBB57_1626
.LBB57_1621:
	s_mov_b64 s[2:3], -1
                                        ; implicit-def: $vgpr9
	s_branch .LBB57_1632
.LBB57_1622:
	s_or_saveexec_b64 s[10:11], s[10:11]
	v_mov_b32_e32 v9, 0x7f800001
	s_xor_b64 exec, exec, s[10:11]
	s_cbranch_execz .LBB57_1605
.LBB57_1623:
	v_cmp_ne_u16_e32 vcc, 0, v16
	s_andn2_b64 s[4:5], s[4:5], exec
	s_and_b64 s[14:15], vcc, exec
	v_mov_b32_e32 v9, 0
	s_or_b64 s[4:5], s[4:5], s[14:15]
	s_or_b64 exec, exec, s[10:11]
	s_and_saveexec_b64 s[10:11], s[4:5]
	s_cbranch_execnz .LBB57_1606
	s_branch .LBB57_1607
.LBB57_1624:
	s_mov_b64 s[2:3], -1
                                        ; implicit-def: $vgpr9
	s_branch .LBB57_1629
.LBB57_1625:
	s_mov_b64 s[2:3], -1
                                        ; implicit-def: $vgpr9
.LBB57_1626:
	s_and_b64 vcc, exec, s[2:3]
	s_cbranch_vccz .LBB57_1628
; %bb.1627:
	global_load_ubyte v9, v[7:8], off
	s_mov_b32 s2, 0x7f800000
	s_waitcnt vmcnt(0)
	v_lshlrev_b32_e32 v9, 24, v9
	v_and_b32_e32 v16, 0x7f000000, v9
	v_ffbh_u32_e32 v17, v16
	v_min_u32_e32 v17, 32, v17
	v_sub_u32_e64 v17, v17, 4 clamp
	v_lshlrev_b32_e32 v19, v17, v16
	v_lshlrev_b32_e32 v17, 23, v17
	v_lshrrev_b32_e32 v19, 4, v19
	v_add_u32_e32 v18, 0x1000000, v16
	v_sub_u32_e32 v17, v19, v17
	v_ashrrev_i32_e32 v18, 8, v18
	v_add_u32_e32 v17, 0x3c000000, v17
	v_and_or_b32 v17, v18, s2, v17
	v_cmp_ne_u32_e32 vcc, 0, v16
	v_cndmask_b32_e32 v16, 0, v17, vcc
	s_brev_b32 s2, 1
	v_and_or_b32 v9, v9, s2, v16
.LBB57_1628:
	s_mov_b64 s[2:3], 0
.LBB57_1629:
	s_andn2_b64 vcc, exec, s[2:3]
	s_cbranch_vccnz .LBB57_1631
; %bb.1630:
	global_load_ubyte v9, v[7:8], off
	s_movk_i32 s2, 0x7f00
	s_brev_b32 s3, 16
	s_waitcnt vmcnt(0)
	v_lshlrev_b16_e32 v16, 8, v9
	v_lshlrev_b32_e32 v9, 25, v9
	v_lshrrev_b32_e32 v17, 4, v9
	v_and_or_b32 v18, v16, s2, 0.5
	v_or_b32_e32 v17, 0x70000000, v17
	v_add_f32_e32 v18, -0.5, v18
	v_mul_f32_e32 v17, 0x7800000, v17
	v_cmp_gt_u32_e32 vcc, s3, v9
	v_bfe_i32 v16, v16, 0, 16
	v_cndmask_b32_e32 v9, v17, v18, vcc
	s_brev_b32 s2, 1
	v_and_or_b32 v9, v16, s2, v9
.LBB57_1631:
	s_mov_b64 s[2:3], 0
	s_mov_b64 s[4:5], -1
.LBB57_1632:
	s_andn2_b64 vcc, exec, s[2:3]
	s_mov_b64 s[2:3], 0
	s_cbranch_vccnz .LBB57_1643
; %bb.1633:
	s_cmp_gt_i32 s16, 14
	s_cbranch_scc0 .LBB57_1636
; %bb.1634:
	s_cmp_eq_u32 s16, 15
	s_cbranch_scc0 .LBB57_1639
; %bb.1635:
	global_load_ushort v9, v[7:8], off
	s_mov_b64 s[0:1], 0
	s_mov_b64 s[4:5], -1
	s_waitcnt vmcnt(0)
	v_lshlrev_b32_e32 v9, 16, v9
	s_branch .LBB57_1640
.LBB57_1636:
	s_mov_b64 s[10:11], -1
                                        ; implicit-def: $vgpr9
	s_branch .LBB57_1641
.LBB57_1637:
	s_or_saveexec_b64 s[4:5], s[4:5]
	v_mov_b32_e32 v9, 0x7f800001
	s_xor_b64 exec, exec, s[4:5]
	s_cbranch_execz .LBB57_1618
.LBB57_1638:
	v_cmp_ne_u16_e32 vcc, 0, v16
	s_andn2_b64 s[2:3], s[2:3], exec
	s_and_b64 s[10:11], vcc, exec
	v_mov_b32_e32 v9, 0
	s_or_b64 s[2:3], s[2:3], s[10:11]
	s_or_b64 exec, exec, s[4:5]
	s_and_saveexec_b64 s[4:5], s[2:3]
	s_cbranch_execnz .LBB57_1619
	s_branch .LBB57_1620
.LBB57_1639:
	s_mov_b64 s[0:1], -1
                                        ; implicit-def: $vgpr9
.LBB57_1640:
	s_mov_b64 s[10:11], 0
.LBB57_1641:
	s_and_b64 vcc, exec, s[10:11]
	s_cbranch_vccz .LBB57_1643
; %bb.1642:
	s_cmp_lg_u32 s16, 11
	s_mov_b64 s[2:3], -1
	s_cselect_b64 s[0:1], -1, 0
.LBB57_1643:
	s_and_b64 vcc, exec, s[0:1]
	s_cbranch_vccnz .LBB57_2182
; %bb.1644:
	s_andn2_b64 vcc, exec, s[2:3]
	s_cbranch_vccnz .LBB57_1646
.LBB57_1645:
	global_load_ubyte v9, v[7:8], off
	s_mov_b64 s[4:5], -1
	s_waitcnt vmcnt(0)
	v_cmp_ne_u16_e32 vcc, 0, v9
	v_cndmask_b32_e64 v9, 0, 1.0, vcc
.LBB57_1646:
	s_mov_b64 s[0:1], 0
.LBB57_1647:
	s_and_b64 vcc, exec, s[0:1]
	s_cbranch_vccz .LBB57_1696
; %bb.1648:
	s_and_b32 s2, 0xffff, s19
	s_cmp_lt_i32 s2, 5
	s_cbranch_scc1 .LBB57_1653
; %bb.1649:
	s_cmp_lt_i32 s2, 8
	s_cbranch_scc1 .LBB57_1654
; %bb.1650:
	;; [unrolled: 3-line block ×3, first 2 shown]
	s_cmp_gt_i32 s2, 9
	s_cbranch_scc0 .LBB57_1656
; %bb.1652:
	global_load_dwordx2 v[16:17], v[7:8], off
	s_mov_b64 s[0:1], 0
	s_waitcnt vmcnt(0)
	v_cvt_f32_f64_e32 v9, v[16:17]
	s_branch .LBB57_1657
.LBB57_1653:
	s_mov_b64 s[0:1], -1
                                        ; implicit-def: $vgpr9
	s_branch .LBB57_1675
.LBB57_1654:
	s_mov_b64 s[0:1], -1
                                        ; implicit-def: $vgpr9
	s_branch .LBB57_1663
.LBB57_1655:
	s_mov_b64 s[0:1], -1
                                        ; implicit-def: $vgpr9
	s_branch .LBB57_1660
.LBB57_1656:
	s_mov_b64 s[0:1], -1
                                        ; implicit-def: $vgpr9
.LBB57_1657:
	s_andn2_b64 vcc, exec, s[0:1]
	s_cbranch_vccnz .LBB57_1659
; %bb.1658:
	global_load_dword v9, v[7:8], off
.LBB57_1659:
	s_mov_b64 s[0:1], 0
.LBB57_1660:
	s_andn2_b64 vcc, exec, s[0:1]
	s_cbranch_vccnz .LBB57_1662
; %bb.1661:
	global_load_dword v9, v[7:8], off
	s_waitcnt vmcnt(0)
	v_cvt_f32_f16_e32 v9, v9
.LBB57_1662:
	s_mov_b64 s[0:1], 0
.LBB57_1663:
	s_andn2_b64 vcc, exec, s[0:1]
	s_cbranch_vccnz .LBB57_1674
; %bb.1664:
	s_cmp_lt_i32 s2, 6
	s_cbranch_scc1 .LBB57_1667
; %bb.1665:
	s_cmp_gt_i32 s2, 6
	s_cbranch_scc0 .LBB57_1668
; %bb.1666:
	global_load_dwordx2 v[16:17], v[7:8], off
	s_mov_b64 s[0:1], 0
	s_waitcnt vmcnt(0)
	v_cvt_f32_f64_e32 v9, v[16:17]
	s_branch .LBB57_1669
.LBB57_1667:
	s_mov_b64 s[0:1], -1
                                        ; implicit-def: $vgpr9
	s_branch .LBB57_1672
.LBB57_1668:
	s_mov_b64 s[0:1], -1
                                        ; implicit-def: $vgpr9
.LBB57_1669:
	s_andn2_b64 vcc, exec, s[0:1]
	s_cbranch_vccnz .LBB57_1671
; %bb.1670:
	global_load_dword v9, v[7:8], off
.LBB57_1671:
	s_mov_b64 s[0:1], 0
.LBB57_1672:
	s_andn2_b64 vcc, exec, s[0:1]
	s_cbranch_vccnz .LBB57_1674
; %bb.1673:
	global_load_ushort v9, v[7:8], off
	s_waitcnt vmcnt(0)
	v_cvt_f32_f16_e32 v9, v9
.LBB57_1674:
	s_mov_b64 s[0:1], 0
.LBB57_1675:
	s_andn2_b64 vcc, exec, s[0:1]
	s_cbranch_vccnz .LBB57_1695
; %bb.1676:
	s_cmp_lt_i32 s2, 2
	s_cbranch_scc1 .LBB57_1680
; %bb.1677:
	s_cmp_lt_i32 s2, 3
	s_cbranch_scc1 .LBB57_1681
; %bb.1678:
	s_cmp_gt_i32 s2, 3
	s_cbranch_scc0 .LBB57_1682
; %bb.1679:
	global_load_dwordx2 v[16:17], v[7:8], off
	s_mov_b64 s[0:1], 0
	s_waitcnt vmcnt(0)
	v_xor_b32_e32 v18, v16, v17
	v_ffbh_i32_e32 v9, v17
	v_ashrrev_i32_e32 v18, 31, v18
	v_add_u32_e32 v9, -1, v9
	v_add_u32_e32 v18, 32, v18
	v_min_u32_e32 v9, v9, v18
	v_lshlrev_b64 v[16:17], v9, v[16:17]
	v_sub_u32_e32 v9, 32, v9
	v_min_u32_e32 v16, 1, v16
	v_or_b32_e32 v16, v17, v16
	v_cvt_f32_i32_e32 v16, v16
	v_ldexp_f32 v9, v16, v9
	s_branch .LBB57_1683
.LBB57_1680:
	s_mov_b64 s[0:1], -1
                                        ; implicit-def: $vgpr9
	s_branch .LBB57_1689
.LBB57_1681:
	s_mov_b64 s[0:1], -1
                                        ; implicit-def: $vgpr9
	s_branch .LBB57_1686
.LBB57_1682:
	s_mov_b64 s[0:1], -1
                                        ; implicit-def: $vgpr9
.LBB57_1683:
	s_andn2_b64 vcc, exec, s[0:1]
	s_cbranch_vccnz .LBB57_1685
; %bb.1684:
	global_load_dword v9, v[7:8], off
	s_waitcnt vmcnt(0)
	v_cvt_f32_i32_e32 v9, v9
.LBB57_1685:
	s_mov_b64 s[0:1], 0
.LBB57_1686:
	s_andn2_b64 vcc, exec, s[0:1]
	s_cbranch_vccnz .LBB57_1688
; %bb.1687:
	global_load_sshort v9, v[7:8], off
	s_waitcnt vmcnt(0)
	v_cvt_f32_i32_e32 v9, v9
.LBB57_1688:
	s_mov_b64 s[0:1], 0
.LBB57_1689:
	s_andn2_b64 vcc, exec, s[0:1]
	s_cbranch_vccnz .LBB57_1695
; %bb.1690:
	s_cmp_gt_i32 s2, 0
	s_cbranch_scc0 .LBB57_1692
; %bb.1691:
	global_load_sbyte v9, v[7:8], off
	s_mov_b64 s[0:1], 0
	s_waitcnt vmcnt(0)
	v_cvt_f32_i32_e32 v9, v9
	s_branch .LBB57_1693
.LBB57_1692:
	s_mov_b64 s[0:1], -1
                                        ; implicit-def: $vgpr9
.LBB57_1693:
	s_andn2_b64 vcc, exec, s[0:1]
	s_cbranch_vccnz .LBB57_1695
; %bb.1694:
	global_load_ubyte v7, v[7:8], off
	s_waitcnt vmcnt(0)
	v_cvt_f32_ubyte0_e32 v9, v7
.LBB57_1695:
	s_mov_b64 s[4:5], -1
.LBB57_1696:
	s_andn2_b64 vcc, exec, s[4:5]
	s_cbranch_vccnz .LBB57_2136
; %bb.1697:
	s_waitcnt vmcnt(0)
	v_cmp_gt_f32_e32 vcc, 0.5, v9
	v_mov_b32_e32 v17, 0
	v_mov_b32_e32 v16, 1.0
	s_and_saveexec_b64 s[10:11], vcc
	s_cbranch_execz .LBB57_1703
; %bb.1698:
	v_mul_f32_e32 v7, 0x40490fdb, v9
	s_brev_b32 s0, 18
	v_and_b32_e32 v8, 0x7fffffff, v7
	v_cmp_nlt_f32_e64 s[0:1], |v7|, s0
                                        ; implicit-def: $vgpr16
                                        ; implicit-def: $vgpr17
	s_and_saveexec_b64 s[2:3], s[0:1]
	s_xor_b64 s[14:15], exec, s[2:3]
	s_cbranch_execz .LBB57_1700
; %bb.1699:
	v_and_b32_e32 v16, 0x7fffff, v8
	v_or_b32_e32 v25, 0x800000, v16
	s_mov_b32 s0, 0xfe5163ab
	v_mad_u64_u32 v[16:17], s[0:1], v25, s0, 0
	v_mov_b32_e32 v18, 0
	s_mov_b32 s0, 0x3c439041
	v_mad_u64_u32 v[19:20], s[0:1], v25, s0, v[17:18]
	s_mov_b32 s0, 0xdb629599
	v_not_b32_e32 v24, 63
	v_mov_b32_e32 v17, v20
	v_mad_u64_u32 v[20:21], s[0:1], v25, s0, v[17:18]
	s_mov_b32 s0, 0xf534ddc0
	v_not_b32_e32 v27, 31
	v_mov_b32_e32 v17, v21
	v_mad_u64_u32 v[21:22], s[0:1], v25, s0, v[17:18]
	v_lshrrev_b32_e32 v17, 23, v8
	v_add_u32_e32 v26, 0xffffff88, v17
	v_mov_b32_e32 v17, v22
	s_mov_b32 s0, 0xfc2757d1
	v_mad_u64_u32 v[22:23], s[0:1], v25, s0, v[17:18]
	v_cmp_lt_u32_e32 vcc, 63, v26
	v_cndmask_b32_e32 v17, 0, v24, vcc
	v_add_u32_e32 v26, v17, v26
	v_mov_b32_e32 v17, v23
	s_mov_b32 s0, 0x4e441529
	v_mad_u64_u32 v[23:24], s[0:1], v25, s0, v[17:18]
	v_cmp_lt_u32_e64 s[0:1], 31, v26
	v_cndmask_b32_e64 v17, 0, v27, s[0:1]
	v_add_u32_e32 v26, v17, v26
	v_mov_b32_e32 v17, v24
	s_mov_b32 s2, 0xa2f9836e
	v_mad_u64_u32 v[17:18], s[2:3], v25, s2, v[17:18]
	v_cmp_lt_u32_e64 s[2:3], 31, v26
	v_cndmask_b32_e64 v24, 0, v27, s[2:3]
	v_cndmask_b32_e32 v25, v23, v21, vcc
	v_cndmask_b32_e32 v17, v17, v22, vcc
	;; [unrolled: 1-line block ×3, first 2 shown]
	v_add_u32_e32 v24, v24, v26
	v_cndmask_b32_e64 v26, v17, v25, s[0:1]
	v_cndmask_b32_e64 v17, v18, v17, s[0:1]
	v_cndmask_b32_e32 v18, v22, v20, vcc
	v_cndmask_b32_e64 v22, v25, v18, s[0:1]
	v_cndmask_b32_e64 v17, v17, v26, s[2:3]
	;; [unrolled: 1-line block ×3, first 2 shown]
	v_sub_u32_e32 v25, 32, v24
	v_alignbit_b32 v26, v17, v23, v25
	v_cmp_eq_u32_e64 s[4:5], 0, v24
	v_cndmask_b32_e64 v24, v26, v17, s[4:5]
	v_cndmask_b32_e32 v17, v21, v19, vcc
	v_cndmask_b32_e64 v18, v18, v17, s[0:1]
	v_cndmask_b32_e64 v19, v22, v18, s[2:3]
	v_alignbit_b32 v21, v23, v19, v25
	v_cndmask_b32_e32 v16, v20, v16, vcc
	v_cndmask_b32_e64 v21, v21, v23, s[4:5]
	v_bfe_u32 v26, v24, 29, 1
	v_cndmask_b32_e64 v16, v17, v16, s[0:1]
	v_alignbit_b32 v22, v24, v21, 30
	v_sub_u32_e32 v27, 0, v26
	v_cndmask_b32_e64 v16, v18, v16, s[2:3]
	v_xor_b32_e32 v22, v22, v27
	v_alignbit_b32 v17, v19, v16, v25
	v_cndmask_b32_e64 v17, v17, v19, s[4:5]
	v_ffbh_u32_e32 v19, v22
	v_alignbit_b32 v18, v21, v17, 30
	v_min_u32_e32 v19, 32, v19
	v_alignbit_b32 v16, v17, v16, 30
	v_xor_b32_e32 v18, v18, v27
	v_sub_u32_e32 v20, 31, v19
	v_xor_b32_e32 v16, v16, v27
	v_alignbit_b32 v21, v22, v18, v20
	v_alignbit_b32 v16, v18, v16, v20
	v_alignbit_b32 v17, v21, v16, 9
	v_ffbh_u32_e32 v18, v17
	v_min_u32_e32 v18, 32, v18
	v_lshrrev_b32_e32 v23, 29, v24
	v_not_b32_e32 v20, v18
	v_alignbit_b32 v16, v17, v16, v20
	v_lshlrev_b32_e32 v17, 31, v23
	v_or_b32_e32 v20, 0x33000000, v17
	v_add_lshl_u32 v18, v18, v19, 23
	v_lshrrev_b32_e32 v16, 9, v16
	v_sub_u32_e32 v18, v20, v18
	v_or_b32_e32 v17, 0.5, v17
	v_lshlrev_b32_e32 v19, 23, v19
	v_or_b32_e32 v16, v18, v16
	v_lshrrev_b32_e32 v18, 9, v21
	v_sub_u32_e32 v17, v17, v19
	v_or_b32_e32 v17, v18, v17
	s_mov_b32 s0, 0x3fc90fda
	v_mul_f32_e32 v18, 0x3fc90fda, v17
	v_fma_f32 v19, v17, s0, -v18
	v_fmac_f32_e32 v19, 0x33a22168, v17
	v_fmac_f32_e32 v19, 0x3fc90fda, v16
	v_lshrrev_b32_e32 v16, 30, v24
	v_add_f32_e32 v17, v18, v19
	v_add_u32_e32 v16, v26, v16
.LBB57_1700:
	s_andn2_saveexec_b64 s[0:1], s[14:15]
	s_cbranch_execz .LBB57_1702
; %bb.1701:
	s_mov_b32 s2, 0x3f22f983
	v_mul_f32_e64 v16, |v7|, s2
	v_rndne_f32_e32 v18, v16
	s_mov_b32 s2, 0xbfc90fda
	v_cvt_i32_f32_e32 v16, v18
	v_fma_f32 v17, v18, s2, |v7|
	v_fmac_f32_e32 v17, 0xb3a22168, v18
	v_fmac_f32_e32 v17, 0xa7c234c4, v18
.LBB57_1702:
	s_or_b64 exec, exec, s[0:1]
	v_mul_f32_e32 v18, v17, v17
	v_mov_b32_e32 v19, 0x3c0881c4
	v_fmac_f32_e32 v19, 0xb94c1982, v18
	v_mov_b32_e32 v20, 0xbe2aaa9d
	v_fmac_f32_e32 v20, v18, v19
	v_mul_f32_e32 v19, v18, v20
	v_fmac_f32_e32 v17, v17, v19
	v_mov_b32_e32 v19, 0xbab64f3b
	v_fmac_f32_e32 v19, 0x37d75334, v18
	v_mov_b32_e32 v20, 0x3d2aabf7
	v_fmac_f32_e32 v20, v18, v19
	v_mov_b32_e32 v19, 0xbf000004
	v_fmac_f32_e32 v19, v18, v20
	v_fma_f32 v18, v18, v19, 1.0
	v_and_b32_e32 v19, 1, v16
	v_lshlrev_b32_e32 v16, 30, v16
	v_cmp_eq_u32_e32 vcc, 0, v19
	v_and_b32_e32 v16, 0x80000000, v16
	v_xor_b32_e32 v8, v8, v7
	v_cndmask_b32_e32 v17, v18, v17, vcc
	v_xor_b32_e32 v8, v8, v16
	s_movk_i32 s0, 0x1f8
	v_xor_b32_e32 v8, v8, v17
	v_mov_b32_e32 v16, 0x7fc00000
	v_cmp_class_f32_e64 vcc, v7, s0
	v_cndmask_b32_e32 v7, v16, v8, vcc
	v_mul_f32_e32 v7, v7, v7
	s_mov_b32 s2, 0xc11de9e7
	v_div_scale_f32 v8, s[0:1], v7, v7, s2
	v_div_scale_f32 v16, vcc, s2, v7, s2
	v_sub_f32_e32 v9, 1.0, v9
	v_rcp_f32_e32 v17, v8
	v_fma_f32 v18, -v8, v17, 1.0
	v_fmac_f32_e32 v17, v18, v17
	v_mul_f32_e32 v18, v16, v17
	v_fma_f32 v19, -v8, v18, v16
	v_fmac_f32_e32 v18, v19, v17
	v_fma_f32 v8, -v8, v18, v16
	v_div_fmas_f32 v8, v8, v17, v18
	v_mov_b32_e32 v16, -1.0
	v_div_fixup_f32 v7, v8, v7, s2
	v_add_f32_e32 v17, 0, v7
.LBB57_1703:
	s_or_b64 exec, exec, s[10:11]
	v_mul_f32_e32 v7, v1, v1
	v_div_scale_f32 v18, s[0:1], v7, v7, 1.0
	v_add_f32_e32 v8, 1.0, v1
	v_mul_f32_e32 v1, v8, v8
	v_div_scale_f32 v20, s[0:1], v1, v1, 1.0
	v_div_scale_f32 v19, vcc, 1.0, v7, 1.0
	v_add_f32_e32 v21, 1.0, v8
	v_div_scale_f32 v22, s[0:1], 1.0, v1, 1.0
	v_mul_f32_e32 v8, v21, v21
	v_div_scale_f32 v23, s[2:3], v8, v8, 1.0
	v_div_scale_f32 v26, s[2:3], 1.0, v8, 1.0
	v_rcp_f32_e32 v24, v18
	v_add_f32_e32 v21, 1.0, v21
	s_bfe_u32 s16, s18, 0x80008
	s_cmp_lt_i32 s16, 11
	v_rcp_f32_e32 v25, v20
	v_fma_f32 v27, -v18, v24, 1.0
	v_fmac_f32_e32 v24, v27, v24
	v_mul_f32_e32 v28, v19, v24
	v_fma_f32 v29, -v18, v28, v19
	v_fma_f32 v27, -v20, v25, 1.0
	v_fmac_f32_e32 v28, v29, v24
	v_fma_f32 v18, -v18, v28, v19
	v_fmac_f32_e32 v25, v27, v25
	v_div_fmas_f32 v18, v18, v24, v28
	v_mul_f32_e32 v24, v22, v25
	v_fma_f32 v19, -v20, v24, v22
	v_rcp_f32_e32 v27, v23
	v_fmac_f32_e32 v24, v19, v25
	v_mul_f32_e32 v19, v21, v21
	v_div_scale_f32 v28, s[4:5], v19, v19, 1.0
	v_fma_f32 v20, -v20, v24, v22
	v_fma_f32 v22, -v23, v27, 1.0
	v_fmac_f32_e32 v27, v22, v27
	s_mov_b64 vcc, s[0:1]
	v_mul_f32_e32 v22, v26, v27
	v_div_fmas_f32 v20, v20, v25, v24
	v_fma_f32 v24, -v23, v22, v26
	v_fmac_f32_e32 v22, v24, v27
	v_div_scale_f32 v24, s[0:1], 1.0, v19, 1.0
	v_add_f32_e32 v25, 1.0, v21
	v_mul_f32_e32 v21, v25, v25
	v_div_scale_f32 v29, s[4:5], v21, v21, 1.0
	v_fma_f32 v23, -v23, v22, v26
	v_rcp_f32_e32 v26, v28
	s_mov_b64 vcc, s[2:3]
	v_div_fmas_f32 v22, v23, v27, v22
	v_div_scale_f32 v27, s[2:3], 1.0, v21, 1.0
	v_fma_f32 v30, -v28, v26, 1.0
	v_add_f32_e32 v25, 1.0, v25
	v_fmac_f32_e32 v26, v30, v26
	v_mul_f32_e32 v23, v25, v25
	v_mul_f32_e32 v30, v24, v26
	v_div_scale_f32 v31, s[4:5], v23, v23, 1.0
	v_fma_f32 v32, -v28, v30, v24
	v_fmac_f32_e32 v30, v32, v26
	v_rcp_f32_e32 v32, v29
	v_fma_f32 v24, -v28, v30, v24
	s_mov_b64 vcc, s[0:1]
	v_div_fmas_f32 v24, v24, v26, v30
	v_fma_f32 v26, -v29, v32, 1.0
	v_fmac_f32_e32 v32, v26, v32
	v_div_scale_f32 v26, s[0:1], 1.0, v23, 1.0
	v_add_f32_e32 v25, 1.0, v25
	v_mul_f32_e32 v28, v25, v25
	v_div_scale_f32 v30, s[4:5], v28, v28, 1.0
	v_mul_f32_e32 v33, v27, v32
	v_fma_f32 v34, -v29, v33, v27
	v_fmac_f32_e32 v33, v34, v32
	v_rcp_f32_e32 v34, v31
	v_fma_f32 v27, -v29, v33, v27
	v_div_scale_f32 v29, s[4:5], 1.0, v28, 1.0
	s_mov_b64 vcc, s[2:3]
	v_div_fmas_f32 v27, v27, v32, v33
	v_add_f32_e32 v33, v25, v25
	v_div_scale_f32 v35, s[2:3], v33, v33, 1.0
	v_fma_f32 v32, -v31, v34, 1.0
	v_fmac_f32_e32 v34, v32, v34
	v_mul_f32_e32 v32, v26, v34
	v_fma_f32 v36, -v31, v32, v26
	v_fmac_f32_e32 v32, v36, v34
	v_div_scale_f32 v36, s[2:3], 1.0, v33, 1.0
	v_rcp_f32_e32 v37, v30
	v_fma_f32 v26, -v31, v32, v26
	s_mov_b64 vcc, s[0:1]
	v_div_fmas_f32 v26, v26, v34, v32
	v_fma_f32 v31, -v30, v37, 1.0
	v_fmac_f32_e32 v37, v31, v37
	v_mul_f32_e32 v31, v29, v37
	v_fma_f32 v32, -v30, v31, v29
	v_fmac_f32_e32 v31, v32, v37
	v_rcp_f32_e32 v32, v35
	v_fma_f32 v29, -v30, v31, v29
	s_mov_b64 vcc, s[4:5]
	v_div_fmas_f32 v29, v29, v37, v31
	v_fma_f32 v30, -v35, v32, 1.0
	v_fmac_f32_e32 v32, v30, v32
	v_mul_f32_e32 v30, v36, v32
	v_fma_f32 v31, -v35, v30, v36
	v_fmac_f32_e32 v30, v31, v32
	v_fma_f32 v31, -v35, v30, v36
	s_mov_b64 vcc, s[2:3]
	v_div_fmas_f32 v30, v31, v32, v30
	s_mov_b32 s0, 0x3e2aaaab
	v_div_fixup_f32 v7, v18, v7, 1.0
	v_add_f32_e32 v7, v12, v7
	v_div_fixup_f32 v1, v20, v1, 1.0
	v_add_f32_e32 v1, v7, v1
	v_div_fixup_f32 v7, v22, v8, 1.0
	v_add_f32_e32 v1, v1, v7
	v_div_fixup_f32 v28, v29, v28, 1.0
	v_div_fixup_f32 v7, v24, v19, 1.0
	v_add_f32_e32 v1, v1, v7
	v_div_fixup_f32 v7, v27, v21, 1.0
	v_add_f32_e32 v1, v1, v7
	;; [unrolled: 2-line block ×3, first 2 shown]
	v_div_fixup_f32 v29, v30, v33, 1.0
	v_mov_b32_e32 v30, 0x3d088889
	v_fmac_f32_e32 v30, 0xbcc30c31, v28
	v_add_f32_e32 v29, 1.0, v29
	v_fma_f32 v30, -v28, v30, s0
	v_fmac_f32_e32 v29, v28, v30
	v_div_scale_f32 v28, s[0:1], v25, v25, v29
	v_div_scale_f32 v30, vcc, v29, v25, v29
	v_rcp_f32_e32 v31, v28
	v_fma_f32 v32, -v28, v31, 1.0
	v_fmac_f32_e32 v31, v32, v31
	v_mul_f32_e32 v32, v30, v31
	v_fma_f32 v33, -v28, v32, v30
	v_fmac_f32_e32 v32, v33, v31
	v_fma_f32 v28, -v28, v32, v30
	v_div_fmas_f32 v28, v28, v31, v32
	v_div_fixup_f32 v7, v28, v25, v29
	v_add_f32_e32 v1, v1, v7
	v_mul_f32_e32 v7, v5, v1
	v_mov_b32_e32 v1, s9
	v_add_co_u32_e32 v5, vcc, s8, v6
	v_addc_co_u32_e32 v6, vcc, 0, v1, vcc
	s_cbranch_scc1 .LBB57_1781
; %bb.1704:
	s_and_b32 s17, 0xffff, s16
	s_mov_b64 s[10:11], -1
	s_mov_b64 s[2:3], 0
	s_cmp_gt_i32 s17, 25
	s_mov_b64 s[4:5], 0
	s_mov_b64 s[0:1], 0
	s_cbranch_scc0 .LBB57_1737
; %bb.1705:
	s_cmp_gt_i32 s17, 28
	s_cbranch_scc0 .LBB57_1720
; %bb.1706:
	s_cmp_gt_i32 s17, 43
	;; [unrolled: 3-line block ×3, first 2 shown]
	s_cbranch_scc0 .LBB57_1710
; %bb.1708:
	s_mov_b64 s[0:1], -1
	s_mov_b64 s[10:11], 0
	s_cmp_eq_u32 s17, 46
	s_cbranch_scc0 .LBB57_1710
; %bb.1709:
	v_bfe_u32 v1, v7, 16, 1
	s_movk_i32 s0, 0x7fff
	v_add3_u32 v1, v7, v1, s0
	v_cmp_o_f32_e32 vcc, v7, v7
	v_mov_b32_e32 v8, 0x7fc0
	v_cndmask_b32_sdwa v1, v8, v1, vcc dst_sel:DWORD dst_unused:UNUSED_PAD src0_sel:DWORD src1_sel:WORD_1
	global_store_dword v[5:6], v1, off
	s_mov_b64 s[0:1], 0
	s_mov_b64 s[4:5], -1
.LBB57_1710:
	s_and_b64 vcc, exec, s[10:11]
	s_cbranch_vccz .LBB57_1715
; %bb.1711:
	s_cmp_eq_u32 s17, 44
	s_mov_b64 s[0:1], -1
	s_cbranch_scc0 .LBB57_1715
; %bb.1712:
	v_bfe_u32 v1, v7, 23, 8
	s_movk_i32 s0, 0xff
	v_cmp_ne_u32_e32 vcc, s0, v1
	v_mov_b32_e32 v8, 0xff
	s_and_saveexec_b64 s[4:5], vcc
; %bb.1713:
	s_mov_b32 s0, 0x3fffff
	v_and_b32_e32 v12, 0x400000, v7
	v_and_or_b32 v1, v7, s0, v1
	v_cmp_ne_u32_e32 vcc, 0, v12
	v_cmp_ne_u32_e64 s[0:1], 0, v1
	s_and_b64 s[0:1], vcc, s[0:1]
	v_lshrrev_b32_e32 v8, 23, v7
	v_cndmask_b32_e64 v1, 0, 1, s[0:1]
	v_add_u32_e32 v8, v8, v1
; %bb.1714:
	s_or_b64 exec, exec, s[4:5]
	s_mov_b64 s[0:1], 0
	s_mov_b64 s[4:5], -1
	global_store_byte v[5:6], v8, off
.LBB57_1715:
	s_mov_b64 s[10:11], 0
.LBB57_1716:
	s_and_b64 vcc, exec, s[10:11]
	s_cbranch_vccz .LBB57_1719
; %bb.1717:
	s_cmp_eq_u32 s17, 29
	s_mov_b64 s[0:1], -1
	s_cbranch_scc0 .LBB57_1719
; %bb.1718:
	v_trunc_f32_e32 v1, v7
	v_mul_f32_e32 v8, 0x2f800000, v1
	v_floor_f32_e32 v8, v8
	v_fmac_f32_e32 v1, 0xcf800000, v8
	v_cvt_u32_f32_e32 v19, v8
	v_cvt_u32_f32_e32 v18, v1
	s_mov_b64 s[0:1], 0
	s_mov_b64 s[4:5], -1
	global_store_dwordx2 v[5:6], v[18:19], off
.LBB57_1719:
	s_mov_b64 s[10:11], 0
.LBB57_1720:
	s_and_b64 vcc, exec, s[10:11]
	s_cbranch_vccz .LBB57_1736
; %bb.1721:
	s_cmp_lt_i32 s17, 27
	s_mov_b64 s[4:5], -1
	s_cbranch_scc1 .LBB57_1727
; %bb.1722:
	v_cvt_u32_f32_e32 v1, v7
	s_cmp_gt_i32 s17, 27
	s_cbranch_scc0 .LBB57_1724
; %bb.1723:
	s_mov_b64 s[4:5], 0
	global_store_dword v[5:6], v1, off
.LBB57_1724:
	s_andn2_b64 vcc, exec, s[4:5]
	s_cbranch_vccnz .LBB57_1726
; %bb.1725:
	global_store_short v[5:6], v1, off
.LBB57_1726:
	s_mov_b64 s[4:5], 0
.LBB57_1727:
	s_andn2_b64 vcc, exec, s[4:5]
	s_cbranch_vccnz .LBB57_1735
; %bb.1728:
	v_and_b32_e32 v1, 0x7fffffff, v7
	s_mov_b32 s4, 0x43800000
	v_cmp_gt_u32_e32 vcc, s4, v1
	v_mov_b32_e32 v8, 0x80
	s_and_saveexec_b64 s[4:5], vcc
	s_cbranch_execz .LBB57_1734
; %bb.1729:
	s_mov_b32 s10, 0x3bffffff
	v_cmp_lt_u32_e32 vcc, s10, v1
	s_mov_b64 s[10:11], 0
                                        ; implicit-def: $vgpr1
	s_and_saveexec_b64 s[14:15], vcc
	s_xor_b64 s[14:15], exec, s[14:15]
	s_cbranch_execz .LBB57_2183
; %bb.1730:
	v_bfe_u32 v1, v7, 20, 1
	s_mov_b32 s19, 0x487ffff
	v_add3_u32 v1, v7, v1, s19
	s_mov_b64 s[10:11], exec
	v_lshrrev_b32_e32 v1, 20, v1
	s_andn2_saveexec_b64 s[14:15], s[14:15]
	s_cbranch_execnz .LBB57_2184
.LBB57_1731:
	s_or_b64 exec, exec, s[14:15]
	v_mov_b32_e32 v8, 0
	s_and_saveexec_b64 s[14:15], s[10:11]
.LBB57_1732:
	v_lshrrev_b32_e32 v8, 24, v7
	s_movk_i32 s10, 0x80
	v_and_or_b32 v8, v8, s10, v1
.LBB57_1733:
	s_or_b64 exec, exec, s[14:15]
.LBB57_1734:
	s_or_b64 exec, exec, s[4:5]
	global_store_byte v[5:6], v8, off
.LBB57_1735:
	s_mov_b64 s[4:5], -1
.LBB57_1736:
	s_mov_b64 s[10:11], 0
.LBB57_1737:
	s_and_b64 vcc, exec, s[10:11]
	s_cbranch_vccz .LBB57_1777
; %bb.1738:
	s_cmp_gt_i32 s17, 22
	s_mov_b64 s[2:3], -1
	s_cbranch_scc0 .LBB57_1770
; %bb.1739:
	s_cmp_lt_i32 s17, 24
	s_cbranch_scc1 .LBB57_1759
; %bb.1740:
	s_cmp_gt_i32 s17, 24
	s_cbranch_scc0 .LBB57_1748
; %bb.1741:
	v_and_b32_e32 v1, 0x7fffffff, v7
	s_mov_b32 s2, 0x47800000
	v_cmp_gt_u32_e32 vcc, s2, v1
	v_mov_b32_e32 v8, 0x80
	s_and_saveexec_b64 s[2:3], vcc
	s_cbranch_execz .LBB57_1747
; %bb.1742:
	s_mov_b32 s4, 0x37ffffff
	v_cmp_lt_u32_e32 vcc, s4, v1
	s_mov_b64 s[4:5], 0
                                        ; implicit-def: $vgpr1
	s_and_saveexec_b64 s[10:11], vcc
	s_xor_b64 s[10:11], exec, s[10:11]
	s_cbranch_execz .LBB57_2186
; %bb.1743:
	v_bfe_u32 v1, v7, 21, 1
	s_mov_b32 s14, 0x88fffff
	v_add3_u32 v1, v7, v1, s14
	s_mov_b64 s[4:5], exec
	v_lshrrev_b32_e32 v1, 21, v1
	s_andn2_saveexec_b64 s[10:11], s[10:11]
	s_cbranch_execnz .LBB57_2187
.LBB57_1744:
	s_or_b64 exec, exec, s[10:11]
	v_mov_b32_e32 v8, 0
	s_and_saveexec_b64 s[10:11], s[4:5]
.LBB57_1745:
	v_lshrrev_b32_e32 v8, 24, v7
	s_movk_i32 s4, 0x80
	v_and_or_b32 v8, v8, s4, v1
.LBB57_1746:
	s_or_b64 exec, exec, s[10:11]
.LBB57_1747:
	s_or_b64 exec, exec, s[2:3]
	s_mov_b64 s[2:3], 0
	global_store_byte v[5:6], v8, off
.LBB57_1748:
	s_and_b64 vcc, exec, s[2:3]
	s_cbranch_vccz .LBB57_1758
; %bb.1749:
	v_and_b32_e32 v8, 0x7fffffff, v7
	s_mov_b32 s2, 0x43f00000
	v_cmp_gt_u32_e32 vcc, s2, v8
                                        ; implicit-def: $vgpr1
	s_and_saveexec_b64 s[2:3], vcc
	s_xor_b64 s[2:3], exec, s[2:3]
	s_cbranch_execz .LBB57_1755
; %bb.1750:
	s_mov_b32 s4, 0x3c7fffff
	v_cmp_lt_u32_e32 vcc, s4, v8
                                        ; implicit-def: $vgpr1
	s_and_saveexec_b64 s[4:5], vcc
	s_xor_b64 s[4:5], exec, s[4:5]
; %bb.1751:
	v_bfe_u32 v1, v7, 20, 1
	s_mov_b32 s10, 0x407ffff
	v_add3_u32 v1, v7, v1, s10
	v_lshrrev_b32_e32 v8, 20, v1
	v_and_b32_e32 v1, 0xff00000, v1
	s_mov_b32 s10, 0x7f00000
	v_mov_b32_e32 v12, 0x7e
	v_cmp_ne_u32_e32 vcc, s10, v1
	v_cndmask_b32_e32 v1, v12, v8, vcc
; %bb.1752:
	s_andn2_saveexec_b64 s[4:5], s[4:5]
; %bb.1753:
	s_mov_b32 s10, 0x46800000
	v_add_f32_e64 v1, |v7|, s10
; %bb.1754:
	s_or_b64 exec, exec, s[4:5]
                                        ; implicit-def: $vgpr8
.LBB57_1755:
	s_andn2_saveexec_b64 s[2:3], s[2:3]
; %bb.1756:
	s_mov_b32 s4, 0x7f800000
	v_mov_b32_e32 v1, 0x7e
	v_mov_b32_e32 v12, 0x7f
	v_cmp_lt_u32_e32 vcc, s4, v8
	v_cndmask_b32_e32 v1, v1, v12, vcc
; %bb.1757:
	s_or_b64 exec, exec, s[2:3]
	v_lshrrev_b32_e32 v8, 24, v7
	s_movk_i32 s2, 0x80
	v_and_or_b32 v1, v8, s2, v1
	global_store_byte v[5:6], v1, off
.LBB57_1758:
	s_mov_b64 s[2:3], 0
.LBB57_1759:
	s_andn2_b64 vcc, exec, s[2:3]
	s_cbranch_vccnz .LBB57_1769
; %bb.1760:
	v_and_b32_e32 v8, 0x7fffffff, v7
	s_mov_b32 s2, 0x47800000
	v_cmp_gt_u32_e32 vcc, s2, v8
                                        ; implicit-def: $vgpr1
	s_and_saveexec_b64 s[2:3], vcc
	s_xor_b64 s[2:3], exec, s[2:3]
	s_cbranch_execz .LBB57_1766
; %bb.1761:
	s_mov_b32 s4, 0x387fffff
	v_cmp_lt_u32_e32 vcc, s4, v8
                                        ; implicit-def: $vgpr1
	s_and_saveexec_b64 s[4:5], vcc
	s_xor_b64 s[4:5], exec, s[4:5]
; %bb.1762:
	v_bfe_u32 v1, v7, 21, 1
	s_mov_b32 s10, 0x80fffff
	v_add3_u32 v1, v7, v1, s10
	v_lshrrev_b32_e32 v1, 21, v1
; %bb.1763:
	s_andn2_saveexec_b64 s[4:5], s[4:5]
; %bb.1764:
	s_mov_b32 s10, 0x43000000
	v_add_f32_e64 v1, |v7|, s10
; %bb.1765:
	s_or_b64 exec, exec, s[4:5]
                                        ; implicit-def: $vgpr8
.LBB57_1766:
	s_andn2_saveexec_b64 s[2:3], s[2:3]
; %bb.1767:
	s_mov_b32 s4, 0x7f800000
	v_mov_b32_e32 v1, 0x7c
	v_mov_b32_e32 v12, 0x7f
	v_cmp_lt_u32_e32 vcc, s4, v8
	v_cndmask_b32_e32 v1, v1, v12, vcc
; %bb.1768:
	s_or_b64 exec, exec, s[2:3]
	v_lshrrev_b32_e32 v8, 24, v7
	s_movk_i32 s2, 0x80
	v_and_or_b32 v1, v8, s2, v1
	global_store_byte v[5:6], v1, off
.LBB57_1769:
	s_mov_b64 s[2:3], 0
	s_mov_b64 s[4:5], -1
.LBB57_1770:
	s_andn2_b64 vcc, exec, s[2:3]
	s_mov_b64 s[2:3], 0
	s_cbranch_vccnz .LBB57_1777
; %bb.1771:
	s_cmp_gt_i32 s17, 14
	s_mov_b64 s[10:11], -1
	s_cbranch_scc0 .LBB57_1775
; %bb.1772:
	s_cmp_eq_u32 s17, 15
	s_mov_b64 s[0:1], -1
	s_cbranch_scc0 .LBB57_1774
; %bb.1773:
	v_bfe_u32 v1, v7, 16, 1
	s_movk_i32 s0, 0x7fff
	v_add3_u32 v1, v7, v1, s0
	v_cmp_o_f32_e32 vcc, v7, v7
	v_mov_b32_e32 v8, 0x7fc0
	v_cndmask_b32_sdwa v1, v8, v1, vcc dst_sel:DWORD dst_unused:UNUSED_PAD src0_sel:DWORD src1_sel:WORD_1
	global_store_short v[5:6], v1, off
	s_mov_b64 s[0:1], 0
	s_mov_b64 s[4:5], -1
.LBB57_1774:
	s_mov_b64 s[10:11], 0
.LBB57_1775:
	s_and_b64 vcc, exec, s[10:11]
	s_cbranch_vccz .LBB57_1777
; %bb.1776:
	s_cmp_lg_u32 s17, 11
	s_mov_b64 s[2:3], -1
	s_cselect_b64 s[0:1], -1, 0
.LBB57_1777:
	s_and_b64 vcc, exec, s[0:1]
	s_cbranch_vccnz .LBB57_2185
; %bb.1778:
	s_andn2_b64 vcc, exec, s[2:3]
	s_cbranch_vccnz .LBB57_1780
.LBB57_1779:
	v_cmp_neq_f32_e32 vcc, 0, v7
	v_cndmask_b32_e64 v1, 0, 1, vcc
	s_mov_b64 s[4:5], -1
	global_store_byte v[5:6], v1, off
.LBB57_1780:
	s_mov_b64 s[0:1], 0
	s_branch .LBB57_1782
.LBB57_1781:
	s_mov_b64 s[0:1], -1
	s_mov_b64 s[4:5], 0
.LBB57_1782:
	s_and_b64 vcc, exec, s[0:1]
	s_cbranch_vccz .LBB57_1821
; %bb.1783:
	s_and_b32 s2, 0xffff, s16
	s_cmp_lt_i32 s2, 5
	s_mov_b64 s[0:1], -1
	s_cbranch_scc1 .LBB57_1804
; %bb.1784:
	s_cmp_lt_i32 s2, 8
	s_cbranch_scc1 .LBB57_1794
; %bb.1785:
	s_cmp_lt_i32 s2, 9
	s_cbranch_scc1 .LBB57_1791
; %bb.1786:
	s_cmp_gt_i32 s2, 9
	s_cbranch_scc0 .LBB57_1788
; %bb.1787:
	v_cvt_f64_f32_e32 v[18:19], v7
	v_mov_b32_e32 v20, 0
	v_mov_b32_e32 v21, v20
	s_mov_b64 s[0:1], 0
	global_store_dwordx4 v[5:6], v[18:21], off
.LBB57_1788:
	s_andn2_b64 vcc, exec, s[0:1]
	s_cbranch_vccnz .LBB57_1790
; %bb.1789:
	v_mov_b32_e32 v8, 0
	global_store_dwordx2 v[5:6], v[7:8], off
.LBB57_1790:
	s_mov_b64 s[0:1], 0
.LBB57_1791:
	s_andn2_b64 vcc, exec, s[0:1]
	s_cbranch_vccnz .LBB57_1793
; %bb.1792:
	v_cvt_f16_f32_e32 v1, v7
	global_store_dword v[5:6], v1, off
.LBB57_1793:
	s_mov_b64 s[0:1], 0
.LBB57_1794:
	s_andn2_b64 vcc, exec, s[0:1]
	s_cbranch_vccnz .LBB57_1803
; %bb.1795:
	s_cmp_lt_i32 s2, 6
	s_mov_b64 s[0:1], -1
	s_cbranch_scc1 .LBB57_1801
; %bb.1796:
	s_cmp_gt_i32 s2, 6
	s_cbranch_scc0 .LBB57_1798
; %bb.1797:
	v_cvt_f64_f32_e32 v[18:19], v7
	s_mov_b64 s[0:1], 0
	global_store_dwordx2 v[5:6], v[18:19], off
.LBB57_1798:
	s_andn2_b64 vcc, exec, s[0:1]
	s_cbranch_vccnz .LBB57_1800
; %bb.1799:
	global_store_dword v[5:6], v7, off
.LBB57_1800:
	s_mov_b64 s[0:1], 0
.LBB57_1801:
	s_andn2_b64 vcc, exec, s[0:1]
	s_cbranch_vccnz .LBB57_1803
; %bb.1802:
	v_cvt_f16_f32_e32 v1, v7
	global_store_short v[5:6], v1, off
.LBB57_1803:
	s_mov_b64 s[0:1], 0
.LBB57_1804:
	s_andn2_b64 vcc, exec, s[0:1]
	s_cbranch_vccnz .LBB57_1820
; %bb.1805:
	s_cmp_lt_i32 s2, 2
	s_mov_b64 s[0:1], -1
	s_cbranch_scc1 .LBB57_1815
; %bb.1806:
	s_cmp_lt_i32 s2, 3
	s_cbranch_scc1 .LBB57_1812
; %bb.1807:
	s_cmp_gt_i32 s2, 3
	s_cbranch_scc0 .LBB57_1809
; %bb.1808:
	v_trunc_f32_e32 v1, v7
	s_mov_b32 s0, 0x2f800000
	v_mul_f32_e64 v8, |v1|, s0
	v_floor_f32_e32 v8, v8
	s_mov_b32 s0, 0xcf800000
	v_cvt_u32_f32_e32 v12, v8
	v_fma_f32 v8, v8, s0, |v1|
	v_cvt_u32_f32_e32 v8, v8
	v_ashrrev_i32_e32 v1, 31, v1
	v_xor_b32_e32 v12, v12, v1
	s_mov_b64 s[0:1], 0
	v_xor_b32_e32 v8, v8, v1
	v_sub_co_u32_e32 v18, vcc, v8, v1
	v_subb_co_u32_e32 v19, vcc, v12, v1, vcc
	global_store_dwordx2 v[5:6], v[18:19], off
.LBB57_1809:
	s_andn2_b64 vcc, exec, s[0:1]
	s_cbranch_vccnz .LBB57_1811
; %bb.1810:
	v_cvt_i32_f32_e32 v1, v7
	global_store_dword v[5:6], v1, off
.LBB57_1811:
	s_mov_b64 s[0:1], 0
.LBB57_1812:
	s_andn2_b64 vcc, exec, s[0:1]
	s_cbranch_vccnz .LBB57_1814
; %bb.1813:
	v_cvt_i32_f32_e32 v1, v7
	global_store_short v[5:6], v1, off
.LBB57_1814:
	s_mov_b64 s[0:1], 0
.LBB57_1815:
	s_andn2_b64 vcc, exec, s[0:1]
	s_cbranch_vccnz .LBB57_1820
; %bb.1816:
	s_cmp_gt_i32 s2, 0
	s_mov_b64 s[0:1], -1
	s_cbranch_scc0 .LBB57_1818
; %bb.1817:
	v_cvt_i32_f32_e32 v1, v7
	s_mov_b64 s[0:1], 0
	global_store_byte v[5:6], v1, off
.LBB57_1818:
	s_andn2_b64 vcc, exec, s[0:1]
	s_cbranch_vccnz .LBB57_1820
; %bb.1819:
	v_trunc_f32_e32 v1, v7
	s_mov_b32 s0, 0x2f800000
	v_mul_f32_e64 v7, |v1|, s0
	v_floor_f32_e32 v7, v7
	s_mov_b32 s0, 0xcf800000
	v_fma_f32 v7, v7, s0, |v1|
	v_cvt_u32_f32_e32 v7, v7
	v_ashrrev_i32_e32 v1, 31, v1
	v_xor_b32_e32 v7, v7, v1
	v_sub_u32_e32 v1, v7, v1
	global_store_byte v[5:6], v1, off
.LBB57_1820:
	s_mov_b64 s[4:5], -1
.LBB57_1821:
	s_andn2_b64 vcc, exec, s[4:5]
	s_cbranch_vccnz .LBB57_2136
; %bb.1822:
	v_mul_f32_e32 v1, v3, v3
	v_div_scale_f32 v6, s[0:1], v1, v1, 1.0
	v_add_f32_e32 v5, 1.0, v3
	v_mul_f32_e32 v3, v5, v5
	v_div_scale_f32 v8, s[0:1], v3, v3, 1.0
	v_div_scale_f32 v7, vcc, 1.0, v1, 1.0
	v_add_f32_e32 v12, 1.0, v5
	v_div_scale_f32 v18, s[0:1], 1.0, v3, 1.0
	v_mul_f32_e32 v5, v12, v12
	v_div_scale_f32 v19, s[2:3], v5, v5, 1.0
	v_div_scale_f32 v22, s[2:3], 1.0, v5, 1.0
	v_rcp_f32_e32 v20, v6
	v_add_f32_e32 v12, 1.0, v12
	v_rcp_f32_e32 v21, v8
	v_fma_f32 v23, -v6, v20, 1.0
	v_fmac_f32_e32 v20, v23, v20
	v_mul_f32_e32 v24, v7, v20
	v_fma_f32 v25, -v6, v24, v7
	v_fma_f32 v23, -v8, v21, 1.0
	v_fmac_f32_e32 v24, v25, v20
	v_fma_f32 v6, -v6, v24, v7
	v_fmac_f32_e32 v21, v23, v21
	v_div_fmas_f32 v6, v6, v20, v24
	v_mul_f32_e32 v20, v18, v21
	v_fma_f32 v7, -v8, v20, v18
	v_rcp_f32_e32 v23, v19
	v_fmac_f32_e32 v20, v7, v21
	v_mul_f32_e32 v7, v12, v12
	v_div_scale_f32 v24, s[4:5], v7, v7, 1.0
	v_fma_f32 v8, -v8, v20, v18
	v_fma_f32 v18, -v19, v23, 1.0
	v_fmac_f32_e32 v23, v18, v23
	s_mov_b64 vcc, s[0:1]
	v_mul_f32_e32 v18, v22, v23
	v_div_fmas_f32 v8, v8, v21, v20
	v_fma_f32 v20, -v19, v18, v22
	v_fmac_f32_e32 v18, v20, v23
	v_div_scale_f32 v20, s[0:1], 1.0, v7, 1.0
	v_add_f32_e32 v21, 1.0, v12
	v_mul_f32_e32 v12, v21, v21
	v_div_scale_f32 v25, s[4:5], v12, v12, 1.0
	v_fma_f32 v19, -v19, v18, v22
	s_mov_b64 vcc, s[2:3]
	v_div_fmas_f32 v18, v19, v23, v18
	v_div_scale_f32 v19, s[2:3], 1.0, v12, 1.0
	v_rcp_f32_e32 v22, v24
	v_add_f32_e32 v21, 1.0, v21
	v_mul_f32_e32 v26, v21, v21
	v_div_scale_f32 v27, s[4:5], v26, v26, 1.0
	v_fma_f32 v23, -v24, v22, 1.0
	v_fmac_f32_e32 v22, v23, v22
	v_mul_f32_e32 v23, v20, v22
	v_fma_f32 v28, -v24, v23, v20
	v_fmac_f32_e32 v23, v28, v22
	v_rcp_f32_e32 v28, v25
	v_fma_f32 v20, -v24, v23, v20
	s_mov_b64 vcc, s[0:1]
	v_div_fmas_f32 v20, v20, v22, v23
	v_fma_f32 v22, -v25, v28, 1.0
	v_fmac_f32_e32 v28, v22, v28
	v_mul_f32_e32 v22, v19, v28
	v_fma_f32 v23, -v25, v22, v19
	v_fmac_f32_e32 v22, v23, v28
	v_div_scale_f32 v23, s[0:1], 1.0, v26, 1.0
	v_add_f32_e32 v21, 1.0, v21
	v_mul_f32_e32 v29, v21, v21
	v_div_scale_f32 v30, s[4:5], v29, v29, 1.0
	v_rcp_f32_e32 v24, v27
	v_fma_f32 v19, -v25, v22, v19
	s_mov_b64 vcc, s[2:3]
	v_div_scale_f32 v25, s[2:3], 1.0, v29, 1.0
	v_div_fmas_f32 v19, v19, v28, v22
	v_add_f32_e32 v28, v21, v21
	v_div_scale_f32 v31, s[4:5], v28, v28, 1.0
	v_fma_f32 v22, -v27, v24, 1.0
	v_fmac_f32_e32 v24, v22, v24
	v_mul_f32_e32 v22, v23, v24
	v_fma_f32 v32, -v27, v22, v23
	v_fmac_f32_e32 v22, v32, v24
	v_div_scale_f32 v32, s[4:5], 1.0, v28, 1.0
	v_rcp_f32_e32 v33, v30
	v_fma_f32 v23, -v27, v22, v23
	s_mov_b64 vcc, s[0:1]
	v_div_fmas_f32 v22, v23, v24, v22
	v_fma_f32 v23, -v30, v33, 1.0
	v_fmac_f32_e32 v33, v23, v33
	v_mul_f32_e32 v23, v25, v33
	v_fma_f32 v24, -v30, v23, v25
	v_fmac_f32_e32 v23, v24, v33
	v_rcp_f32_e32 v24, v31
	v_fma_f32 v25, -v30, v23, v25
	s_mov_b64 vcc, s[2:3]
	v_div_fmas_f32 v23, v25, v33, v23
	v_fma_f32 v25, -v31, v24, 1.0
	v_fmac_f32_e32 v24, v25, v24
	v_mul_f32_e32 v25, v32, v24
	v_fma_f32 v27, -v31, v25, v32
	v_fmac_f32_e32 v25, v27, v24
	v_fma_f32 v27, -v31, v25, v32
	s_mov_b64 vcc, s[4:5]
	v_div_fmas_f32 v24, v27, v24, v25
	v_mov_b32_e32 v25, 0x3d088889
	s_mov_b32 s0, 0x3e2aaaab
	v_div_fixup_f32 v1, v6, v1, 1.0
	v_add_f32_e32 v1, v13, v1
	v_div_fixup_f32 v3, v8, v3, 1.0
	v_add_f32_e32 v1, v1, v3
	v_div_fixup_f32 v3, v18, v5, 1.0
	v_div_fixup_f32 v23, v23, v29, 1.0
	v_fmac_f32_e32 v25, 0xbcc30c31, v23
	v_fma_f32 v25, -v23, v25, s0
	v_add_f32_e32 v1, v1, v3
	v_div_fixup_f32 v3, v20, v7, 1.0
	v_add_f32_e32 v1, v1, v3
	v_div_fixup_f32 v3, v19, v12, 1.0
	;; [unrolled: 2-line block ×3, first 2 shown]
	v_add_f32_e32 v24, 1.0, v24
	v_fmac_f32_e32 v24, v23, v25
	v_div_scale_f32 v23, s[0:1], v21, v21, v24
	v_div_scale_f32 v25, vcc, v24, v21, v24
	v_div_fixup_f32 v3, v22, v26, 1.0
	v_add_f32_e32 v1, v1, v3
	s_lshr_b32 s0, s18, 8
	s_and_b32 s16, s0, 0xff
	s_cmp_lt_i32 s16, 11
	v_rcp_f32_e32 v27, v23
	v_fma_f32 v28, -v23, v27, 1.0
	v_fmac_f32_e32 v27, v28, v27
	v_mul_f32_e32 v28, v25, v27
	v_fma_f32 v29, -v23, v28, v25
	v_fmac_f32_e32 v28, v29, v27
	v_fma_f32 v23, -v23, v28, v25
	v_div_fmas_f32 v23, v23, v27, v28
	v_div_fixup_f32 v3, v23, v21, v24
	v_add_f32_e32 v1, v1, v3
	v_mul_f32_e32 v5, v11, v1
	v_mov_b32_e32 v1, s9
	v_add_co_u32_e32 v3, vcc, s8, v4
	v_addc_co_u32_e32 v4, vcc, 0, v1, vcc
	s_cbranch_scc1 .LBB57_1900
; %bb.1823:
	s_and_b32 s17, 0xffff, s16
	s_mov_b64 s[10:11], -1
	s_mov_b64 s[2:3], 0
	s_cmp_gt_i32 s17, 25
	s_mov_b64 s[4:5], 0
	s_mov_b64 s[0:1], 0
	s_cbranch_scc0 .LBB57_1856
; %bb.1824:
	s_cmp_gt_i32 s17, 28
	s_cbranch_scc0 .LBB57_1839
; %bb.1825:
	s_cmp_gt_i32 s17, 43
	;; [unrolled: 3-line block ×3, first 2 shown]
	s_cbranch_scc0 .LBB57_1829
; %bb.1827:
	s_mov_b64 s[0:1], -1
	s_mov_b64 s[10:11], 0
	s_cmp_eq_u32 s17, 46
	s_cbranch_scc0 .LBB57_1829
; %bb.1828:
	v_bfe_u32 v1, v5, 16, 1
	s_movk_i32 s0, 0x7fff
	v_add3_u32 v1, v5, v1, s0
	v_cmp_o_f32_e32 vcc, v5, v5
	v_mov_b32_e32 v6, 0x7fc0
	v_cndmask_b32_sdwa v1, v6, v1, vcc dst_sel:DWORD dst_unused:UNUSED_PAD src0_sel:DWORD src1_sel:WORD_1
	global_store_dword v[3:4], v1, off
	s_mov_b64 s[0:1], 0
	s_mov_b64 s[4:5], -1
.LBB57_1829:
	s_and_b64 vcc, exec, s[10:11]
	s_cbranch_vccz .LBB57_1834
; %bb.1830:
	s_cmp_eq_u32 s17, 44
	s_mov_b64 s[0:1], -1
	s_cbranch_scc0 .LBB57_1834
; %bb.1831:
	v_bfe_u32 v1, v5, 23, 8
	s_movk_i32 s0, 0xff
	v_cmp_ne_u32_e32 vcc, s0, v1
	v_mov_b32_e32 v6, 0xff
	s_and_saveexec_b64 s[4:5], vcc
; %bb.1832:
	s_mov_b32 s0, 0x3fffff
	v_and_b32_e32 v7, 0x400000, v5
	v_and_or_b32 v1, v5, s0, v1
	v_cmp_ne_u32_e32 vcc, 0, v7
	v_cmp_ne_u32_e64 s[0:1], 0, v1
	s_and_b64 s[0:1], vcc, s[0:1]
	v_lshrrev_b32_e32 v6, 23, v5
	v_cndmask_b32_e64 v1, 0, 1, s[0:1]
	v_add_u32_e32 v6, v6, v1
; %bb.1833:
	s_or_b64 exec, exec, s[4:5]
	s_mov_b64 s[0:1], 0
	s_mov_b64 s[4:5], -1
	global_store_byte v[3:4], v6, off
.LBB57_1834:
	s_mov_b64 s[10:11], 0
.LBB57_1835:
	s_and_b64 vcc, exec, s[10:11]
	s_cbranch_vccz .LBB57_1838
; %bb.1836:
	s_cmp_eq_u32 s17, 29
	s_mov_b64 s[0:1], -1
	s_cbranch_scc0 .LBB57_1838
; %bb.1837:
	v_trunc_f32_e32 v1, v5
	v_mul_f32_e32 v6, 0x2f800000, v1
	v_floor_f32_e32 v6, v6
	v_fmac_f32_e32 v1, 0xcf800000, v6
	v_cvt_u32_f32_e32 v7, v6
	v_cvt_u32_f32_e32 v6, v1
	s_mov_b64 s[0:1], 0
	s_mov_b64 s[4:5], -1
	global_store_dwordx2 v[3:4], v[6:7], off
.LBB57_1838:
	s_mov_b64 s[10:11], 0
.LBB57_1839:
	s_and_b64 vcc, exec, s[10:11]
	s_cbranch_vccz .LBB57_1855
; %bb.1840:
	s_cmp_lt_i32 s17, 27
	s_mov_b64 s[4:5], -1
	s_cbranch_scc1 .LBB57_1846
; %bb.1841:
	s_cmp_gt_i32 s17, 27
	s_cbranch_scc0 .LBB57_1843
; %bb.1842:
	v_cvt_u32_f32_e32 v1, v5
	s_mov_b64 s[4:5], 0
	global_store_dword v[3:4], v1, off
.LBB57_1843:
	s_andn2_b64 vcc, exec, s[4:5]
	s_cbranch_vccnz .LBB57_1845
; %bb.1844:
	v_cvt_u32_f32_e32 v1, v5
	global_store_short v[3:4], v1, off
.LBB57_1845:
	s_mov_b64 s[4:5], 0
.LBB57_1846:
	s_andn2_b64 vcc, exec, s[4:5]
	s_cbranch_vccnz .LBB57_1854
; %bb.1847:
	v_and_b32_e32 v1, 0x7fffffff, v5
	s_mov_b32 s4, 0x43800000
	v_cmp_gt_u32_e32 vcc, s4, v1
	v_mov_b32_e32 v6, 0x80
	s_and_saveexec_b64 s[4:5], vcc
	s_cbranch_execz .LBB57_1853
; %bb.1848:
	s_mov_b32 s10, 0x3bffffff
	v_cmp_lt_u32_e32 vcc, s10, v1
	s_mov_b64 s[10:11], 0
                                        ; implicit-def: $vgpr1
	s_and_saveexec_b64 s[14:15], vcc
	s_xor_b64 s[14:15], exec, s[14:15]
	s_cbranch_execz .LBB57_2188
; %bb.1849:
	v_bfe_u32 v1, v5, 20, 1
	s_mov_b32 s18, 0x487ffff
	v_add3_u32 v1, v5, v1, s18
	s_mov_b64 s[10:11], exec
	v_lshrrev_b32_e32 v1, 20, v1
	s_andn2_saveexec_b64 s[14:15], s[14:15]
	s_cbranch_execnz .LBB57_2189
.LBB57_1850:
	s_or_b64 exec, exec, s[14:15]
	v_mov_b32_e32 v6, 0
	s_and_saveexec_b64 s[14:15], s[10:11]
.LBB57_1851:
	v_lshrrev_b32_e32 v6, 24, v5
	s_movk_i32 s10, 0x80
	v_and_or_b32 v6, v6, s10, v1
.LBB57_1852:
	s_or_b64 exec, exec, s[14:15]
.LBB57_1853:
	s_or_b64 exec, exec, s[4:5]
	global_store_byte v[3:4], v6, off
.LBB57_1854:
	s_mov_b64 s[4:5], -1
.LBB57_1855:
	s_mov_b64 s[10:11], 0
.LBB57_1856:
	s_and_b64 vcc, exec, s[10:11]
	s_cbranch_vccz .LBB57_1896
; %bb.1857:
	s_cmp_gt_i32 s17, 22
	s_mov_b64 s[2:3], -1
	s_cbranch_scc0 .LBB57_1889
; %bb.1858:
	s_cmp_lt_i32 s17, 24
	s_cbranch_scc1 .LBB57_1878
; %bb.1859:
	s_cmp_gt_i32 s17, 24
	s_cbranch_scc0 .LBB57_1867
; %bb.1860:
	v_and_b32_e32 v1, 0x7fffffff, v5
	s_mov_b32 s2, 0x47800000
	v_cmp_gt_u32_e32 vcc, s2, v1
	v_mov_b32_e32 v6, 0x80
	s_and_saveexec_b64 s[2:3], vcc
	s_cbranch_execz .LBB57_1866
; %bb.1861:
	s_mov_b32 s4, 0x37ffffff
	v_cmp_lt_u32_e32 vcc, s4, v1
	s_mov_b64 s[4:5], 0
                                        ; implicit-def: $vgpr1
	s_and_saveexec_b64 s[10:11], vcc
	s_xor_b64 s[10:11], exec, s[10:11]
	s_cbranch_execz .LBB57_2191
; %bb.1862:
	v_bfe_u32 v1, v5, 21, 1
	s_mov_b32 s14, 0x88fffff
	v_add3_u32 v1, v5, v1, s14
	s_mov_b64 s[4:5], exec
	v_lshrrev_b32_e32 v1, 21, v1
	s_andn2_saveexec_b64 s[10:11], s[10:11]
	s_cbranch_execnz .LBB57_2192
.LBB57_1863:
	s_or_b64 exec, exec, s[10:11]
	v_mov_b32_e32 v6, 0
	s_and_saveexec_b64 s[10:11], s[4:5]
.LBB57_1864:
	v_lshrrev_b32_e32 v6, 24, v5
	s_movk_i32 s4, 0x80
	v_and_or_b32 v6, v6, s4, v1
.LBB57_1865:
	s_or_b64 exec, exec, s[10:11]
.LBB57_1866:
	s_or_b64 exec, exec, s[2:3]
	s_mov_b64 s[2:3], 0
	global_store_byte v[3:4], v6, off
.LBB57_1867:
	s_and_b64 vcc, exec, s[2:3]
	s_cbranch_vccz .LBB57_1877
; %bb.1868:
	v_and_b32_e32 v6, 0x7fffffff, v5
	s_mov_b32 s2, 0x43f00000
	v_cmp_gt_u32_e32 vcc, s2, v6
                                        ; implicit-def: $vgpr1
	s_and_saveexec_b64 s[2:3], vcc
	s_xor_b64 s[2:3], exec, s[2:3]
	s_cbranch_execz .LBB57_1874
; %bb.1869:
	s_mov_b32 s4, 0x3c7fffff
	v_cmp_lt_u32_e32 vcc, s4, v6
                                        ; implicit-def: $vgpr1
	s_and_saveexec_b64 s[4:5], vcc
	s_xor_b64 s[4:5], exec, s[4:5]
; %bb.1870:
	v_bfe_u32 v1, v5, 20, 1
	s_mov_b32 s10, 0x407ffff
	v_add3_u32 v1, v5, v1, s10
	v_lshrrev_b32_e32 v6, 20, v1
	v_and_b32_e32 v1, 0xff00000, v1
	s_mov_b32 s10, 0x7f00000
	v_mov_b32_e32 v7, 0x7e
	v_cmp_ne_u32_e32 vcc, s10, v1
	v_cndmask_b32_e32 v1, v7, v6, vcc
; %bb.1871:
	s_andn2_saveexec_b64 s[4:5], s[4:5]
; %bb.1872:
	s_mov_b32 s10, 0x46800000
	v_add_f32_e64 v1, |v5|, s10
; %bb.1873:
	s_or_b64 exec, exec, s[4:5]
                                        ; implicit-def: $vgpr6
.LBB57_1874:
	s_andn2_saveexec_b64 s[2:3], s[2:3]
; %bb.1875:
	s_mov_b32 s4, 0x7f800000
	v_mov_b32_e32 v1, 0x7e
	v_mov_b32_e32 v7, 0x7f
	v_cmp_lt_u32_e32 vcc, s4, v6
	v_cndmask_b32_e32 v1, v1, v7, vcc
; %bb.1876:
	s_or_b64 exec, exec, s[2:3]
	v_lshrrev_b32_e32 v6, 24, v5
	s_movk_i32 s2, 0x80
	v_and_or_b32 v1, v6, s2, v1
	global_store_byte v[3:4], v1, off
.LBB57_1877:
	s_mov_b64 s[2:3], 0
.LBB57_1878:
	s_andn2_b64 vcc, exec, s[2:3]
	s_cbranch_vccnz .LBB57_1888
; %bb.1879:
	v_and_b32_e32 v6, 0x7fffffff, v5
	s_mov_b32 s2, 0x47800000
	v_cmp_gt_u32_e32 vcc, s2, v6
                                        ; implicit-def: $vgpr1
	s_and_saveexec_b64 s[2:3], vcc
	s_xor_b64 s[2:3], exec, s[2:3]
	s_cbranch_execz .LBB57_1885
; %bb.1880:
	s_mov_b32 s4, 0x387fffff
	v_cmp_lt_u32_e32 vcc, s4, v6
                                        ; implicit-def: $vgpr1
	s_and_saveexec_b64 s[4:5], vcc
	s_xor_b64 s[4:5], exec, s[4:5]
; %bb.1881:
	v_bfe_u32 v1, v5, 21, 1
	s_mov_b32 s10, 0x80fffff
	v_add3_u32 v1, v5, v1, s10
	v_lshrrev_b32_e32 v1, 21, v1
; %bb.1882:
	s_andn2_saveexec_b64 s[4:5], s[4:5]
; %bb.1883:
	s_mov_b32 s10, 0x43000000
	v_add_f32_e64 v1, |v5|, s10
; %bb.1884:
	s_or_b64 exec, exec, s[4:5]
                                        ; implicit-def: $vgpr6
.LBB57_1885:
	s_andn2_saveexec_b64 s[2:3], s[2:3]
; %bb.1886:
	s_mov_b32 s4, 0x7f800000
	v_mov_b32_e32 v1, 0x7c
	v_mov_b32_e32 v7, 0x7f
	v_cmp_lt_u32_e32 vcc, s4, v6
	v_cndmask_b32_e32 v1, v1, v7, vcc
; %bb.1887:
	s_or_b64 exec, exec, s[2:3]
	v_lshrrev_b32_e32 v6, 24, v5
	s_movk_i32 s2, 0x80
	v_and_or_b32 v1, v6, s2, v1
	global_store_byte v[3:4], v1, off
.LBB57_1888:
	s_mov_b64 s[2:3], 0
	s_mov_b64 s[4:5], -1
.LBB57_1889:
	s_andn2_b64 vcc, exec, s[2:3]
	s_mov_b64 s[2:3], 0
	s_cbranch_vccnz .LBB57_1896
; %bb.1890:
	s_cmp_gt_i32 s17, 14
	s_mov_b64 s[10:11], -1
	s_cbranch_scc0 .LBB57_1894
; %bb.1891:
	s_cmp_eq_u32 s17, 15
	s_mov_b64 s[0:1], -1
	s_cbranch_scc0 .LBB57_1893
; %bb.1892:
	v_bfe_u32 v1, v5, 16, 1
	s_movk_i32 s0, 0x7fff
	v_add3_u32 v1, v5, v1, s0
	v_cmp_o_f32_e32 vcc, v5, v5
	v_mov_b32_e32 v6, 0x7fc0
	v_cndmask_b32_sdwa v1, v6, v1, vcc dst_sel:DWORD dst_unused:UNUSED_PAD src0_sel:DWORD src1_sel:WORD_1
	global_store_short v[3:4], v1, off
	s_mov_b64 s[0:1], 0
	s_mov_b64 s[4:5], -1
.LBB57_1893:
	s_mov_b64 s[10:11], 0
.LBB57_1894:
	s_and_b64 vcc, exec, s[10:11]
	s_cbranch_vccz .LBB57_1896
; %bb.1895:
	s_cmp_lg_u32 s17, 11
	s_mov_b64 s[2:3], -1
	s_cselect_b64 s[0:1], -1, 0
.LBB57_1896:
	s_and_b64 vcc, exec, s[0:1]
	s_cbranch_vccnz .LBB57_2190
; %bb.1897:
	s_andn2_b64 vcc, exec, s[2:3]
	s_cbranch_vccnz .LBB57_1899
.LBB57_1898:
	v_cmp_neq_f32_e32 vcc, 0, v5
	v_cndmask_b32_e64 v1, 0, 1, vcc
	s_mov_b64 s[4:5], -1
	global_store_byte v[3:4], v1, off
.LBB57_1899:
	s_mov_b64 s[0:1], 0
	s_branch .LBB57_1901
.LBB57_1900:
	s_mov_b64 s[0:1], -1
	s_mov_b64 s[4:5], 0
.LBB57_1901:
	s_and_b64 vcc, exec, s[0:1]
	s_cbranch_vccz .LBB57_1940
; %bb.1902:
	s_and_b32 s2, 0xffff, s16
	s_cmp_lt_i32 s2, 5
	s_mov_b64 s[0:1], -1
	s_cbranch_scc1 .LBB57_1923
; %bb.1903:
	s_cmp_lt_i32 s2, 8
	s_cbranch_scc1 .LBB57_1913
; %bb.1904:
	s_cmp_lt_i32 s2, 9
	s_cbranch_scc1 .LBB57_1910
; %bb.1905:
	s_cmp_gt_i32 s2, 9
	s_cbranch_scc0 .LBB57_1907
; %bb.1906:
	v_cvt_f64_f32_e32 v[18:19], v5
	v_mov_b32_e32 v20, 0
	v_mov_b32_e32 v21, v20
	s_mov_b64 s[0:1], 0
	global_store_dwordx4 v[3:4], v[18:21], off
.LBB57_1907:
	s_andn2_b64 vcc, exec, s[0:1]
	s_cbranch_vccnz .LBB57_1909
; %bb.1908:
	v_mov_b32_e32 v6, 0
	global_store_dwordx2 v[3:4], v[5:6], off
.LBB57_1909:
	s_mov_b64 s[0:1], 0
.LBB57_1910:
	s_andn2_b64 vcc, exec, s[0:1]
	s_cbranch_vccnz .LBB57_1912
; %bb.1911:
	v_cvt_f16_f32_e32 v1, v5
	global_store_dword v[3:4], v1, off
.LBB57_1912:
	s_mov_b64 s[0:1], 0
.LBB57_1913:
	s_andn2_b64 vcc, exec, s[0:1]
	s_cbranch_vccnz .LBB57_1922
; %bb.1914:
	s_cmp_lt_i32 s2, 6
	s_mov_b64 s[0:1], -1
	s_cbranch_scc1 .LBB57_1920
; %bb.1915:
	s_cmp_gt_i32 s2, 6
	s_cbranch_scc0 .LBB57_1917
; %bb.1916:
	v_cvt_f64_f32_e32 v[6:7], v5
	s_mov_b64 s[0:1], 0
	global_store_dwordx2 v[3:4], v[6:7], off
.LBB57_1917:
	s_andn2_b64 vcc, exec, s[0:1]
	s_cbranch_vccnz .LBB57_1919
; %bb.1918:
	global_store_dword v[3:4], v5, off
.LBB57_1919:
	s_mov_b64 s[0:1], 0
.LBB57_1920:
	s_andn2_b64 vcc, exec, s[0:1]
	s_cbranch_vccnz .LBB57_1922
; %bb.1921:
	v_cvt_f16_f32_e32 v1, v5
	global_store_short v[3:4], v1, off
.LBB57_1922:
	s_mov_b64 s[0:1], 0
.LBB57_1923:
	s_andn2_b64 vcc, exec, s[0:1]
	s_cbranch_vccnz .LBB57_1939
; %bb.1924:
	s_cmp_lt_i32 s2, 2
	s_mov_b64 s[0:1], -1
	s_cbranch_scc1 .LBB57_1934
; %bb.1925:
	s_cmp_lt_i32 s2, 3
	s_cbranch_scc1 .LBB57_1931
; %bb.1926:
	s_cmp_gt_i32 s2, 3
	s_cbranch_scc0 .LBB57_1928
; %bb.1927:
	v_trunc_f32_e32 v1, v5
	s_mov_b32 s0, 0x2f800000
	v_mul_f32_e64 v6, |v1|, s0
	v_floor_f32_e32 v6, v6
	s_mov_b32 s0, 0xcf800000
	v_cvt_u32_f32_e32 v7, v6
	v_fma_f32 v6, v6, s0, |v1|
	v_cvt_u32_f32_e32 v6, v6
	v_ashrrev_i32_e32 v1, 31, v1
	v_xor_b32_e32 v7, v7, v1
	s_mov_b64 s[0:1], 0
	v_xor_b32_e32 v6, v6, v1
	v_sub_co_u32_e32 v6, vcc, v6, v1
	v_subb_co_u32_e32 v7, vcc, v7, v1, vcc
	global_store_dwordx2 v[3:4], v[6:7], off
.LBB57_1928:
	s_andn2_b64 vcc, exec, s[0:1]
	s_cbranch_vccnz .LBB57_1930
; %bb.1929:
	v_cvt_i32_f32_e32 v1, v5
	global_store_dword v[3:4], v1, off
.LBB57_1930:
	s_mov_b64 s[0:1], 0
.LBB57_1931:
	s_andn2_b64 vcc, exec, s[0:1]
	s_cbranch_vccnz .LBB57_1933
; %bb.1932:
	v_cvt_i32_f32_e32 v1, v5
	global_store_short v[3:4], v1, off
.LBB57_1933:
	s_mov_b64 s[0:1], 0
.LBB57_1934:
	s_andn2_b64 vcc, exec, s[0:1]
	s_cbranch_vccnz .LBB57_1939
; %bb.1935:
	s_cmp_gt_i32 s2, 0
	s_mov_b64 s[0:1], -1
	s_cbranch_scc0 .LBB57_1937
; %bb.1936:
	v_cvt_i32_f32_e32 v1, v5
	s_mov_b64 s[0:1], 0
	global_store_byte v[3:4], v1, off
.LBB57_1937:
	s_andn2_b64 vcc, exec, s[0:1]
	s_cbranch_vccnz .LBB57_1939
; %bb.1938:
	v_trunc_f32_e32 v1, v5
	s_mov_b32 s0, 0x2f800000
	v_mul_f32_e64 v5, |v1|, s0
	v_floor_f32_e32 v5, v5
	s_mov_b32 s0, 0xcf800000
	v_fma_f32 v5, v5, s0, |v1|
	v_cvt_u32_f32_e32 v5, v5
	v_ashrrev_i32_e32 v1, 31, v1
	v_xor_b32_e32 v5, v5, v1
	v_sub_u32_e32 v1, v5, v1
	global_store_byte v[3:4], v1, off
.LBB57_1939:
	s_mov_b64 s[4:5], -1
.LBB57_1940:
	s_andn2_b64 vcc, exec, s[4:5]
	s_cbranch_vccnz .LBB57_2136
; %bb.1941:
	v_mul_f32_e32 v1, v10, v10
	v_div_scale_f32 v5, s[0:1], v1, v1, 1.0
	v_add_f32_e32 v4, 1.0, v10
	v_mul_f32_e32 v3, v4, v4
	v_div_scale_f32 v7, s[0:1], v3, v3, 1.0
	v_div_scale_f32 v6, vcc, 1.0, v1, 1.0
	v_add_f32_e32 v8, 1.0, v4
	v_div_scale_f32 v10, s[0:1], 1.0, v3, 1.0
	v_mul_f32_e32 v4, v8, v8
	v_div_scale_f32 v11, s[2:3], v4, v4, 1.0
	v_div_scale_f32 v18, s[2:3], 1.0, v4, 1.0
	v_rcp_f32_e32 v12, v5
	v_add_f32_e32 v8, 1.0, v8
	s_cmp_lt_i32 s16, 11
	v_rcp_f32_e32 v13, v7
	v_fma_f32 v19, -v5, v12, 1.0
	v_fmac_f32_e32 v12, v19, v12
	v_mul_f32_e32 v20, v6, v12
	v_fma_f32 v21, -v5, v20, v6
	v_fma_f32 v19, -v7, v13, 1.0
	v_fmac_f32_e32 v20, v21, v12
	v_fma_f32 v5, -v5, v20, v6
	v_fmac_f32_e32 v13, v19, v13
	v_div_fmas_f32 v5, v5, v12, v20
	v_mul_f32_e32 v12, v10, v13
	v_fma_f32 v6, -v7, v12, v10
	v_rcp_f32_e32 v19, v11
	v_fmac_f32_e32 v12, v6, v13
	v_mul_f32_e32 v6, v8, v8
	v_div_scale_f32 v20, s[4:5], v6, v6, 1.0
	v_fma_f32 v7, -v7, v12, v10
	v_fma_f32 v10, -v11, v19, 1.0
	v_fmac_f32_e32 v19, v10, v19
	s_mov_b64 vcc, s[0:1]
	v_mul_f32_e32 v10, v18, v19
	v_div_fmas_f32 v7, v7, v13, v12
	v_fma_f32 v12, -v11, v10, v18
	v_fmac_f32_e32 v10, v12, v19
	v_div_scale_f32 v12, s[0:1], 1.0, v6, 1.0
	v_add_f32_e32 v13, 1.0, v8
	v_mul_f32_e32 v8, v13, v13
	v_div_scale_f32 v21, s[4:5], v8, v8, 1.0
	v_fma_f32 v11, -v11, v10, v18
	s_mov_b64 vcc, s[2:3]
	v_div_fmas_f32 v10, v11, v19, v10
	v_div_scale_f32 v11, s[2:3], 1.0, v8, 1.0
	v_rcp_f32_e32 v18, v20
	v_add_f32_e32 v13, 1.0, v13
	v_mul_f32_e32 v22, v13, v13
	v_div_scale_f32 v23, s[4:5], v22, v22, 1.0
	v_fma_f32 v19, -v20, v18, 1.0
	v_fmac_f32_e32 v18, v19, v18
	v_mul_f32_e32 v19, v12, v18
	v_fma_f32 v24, -v20, v19, v12
	v_fmac_f32_e32 v19, v24, v18
	v_rcp_f32_e32 v24, v21
	v_fma_f32 v12, -v20, v19, v12
	s_mov_b64 vcc, s[0:1]
	v_div_fmas_f32 v12, v12, v18, v19
	v_fma_f32 v18, -v21, v24, 1.0
	v_fmac_f32_e32 v24, v18, v24
	v_mul_f32_e32 v18, v11, v24
	v_fma_f32 v19, -v21, v18, v11
	v_fmac_f32_e32 v18, v19, v24
	v_div_scale_f32 v19, s[0:1], 1.0, v22, 1.0
	v_add_f32_e32 v13, 1.0, v13
	v_mul_f32_e32 v25, v13, v13
	v_div_scale_f32 v26, s[4:5], v25, v25, 1.0
	v_rcp_f32_e32 v20, v23
	v_fma_f32 v11, -v21, v18, v11
	s_mov_b64 vcc, s[2:3]
	v_div_scale_f32 v21, s[2:3], 1.0, v25, 1.0
	v_div_fmas_f32 v11, v11, v24, v18
	v_add_f32_e32 v24, v13, v13
	v_div_scale_f32 v27, s[4:5], v24, v24, 1.0
	v_fma_f32 v18, -v23, v20, 1.0
	v_fmac_f32_e32 v20, v18, v20
	v_mul_f32_e32 v18, v19, v20
	v_fma_f32 v28, -v23, v18, v19
	v_fmac_f32_e32 v18, v28, v20
	v_div_scale_f32 v28, s[4:5], 1.0, v24, 1.0
	v_rcp_f32_e32 v29, v26
	v_fma_f32 v19, -v23, v18, v19
	s_mov_b64 vcc, s[0:1]
	v_div_fmas_f32 v18, v19, v20, v18
	v_fma_f32 v19, -v26, v29, 1.0
	v_fmac_f32_e32 v29, v19, v29
	v_mul_f32_e32 v19, v21, v29
	v_fma_f32 v20, -v26, v19, v21
	v_fmac_f32_e32 v19, v20, v29
	v_rcp_f32_e32 v20, v27
	v_fma_f32 v21, -v26, v19, v21
	s_mov_b64 vcc, s[2:3]
	v_div_fmas_f32 v19, v21, v29, v19
	v_fma_f32 v21, -v27, v20, 1.0
	v_fmac_f32_e32 v20, v21, v20
	v_mul_f32_e32 v21, v28, v20
	v_fma_f32 v23, -v27, v21, v28
	v_fmac_f32_e32 v21, v23, v20
	v_fma_f32 v23, -v27, v21, v28
	s_mov_b64 vcc, s[4:5]
	v_div_fmas_f32 v20, v23, v20, v21
	v_mov_b32_e32 v21, 0x3d088889
	s_mov_b32 s0, 0x3e2aaaab
	v_div_fixup_f32 v1, v5, v1, 1.0
	v_add_f32_e32 v1, v15, v1
	v_div_fixup_f32 v3, v7, v3, 1.0
	v_add_f32_e32 v1, v1, v3
	v_div_fixup_f32 v3, v10, v4, 1.0
	v_div_fixup_f32 v19, v19, v25, 1.0
	v_fmac_f32_e32 v21, 0xbcc30c31, v19
	v_fma_f32 v21, -v19, v21, s0
	v_add_f32_e32 v1, v1, v3
	v_div_fixup_f32 v3, v12, v6, 1.0
	v_add_f32_e32 v1, v1, v3
	v_div_fixup_f32 v3, v11, v8, 1.0
	v_add_f32_e32 v1, v1, v3
	v_div_fixup_f32 v20, v20, v24, 1.0
	v_add_f32_e32 v20, 1.0, v20
	v_fmac_f32_e32 v20, v19, v21
	v_div_scale_f32 v19, s[0:1], v13, v13, v20
	v_div_scale_f32 v21, vcc, v20, v13, v20
	v_div_fixup_f32 v3, v18, v22, 1.0
	v_add_f32_e32 v1, v1, v3
	v_mov_b32_e32 v4, s9
	v_rcp_f32_e32 v23, v19
	v_fma_f32 v24, -v19, v23, 1.0
	v_fmac_f32_e32 v23, v24, v23
	v_mul_f32_e32 v24, v21, v23
	v_fma_f32 v25, -v19, v24, v21
	v_fmac_f32_e32 v24, v25, v23
	v_fma_f32 v19, -v19, v24, v21
	v_div_fmas_f32 v19, v19, v23, v24
	v_div_fixup_f32 v3, v19, v13, v20
	v_add_f32_e32 v1, v1, v3
	v_mul_f32_e32 v3, v14, v1
	v_add_co_u32_e32 v1, vcc, s8, v2
	v_addc_co_u32_e32 v2, vcc, 0, v4, vcc
	s_cbranch_scc1 .LBB57_2019
; %bb.1942:
	s_and_b32 s17, 0xffff, s16
	s_mov_b64 s[10:11], -1
	s_mov_b64 s[2:3], 0
	s_cmp_gt_i32 s17, 25
	s_mov_b64 s[4:5], 0
	s_mov_b64 s[0:1], 0
	s_cbranch_scc0 .LBB57_1975
; %bb.1943:
	s_cmp_gt_i32 s17, 28
	s_cbranch_scc0 .LBB57_1958
; %bb.1944:
	s_cmp_gt_i32 s17, 43
	;; [unrolled: 3-line block ×3, first 2 shown]
	s_cbranch_scc0 .LBB57_1948
; %bb.1946:
	s_mov_b64 s[0:1], -1
	s_mov_b64 s[10:11], 0
	s_cmp_eq_u32 s17, 46
	s_cbranch_scc0 .LBB57_1948
; %bb.1947:
	v_bfe_u32 v4, v3, 16, 1
	s_movk_i32 s0, 0x7fff
	v_add3_u32 v4, v3, v4, s0
	v_cmp_o_f32_e32 vcc, v3, v3
	v_mov_b32_e32 v5, 0x7fc0
	v_cndmask_b32_sdwa v4, v5, v4, vcc dst_sel:DWORD dst_unused:UNUSED_PAD src0_sel:DWORD src1_sel:WORD_1
	global_store_dword v[1:2], v4, off
	s_mov_b64 s[0:1], 0
	s_mov_b64 s[4:5], -1
.LBB57_1948:
	s_and_b64 vcc, exec, s[10:11]
	s_cbranch_vccz .LBB57_1953
; %bb.1949:
	s_cmp_eq_u32 s17, 44
	s_mov_b64 s[0:1], -1
	s_cbranch_scc0 .LBB57_1953
; %bb.1950:
	v_bfe_u32 v4, v3, 23, 8
	s_movk_i32 s0, 0xff
	v_cmp_ne_u32_e32 vcc, s0, v4
	v_mov_b32_e32 v5, 0xff
	s_and_saveexec_b64 s[4:5], vcc
; %bb.1951:
	s_mov_b32 s0, 0x3fffff
	v_and_b32_e32 v6, 0x400000, v3
	v_and_or_b32 v4, v3, s0, v4
	v_cmp_ne_u32_e32 vcc, 0, v6
	v_cmp_ne_u32_e64 s[0:1], 0, v4
	s_and_b64 s[0:1], vcc, s[0:1]
	v_lshrrev_b32_e32 v5, 23, v3
	v_cndmask_b32_e64 v4, 0, 1, s[0:1]
	v_add_u32_e32 v5, v5, v4
; %bb.1952:
	s_or_b64 exec, exec, s[4:5]
	s_mov_b64 s[0:1], 0
	s_mov_b64 s[4:5], -1
	global_store_byte v[1:2], v5, off
.LBB57_1953:
	s_mov_b64 s[10:11], 0
.LBB57_1954:
	s_and_b64 vcc, exec, s[10:11]
	s_cbranch_vccz .LBB57_1957
; %bb.1955:
	s_cmp_eq_u32 s17, 29
	s_mov_b64 s[0:1], -1
	s_cbranch_scc0 .LBB57_1957
; %bb.1956:
	v_trunc_f32_e32 v4, v3
	v_mul_f32_e32 v5, 0x2f800000, v4
	v_floor_f32_e32 v6, v5
	v_fmac_f32_e32 v4, 0xcf800000, v6
	v_cvt_u32_f32_e32 v5, v6
	v_cvt_u32_f32_e32 v4, v4
	s_mov_b64 s[0:1], 0
	s_mov_b64 s[4:5], -1
	global_store_dwordx2 v[1:2], v[4:5], off
.LBB57_1957:
	s_mov_b64 s[10:11], 0
.LBB57_1958:
	s_and_b64 vcc, exec, s[10:11]
	s_cbranch_vccz .LBB57_1974
; %bb.1959:
	s_cmp_lt_i32 s17, 27
	s_mov_b64 s[4:5], -1
	s_cbranch_scc1 .LBB57_1965
; %bb.1960:
	v_cvt_u32_f32_e32 v4, v3
	s_cmp_gt_i32 s17, 27
	s_cbranch_scc0 .LBB57_1962
; %bb.1961:
	s_mov_b64 s[4:5], 0
	global_store_dword v[1:2], v4, off
.LBB57_1962:
	s_andn2_b64 vcc, exec, s[4:5]
	s_cbranch_vccnz .LBB57_1964
; %bb.1963:
	global_store_short v[1:2], v4, off
.LBB57_1964:
	s_mov_b64 s[4:5], 0
.LBB57_1965:
	s_andn2_b64 vcc, exec, s[4:5]
	s_cbranch_vccnz .LBB57_1973
; %bb.1966:
	v_and_b32_e32 v4, 0x7fffffff, v3
	s_mov_b32 s4, 0x43800000
	v_cmp_gt_u32_e32 vcc, s4, v4
	v_mov_b32_e32 v5, 0x80
	s_and_saveexec_b64 s[4:5], vcc
	s_cbranch_execz .LBB57_1972
; %bb.1967:
	s_mov_b32 s10, 0x3bffffff
	v_cmp_lt_u32_e32 vcc, s10, v4
	s_mov_b64 s[10:11], 0
                                        ; implicit-def: $vgpr4
	s_and_saveexec_b64 s[14:15], vcc
	s_xor_b64 s[14:15], exec, s[14:15]
	s_cbranch_execz .LBB57_2193
; %bb.1968:
	v_bfe_u32 v4, v3, 20, 1
	s_mov_b32 s18, 0x487ffff
	v_add3_u32 v4, v3, v4, s18
	s_mov_b64 s[10:11], exec
	v_lshrrev_b32_e32 v4, 20, v4
	s_andn2_saveexec_b64 s[14:15], s[14:15]
	s_cbranch_execnz .LBB57_2194
.LBB57_1969:
	s_or_b64 exec, exec, s[14:15]
	v_mov_b32_e32 v5, 0
	s_and_saveexec_b64 s[14:15], s[10:11]
.LBB57_1970:
	v_lshrrev_b32_e32 v5, 24, v3
	s_movk_i32 s10, 0x80
	v_and_or_b32 v5, v5, s10, v4
.LBB57_1971:
	s_or_b64 exec, exec, s[14:15]
.LBB57_1972:
	s_or_b64 exec, exec, s[4:5]
	global_store_byte v[1:2], v5, off
.LBB57_1973:
	s_mov_b64 s[4:5], -1
.LBB57_1974:
	s_mov_b64 s[10:11], 0
.LBB57_1975:
	s_and_b64 vcc, exec, s[10:11]
	s_cbranch_vccz .LBB57_2015
; %bb.1976:
	s_cmp_gt_i32 s17, 22
	s_mov_b64 s[2:3], -1
	s_cbranch_scc0 .LBB57_2008
; %bb.1977:
	s_cmp_lt_i32 s17, 24
	s_cbranch_scc1 .LBB57_1997
; %bb.1978:
	s_cmp_gt_i32 s17, 24
	s_cbranch_scc0 .LBB57_1986
; %bb.1979:
	v_and_b32_e32 v4, 0x7fffffff, v3
	s_mov_b32 s2, 0x47800000
	v_cmp_gt_u32_e32 vcc, s2, v4
	v_mov_b32_e32 v5, 0x80
	s_and_saveexec_b64 s[2:3], vcc
	s_cbranch_execz .LBB57_1985
; %bb.1980:
	s_mov_b32 s4, 0x37ffffff
	v_cmp_lt_u32_e32 vcc, s4, v4
	s_mov_b64 s[4:5], 0
                                        ; implicit-def: $vgpr4
	s_and_saveexec_b64 s[10:11], vcc
	s_xor_b64 s[10:11], exec, s[10:11]
	s_cbranch_execz .LBB57_2196
; %bb.1981:
	v_bfe_u32 v4, v3, 21, 1
	s_mov_b32 s14, 0x88fffff
	v_add3_u32 v4, v3, v4, s14
	s_mov_b64 s[4:5], exec
	v_lshrrev_b32_e32 v4, 21, v4
	s_andn2_saveexec_b64 s[10:11], s[10:11]
	s_cbranch_execnz .LBB57_2197
.LBB57_1982:
	s_or_b64 exec, exec, s[10:11]
	v_mov_b32_e32 v5, 0
	s_and_saveexec_b64 s[10:11], s[4:5]
.LBB57_1983:
	v_lshrrev_b32_e32 v5, 24, v3
	s_movk_i32 s4, 0x80
	v_and_or_b32 v5, v5, s4, v4
.LBB57_1984:
	s_or_b64 exec, exec, s[10:11]
.LBB57_1985:
	s_or_b64 exec, exec, s[2:3]
	s_mov_b64 s[2:3], 0
	global_store_byte v[1:2], v5, off
.LBB57_1986:
	s_and_b64 vcc, exec, s[2:3]
	s_cbranch_vccz .LBB57_1996
; %bb.1987:
	v_and_b32_e32 v5, 0x7fffffff, v3
	s_mov_b32 s2, 0x43f00000
	v_cmp_gt_u32_e32 vcc, s2, v5
                                        ; implicit-def: $vgpr4
	s_and_saveexec_b64 s[2:3], vcc
	s_xor_b64 s[2:3], exec, s[2:3]
	s_cbranch_execz .LBB57_1993
; %bb.1988:
	s_mov_b32 s4, 0x3c7fffff
	v_cmp_lt_u32_e32 vcc, s4, v5
                                        ; implicit-def: $vgpr4
	s_and_saveexec_b64 s[4:5], vcc
	s_xor_b64 s[4:5], exec, s[4:5]
; %bb.1989:
	v_bfe_u32 v4, v3, 20, 1
	s_mov_b32 s10, 0x407ffff
	v_add3_u32 v4, v3, v4, s10
	v_lshrrev_b32_e32 v5, 20, v4
	v_and_b32_e32 v4, 0xff00000, v4
	s_mov_b32 s10, 0x7f00000
	v_mov_b32_e32 v6, 0x7e
	v_cmp_ne_u32_e32 vcc, s10, v4
	v_cndmask_b32_e32 v4, v6, v5, vcc
; %bb.1990:
	s_andn2_saveexec_b64 s[4:5], s[4:5]
; %bb.1991:
	s_mov_b32 s10, 0x46800000
	v_add_f32_e64 v4, |v3|, s10
; %bb.1992:
	s_or_b64 exec, exec, s[4:5]
                                        ; implicit-def: $vgpr5
.LBB57_1993:
	s_andn2_saveexec_b64 s[2:3], s[2:3]
; %bb.1994:
	s_mov_b32 s4, 0x7f800000
	v_mov_b32_e32 v4, 0x7e
	v_mov_b32_e32 v6, 0x7f
	v_cmp_lt_u32_e32 vcc, s4, v5
	v_cndmask_b32_e32 v4, v4, v6, vcc
; %bb.1995:
	s_or_b64 exec, exec, s[2:3]
	v_lshrrev_b32_e32 v5, 24, v3
	s_movk_i32 s2, 0x80
	v_and_or_b32 v4, v5, s2, v4
	global_store_byte v[1:2], v4, off
.LBB57_1996:
	s_mov_b64 s[2:3], 0
.LBB57_1997:
	s_andn2_b64 vcc, exec, s[2:3]
	s_cbranch_vccnz .LBB57_2007
; %bb.1998:
	v_and_b32_e32 v5, 0x7fffffff, v3
	s_mov_b32 s2, 0x47800000
	v_cmp_gt_u32_e32 vcc, s2, v5
                                        ; implicit-def: $vgpr4
	s_and_saveexec_b64 s[2:3], vcc
	s_xor_b64 s[2:3], exec, s[2:3]
	s_cbranch_execz .LBB57_2004
; %bb.1999:
	s_mov_b32 s4, 0x387fffff
	v_cmp_lt_u32_e32 vcc, s4, v5
                                        ; implicit-def: $vgpr4
	s_and_saveexec_b64 s[4:5], vcc
	s_xor_b64 s[4:5], exec, s[4:5]
; %bb.2000:
	v_bfe_u32 v4, v3, 21, 1
	s_mov_b32 s10, 0x80fffff
	v_add3_u32 v4, v3, v4, s10
	v_lshrrev_b32_e32 v4, 21, v4
; %bb.2001:
	s_andn2_saveexec_b64 s[4:5], s[4:5]
; %bb.2002:
	s_mov_b32 s10, 0x43000000
	v_add_f32_e64 v4, |v3|, s10
; %bb.2003:
	s_or_b64 exec, exec, s[4:5]
                                        ; implicit-def: $vgpr5
.LBB57_2004:
	s_andn2_saveexec_b64 s[2:3], s[2:3]
; %bb.2005:
	s_mov_b32 s4, 0x7f800000
	v_mov_b32_e32 v4, 0x7c
	v_mov_b32_e32 v6, 0x7f
	v_cmp_lt_u32_e32 vcc, s4, v5
	v_cndmask_b32_e32 v4, v4, v6, vcc
; %bb.2006:
	s_or_b64 exec, exec, s[2:3]
	v_lshrrev_b32_e32 v5, 24, v3
	s_movk_i32 s2, 0x80
	v_and_or_b32 v4, v5, s2, v4
	global_store_byte v[1:2], v4, off
.LBB57_2007:
	s_mov_b64 s[2:3], 0
	s_mov_b64 s[4:5], -1
.LBB57_2008:
	s_andn2_b64 vcc, exec, s[2:3]
	s_mov_b64 s[2:3], 0
	s_cbranch_vccnz .LBB57_2015
; %bb.2009:
	s_cmp_gt_i32 s17, 14
	s_mov_b64 s[10:11], -1
	s_cbranch_scc0 .LBB57_2013
; %bb.2010:
	s_cmp_eq_u32 s17, 15
	s_mov_b64 s[0:1], -1
	s_cbranch_scc0 .LBB57_2012
; %bb.2011:
	v_bfe_u32 v4, v3, 16, 1
	s_movk_i32 s0, 0x7fff
	v_add3_u32 v4, v3, v4, s0
	v_cmp_o_f32_e32 vcc, v3, v3
	v_mov_b32_e32 v5, 0x7fc0
	v_cndmask_b32_sdwa v4, v5, v4, vcc dst_sel:DWORD dst_unused:UNUSED_PAD src0_sel:DWORD src1_sel:WORD_1
	global_store_short v[1:2], v4, off
	s_mov_b64 s[0:1], 0
	s_mov_b64 s[4:5], -1
.LBB57_2012:
	s_mov_b64 s[10:11], 0
.LBB57_2013:
	s_and_b64 vcc, exec, s[10:11]
	s_cbranch_vccz .LBB57_2015
; %bb.2014:
	s_cmp_lg_u32 s17, 11
	s_mov_b64 s[2:3], -1
	s_cselect_b64 s[0:1], -1, 0
.LBB57_2015:
	s_and_b64 vcc, exec, s[0:1]
	s_cbranch_vccnz .LBB57_2195
; %bb.2016:
	s_andn2_b64 vcc, exec, s[2:3]
	s_cbranch_vccnz .LBB57_2018
.LBB57_2017:
	v_cmp_neq_f32_e32 vcc, 0, v3
	v_cndmask_b32_e64 v4, 0, 1, vcc
	s_mov_b64 s[4:5], -1
	global_store_byte v[1:2], v4, off
.LBB57_2018:
	s_mov_b64 s[0:1], 0
	s_branch .LBB57_2020
.LBB57_2019:
	s_mov_b64 s[0:1], -1
	s_mov_b64 s[4:5], 0
.LBB57_2020:
	s_and_b64 vcc, exec, s[0:1]
	s_cbranch_vccz .LBB57_2059
; %bb.2021:
	s_and_b32 s2, 0xffff, s16
	s_cmp_lt_i32 s2, 5
	s_mov_b64 s[0:1], -1
	s_cbranch_scc1 .LBB57_2042
; %bb.2022:
	s_cmp_lt_i32 s2, 8
	s_cbranch_scc1 .LBB57_2032
; %bb.2023:
	s_cmp_lt_i32 s2, 9
	s_cbranch_scc1 .LBB57_2029
; %bb.2024:
	s_cmp_gt_i32 s2, 9
	s_cbranch_scc0 .LBB57_2026
; %bb.2025:
	v_cvt_f64_f32_e32 v[4:5], v3
	v_mov_b32_e32 v6, 0
	v_mov_b32_e32 v7, v6
	s_mov_b64 s[0:1], 0
	global_store_dwordx4 v[1:2], v[4:7], off
.LBB57_2026:
	s_andn2_b64 vcc, exec, s[0:1]
	s_cbranch_vccnz .LBB57_2028
; %bb.2027:
	v_mov_b32_e32 v4, 0
	global_store_dwordx2 v[1:2], v[3:4], off
.LBB57_2028:
	s_mov_b64 s[0:1], 0
.LBB57_2029:
	s_andn2_b64 vcc, exec, s[0:1]
	s_cbranch_vccnz .LBB57_2031
; %bb.2030:
	v_cvt_f16_f32_e32 v4, v3
	global_store_dword v[1:2], v4, off
.LBB57_2031:
	s_mov_b64 s[0:1], 0
.LBB57_2032:
	s_andn2_b64 vcc, exec, s[0:1]
	s_cbranch_vccnz .LBB57_2041
; %bb.2033:
	s_cmp_lt_i32 s2, 6
	s_mov_b64 s[0:1], -1
	s_cbranch_scc1 .LBB57_2039
; %bb.2034:
	s_cmp_gt_i32 s2, 6
	s_cbranch_scc0 .LBB57_2036
; %bb.2035:
	v_cvt_f64_f32_e32 v[4:5], v3
	s_mov_b64 s[0:1], 0
	global_store_dwordx2 v[1:2], v[4:5], off
.LBB57_2036:
	s_andn2_b64 vcc, exec, s[0:1]
	s_cbranch_vccnz .LBB57_2038
; %bb.2037:
	global_store_dword v[1:2], v3, off
.LBB57_2038:
	s_mov_b64 s[0:1], 0
.LBB57_2039:
	s_andn2_b64 vcc, exec, s[0:1]
	s_cbranch_vccnz .LBB57_2041
; %bb.2040:
	v_cvt_f16_f32_e32 v4, v3
	global_store_short v[1:2], v4, off
.LBB57_2041:
	s_mov_b64 s[0:1], 0
.LBB57_2042:
	s_andn2_b64 vcc, exec, s[0:1]
	s_cbranch_vccnz .LBB57_2058
; %bb.2043:
	s_cmp_lt_i32 s2, 2
	s_mov_b64 s[0:1], -1
	s_cbranch_scc1 .LBB57_2053
; %bb.2044:
	s_cmp_lt_i32 s2, 3
	s_cbranch_scc1 .LBB57_2050
; %bb.2045:
	s_cmp_gt_i32 s2, 3
	s_cbranch_scc0 .LBB57_2047
; %bb.2046:
	v_trunc_f32_e32 v4, v3
	s_mov_b32 s0, 0x2f800000
	v_mul_f32_e64 v5, |v4|, s0
	v_floor_f32_e32 v5, v5
	s_mov_b32 s0, 0xcf800000
	v_cvt_u32_f32_e32 v6, v5
	v_fma_f32 v5, v5, s0, |v4|
	v_cvt_u32_f32_e32 v5, v5
	v_ashrrev_i32_e32 v7, 31, v4
	v_xor_b32_e32 v6, v6, v7
	s_mov_b64 s[0:1], 0
	v_xor_b32_e32 v4, v5, v7
	v_sub_co_u32_e32 v4, vcc, v4, v7
	v_subb_co_u32_e32 v5, vcc, v6, v7, vcc
	global_store_dwordx2 v[1:2], v[4:5], off
.LBB57_2047:
	s_andn2_b64 vcc, exec, s[0:1]
	s_cbranch_vccnz .LBB57_2049
; %bb.2048:
	v_cvt_i32_f32_e32 v4, v3
	global_store_dword v[1:2], v4, off
.LBB57_2049:
	s_mov_b64 s[0:1], 0
.LBB57_2050:
	s_andn2_b64 vcc, exec, s[0:1]
	s_cbranch_vccnz .LBB57_2052
; %bb.2051:
	v_cvt_i32_f32_e32 v4, v3
	global_store_short v[1:2], v4, off
.LBB57_2052:
	s_mov_b64 s[0:1], 0
.LBB57_2053:
	s_andn2_b64 vcc, exec, s[0:1]
	s_cbranch_vccnz .LBB57_2058
; %bb.2054:
	s_cmp_gt_i32 s2, 0
	s_mov_b64 s[0:1], -1
	s_cbranch_scc0 .LBB57_2056
; %bb.2055:
	v_cvt_i32_f32_e32 v4, v3
	s_mov_b64 s[0:1], 0
	global_store_byte v[1:2], v4, off
.LBB57_2056:
	s_andn2_b64 vcc, exec, s[0:1]
	s_cbranch_vccnz .LBB57_2058
; %bb.2057:
	v_trunc_f32_e32 v3, v3
	s_mov_b32 s0, 0x2f800000
	v_mul_f32_e64 v4, |v3|, s0
	v_floor_f32_e32 v4, v4
	s_mov_b32 s0, 0xcf800000
	v_fma_f32 v4, v4, s0, |v3|
	v_cvt_u32_f32_e32 v4, v4
	v_ashrrev_i32_e32 v3, 31, v3
	v_xor_b32_e32 v4, v4, v3
	v_sub_u32_e32 v3, v4, v3
	global_store_byte v[1:2], v3, off
.LBB57_2058:
	s_mov_b64 s[4:5], -1
.LBB57_2059:
	s_andn2_b64 vcc, exec, s[4:5]
	s_cbranch_vccnz .LBB57_2136
; %bb.2060:
	v_mul_f32_e32 v1, v9, v9
	v_div_scale_f32 v4, s[0:1], v1, v1, 1.0
	v_add_f32_e32 v3, 1.0, v9
	v_mul_f32_e32 v2, v3, v3
	v_div_scale_f32 v6, s[0:1], v2, v2, 1.0
	v_div_scale_f32 v5, vcc, 1.0, v1, 1.0
	v_add_f32_e32 v7, 1.0, v3
	v_div_scale_f32 v8, s[0:1], 1.0, v2, 1.0
	v_mul_f32_e32 v3, v7, v7
	v_div_scale_f32 v9, s[2:3], v3, v3, 1.0
	v_div_scale_f32 v12, s[2:3], 1.0, v3, 1.0
	v_rcp_f32_e32 v10, v4
	v_add_f32_e32 v7, 1.0, v7
	s_cmp_lt_i32 s16, 11
	v_rcp_f32_e32 v11, v6
	v_fma_f32 v13, -v4, v10, 1.0
	v_fmac_f32_e32 v10, v13, v10
	v_mul_f32_e32 v14, v5, v10
	v_fma_f32 v15, -v4, v14, v5
	v_fma_f32 v13, -v6, v11, 1.0
	v_fmac_f32_e32 v14, v15, v10
	v_fma_f32 v4, -v4, v14, v5
	v_fmac_f32_e32 v11, v13, v11
	v_div_fmas_f32 v4, v4, v10, v14
	v_mul_f32_e32 v10, v8, v11
	v_fma_f32 v5, -v6, v10, v8
	v_rcp_f32_e32 v13, v9
	v_fmac_f32_e32 v10, v5, v11
	v_mul_f32_e32 v5, v7, v7
	v_div_scale_f32 v14, s[4:5], v5, v5, 1.0
	v_fma_f32 v6, -v6, v10, v8
	v_fma_f32 v8, -v9, v13, 1.0
	v_fmac_f32_e32 v13, v8, v13
	s_mov_b64 vcc, s[0:1]
	v_mul_f32_e32 v8, v12, v13
	v_div_fmas_f32 v6, v6, v11, v10
	v_fma_f32 v10, -v9, v8, v12
	v_fmac_f32_e32 v8, v10, v13
	v_div_scale_f32 v10, s[0:1], 1.0, v5, 1.0
	v_add_f32_e32 v11, 1.0, v7
	v_mul_f32_e32 v7, v11, v11
	v_div_scale_f32 v15, s[4:5], v7, v7, 1.0
	v_fma_f32 v9, -v9, v8, v12
	s_mov_b64 vcc, s[2:3]
	v_div_fmas_f32 v8, v9, v13, v8
	v_div_scale_f32 v9, s[2:3], 1.0, v7, 1.0
	v_rcp_f32_e32 v12, v14
	v_add_f32_e32 v11, 1.0, v11
	v_mul_f32_e32 v18, v11, v11
	v_div_scale_f32 v19, s[4:5], v18, v18, 1.0
	v_fma_f32 v13, -v14, v12, 1.0
	v_fmac_f32_e32 v12, v13, v12
	v_mul_f32_e32 v13, v10, v12
	v_fma_f32 v20, -v14, v13, v10
	v_fmac_f32_e32 v13, v20, v12
	v_rcp_f32_e32 v20, v15
	v_fma_f32 v10, -v14, v13, v10
	s_mov_b64 vcc, s[0:1]
	v_div_fmas_f32 v10, v10, v12, v13
	v_fma_f32 v12, -v15, v20, 1.0
	v_fmac_f32_e32 v20, v12, v20
	v_mul_f32_e32 v12, v9, v20
	v_fma_f32 v13, -v15, v12, v9
	v_fmac_f32_e32 v12, v13, v20
	v_div_scale_f32 v13, s[0:1], 1.0, v18, 1.0
	v_add_f32_e32 v11, 1.0, v11
	v_mul_f32_e32 v21, v11, v11
	v_div_scale_f32 v22, s[4:5], v21, v21, 1.0
	v_rcp_f32_e32 v14, v19
	v_fma_f32 v9, -v15, v12, v9
	s_mov_b64 vcc, s[2:3]
	v_div_scale_f32 v15, s[2:3], 1.0, v21, 1.0
	v_div_fmas_f32 v9, v9, v20, v12
	v_add_f32_e32 v20, v11, v11
	v_div_scale_f32 v23, s[4:5], v20, v20, 1.0
	v_fma_f32 v12, -v19, v14, 1.0
	v_fmac_f32_e32 v14, v12, v14
	v_mul_f32_e32 v12, v13, v14
	v_fma_f32 v24, -v19, v12, v13
	v_fmac_f32_e32 v12, v24, v14
	v_div_scale_f32 v24, s[4:5], 1.0, v20, 1.0
	v_rcp_f32_e32 v25, v22
	v_fma_f32 v13, -v19, v12, v13
	s_mov_b64 vcc, s[0:1]
	v_div_fmas_f32 v12, v13, v14, v12
	v_fma_f32 v13, -v22, v25, 1.0
	v_fmac_f32_e32 v25, v13, v25
	v_mul_f32_e32 v13, v15, v25
	v_fma_f32 v14, -v22, v13, v15
	v_fmac_f32_e32 v13, v14, v25
	v_rcp_f32_e32 v14, v23
	v_fma_f32 v15, -v22, v13, v15
	s_mov_b64 vcc, s[2:3]
	v_div_fmas_f32 v13, v15, v25, v13
	v_fma_f32 v15, -v23, v14, 1.0
	v_fmac_f32_e32 v14, v15, v14
	v_mul_f32_e32 v15, v24, v14
	v_fma_f32 v19, -v23, v15, v24
	v_fmac_f32_e32 v15, v19, v14
	v_fma_f32 v19, -v23, v15, v24
	s_mov_b64 vcc, s[4:5]
	v_div_fmas_f32 v14, v19, v14, v15
	v_mov_b32_e32 v15, 0x3d088889
	s_mov_b32 s0, 0x3e2aaaab
	v_div_fixup_f32 v1, v4, v1, 1.0
	v_add_f32_e32 v1, v17, v1
	v_div_fixup_f32 v2, v6, v2, 1.0
	v_add_f32_e32 v1, v1, v2
	v_div_fixup_f32 v2, v8, v3, 1.0
	v_div_fixup_f32 v13, v13, v21, 1.0
	v_fmac_f32_e32 v15, 0xbcc30c31, v13
	v_fma_f32 v15, -v13, v15, s0
	v_add_f32_e32 v1, v1, v2
	v_div_fixup_f32 v2, v10, v5, 1.0
	v_add_f32_e32 v1, v1, v2
	v_div_fixup_f32 v2, v9, v7, 1.0
	;; [unrolled: 2-line block ×3, first 2 shown]
	v_add_f32_e32 v14, 1.0, v14
	v_fmac_f32_e32 v14, v13, v15
	v_div_scale_f32 v13, s[0:1], v11, v11, v14
	v_div_scale_f32 v15, vcc, v14, v11, v14
	v_div_fixup_f32 v2, v12, v18, 1.0
	v_add_f32_e32 v1, v1, v2
	v_rcp_f32_e32 v19, v13
	v_fma_f32 v20, -v13, v19, 1.0
	v_fmac_f32_e32 v19, v20, v19
	v_mul_f32_e32 v20, v15, v19
	v_fma_f32 v21, -v13, v20, v15
	v_fmac_f32_e32 v20, v21, v19
	v_fma_f32 v13, -v13, v20, v15
	v_div_fmas_f32 v13, v13, v19, v20
	v_add_co_u32_e32 v0, vcc, s8, v0
	v_div_fixup_f32 v2, v13, v11, v14
	v_add_f32_e32 v1, v1, v2
	v_mul_f32_e32 v2, v16, v1
	v_mov_b32_e32 v1, s9
	v_addc_co_u32_e32 v1, vcc, 0, v1, vcc
	s_cbranch_scc1 .LBB57_2181
; %bb.2061:
	s_and_b32 s14, 0xffff, s16
	s_mov_b64 s[4:5], -1
	s_mov_b64 s[2:3], 0
	s_cmp_gt_i32 s14, 25
	s_mov_b64 s[0:1], 0
	s_cbranch_scc0 .LBB57_2094
; %bb.2062:
	s_cmp_gt_i32 s14, 28
	s_cbranch_scc0 .LBB57_2078
; %bb.2063:
	s_cmp_gt_i32 s14, 43
	;; [unrolled: 3-line block ×3, first 2 shown]
	s_cbranch_scc0 .LBB57_2068
; %bb.2065:
	s_cmp_eq_u32 s14, 46
	s_mov_b64 s[0:1], -1
	s_cbranch_scc0 .LBB57_2067
; %bb.2066:
	v_bfe_u32 v3, v2, 16, 1
	s_movk_i32 s0, 0x7fff
	v_add3_u32 v3, v2, v3, s0
	v_cmp_o_f32_e32 vcc, v2, v2
	v_mov_b32_e32 v4, 0x7fc0
	v_cndmask_b32_sdwa v3, v4, v3, vcc dst_sel:DWORD dst_unused:UNUSED_PAD src0_sel:DWORD src1_sel:WORD_1
	global_store_dword v[0:1], v3, off
	s_mov_b64 s[0:1], 0
.LBB57_2067:
	s_mov_b64 s[4:5], 0
.LBB57_2068:
	s_and_b64 vcc, exec, s[4:5]
	s_cbranch_vccz .LBB57_2073
; %bb.2069:
	s_cmp_eq_u32 s14, 44
	s_mov_b64 s[0:1], -1
	s_cbranch_scc0 .LBB57_2073
; %bb.2070:
	v_bfe_u32 v3, v2, 23, 8
	s_movk_i32 s0, 0xff
	v_cmp_ne_u32_e32 vcc, s0, v3
	v_mov_b32_e32 v4, 0xff
	s_and_saveexec_b64 s[4:5], vcc
; %bb.2071:
	s_mov_b32 s0, 0x3fffff
	v_and_b32_e32 v5, 0x400000, v2
	v_and_or_b32 v3, v2, s0, v3
	v_cmp_ne_u32_e32 vcc, 0, v5
	v_cmp_ne_u32_e64 s[0:1], 0, v3
	s_and_b64 s[0:1], vcc, s[0:1]
	v_lshrrev_b32_e32 v4, 23, v2
	v_cndmask_b32_e64 v3, 0, 1, s[0:1]
	v_add_u32_e32 v4, v4, v3
; %bb.2072:
	s_or_b64 exec, exec, s[4:5]
	s_mov_b64 s[0:1], 0
	global_store_byte v[0:1], v4, off
.LBB57_2073:
	s_mov_b64 s[4:5], 0
.LBB57_2074:
	s_and_b64 vcc, exec, s[4:5]
	s_cbranch_vccz .LBB57_2077
; %bb.2075:
	s_cmp_eq_u32 s14, 29
	s_mov_b64 s[0:1], -1
	s_cbranch_scc0 .LBB57_2077
; %bb.2076:
	v_trunc_f32_e32 v3, v2
	v_mul_f32_e32 v4, 0x2f800000, v3
	v_floor_f32_e32 v5, v4
	v_fmac_f32_e32 v3, 0xcf800000, v5
	v_cvt_u32_f32_e32 v4, v5
	v_cvt_u32_f32_e32 v3, v3
	s_mov_b64 s[0:1], 0
	global_store_dwordx2 v[0:1], v[3:4], off
.LBB57_2077:
	s_mov_b64 s[4:5], 0
.LBB57_2078:
	s_and_b64 vcc, exec, s[4:5]
	s_cbranch_vccz .LBB57_2093
; %bb.2079:
	s_cmp_lt_i32 s14, 27
	s_mov_b64 s[4:5], -1
	s_cbranch_scc1 .LBB57_2085
; %bb.2080:
	s_cmp_gt_i32 s14, 27
	s_cbranch_scc0 .LBB57_2082
; %bb.2081:
	v_cvt_u32_f32_e32 v3, v2
	s_mov_b64 s[4:5], 0
	global_store_dword v[0:1], v3, off
.LBB57_2082:
	s_andn2_b64 vcc, exec, s[4:5]
	s_cbranch_vccnz .LBB57_2084
; %bb.2083:
	v_cvt_u32_f32_e32 v3, v2
	global_store_short v[0:1], v3, off
.LBB57_2084:
	s_mov_b64 s[4:5], 0
.LBB57_2085:
	s_andn2_b64 vcc, exec, s[4:5]
	s_cbranch_vccnz .LBB57_2093
; %bb.2086:
	v_and_b32_e32 v3, 0x7fffffff, v2
	s_mov_b32 s4, 0x43800000
	v_cmp_gt_u32_e32 vcc, s4, v3
	v_mov_b32_e32 v4, 0x80
	s_and_saveexec_b64 s[4:5], vcc
	s_cbranch_execz .LBB57_2092
; %bb.2087:
	s_mov_b32 s8, 0x3bffffff
	v_cmp_lt_u32_e32 vcc, s8, v3
	s_mov_b64 s[8:9], 0
                                        ; implicit-def: $vgpr3
	s_and_saveexec_b64 s[10:11], vcc
	s_xor_b64 s[10:11], exec, s[10:11]
	s_cbranch_execz .LBB57_2198
; %bb.2088:
	v_bfe_u32 v3, v2, 20, 1
	s_mov_b32 s15, 0x487ffff
	v_add3_u32 v3, v2, v3, s15
	s_mov_b64 s[8:9], exec
	v_lshrrev_b32_e32 v3, 20, v3
	s_andn2_saveexec_b64 s[10:11], s[10:11]
	s_cbranch_execnz .LBB57_2199
.LBB57_2089:
	s_or_b64 exec, exec, s[10:11]
	v_mov_b32_e32 v4, 0
	s_and_saveexec_b64 s[10:11], s[8:9]
.LBB57_2090:
	v_lshrrev_b32_e32 v4, 24, v2
	s_movk_i32 s8, 0x80
	v_and_or_b32 v4, v4, s8, v3
.LBB57_2091:
	s_or_b64 exec, exec, s[10:11]
.LBB57_2092:
	s_or_b64 exec, exec, s[4:5]
	global_store_byte v[0:1], v4, off
.LBB57_2093:
	s_mov_b64 s[4:5], 0
.LBB57_2094:
	s_and_b64 vcc, exec, s[4:5]
	s_cbranch_vccz .LBB57_2134
; %bb.2095:
	s_cmp_gt_i32 s14, 22
	s_mov_b64 s[2:3], -1
	s_cbranch_scc0 .LBB57_2127
; %bb.2096:
	s_cmp_lt_i32 s14, 24
	s_cbranch_scc1 .LBB57_2116
; %bb.2097:
	s_cmp_gt_i32 s14, 24
	s_cbranch_scc0 .LBB57_2105
; %bb.2098:
	v_and_b32_e32 v3, 0x7fffffff, v2
	s_mov_b32 s2, 0x47800000
	v_cmp_gt_u32_e32 vcc, s2, v3
	v_mov_b32_e32 v4, 0x80
	s_and_saveexec_b64 s[2:3], vcc
	s_cbranch_execz .LBB57_2104
; %bb.2099:
	s_mov_b32 s4, 0x37ffffff
	v_cmp_lt_u32_e32 vcc, s4, v3
	s_mov_b64 s[4:5], 0
                                        ; implicit-def: $vgpr3
	s_and_saveexec_b64 s[8:9], vcc
	s_xor_b64 s[8:9], exec, s[8:9]
	s_cbranch_execz .LBB57_2201
; %bb.2100:
	v_bfe_u32 v3, v2, 21, 1
	s_mov_b32 s10, 0x88fffff
	v_add3_u32 v3, v2, v3, s10
	s_mov_b64 s[4:5], exec
	v_lshrrev_b32_e32 v3, 21, v3
	s_andn2_saveexec_b64 s[8:9], s[8:9]
	s_cbranch_execnz .LBB57_2202
.LBB57_2101:
	s_or_b64 exec, exec, s[8:9]
	v_mov_b32_e32 v4, 0
	s_and_saveexec_b64 s[8:9], s[4:5]
.LBB57_2102:
	v_lshrrev_b32_e32 v4, 24, v2
	s_movk_i32 s4, 0x80
	v_and_or_b32 v4, v4, s4, v3
.LBB57_2103:
	s_or_b64 exec, exec, s[8:9]
.LBB57_2104:
	s_or_b64 exec, exec, s[2:3]
	s_mov_b64 s[2:3], 0
	global_store_byte v[0:1], v4, off
.LBB57_2105:
	s_and_b64 vcc, exec, s[2:3]
	s_cbranch_vccz .LBB57_2115
; %bb.2106:
	v_and_b32_e32 v4, 0x7fffffff, v2
	s_mov_b32 s2, 0x43f00000
	v_cmp_gt_u32_e32 vcc, s2, v4
                                        ; implicit-def: $vgpr3
	s_and_saveexec_b64 s[2:3], vcc
	s_xor_b64 s[2:3], exec, s[2:3]
	s_cbranch_execz .LBB57_2112
; %bb.2107:
	s_mov_b32 s4, 0x3c7fffff
	v_cmp_lt_u32_e32 vcc, s4, v4
                                        ; implicit-def: $vgpr3
	s_and_saveexec_b64 s[4:5], vcc
	s_xor_b64 s[4:5], exec, s[4:5]
; %bb.2108:
	v_bfe_u32 v3, v2, 20, 1
	s_mov_b32 s8, 0x407ffff
	v_add3_u32 v3, v2, v3, s8
	v_lshrrev_b32_e32 v4, 20, v3
	v_and_b32_e32 v3, 0xff00000, v3
	s_mov_b32 s8, 0x7f00000
	v_mov_b32_e32 v5, 0x7e
	v_cmp_ne_u32_e32 vcc, s8, v3
	v_cndmask_b32_e32 v3, v5, v4, vcc
; %bb.2109:
	s_andn2_saveexec_b64 s[4:5], s[4:5]
; %bb.2110:
	s_mov_b32 s8, 0x46800000
	v_add_f32_e64 v3, |v2|, s8
; %bb.2111:
	s_or_b64 exec, exec, s[4:5]
                                        ; implicit-def: $vgpr4
.LBB57_2112:
	s_andn2_saveexec_b64 s[2:3], s[2:3]
; %bb.2113:
	s_mov_b32 s4, 0x7f800000
	v_mov_b32_e32 v3, 0x7e
	v_mov_b32_e32 v5, 0x7f
	v_cmp_lt_u32_e32 vcc, s4, v4
	v_cndmask_b32_e32 v3, v3, v5, vcc
; %bb.2114:
	s_or_b64 exec, exec, s[2:3]
	v_lshrrev_b32_e32 v4, 24, v2
	s_movk_i32 s2, 0x80
	v_and_or_b32 v3, v4, s2, v3
	global_store_byte v[0:1], v3, off
.LBB57_2115:
	s_mov_b64 s[2:3], 0
.LBB57_2116:
	s_andn2_b64 vcc, exec, s[2:3]
	s_cbranch_vccnz .LBB57_2126
; %bb.2117:
	v_and_b32_e32 v4, 0x7fffffff, v2
	s_mov_b32 s2, 0x47800000
	v_cmp_gt_u32_e32 vcc, s2, v4
                                        ; implicit-def: $vgpr3
	s_and_saveexec_b64 s[2:3], vcc
	s_xor_b64 s[2:3], exec, s[2:3]
	s_cbranch_execz .LBB57_2123
; %bb.2118:
	s_mov_b32 s4, 0x387fffff
	v_cmp_lt_u32_e32 vcc, s4, v4
                                        ; implicit-def: $vgpr3
	s_and_saveexec_b64 s[4:5], vcc
	s_xor_b64 s[4:5], exec, s[4:5]
; %bb.2119:
	v_bfe_u32 v3, v2, 21, 1
	s_mov_b32 s8, 0x80fffff
	v_add3_u32 v3, v2, v3, s8
	v_lshrrev_b32_e32 v3, 21, v3
; %bb.2120:
	s_andn2_saveexec_b64 s[4:5], s[4:5]
; %bb.2121:
	s_mov_b32 s8, 0x43000000
	v_add_f32_e64 v3, |v2|, s8
; %bb.2122:
	s_or_b64 exec, exec, s[4:5]
                                        ; implicit-def: $vgpr4
.LBB57_2123:
	s_andn2_saveexec_b64 s[2:3], s[2:3]
; %bb.2124:
	s_mov_b32 s4, 0x7f800000
	v_mov_b32_e32 v3, 0x7c
	v_mov_b32_e32 v5, 0x7f
	v_cmp_lt_u32_e32 vcc, s4, v4
	v_cndmask_b32_e32 v3, v3, v5, vcc
; %bb.2125:
	s_or_b64 exec, exec, s[2:3]
	v_lshrrev_b32_e32 v4, 24, v2
	s_movk_i32 s2, 0x80
	v_and_or_b32 v3, v4, s2, v3
	global_store_byte v[0:1], v3, off
.LBB57_2126:
	s_mov_b64 s[2:3], 0
.LBB57_2127:
	s_andn2_b64 vcc, exec, s[2:3]
	s_mov_b64 s[2:3], 0
	s_cbranch_vccnz .LBB57_2134
; %bb.2128:
	s_cmp_gt_i32 s14, 14
	s_mov_b64 s[4:5], -1
	s_cbranch_scc0 .LBB57_2132
; %bb.2129:
	s_cmp_eq_u32 s14, 15
	s_mov_b64 s[0:1], -1
	s_cbranch_scc0 .LBB57_2131
; %bb.2130:
	v_bfe_u32 v3, v2, 16, 1
	s_movk_i32 s0, 0x7fff
	v_add3_u32 v3, v2, v3, s0
	v_cmp_o_f32_e32 vcc, v2, v2
	v_mov_b32_e32 v4, 0x7fc0
	v_cndmask_b32_sdwa v3, v4, v3, vcc dst_sel:DWORD dst_unused:UNUSED_PAD src0_sel:DWORD src1_sel:WORD_1
	global_store_short v[0:1], v3, off
	s_mov_b64 s[0:1], 0
.LBB57_2131:
	s_mov_b64 s[4:5], 0
.LBB57_2132:
	s_and_b64 vcc, exec, s[4:5]
	s_cbranch_vccz .LBB57_2134
; %bb.2133:
	s_cmp_lg_u32 s14, 11
	s_mov_b64 s[2:3], -1
	s_cselect_b64 s[0:1], -1, 0
.LBB57_2134:
	s_and_b64 vcc, exec, s[0:1]
	s_cbranch_vccnz .LBB57_2200
.LBB57_2135:
	s_mov_b64 s[0:1], 0
	s_branch .LBB57_2137
.LBB57_2136:
	s_mov_b64 s[0:1], 0
	s_mov_b64 s[2:3], 0
                                        ; implicit-def: $vgpr0_vgpr1
                                        ; implicit-def: $sgpr16
                                        ; implicit-def: $vgpr2
.LBB57_2137:
	s_and_b64 s[40:41], s[2:3], exec
	s_andn2_b64 s[2:3], s[6:7], exec
	s_and_b64 s[4:5], s[12:13], exec
	s_and_b64 s[0:1], s[0:1], exec
	s_or_b64 s[6:7], s[2:3], s[4:5]
.LBB57_2138:
	s_or_b64 exec, exec, s[28:29]
	s_and_saveexec_b64 s[2:3], s[6:7]
	s_cbranch_execz .LBB57_2141
; %bb.2139:
	; divergent unreachable
	s_or_b64 exec, exec, s[2:3]
	s_and_saveexec_b64 s[2:3], s[40:41]
	s_xor_b64 s[2:3], exec, s[2:3]
	s_cbranch_execnz .LBB57_2142
.LBB57_2140:
	s_or_b64 exec, exec, s[2:3]
	s_and_saveexec_b64 s[2:3], s[0:1]
	s_cbranch_execnz .LBB57_2143
	s_branch .LBB57_2180
.LBB57_2141:
	s_or_b64 exec, exec, s[2:3]
	s_and_saveexec_b64 s[2:3], s[40:41]
	s_xor_b64 s[2:3], exec, s[2:3]
	s_cbranch_execz .LBB57_2140
.LBB57_2142:
	v_cmp_neq_f32_e32 vcc, 0, v2
	s_waitcnt vmcnt(0)
	v_cndmask_b32_e64 v3, 0, 1, vcc
	global_store_byte v[0:1], v3, off
	s_or_b64 exec, exec, s[2:3]
	s_and_saveexec_b64 s[2:3], s[0:1]
	s_cbranch_execz .LBB57_2180
.LBB57_2143:
	s_sext_i32_i16 s2, s16
	s_cmp_lt_i32 s2, 5
	s_mov_b64 s[0:1], -1
	s_cbranch_scc1 .LBB57_2164
; %bb.2144:
	s_cmp_lt_i32 s2, 8
	s_cbranch_scc1 .LBB57_2154
; %bb.2145:
	s_cmp_lt_i32 s2, 9
	s_cbranch_scc1 .LBB57_2151
; %bb.2146:
	s_cmp_gt_i32 s2, 9
	s_cbranch_scc0 .LBB57_2148
; %bb.2147:
	s_waitcnt vmcnt(0)
	v_cvt_f64_f32_e32 v[3:4], v2
	v_mov_b32_e32 v5, 0
	v_mov_b32_e32 v6, v5
	s_mov_b64 s[0:1], 0
	global_store_dwordx4 v[0:1], v[3:6], off
.LBB57_2148:
	s_andn2_b64 vcc, exec, s[0:1]
	s_cbranch_vccnz .LBB57_2150
; %bb.2149:
	s_waitcnt vmcnt(0)
	v_mov_b32_e32 v3, 0
	global_store_dwordx2 v[0:1], v[2:3], off
.LBB57_2150:
	s_mov_b64 s[0:1], 0
.LBB57_2151:
	s_andn2_b64 vcc, exec, s[0:1]
	s_cbranch_vccnz .LBB57_2153
; %bb.2152:
	s_waitcnt vmcnt(0)
	v_cvt_f16_f32_e32 v3, v2
	global_store_dword v[0:1], v3, off
.LBB57_2153:
	s_mov_b64 s[0:1], 0
.LBB57_2154:
	s_andn2_b64 vcc, exec, s[0:1]
	s_cbranch_vccnz .LBB57_2163
; %bb.2155:
	s_sext_i32_i16 s2, s16
	s_cmp_lt_i32 s2, 6
	s_mov_b64 s[0:1], -1
	s_cbranch_scc1 .LBB57_2161
; %bb.2156:
	s_cmp_gt_i32 s2, 6
	s_cbranch_scc0 .LBB57_2158
; %bb.2157:
	s_waitcnt vmcnt(0)
	v_cvt_f64_f32_e32 v[3:4], v2
	s_mov_b64 s[0:1], 0
	global_store_dwordx2 v[0:1], v[3:4], off
.LBB57_2158:
	s_andn2_b64 vcc, exec, s[0:1]
	s_cbranch_vccnz .LBB57_2160
; %bb.2159:
	s_waitcnt vmcnt(0)
	global_store_dword v[0:1], v2, off
.LBB57_2160:
	s_mov_b64 s[0:1], 0
.LBB57_2161:
	s_andn2_b64 vcc, exec, s[0:1]
	s_cbranch_vccnz .LBB57_2163
; %bb.2162:
	s_waitcnt vmcnt(0)
	v_cvt_f16_f32_e32 v3, v2
	global_store_short v[0:1], v3, off
.LBB57_2163:
	s_mov_b64 s[0:1], 0
.LBB57_2164:
	s_andn2_b64 vcc, exec, s[0:1]
	s_cbranch_vccnz .LBB57_2180
; %bb.2165:
	s_sext_i32_i16 s2, s16
	s_cmp_lt_i32 s2, 2
	s_mov_b64 s[0:1], -1
	s_cbranch_scc1 .LBB57_2175
; %bb.2166:
	s_cmp_lt_i32 s2, 3
	s_cbranch_scc1 .LBB57_2172
; %bb.2167:
	s_cmp_gt_i32 s2, 3
	s_cbranch_scc0 .LBB57_2169
; %bb.2168:
	s_waitcnt vmcnt(0)
	v_trunc_f32_e32 v3, v2
	s_mov_b32 s0, 0x2f800000
	v_mul_f32_e64 v4, |v3|, s0
	v_floor_f32_e32 v4, v4
	s_mov_b32 s0, 0xcf800000
	v_cvt_u32_f32_e32 v5, v4
	v_fma_f32 v4, v4, s0, |v3|
	v_cvt_u32_f32_e32 v4, v4
	v_ashrrev_i32_e32 v6, 31, v3
	v_xor_b32_e32 v5, v5, v6
	s_mov_b64 s[0:1], 0
	v_xor_b32_e32 v3, v4, v6
	v_sub_co_u32_e32 v3, vcc, v3, v6
	v_subb_co_u32_e32 v4, vcc, v5, v6, vcc
	global_store_dwordx2 v[0:1], v[3:4], off
.LBB57_2169:
	s_andn2_b64 vcc, exec, s[0:1]
	s_cbranch_vccnz .LBB57_2171
; %bb.2170:
	s_waitcnt vmcnt(0)
	v_cvt_i32_f32_e32 v3, v2
	global_store_dword v[0:1], v3, off
.LBB57_2171:
	s_mov_b64 s[0:1], 0
.LBB57_2172:
	s_andn2_b64 vcc, exec, s[0:1]
	s_cbranch_vccnz .LBB57_2174
; %bb.2173:
	s_waitcnt vmcnt(0)
	v_cvt_i32_f32_e32 v3, v2
	global_store_short v[0:1], v3, off
.LBB57_2174:
	s_mov_b64 s[0:1], 0
.LBB57_2175:
	s_andn2_b64 vcc, exec, s[0:1]
	s_cbranch_vccnz .LBB57_2180
; %bb.2176:
	s_sext_i32_i16 s0, s16
	s_cmp_gt_i32 s0, 0
	s_mov_b64 s[0:1], -1
	s_cbranch_scc0 .LBB57_2178
; %bb.2177:
	s_waitcnt vmcnt(0)
	v_cvt_i32_f32_e32 v3, v2
	s_mov_b64 s[0:1], 0
	global_store_byte v[0:1], v3, off
.LBB57_2178:
	s_andn2_b64 vcc, exec, s[0:1]
	s_cbranch_vccnz .LBB57_2180
; %bb.2179:
	v_trunc_f32_e32 v2, v2
	s_mov_b32 s0, 0x2f800000
	s_waitcnt vmcnt(0)
	v_mul_f32_e64 v3, |v2|, s0
	v_floor_f32_e32 v3, v3
	s_mov_b32 s0, 0xcf800000
	v_fma_f32 v3, v3, s0, |v2|
	v_cvt_u32_f32_e32 v3, v3
	v_ashrrev_i32_e32 v2, 31, v2
	v_xor_b32_e32 v3, v3, v2
	v_sub_u32_e32 v2, v3, v2
	global_store_byte v[0:1], v2, off
	s_endpgm
.LBB57_2180:
	s_endpgm
.LBB57_2181:
	s_mov_b64 s[2:3], 0
	s_mov_b64 s[0:1], -1
	s_branch .LBB57_2137
.LBB57_2182:
	s_trap 2
	s_or_b64 s[12:13], s[12:13], exec
	s_cbranch_execz .LBB57_1645
	s_branch .LBB57_1646
.LBB57_2183:
	s_andn2_saveexec_b64 s[14:15], s[14:15]
	s_cbranch_execz .LBB57_1731
.LBB57_2184:
	s_mov_b32 s19, 0x46000000
	v_add_f32_e64 v1, |v7|, s19
	v_and_b32_e32 v1, 0xff, v1
	v_cmp_ne_u32_e32 vcc, 0, v1
	s_andn2_b64 s[10:11], s[10:11], exec
	s_and_b64 s[20:21], vcc, exec
	s_or_b64 s[10:11], s[10:11], s[20:21]
	s_or_b64 exec, exec, s[14:15]
	v_mov_b32_e32 v8, 0
	s_and_saveexec_b64 s[14:15], s[10:11]
	s_cbranch_execnz .LBB57_1732
	s_branch .LBB57_1733
.LBB57_2185:
	s_trap 2
	s_or_b64 s[12:13], s[12:13], exec
	s_cbranch_execz .LBB57_1779
	s_branch .LBB57_1780
.LBB57_2186:
	s_andn2_saveexec_b64 s[10:11], s[10:11]
	s_cbranch_execz .LBB57_1744
.LBB57_2187:
	s_mov_b32 s14, 0x42800000
	v_add_f32_e64 v1, |v7|, s14
	v_and_b32_e32 v1, 0xff, v1
	v_cmp_ne_u32_e32 vcc, 0, v1
	s_andn2_b64 s[4:5], s[4:5], exec
	s_and_b64 s[14:15], vcc, exec
	s_or_b64 s[4:5], s[4:5], s[14:15]
	s_or_b64 exec, exec, s[10:11]
	v_mov_b32_e32 v8, 0
	s_and_saveexec_b64 s[10:11], s[4:5]
	s_cbranch_execnz .LBB57_1745
	s_branch .LBB57_1746
.LBB57_2188:
	s_andn2_saveexec_b64 s[14:15], s[14:15]
	s_cbranch_execz .LBB57_1850
.LBB57_2189:
	s_mov_b32 s18, 0x46000000
	v_add_f32_e64 v1, |v5|, s18
	v_and_b32_e32 v1, 0xff, v1
	v_cmp_ne_u32_e32 vcc, 0, v1
	s_andn2_b64 s[10:11], s[10:11], exec
	s_and_b64 s[18:19], vcc, exec
	s_or_b64 s[10:11], s[10:11], s[18:19]
	s_or_b64 exec, exec, s[14:15]
	v_mov_b32_e32 v6, 0
	s_and_saveexec_b64 s[14:15], s[10:11]
	s_cbranch_execnz .LBB57_1851
	s_branch .LBB57_1852
.LBB57_2190:
	s_trap 2
	s_or_b64 s[12:13], s[12:13], exec
	s_cbranch_execz .LBB57_1898
	s_branch .LBB57_1899
.LBB57_2191:
	s_andn2_saveexec_b64 s[10:11], s[10:11]
	s_cbranch_execz .LBB57_1863
.LBB57_2192:
	s_mov_b32 s14, 0x42800000
	v_add_f32_e64 v1, |v5|, s14
	v_and_b32_e32 v1, 0xff, v1
	v_cmp_ne_u32_e32 vcc, 0, v1
	s_andn2_b64 s[4:5], s[4:5], exec
	s_and_b64 s[14:15], vcc, exec
	s_or_b64 s[4:5], s[4:5], s[14:15]
	s_or_b64 exec, exec, s[10:11]
	v_mov_b32_e32 v6, 0
	s_and_saveexec_b64 s[10:11], s[4:5]
	s_cbranch_execnz .LBB57_1864
	s_branch .LBB57_1865
.LBB57_2193:
	s_andn2_saveexec_b64 s[14:15], s[14:15]
	s_cbranch_execz .LBB57_1969
.LBB57_2194:
	s_mov_b32 s18, 0x46000000
	v_add_f32_e64 v4, |v3|, s18
	v_and_b32_e32 v4, 0xff, v4
	v_cmp_ne_u32_e32 vcc, 0, v4
	s_andn2_b64 s[10:11], s[10:11], exec
	s_and_b64 s[18:19], vcc, exec
	s_or_b64 s[10:11], s[10:11], s[18:19]
	s_or_b64 exec, exec, s[14:15]
	v_mov_b32_e32 v5, 0
	s_and_saveexec_b64 s[14:15], s[10:11]
	s_cbranch_execnz .LBB57_1970
	s_branch .LBB57_1971
.LBB57_2195:
	s_trap 2
	s_or_b64 s[12:13], s[12:13], exec
	s_cbranch_execz .LBB57_2017
	s_branch .LBB57_2018
.LBB57_2196:
	s_andn2_saveexec_b64 s[10:11], s[10:11]
	s_cbranch_execz .LBB57_1982
.LBB57_2197:
	s_mov_b32 s14, 0x42800000
	v_add_f32_e64 v4, |v3|, s14
	v_and_b32_e32 v4, 0xff, v4
	v_cmp_ne_u32_e32 vcc, 0, v4
	s_andn2_b64 s[4:5], s[4:5], exec
	s_and_b64 s[14:15], vcc, exec
	s_or_b64 s[4:5], s[4:5], s[14:15]
	s_or_b64 exec, exec, s[10:11]
	v_mov_b32_e32 v5, 0
	s_and_saveexec_b64 s[10:11], s[4:5]
	s_cbranch_execnz .LBB57_1983
	s_branch .LBB57_1984
.LBB57_2198:
	s_andn2_saveexec_b64 s[10:11], s[10:11]
	s_cbranch_execz .LBB57_2089
.LBB57_2199:
	s_mov_b32 s15, 0x46000000
	v_add_f32_e64 v3, |v2|, s15
	v_and_b32_e32 v3, 0xff, v3
	v_cmp_ne_u32_e32 vcc, 0, v3
	s_andn2_b64 s[8:9], s[8:9], exec
	s_and_b64 s[18:19], vcc, exec
	s_or_b64 s[8:9], s[8:9], s[18:19]
	s_or_b64 exec, exec, s[10:11]
	v_mov_b32_e32 v4, 0
	s_and_saveexec_b64 s[10:11], s[8:9]
	s_cbranch_execnz .LBB57_2090
	s_branch .LBB57_2091
.LBB57_2200:
	s_mov_b64 s[2:3], 0
	s_or_b64 s[12:13], s[12:13], exec
	s_trap 2
	s_branch .LBB57_2135
.LBB57_2201:
	s_andn2_saveexec_b64 s[8:9], s[8:9]
	s_cbranch_execz .LBB57_2101
.LBB57_2202:
	s_mov_b32 s10, 0x42800000
	v_add_f32_e64 v3, |v2|, s10
	v_and_b32_e32 v3, 0xff, v3
	v_cmp_ne_u32_e32 vcc, 0, v3
	s_andn2_b64 s[4:5], s[4:5], exec
	s_and_b64 s[10:11], vcc, exec
	s_or_b64 s[4:5], s[4:5], s[10:11]
	s_or_b64 exec, exec, s[8:9]
	v_mov_b32_e32 v4, 0
	s_and_saveexec_b64 s[8:9], s[4:5]
	s_cbranch_execnz .LBB57_2102
	s_branch .LBB57_2103
	.section	.rodata,"a",@progbits
	.p2align	6, 0x0
	.amdhsa_kernel _ZN2at6native32elementwise_kernel_manual_unrollILi128ELi4EZNS0_15gpu_kernel_implIZZZNS0_20trigamma_kernel_cudaERNS_18TensorIteratorBaseEENKUlvE_clEvENKUlvE0_clEvEUlfE_EEvS4_RKT_EUlibE0_EEviT1_
		.amdhsa_group_segment_fixed_size 0
		.amdhsa_private_segment_fixed_size 0
		.amdhsa_kernarg_size 360
		.amdhsa_user_sgpr_count 6
		.amdhsa_user_sgpr_private_segment_buffer 1
		.amdhsa_user_sgpr_dispatch_ptr 0
		.amdhsa_user_sgpr_queue_ptr 0
		.amdhsa_user_sgpr_kernarg_segment_ptr 1
		.amdhsa_user_sgpr_dispatch_id 0
		.amdhsa_user_sgpr_flat_scratch_init 0
		.amdhsa_user_sgpr_private_segment_size 0
		.amdhsa_uses_dynamic_stack 0
		.amdhsa_system_sgpr_private_segment_wavefront_offset 0
		.amdhsa_system_sgpr_workgroup_id_x 1
		.amdhsa_system_sgpr_workgroup_id_y 0
		.amdhsa_system_sgpr_workgroup_id_z 0
		.amdhsa_system_sgpr_workgroup_info 0
		.amdhsa_system_vgpr_workitem_id 0
		.amdhsa_next_free_vgpr 38
		.amdhsa_next_free_sgpr 78
		.amdhsa_reserve_vcc 1
		.amdhsa_reserve_flat_scratch 0
		.amdhsa_float_round_mode_32 0
		.amdhsa_float_round_mode_16_64 0
		.amdhsa_float_denorm_mode_32 3
		.amdhsa_float_denorm_mode_16_64 3
		.amdhsa_dx10_clamp 1
		.amdhsa_ieee_mode 1
		.amdhsa_fp16_overflow 0
		.amdhsa_exception_fp_ieee_invalid_op 0
		.amdhsa_exception_fp_denorm_src 0
		.amdhsa_exception_fp_ieee_div_zero 0
		.amdhsa_exception_fp_ieee_overflow 0
		.amdhsa_exception_fp_ieee_underflow 0
		.amdhsa_exception_fp_ieee_inexact 0
		.amdhsa_exception_int_div_zero 0
	.end_amdhsa_kernel
	.section	.text._ZN2at6native32elementwise_kernel_manual_unrollILi128ELi4EZNS0_15gpu_kernel_implIZZZNS0_20trigamma_kernel_cudaERNS_18TensorIteratorBaseEENKUlvE_clEvENKUlvE0_clEvEUlfE_EEvS4_RKT_EUlibE0_EEviT1_,"axG",@progbits,_ZN2at6native32elementwise_kernel_manual_unrollILi128ELi4EZNS0_15gpu_kernel_implIZZZNS0_20trigamma_kernel_cudaERNS_18TensorIteratorBaseEENKUlvE_clEvENKUlvE0_clEvEUlfE_EEvS4_RKT_EUlibE0_EEviT1_,comdat
.Lfunc_end57:
	.size	_ZN2at6native32elementwise_kernel_manual_unrollILi128ELi4EZNS0_15gpu_kernel_implIZZZNS0_20trigamma_kernel_cudaERNS_18TensorIteratorBaseEENKUlvE_clEvENKUlvE0_clEvEUlfE_EEvS4_RKT_EUlibE0_EEviT1_, .Lfunc_end57-_ZN2at6native32elementwise_kernel_manual_unrollILi128ELi4EZNS0_15gpu_kernel_implIZZZNS0_20trigamma_kernel_cudaERNS_18TensorIteratorBaseEENKUlvE_clEvENKUlvE0_clEvEUlfE_EEvS4_RKT_EUlibE0_EEviT1_
                                        ; -- End function
	.set _ZN2at6native32elementwise_kernel_manual_unrollILi128ELi4EZNS0_15gpu_kernel_implIZZZNS0_20trigamma_kernel_cudaERNS_18TensorIteratorBaseEENKUlvE_clEvENKUlvE0_clEvEUlfE_EEvS4_RKT_EUlibE0_EEviT1_.num_vgpr, 38
	.set _ZN2at6native32elementwise_kernel_manual_unrollILi128ELi4EZNS0_15gpu_kernel_implIZZZNS0_20trigamma_kernel_cudaERNS_18TensorIteratorBaseEENKUlvE_clEvENKUlvE0_clEvEUlfE_EEvS4_RKT_EUlibE0_EEviT1_.num_agpr, 0
	.set _ZN2at6native32elementwise_kernel_manual_unrollILi128ELi4EZNS0_15gpu_kernel_implIZZZNS0_20trigamma_kernel_cudaERNS_18TensorIteratorBaseEENKUlvE_clEvENKUlvE0_clEvEUlfE_EEvS4_RKT_EUlibE0_EEviT1_.numbered_sgpr, 78
	.set _ZN2at6native32elementwise_kernel_manual_unrollILi128ELi4EZNS0_15gpu_kernel_implIZZZNS0_20trigamma_kernel_cudaERNS_18TensorIteratorBaseEENKUlvE_clEvENKUlvE0_clEvEUlfE_EEvS4_RKT_EUlibE0_EEviT1_.num_named_barrier, 0
	.set _ZN2at6native32elementwise_kernel_manual_unrollILi128ELi4EZNS0_15gpu_kernel_implIZZZNS0_20trigamma_kernel_cudaERNS_18TensorIteratorBaseEENKUlvE_clEvENKUlvE0_clEvEUlfE_EEvS4_RKT_EUlibE0_EEviT1_.private_seg_size, 0
	.set _ZN2at6native32elementwise_kernel_manual_unrollILi128ELi4EZNS0_15gpu_kernel_implIZZZNS0_20trigamma_kernel_cudaERNS_18TensorIteratorBaseEENKUlvE_clEvENKUlvE0_clEvEUlfE_EEvS4_RKT_EUlibE0_EEviT1_.uses_vcc, 1
	.set _ZN2at6native32elementwise_kernel_manual_unrollILi128ELi4EZNS0_15gpu_kernel_implIZZZNS0_20trigamma_kernel_cudaERNS_18TensorIteratorBaseEENKUlvE_clEvENKUlvE0_clEvEUlfE_EEvS4_RKT_EUlibE0_EEviT1_.uses_flat_scratch, 0
	.set _ZN2at6native32elementwise_kernel_manual_unrollILi128ELi4EZNS0_15gpu_kernel_implIZZZNS0_20trigamma_kernel_cudaERNS_18TensorIteratorBaseEENKUlvE_clEvENKUlvE0_clEvEUlfE_EEvS4_RKT_EUlibE0_EEviT1_.has_dyn_sized_stack, 0
	.set _ZN2at6native32elementwise_kernel_manual_unrollILi128ELi4EZNS0_15gpu_kernel_implIZZZNS0_20trigamma_kernel_cudaERNS_18TensorIteratorBaseEENKUlvE_clEvENKUlvE0_clEvEUlfE_EEvS4_RKT_EUlibE0_EEviT1_.has_recursion, 0
	.set _ZN2at6native32elementwise_kernel_manual_unrollILi128ELi4EZNS0_15gpu_kernel_implIZZZNS0_20trigamma_kernel_cudaERNS_18TensorIteratorBaseEENKUlvE_clEvENKUlvE0_clEvEUlfE_EEvS4_RKT_EUlibE0_EEviT1_.has_indirect_call, 0
	.section	.AMDGPU.csdata,"",@progbits
; Kernel info:
; codeLenInByte = 51736
; TotalNumSgprs: 82
; NumVgprs: 38
; ScratchSize: 0
; MemoryBound: 1
; FloatMode: 240
; IeeeMode: 1
; LDSByteSize: 0 bytes/workgroup (compile time only)
; SGPRBlocks: 10
; VGPRBlocks: 9
; NumSGPRsForWavesPerEU: 82
; NumVGPRsForWavesPerEU: 38
; Occupancy: 6
; WaveLimiterHint : 1
; COMPUTE_PGM_RSRC2:SCRATCH_EN: 0
; COMPUTE_PGM_RSRC2:USER_SGPR: 6
; COMPUTE_PGM_RSRC2:TRAP_HANDLER: 0
; COMPUTE_PGM_RSRC2:TGID_X_EN: 1
; COMPUTE_PGM_RSRC2:TGID_Y_EN: 0
; COMPUTE_PGM_RSRC2:TGID_Z_EN: 0
; COMPUTE_PGM_RSRC2:TIDIG_COMP_CNT: 0
	.text
	.p2align	2                               ; -- Begin function _ZN2at6native25elementwise_kernel_helperILb0EZZZNS0_20trigamma_kernel_cudaERNS_18TensorIteratorBaseEENKUlvE_clEvENKUlvE1_clEvEUlN3c104HalfEE_NS0_6memory8policies11unroll_baseILi256ESt5arrayIPcLm2EE23TrivialOffsetCalculatorILi1EjESG_NS9_15LoadWithoutCastENS9_16StoreWithoutCastELi8ELi1EEEEEvT0_T1_
	.type	_ZN2at6native25elementwise_kernel_helperILb0EZZZNS0_20trigamma_kernel_cudaERNS_18TensorIteratorBaseEENKUlvE_clEvENKUlvE1_clEvEUlN3c104HalfEE_NS0_6memory8policies11unroll_baseILi256ESt5arrayIPcLm2EE23TrivialOffsetCalculatorILi1EjESG_NS9_15LoadWithoutCastENS9_16StoreWithoutCastELi8ELi1EEEEEvT0_T1_,@function
_ZN2at6native25elementwise_kernel_helperILb0EZZZNS0_20trigamma_kernel_cudaERNS_18TensorIteratorBaseEENKUlvE_clEvENKUlvE1_clEvEUlN3c104HalfEE_NS0_6memory8policies11unroll_baseILi256ESt5arrayIPcLm2EE23TrivialOffsetCalculatorILi1EjESG_NS9_15LoadWithoutCastENS9_16StoreWithoutCastELi8ELi1EEEEEvT0_T1_: ; @_ZN2at6native25elementwise_kernel_helperILb0EZZZNS0_20trigamma_kernel_cudaERNS_18TensorIteratorBaseEENKUlvE_clEvENKUlvE1_clEvEUlN3c104HalfEE_NS0_6memory8policies11unroll_baseILi256ESt5arrayIPcLm2EE23TrivialOffsetCalculatorILi1EjESG_NS9_15LoadWithoutCastENS9_16StoreWithoutCastELi8ELi1EEEEEvT0_T1_
; %bb.0:
	s_waitcnt vmcnt(0) expcnt(0) lgkmcnt(0)
	v_and_b32_e32 v7, 0x3ff, v31
	s_lshl_b32 s18, s12, 11
	v_cmp_lt_i32_e64 s[4:5], v7, v4
	v_mov_b32_e32 v11, 0
	v_or_b32_e32 v5, s18, v7
	v_mov_b32_e32 v9, 0
	v_mov_b32_e32 v15, v7
	s_and_saveexec_b64 s[6:7], s[4:5]
	s_cbranch_execz .LBB58_2
; %bb.1:
	v_mov_b32_e32 v6, 0
	v_lshlrev_b64 v[8:9], 1, v[5:6]
	v_add_u32_e32 v15, 0x100, v7
	v_add_co_u32_e32 v8, vcc, v2, v8
	v_addc_co_u32_e32 v9, vcc, v3, v9, vcc
	flat_load_ushort v9, v[8:9]
.LBB58_2:
	s_or_b64 exec, exec, s[6:7]
	v_cmp_lt_i32_e32 vcc, v15, v4
	s_and_saveexec_b64 s[6:7], vcc
	s_cbranch_execz .LBB58_4
; %bb.3:
	v_add_u32_e32 v10, s18, v15
	v_mov_b32_e32 v11, 0
	v_lshlrev_b64 v[10:11], 1, v[10:11]
	v_add_u32_e32 v15, 0x100, v15
	v_add_co_u32_e32 v10, vcc, v2, v10
	v_addc_co_u32_e32 v11, vcc, v3, v11, vcc
	flat_load_ushort v11, v[10:11]
.LBB58_4:
	s_or_b64 exec, exec, s[6:7]
	v_cmp_lt_i32_e32 vcc, v15, v4
	v_mov_b32_e32 v14, 0
	v_mov_b32_e32 v13, 0
	s_and_saveexec_b64 s[6:7], vcc
	s_cbranch_execz .LBB58_6
; %bb.5:
	v_add_u32_e32 v12, s18, v15
	v_mov_b32_e32 v13, 0
	v_lshlrev_b64 v[12:13], 1, v[12:13]
	v_add_u32_e32 v15, 0x100, v15
	v_add_co_u32_e32 v12, vcc, v2, v12
	v_addc_co_u32_e32 v13, vcc, v3, v13, vcc
	flat_load_ushort v13, v[12:13]
.LBB58_6:
	s_or_b64 exec, exec, s[6:7]
	v_cmp_lt_i32_e32 vcc, v15, v4
	s_and_saveexec_b64 s[6:7], vcc
	s_cbranch_execz .LBB58_8
; %bb.7:
	v_add_u32_e32 v16, s18, v15
	v_mov_b32_e32 v17, 0
	v_lshlrev_b64 v[16:17], 1, v[16:17]
	v_add_u32_e32 v15, 0x100, v15
	v_add_co_u32_e32 v16, vcc, v2, v16
	v_addc_co_u32_e32 v17, vcc, v3, v17, vcc
	flat_load_ushort v14, v[16:17]
.LBB58_8:
	s_or_b64 exec, exec, s[6:7]
	v_cmp_lt_i32_e32 vcc, v15, v4
	v_mov_b32_e32 v10, 0
	v_mov_b32_e32 v12, 0
	s_and_saveexec_b64 s[6:7], vcc
	s_cbranch_execz .LBB58_10
; %bb.9:
	v_add_u32_e32 v16, s18, v15
	v_mov_b32_e32 v17, 0
	v_lshlrev_b64 v[16:17], 1, v[16:17]
	v_add_u32_e32 v15, 0x100, v15
	v_add_co_u32_e32 v16, vcc, v2, v16
	v_addc_co_u32_e32 v17, vcc, v3, v17, vcc
	flat_load_ushort v12, v[16:17]
.LBB58_10:
	s_or_b64 exec, exec, s[6:7]
	v_cmp_lt_i32_e32 vcc, v15, v4
	s_and_saveexec_b64 s[6:7], vcc
	s_cbranch_execz .LBB58_12
; %bb.11:
	v_add_u32_e32 v16, s18, v15
	v_mov_b32_e32 v17, 0
	v_lshlrev_b64 v[16:17], 1, v[16:17]
	v_add_u32_e32 v15, 0x100, v15
	v_add_co_u32_e32 v16, vcc, v2, v16
	v_addc_co_u32_e32 v17, vcc, v3, v17, vcc
	flat_load_ushort v10, v[16:17]
.LBB58_12:
	s_or_b64 exec, exec, s[6:7]
	v_cmp_lt_i32_e32 vcc, v15, v4
	v_mov_b32_e32 v6, 0
	v_mov_b32_e32 v8, 0
	s_and_saveexec_b64 s[6:7], vcc
	s_cbranch_execnz .LBB58_15
; %bb.13:
	s_or_b64 exec, exec, s[6:7]
	v_cmp_lt_i32_e32 vcc, v15, v4
	s_and_saveexec_b64 s[6:7], vcc
	s_cbranch_execnz .LBB58_16
.LBB58_14:
	s_or_b64 exec, exec, s[6:7]
                                        ; implicit-def: $vgpr2
	s_and_saveexec_b64 s[12:13], s[4:5]
	s_cbranch_execnz .LBB58_17
	s_branch .LBB58_24
.LBB58_15:
	v_add_u32_e32 v16, s18, v15
	v_mov_b32_e32 v17, 0
	v_lshlrev_b64 v[16:17], 1, v[16:17]
	v_add_u32_e32 v15, 0x100, v15
	v_add_co_u32_e32 v16, vcc, v2, v16
	v_addc_co_u32_e32 v17, vcc, v3, v17, vcc
	flat_load_ushort v8, v[16:17]
	s_or_b64 exec, exec, s[6:7]
	v_cmp_lt_i32_e32 vcc, v15, v4
	s_and_saveexec_b64 s[6:7], vcc
	s_cbranch_execz .LBB58_14
.LBB58_16:
	v_add_u32_e32 v15, s18, v15
	v_mov_b32_e32 v16, 0
	v_lshlrev_b64 v[15:16], 1, v[15:16]
	v_add_co_u32_e32 v2, vcc, v2, v15
	v_addc_co_u32_e32 v3, vcc, v3, v16, vcc
	flat_load_ushort v6, v[2:3]
	s_or_b64 exec, exec, s[6:7]
                                        ; implicit-def: $vgpr2
	s_and_saveexec_b64 s[12:13], s[4:5]
	s_cbranch_execz .LBB58_24
.LBB58_17:
	s_waitcnt vmcnt(0) lgkmcnt(0)
	v_cvt_f32_f16_e32 v3, v9
	v_cmp_gt_f16_e32 vcc, 0.5, v9
	v_mov_b32_e32 v9, 0
	v_mov_b32_e32 v2, 1.0
	s_and_saveexec_b64 s[14:15], vcc
	s_cbranch_execz .LBB58_23
; %bb.18:
	v_mul_f32_e32 v2, 0x40490fdb, v3
	s_brev_b32 s6, 18
	v_and_b32_e32 v9, 0x7fffffff, v2
	v_cmp_nlt_f32_e64 s[6:7], |v2|, s6
                                        ; implicit-def: $vgpr15
                                        ; implicit-def: $vgpr16
	s_and_saveexec_b64 s[8:9], s[6:7]
	s_xor_b64 s[16:17], exec, s[8:9]
	s_cbranch_execz .LBB58_20
; %bb.19:
	v_and_b32_e32 v15, 0x7fffff, v9
	v_or_b32_e32 v24, 0x800000, v15
	s_mov_b32 s6, 0xfe5163ab
	v_mad_u64_u32 v[15:16], s[6:7], v24, s6, 0
	v_mov_b32_e32 v17, 0
	s_mov_b32 s6, 0x3c439041
	v_mad_u64_u32 v[18:19], s[6:7], v24, s6, v[16:17]
	s_mov_b32 s6, 0xdb629599
	v_not_b32_e32 v23, 63
	v_mov_b32_e32 v16, v19
	v_mad_u64_u32 v[19:20], s[6:7], v24, s6, v[16:17]
	s_mov_b32 s6, 0xf534ddc0
	v_not_b32_e32 v26, 31
	v_mov_b32_e32 v16, v20
	v_mad_u64_u32 v[20:21], s[6:7], v24, s6, v[16:17]
	v_lshrrev_b32_e32 v16, 23, v9
	v_add_u32_e32 v25, 0xffffff88, v16
	v_mov_b32_e32 v16, v21
	s_mov_b32 s6, 0xfc2757d1
	v_mad_u64_u32 v[21:22], s[6:7], v24, s6, v[16:17]
	v_cmp_lt_u32_e32 vcc, 63, v25
	v_cndmask_b32_e32 v16, 0, v23, vcc
	v_add_u32_e32 v25, v16, v25
	v_mov_b32_e32 v16, v22
	s_mov_b32 s6, 0x4e441529
	v_mad_u64_u32 v[22:23], s[6:7], v24, s6, v[16:17]
	v_cmp_lt_u32_e64 s[6:7], 31, v25
	v_cndmask_b32_e64 v16, 0, v26, s[6:7]
	v_add_u32_e32 v25, v16, v25
	v_mov_b32_e32 v16, v23
	s_mov_b32 s8, 0xa2f9836e
	v_mad_u64_u32 v[16:17], s[8:9], v24, s8, v[16:17]
	v_cmp_lt_u32_e64 s[8:9], 31, v25
	v_cndmask_b32_e64 v23, 0, v26, s[8:9]
	v_cndmask_b32_e32 v24, v22, v20, vcc
	v_cndmask_b32_e32 v16, v16, v21, vcc
	;; [unrolled: 1-line block ×3, first 2 shown]
	v_add_u32_e32 v23, v23, v25
	v_cndmask_b32_e64 v25, v16, v24, s[6:7]
	v_cndmask_b32_e64 v16, v17, v16, s[6:7]
	v_cndmask_b32_e32 v17, v21, v19, vcc
	v_cndmask_b32_e64 v21, v24, v17, s[6:7]
	v_cndmask_b32_e64 v16, v16, v25, s[8:9]
	;; [unrolled: 1-line block ×3, first 2 shown]
	v_sub_u32_e32 v24, 32, v23
	v_alignbit_b32 v25, v16, v22, v24
	v_cmp_eq_u32_e64 s[10:11], 0, v23
	v_cndmask_b32_e64 v23, v25, v16, s[10:11]
	v_cndmask_b32_e32 v16, v20, v18, vcc
	v_cndmask_b32_e64 v17, v17, v16, s[6:7]
	v_cndmask_b32_e64 v18, v21, v17, s[8:9]
	v_alignbit_b32 v20, v22, v18, v24
	v_cndmask_b32_e32 v15, v19, v15, vcc
	v_cndmask_b32_e64 v20, v20, v22, s[10:11]
	v_bfe_u32 v25, v23, 29, 1
	v_cndmask_b32_e64 v15, v16, v15, s[6:7]
	v_alignbit_b32 v21, v23, v20, 30
	v_sub_u32_e32 v26, 0, v25
	v_cndmask_b32_e64 v15, v17, v15, s[8:9]
	v_xor_b32_e32 v21, v21, v26
	v_alignbit_b32 v16, v18, v15, v24
	v_cndmask_b32_e64 v16, v16, v18, s[10:11]
	v_ffbh_u32_e32 v18, v21
	v_alignbit_b32 v17, v20, v16, 30
	v_min_u32_e32 v18, 32, v18
	v_alignbit_b32 v15, v16, v15, 30
	v_xor_b32_e32 v17, v17, v26
	v_sub_u32_e32 v19, 31, v18
	v_xor_b32_e32 v15, v15, v26
	v_alignbit_b32 v20, v21, v17, v19
	v_alignbit_b32 v15, v17, v15, v19
	;; [unrolled: 1-line block ×3, first 2 shown]
	v_ffbh_u32_e32 v17, v16
	v_min_u32_e32 v17, 32, v17
	v_lshrrev_b32_e32 v22, 29, v23
	v_not_b32_e32 v19, v17
	v_alignbit_b32 v15, v16, v15, v19
	v_lshlrev_b32_e32 v16, 31, v22
	v_or_b32_e32 v19, 0x33000000, v16
	v_add_lshl_u32 v17, v17, v18, 23
	v_lshrrev_b32_e32 v15, 9, v15
	v_sub_u32_e32 v17, v19, v17
	v_or_b32_e32 v16, 0.5, v16
	v_lshlrev_b32_e32 v18, 23, v18
	v_or_b32_e32 v15, v17, v15
	v_lshrrev_b32_e32 v17, 9, v20
	v_sub_u32_e32 v16, v16, v18
	v_or_b32_e32 v16, v17, v16
	s_mov_b32 s6, 0x3fc90fda
	v_mul_f32_e32 v17, 0x3fc90fda, v16
	v_fma_f32 v18, v16, s6, -v17
	v_fmac_f32_e32 v18, 0x33a22168, v16
	v_fmac_f32_e32 v18, 0x3fc90fda, v15
	v_lshrrev_b32_e32 v15, 30, v23
	v_add_f32_e32 v16, v17, v18
	v_add_u32_e32 v15, v25, v15
.LBB58_20:
	s_andn2_saveexec_b64 s[6:7], s[16:17]
	s_cbranch_execz .LBB58_22
; %bb.21:
	s_mov_b32 s8, 0x3f22f983
	v_mul_f32_e64 v15, |v2|, s8
	v_rndne_f32_e32 v17, v15
	s_mov_b32 s8, 0xbfc90fda
	v_cvt_i32_f32_e32 v15, v17
	v_fma_f32 v16, v17, s8, |v2|
	v_fmac_f32_e32 v16, 0xb3a22168, v17
	v_fmac_f32_e32 v16, 0xa7c234c4, v17
.LBB58_22:
	s_or_b64 exec, exec, s[6:7]
	v_mul_f32_e32 v17, v16, v16
	v_mov_b32_e32 v18, 0x3c0881c4
	v_fmac_f32_e32 v18, 0xb94c1982, v17
	v_mov_b32_e32 v19, 0xbe2aaa9d
	v_fmac_f32_e32 v19, v17, v18
	v_mul_f32_e32 v18, v17, v19
	v_fmac_f32_e32 v16, v16, v18
	v_mov_b32_e32 v18, 0xbab64f3b
	v_fmac_f32_e32 v18, 0x37d75334, v17
	v_mov_b32_e32 v19, 0x3d2aabf7
	;; [unrolled: 2-line block ×3, first 2 shown]
	v_fmac_f32_e32 v18, v17, v19
	v_fma_f32 v17, v17, v18, 1.0
	v_and_b32_e32 v18, 1, v15
	v_lshlrev_b32_e32 v15, 30, v15
	v_cmp_eq_u32_e32 vcc, 0, v18
	v_and_b32_e32 v15, 0x80000000, v15
	v_xor_b32_e32 v9, v9, v2
	v_cndmask_b32_e32 v16, v17, v16, vcc
	v_xor_b32_e32 v9, v9, v15
	s_movk_i32 s6, 0x1f8
	v_xor_b32_e32 v9, v9, v16
	v_mov_b32_e32 v15, 0x7fc00000
	v_cmp_class_f32_e64 vcc, v2, s6
	v_cndmask_b32_e32 v2, v15, v9, vcc
	v_mul_f32_e32 v2, v2, v2
	s_mov_b32 s8, 0xc11de9e7
	v_div_scale_f32 v9, s[6:7], v2, v2, s8
	v_div_scale_f32 v15, vcc, s8, v2, s8
	v_sub_f32_e32 v3, 1.0, v3
	v_rcp_f32_e32 v16, v9
	v_fma_f32 v17, -v9, v16, 1.0
	v_fmac_f32_e32 v16, v17, v16
	v_mul_f32_e32 v17, v15, v16
	v_fma_f32 v18, -v9, v17, v15
	v_fmac_f32_e32 v17, v18, v16
	v_fma_f32 v9, -v9, v17, v15
	v_div_fmas_f32 v9, v9, v16, v17
	v_div_fixup_f32 v2, v9, v2, s8
	v_add_f32_e32 v9, 0, v2
	v_mov_b32_e32 v2, -1.0
.LBB58_23:
	s_or_b64 exec, exec, s[14:15]
	v_mul_f32_e32 v15, v3, v3
	v_div_scale_f32 v16, s[6:7], v15, v15, 1.0
	v_add_f32_e32 v3, 1.0, v3
	v_rcp_f32_e32 v17, v16
	v_fma_f32 v18, -v16, v17, 1.0
	v_fmac_f32_e32 v17, v18, v17
	v_div_scale_f32 v18, vcc, 1.0, v15, 1.0
	v_mul_f32_e32 v19, v18, v17
	v_fma_f32 v20, -v16, v19, v18
	v_fmac_f32_e32 v19, v20, v17
	v_fma_f32 v16, -v16, v19, v18
	v_div_fmas_f32 v16, v16, v17, v19
	v_div_fixup_f32 v15, v16, v15, 1.0
	v_add_f32_e32 v9, v9, v15
	v_mul_f32_e32 v15, v3, v3
	v_div_scale_f32 v16, s[6:7], v15, v15, 1.0
	v_add_f32_e32 v3, 1.0, v3
	v_rcp_f32_e32 v17, v16
	v_fma_f32 v18, -v16, v17, 1.0
	v_fmac_f32_e32 v17, v18, v17
	v_div_scale_f32 v18, vcc, 1.0, v15, 1.0
	v_mul_f32_e32 v19, v18, v17
	v_fma_f32 v20, -v16, v19, v18
	v_fmac_f32_e32 v19, v20, v17
	v_fma_f32 v16, -v16, v19, v18
	v_div_fmas_f32 v16, v16, v17, v19
	v_div_fixup_f32 v15, v16, v15, 1.0
	v_add_f32_e32 v9, v9, v15
	;; [unrolled: 14-line block ×6, first 2 shown]
	v_mul_f32_e32 v15, v3, v3
	v_div_scale_f32 v16, s[6:7], v15, v15, 1.0
	v_rcp_f32_e32 v17, v16
	v_fma_f32 v18, -v16, v17, 1.0
	v_fmac_f32_e32 v17, v18, v17
	v_div_scale_f32 v18, vcc, 1.0, v15, 1.0
	v_mul_f32_e32 v19, v18, v17
	v_fma_f32 v20, -v16, v19, v18
	v_fmac_f32_e32 v19, v20, v17
	v_fma_f32 v16, -v16, v19, v18
	v_div_fmas_f32 v16, v16, v17, v19
	v_div_fixup_f32 v15, v16, v15, 1.0
	v_add_f32_e32 v16, v3, v3
	v_div_scale_f32 v17, s[6:7], v16, v16, 1.0
	s_mov_b32 s6, 0x3e2aaaab
	v_rcp_f32_e32 v18, v17
	v_fma_f32 v19, -v17, v18, 1.0
	v_fmac_f32_e32 v18, v19, v18
	v_div_scale_f32 v19, vcc, 1.0, v16, 1.0
	v_mul_f32_e32 v20, v19, v18
	v_fma_f32 v21, -v17, v20, v19
	v_fmac_f32_e32 v20, v21, v18
	v_fma_f32 v17, -v17, v20, v19
	v_div_fmas_f32 v17, v17, v18, v20
	v_div_fixup_f32 v16, v17, v16, 1.0
	v_mov_b32_e32 v17, 0x3d088889
	v_fmac_f32_e32 v17, 0xbcc30c31, v15
	v_add_f32_e32 v16, 1.0, v16
	v_fma_f32 v17, -v15, v17, s6
	v_fmac_f32_e32 v16, v15, v17
	v_div_scale_f32 v15, s[6:7], v3, v3, v16
	v_rcp_f32_e32 v17, v15
	v_fma_f32 v18, -v15, v17, 1.0
	v_fmac_f32_e32 v17, v18, v17
	v_div_scale_f32 v18, vcc, v16, v3, v16
	v_mul_f32_e32 v19, v18, v17
	v_fma_f32 v20, -v15, v19, v18
	v_fmac_f32_e32 v19, v20, v17
	v_fma_f32 v15, -v15, v19, v18
	v_div_fmas_f32 v15, v15, v17, v19
	v_div_fixup_f32 v3, v15, v3, v16
	v_add_f32_e32 v3, v9, v3
	v_fma_mixlo_f16 v2, v2, v3, 0
.LBB58_24:
	s_or_b64 exec, exec, s[12:13]
	v_add_u32_e32 v3, 0x100, v7
	v_cmp_lt_i32_e32 vcc, v3, v4
                                        ; implicit-def: $vgpr9
	s_and_saveexec_b64 s[12:13], vcc
	s_cbranch_execz .LBB58_32
; %bb.25:
	s_waitcnt vmcnt(0) lgkmcnt(0)
	v_cvt_f32_f16_e32 v15, v11
	v_cmp_gt_f16_e32 vcc, 0.5, v11
	v_mov_b32_e32 v11, 0
	v_mov_b32_e32 v9, 1.0
	s_and_saveexec_b64 s[14:15], vcc
	s_cbranch_execz .LBB58_31
; %bb.26:
	v_mul_f32_e32 v9, 0x40490fdb, v15
	s_brev_b32 s6, 18
	v_and_b32_e32 v11, 0x7fffffff, v9
	v_cmp_nlt_f32_e64 s[6:7], |v9|, s6
                                        ; implicit-def: $vgpr16
                                        ; implicit-def: $vgpr17
	s_and_saveexec_b64 s[8:9], s[6:7]
	s_xor_b64 s[16:17], exec, s[8:9]
	s_cbranch_execz .LBB58_28
; %bb.27:
	v_and_b32_e32 v16, 0x7fffff, v11
	v_or_b32_e32 v25, 0x800000, v16
	s_mov_b32 s6, 0xfe5163ab
	v_mad_u64_u32 v[16:17], s[6:7], v25, s6, 0
	v_mov_b32_e32 v18, 0
	s_mov_b32 s6, 0x3c439041
	v_mad_u64_u32 v[19:20], s[6:7], v25, s6, v[17:18]
	s_mov_b32 s6, 0xdb629599
	v_not_b32_e32 v24, 63
	v_mov_b32_e32 v17, v20
	v_mad_u64_u32 v[20:21], s[6:7], v25, s6, v[17:18]
	s_mov_b32 s6, 0xf534ddc0
	v_not_b32_e32 v27, 31
	v_mov_b32_e32 v17, v21
	v_mad_u64_u32 v[21:22], s[6:7], v25, s6, v[17:18]
	v_lshrrev_b32_e32 v17, 23, v11
	v_add_u32_e32 v26, 0xffffff88, v17
	v_mov_b32_e32 v17, v22
	s_mov_b32 s6, 0xfc2757d1
	v_mad_u64_u32 v[22:23], s[6:7], v25, s6, v[17:18]
	v_cmp_lt_u32_e32 vcc, 63, v26
	v_cndmask_b32_e32 v17, 0, v24, vcc
	v_add_u32_e32 v26, v17, v26
	v_mov_b32_e32 v17, v23
	s_mov_b32 s6, 0x4e441529
	v_mad_u64_u32 v[23:24], s[6:7], v25, s6, v[17:18]
	v_cmp_lt_u32_e64 s[6:7], 31, v26
	v_cndmask_b32_e64 v17, 0, v27, s[6:7]
	v_add_u32_e32 v26, v17, v26
	v_mov_b32_e32 v17, v24
	s_mov_b32 s8, 0xa2f9836e
	v_mad_u64_u32 v[17:18], s[8:9], v25, s8, v[17:18]
	v_cmp_lt_u32_e64 s[8:9], 31, v26
	v_cndmask_b32_e32 v25, v23, v21, vcc
	v_cndmask_b32_e32 v18, v18, v23, vcc
	v_cndmask_b32_e32 v17, v17, v22, vcc
	v_cndmask_b32_e64 v24, 0, v27, s[8:9]
	v_cndmask_b32_e64 v23, v17, v25, s[6:7]
	;; [unrolled: 1-line block ×3, first 2 shown]
	v_cndmask_b32_e32 v18, v22, v20, vcc
	v_add_u32_e32 v24, v24, v26
	v_cndmask_b32_e64 v22, v25, v18, s[6:7]
	v_cndmask_b32_e64 v17, v17, v23, s[8:9]
	;; [unrolled: 1-line block ×3, first 2 shown]
	v_sub_u32_e32 v25, 32, v24
	v_alignbit_b32 v26, v17, v23, v25
	v_cmp_eq_u32_e64 s[10:11], 0, v24
	v_cndmask_b32_e64 v24, v26, v17, s[10:11]
	v_cndmask_b32_e32 v17, v21, v19, vcc
	v_cndmask_b32_e64 v18, v18, v17, s[6:7]
	v_cndmask_b32_e64 v19, v22, v18, s[8:9]
	v_alignbit_b32 v21, v23, v19, v25
	v_cndmask_b32_e32 v16, v20, v16, vcc
	v_cndmask_b32_e64 v21, v21, v23, s[10:11]
	v_bfe_u32 v26, v24, 29, 1
	v_cndmask_b32_e64 v16, v17, v16, s[6:7]
	v_alignbit_b32 v22, v24, v21, 30
	v_sub_u32_e32 v27, 0, v26
	v_cndmask_b32_e64 v16, v18, v16, s[8:9]
	v_xor_b32_e32 v22, v22, v27
	v_alignbit_b32 v17, v19, v16, v25
	v_cndmask_b32_e64 v17, v17, v19, s[10:11]
	v_ffbh_u32_e32 v19, v22
	v_alignbit_b32 v18, v21, v17, 30
	v_min_u32_e32 v19, 32, v19
	v_alignbit_b32 v16, v17, v16, 30
	v_xor_b32_e32 v18, v18, v27
	v_sub_u32_e32 v20, 31, v19
	v_xor_b32_e32 v16, v16, v27
	v_alignbit_b32 v21, v22, v18, v20
	v_alignbit_b32 v16, v18, v16, v20
	;; [unrolled: 1-line block ×3, first 2 shown]
	v_ffbh_u32_e32 v18, v17
	v_min_u32_e32 v18, 32, v18
	v_lshrrev_b32_e32 v23, 29, v24
	v_not_b32_e32 v20, v18
	v_alignbit_b32 v16, v17, v16, v20
	v_lshlrev_b32_e32 v17, 31, v23
	v_or_b32_e32 v20, 0x33000000, v17
	v_add_lshl_u32 v18, v18, v19, 23
	v_lshrrev_b32_e32 v16, 9, v16
	v_sub_u32_e32 v18, v20, v18
	v_or_b32_e32 v17, 0.5, v17
	v_lshlrev_b32_e32 v19, 23, v19
	v_or_b32_e32 v16, v18, v16
	v_lshrrev_b32_e32 v18, 9, v21
	v_sub_u32_e32 v17, v17, v19
	v_or_b32_e32 v17, v18, v17
	s_mov_b32 s6, 0x3fc90fda
	v_mul_f32_e32 v18, 0x3fc90fda, v17
	v_fma_f32 v19, v17, s6, -v18
	v_fmac_f32_e32 v19, 0x33a22168, v17
	v_fmac_f32_e32 v19, 0x3fc90fda, v16
	v_lshrrev_b32_e32 v16, 30, v24
	v_add_f32_e32 v17, v18, v19
	v_add_u32_e32 v16, v26, v16
.LBB58_28:
	s_andn2_saveexec_b64 s[6:7], s[16:17]
	s_cbranch_execz .LBB58_30
; %bb.29:
	s_mov_b32 s8, 0x3f22f983
	v_mul_f32_e64 v16, |v9|, s8
	v_rndne_f32_e32 v18, v16
	s_mov_b32 s8, 0xbfc90fda
	v_cvt_i32_f32_e32 v16, v18
	v_fma_f32 v17, v18, s8, |v9|
	v_fmac_f32_e32 v17, 0xb3a22168, v18
	v_fmac_f32_e32 v17, 0xa7c234c4, v18
.LBB58_30:
	s_or_b64 exec, exec, s[6:7]
	v_mul_f32_e32 v18, v17, v17
	v_mov_b32_e32 v19, 0x3c0881c4
	v_fmac_f32_e32 v19, 0xb94c1982, v18
	v_mov_b32_e32 v20, 0xbe2aaa9d
	v_fmac_f32_e32 v20, v18, v19
	v_mul_f32_e32 v19, v18, v20
	v_fmac_f32_e32 v17, v17, v19
	v_mov_b32_e32 v19, 0xbab64f3b
	v_fmac_f32_e32 v19, 0x37d75334, v18
	v_mov_b32_e32 v20, 0x3d2aabf7
	;; [unrolled: 2-line block ×3, first 2 shown]
	v_fmac_f32_e32 v19, v18, v20
	v_fma_f32 v18, v18, v19, 1.0
	v_and_b32_e32 v19, 1, v16
	v_lshlrev_b32_e32 v16, 30, v16
	v_cmp_eq_u32_e32 vcc, 0, v19
	v_and_b32_e32 v16, 0x80000000, v16
	v_xor_b32_e32 v11, v11, v9
	v_cndmask_b32_e32 v17, v18, v17, vcc
	v_xor_b32_e32 v11, v11, v16
	s_movk_i32 s6, 0x1f8
	v_xor_b32_e32 v11, v11, v17
	v_mov_b32_e32 v16, 0x7fc00000
	v_cmp_class_f32_e64 vcc, v9, s6
	v_cndmask_b32_e32 v9, v16, v11, vcc
	v_mul_f32_e32 v9, v9, v9
	s_mov_b32 s8, 0xc11de9e7
	v_div_scale_f32 v11, s[6:7], v9, v9, s8
	v_div_scale_f32 v16, vcc, s8, v9, s8
	v_sub_f32_e32 v15, 1.0, v15
	v_rcp_f32_e32 v17, v11
	v_fma_f32 v18, -v11, v17, 1.0
	v_fmac_f32_e32 v17, v18, v17
	v_mul_f32_e32 v18, v16, v17
	v_fma_f32 v19, -v11, v18, v16
	v_fmac_f32_e32 v18, v19, v17
	v_fma_f32 v11, -v11, v18, v16
	v_div_fmas_f32 v11, v11, v17, v18
	v_div_fixup_f32 v9, v11, v9, s8
	v_add_f32_e32 v11, 0, v9
	v_mov_b32_e32 v9, -1.0
.LBB58_31:
	s_or_b64 exec, exec, s[14:15]
	v_mul_f32_e32 v16, v15, v15
	v_div_scale_f32 v17, s[6:7], v16, v16, 1.0
	v_add_f32_e32 v15, 1.0, v15
	v_rcp_f32_e32 v18, v17
	v_fma_f32 v19, -v17, v18, 1.0
	v_fmac_f32_e32 v18, v19, v18
	v_div_scale_f32 v19, vcc, 1.0, v16, 1.0
	v_mul_f32_e32 v20, v19, v18
	v_fma_f32 v21, -v17, v20, v19
	v_fmac_f32_e32 v20, v21, v18
	v_fma_f32 v17, -v17, v20, v19
	v_div_fmas_f32 v17, v17, v18, v20
	v_div_fixup_f32 v16, v17, v16, 1.0
	v_add_f32_e32 v11, v11, v16
	v_mul_f32_e32 v16, v15, v15
	v_div_scale_f32 v17, s[6:7], v16, v16, 1.0
	v_add_f32_e32 v15, 1.0, v15
	v_rcp_f32_e32 v18, v17
	v_fma_f32 v19, -v17, v18, 1.0
	v_fmac_f32_e32 v18, v19, v18
	v_div_scale_f32 v19, vcc, 1.0, v16, 1.0
	v_mul_f32_e32 v20, v19, v18
	v_fma_f32 v21, -v17, v20, v19
	v_fmac_f32_e32 v20, v21, v18
	v_fma_f32 v17, -v17, v20, v19
	v_div_fmas_f32 v17, v17, v18, v20
	v_div_fixup_f32 v16, v17, v16, 1.0
	v_add_f32_e32 v11, v11, v16
	;; [unrolled: 14-line block ×6, first 2 shown]
	v_mul_f32_e32 v16, v15, v15
	v_div_scale_f32 v17, s[6:7], v16, v16, 1.0
	v_rcp_f32_e32 v18, v17
	v_fma_f32 v19, -v17, v18, 1.0
	v_fmac_f32_e32 v18, v19, v18
	v_div_scale_f32 v19, vcc, 1.0, v16, 1.0
	v_mul_f32_e32 v20, v19, v18
	v_fma_f32 v21, -v17, v20, v19
	v_fmac_f32_e32 v20, v21, v18
	v_fma_f32 v17, -v17, v20, v19
	v_div_fmas_f32 v17, v17, v18, v20
	v_div_fixup_f32 v16, v17, v16, 1.0
	v_add_f32_e32 v17, v15, v15
	v_div_scale_f32 v18, s[6:7], v17, v17, 1.0
	s_mov_b32 s6, 0x3e2aaaab
	v_rcp_f32_e32 v19, v18
	v_fma_f32 v20, -v18, v19, 1.0
	v_fmac_f32_e32 v19, v20, v19
	v_div_scale_f32 v20, vcc, 1.0, v17, 1.0
	v_mul_f32_e32 v21, v20, v19
	v_fma_f32 v22, -v18, v21, v20
	v_fmac_f32_e32 v21, v22, v19
	v_fma_f32 v18, -v18, v21, v20
	v_div_fmas_f32 v18, v18, v19, v21
	v_div_fixup_f32 v17, v18, v17, 1.0
	v_mov_b32_e32 v18, 0x3d088889
	v_fmac_f32_e32 v18, 0xbcc30c31, v16
	v_add_f32_e32 v17, 1.0, v17
	v_fma_f32 v18, -v16, v18, s6
	v_fmac_f32_e32 v17, v16, v18
	v_div_scale_f32 v16, s[6:7], v15, v15, v17
	v_rcp_f32_e32 v18, v16
	v_fma_f32 v19, -v16, v18, 1.0
	v_fmac_f32_e32 v18, v19, v18
	v_div_scale_f32 v19, vcc, v17, v15, v17
	v_mul_f32_e32 v20, v19, v18
	v_fma_f32 v21, -v16, v20, v19
	v_fmac_f32_e32 v20, v21, v18
	v_fma_f32 v16, -v16, v20, v19
	v_div_fmas_f32 v16, v16, v18, v20
	v_div_fixup_f32 v15, v16, v15, v17
	v_add_f32_e32 v11, v11, v15
	v_fma_mixlo_f16 v9, v9, v11, 0
.LBB58_32:
	s_or_b64 exec, exec, s[12:13]
	s_waitcnt vmcnt(0) lgkmcnt(0)
	v_add_u32_e32 v11, 0x200, v7
	v_cmp_lt_i32_e32 vcc, v11, v4
                                        ; implicit-def: $vgpr11
	s_and_saveexec_b64 s[12:13], vcc
	s_cbranch_execz .LBB58_40
; %bb.33:
	v_cvt_f32_f16_e32 v15, v13
	v_cmp_gt_f16_e32 vcc, 0.5, v13
	v_mov_b32_e32 v13, 0
	v_mov_b32_e32 v11, 1.0
	s_and_saveexec_b64 s[14:15], vcc
	s_cbranch_execz .LBB58_39
; %bb.34:
	v_mul_f32_e32 v11, 0x40490fdb, v15
	s_brev_b32 s6, 18
	v_and_b32_e32 v13, 0x7fffffff, v11
	v_cmp_nlt_f32_e64 s[6:7], |v11|, s6
                                        ; implicit-def: $vgpr16
                                        ; implicit-def: $vgpr17
	s_and_saveexec_b64 s[8:9], s[6:7]
	s_xor_b64 s[16:17], exec, s[8:9]
	s_cbranch_execz .LBB58_36
; %bb.35:
	v_and_b32_e32 v16, 0x7fffff, v13
	v_or_b32_e32 v25, 0x800000, v16
	s_mov_b32 s6, 0xfe5163ab
	v_mad_u64_u32 v[16:17], s[6:7], v25, s6, 0
	v_mov_b32_e32 v18, 0
	s_mov_b32 s6, 0x3c439041
	v_mad_u64_u32 v[19:20], s[6:7], v25, s6, v[17:18]
	s_mov_b32 s6, 0xdb629599
	v_not_b32_e32 v24, 63
	v_mov_b32_e32 v17, v20
	v_mad_u64_u32 v[20:21], s[6:7], v25, s6, v[17:18]
	s_mov_b32 s6, 0xf534ddc0
	v_not_b32_e32 v27, 31
	v_mov_b32_e32 v17, v21
	v_mad_u64_u32 v[21:22], s[6:7], v25, s6, v[17:18]
	v_lshrrev_b32_e32 v17, 23, v13
	v_add_u32_e32 v26, 0xffffff88, v17
	v_mov_b32_e32 v17, v22
	s_mov_b32 s6, 0xfc2757d1
	v_mad_u64_u32 v[22:23], s[6:7], v25, s6, v[17:18]
	v_cmp_lt_u32_e32 vcc, 63, v26
	v_cndmask_b32_e32 v17, 0, v24, vcc
	v_add_u32_e32 v26, v17, v26
	v_mov_b32_e32 v17, v23
	s_mov_b32 s6, 0x4e441529
	v_mad_u64_u32 v[23:24], s[6:7], v25, s6, v[17:18]
	v_cmp_lt_u32_e64 s[6:7], 31, v26
	v_cndmask_b32_e64 v17, 0, v27, s[6:7]
	v_add_u32_e32 v26, v17, v26
	v_mov_b32_e32 v17, v24
	s_mov_b32 s8, 0xa2f9836e
	v_mad_u64_u32 v[17:18], s[8:9], v25, s8, v[17:18]
	v_cmp_lt_u32_e64 s[8:9], 31, v26
	v_cndmask_b32_e64 v24, 0, v27, s[8:9]
	v_cndmask_b32_e32 v25, v23, v21, vcc
	v_cndmask_b32_e32 v17, v17, v22, vcc
	;; [unrolled: 1-line block ×3, first 2 shown]
	v_add_u32_e32 v24, v24, v26
	v_cndmask_b32_e64 v26, v17, v25, s[6:7]
	v_cndmask_b32_e64 v17, v18, v17, s[6:7]
	v_cndmask_b32_e32 v18, v22, v20, vcc
	v_cndmask_b32_e64 v22, v25, v18, s[6:7]
	v_cndmask_b32_e64 v17, v17, v26, s[8:9]
	v_cndmask_b32_e64 v23, v26, v22, s[8:9]
	v_sub_u32_e32 v25, 32, v24
	v_alignbit_b32 v26, v17, v23, v25
	v_cmp_eq_u32_e64 s[10:11], 0, v24
	v_cndmask_b32_e64 v24, v26, v17, s[10:11]
	v_cndmask_b32_e32 v17, v21, v19, vcc
	v_cndmask_b32_e64 v18, v18, v17, s[6:7]
	v_cndmask_b32_e64 v19, v22, v18, s[8:9]
	v_alignbit_b32 v21, v23, v19, v25
	v_cndmask_b32_e32 v16, v20, v16, vcc
	v_cndmask_b32_e64 v21, v21, v23, s[10:11]
	v_bfe_u32 v26, v24, 29, 1
	v_cndmask_b32_e64 v16, v17, v16, s[6:7]
	v_alignbit_b32 v22, v24, v21, 30
	v_sub_u32_e32 v27, 0, v26
	v_cndmask_b32_e64 v16, v18, v16, s[8:9]
	v_xor_b32_e32 v22, v22, v27
	v_alignbit_b32 v17, v19, v16, v25
	v_cndmask_b32_e64 v17, v17, v19, s[10:11]
	v_ffbh_u32_e32 v19, v22
	v_alignbit_b32 v18, v21, v17, 30
	v_min_u32_e32 v19, 32, v19
	v_alignbit_b32 v16, v17, v16, 30
	v_xor_b32_e32 v18, v18, v27
	v_sub_u32_e32 v20, 31, v19
	v_xor_b32_e32 v16, v16, v27
	v_alignbit_b32 v21, v22, v18, v20
	v_alignbit_b32 v16, v18, v16, v20
	;; [unrolled: 1-line block ×3, first 2 shown]
	v_ffbh_u32_e32 v18, v17
	v_min_u32_e32 v18, 32, v18
	v_lshrrev_b32_e32 v23, 29, v24
	v_not_b32_e32 v20, v18
	v_alignbit_b32 v16, v17, v16, v20
	v_lshlrev_b32_e32 v17, 31, v23
	v_or_b32_e32 v20, 0x33000000, v17
	v_add_lshl_u32 v18, v18, v19, 23
	v_lshrrev_b32_e32 v16, 9, v16
	v_sub_u32_e32 v18, v20, v18
	v_or_b32_e32 v17, 0.5, v17
	v_lshlrev_b32_e32 v19, 23, v19
	v_or_b32_e32 v16, v18, v16
	v_lshrrev_b32_e32 v18, 9, v21
	v_sub_u32_e32 v17, v17, v19
	v_or_b32_e32 v17, v18, v17
	s_mov_b32 s6, 0x3fc90fda
	v_mul_f32_e32 v18, 0x3fc90fda, v17
	v_fma_f32 v19, v17, s6, -v18
	v_fmac_f32_e32 v19, 0x33a22168, v17
	v_fmac_f32_e32 v19, 0x3fc90fda, v16
	v_lshrrev_b32_e32 v16, 30, v24
	v_add_f32_e32 v17, v18, v19
	v_add_u32_e32 v16, v26, v16
.LBB58_36:
	s_andn2_saveexec_b64 s[6:7], s[16:17]
	s_cbranch_execz .LBB58_38
; %bb.37:
	s_mov_b32 s8, 0x3f22f983
	v_mul_f32_e64 v16, |v11|, s8
	v_rndne_f32_e32 v18, v16
	s_mov_b32 s8, 0xbfc90fda
	v_cvt_i32_f32_e32 v16, v18
	v_fma_f32 v17, v18, s8, |v11|
	v_fmac_f32_e32 v17, 0xb3a22168, v18
	v_fmac_f32_e32 v17, 0xa7c234c4, v18
.LBB58_38:
	s_or_b64 exec, exec, s[6:7]
	v_mul_f32_e32 v18, v17, v17
	v_mov_b32_e32 v19, 0x3c0881c4
	v_fmac_f32_e32 v19, 0xb94c1982, v18
	v_mov_b32_e32 v20, 0xbe2aaa9d
	v_fmac_f32_e32 v20, v18, v19
	v_mul_f32_e32 v19, v18, v20
	v_fmac_f32_e32 v17, v17, v19
	v_mov_b32_e32 v19, 0xbab64f3b
	v_fmac_f32_e32 v19, 0x37d75334, v18
	v_mov_b32_e32 v20, 0x3d2aabf7
	v_fmac_f32_e32 v20, v18, v19
	v_mov_b32_e32 v19, 0xbf000004
	v_fmac_f32_e32 v19, v18, v20
	v_fma_f32 v18, v18, v19, 1.0
	v_and_b32_e32 v19, 1, v16
	v_lshlrev_b32_e32 v16, 30, v16
	v_cmp_eq_u32_e32 vcc, 0, v19
	v_and_b32_e32 v16, 0x80000000, v16
	v_xor_b32_e32 v13, v13, v11
	v_cndmask_b32_e32 v17, v18, v17, vcc
	v_xor_b32_e32 v13, v13, v16
	s_movk_i32 s6, 0x1f8
	v_xor_b32_e32 v13, v13, v17
	v_mov_b32_e32 v16, 0x7fc00000
	v_cmp_class_f32_e64 vcc, v11, s6
	v_cndmask_b32_e32 v11, v16, v13, vcc
	v_mul_f32_e32 v11, v11, v11
	s_mov_b32 s8, 0xc11de9e7
	v_div_scale_f32 v13, s[6:7], v11, v11, s8
	v_div_scale_f32 v16, vcc, s8, v11, s8
	v_sub_f32_e32 v15, 1.0, v15
	v_rcp_f32_e32 v17, v13
	v_fma_f32 v18, -v13, v17, 1.0
	v_fmac_f32_e32 v17, v18, v17
	v_mul_f32_e32 v18, v16, v17
	v_fma_f32 v19, -v13, v18, v16
	v_fmac_f32_e32 v18, v19, v17
	v_fma_f32 v13, -v13, v18, v16
	v_div_fmas_f32 v13, v13, v17, v18
	v_div_fixup_f32 v11, v13, v11, s8
	v_add_f32_e32 v13, 0, v11
	v_mov_b32_e32 v11, -1.0
.LBB58_39:
	s_or_b64 exec, exec, s[14:15]
	v_mul_f32_e32 v16, v15, v15
	v_div_scale_f32 v17, s[6:7], v16, v16, 1.0
	v_add_f32_e32 v15, 1.0, v15
	v_rcp_f32_e32 v18, v17
	v_fma_f32 v19, -v17, v18, 1.0
	v_fmac_f32_e32 v18, v19, v18
	v_div_scale_f32 v19, vcc, 1.0, v16, 1.0
	v_mul_f32_e32 v20, v19, v18
	v_fma_f32 v21, -v17, v20, v19
	v_fmac_f32_e32 v20, v21, v18
	v_fma_f32 v17, -v17, v20, v19
	v_div_fmas_f32 v17, v17, v18, v20
	v_div_fixup_f32 v16, v17, v16, 1.0
	v_add_f32_e32 v13, v13, v16
	v_mul_f32_e32 v16, v15, v15
	v_div_scale_f32 v17, s[6:7], v16, v16, 1.0
	v_add_f32_e32 v15, 1.0, v15
	v_rcp_f32_e32 v18, v17
	v_fma_f32 v19, -v17, v18, 1.0
	v_fmac_f32_e32 v18, v19, v18
	v_div_scale_f32 v19, vcc, 1.0, v16, 1.0
	v_mul_f32_e32 v20, v19, v18
	v_fma_f32 v21, -v17, v20, v19
	v_fmac_f32_e32 v20, v21, v18
	v_fma_f32 v17, -v17, v20, v19
	v_div_fmas_f32 v17, v17, v18, v20
	v_div_fixup_f32 v16, v17, v16, 1.0
	v_add_f32_e32 v13, v13, v16
	;; [unrolled: 14-line block ×6, first 2 shown]
	v_mul_f32_e32 v16, v15, v15
	v_div_scale_f32 v17, s[6:7], v16, v16, 1.0
	v_rcp_f32_e32 v18, v17
	v_fma_f32 v19, -v17, v18, 1.0
	v_fmac_f32_e32 v18, v19, v18
	v_div_scale_f32 v19, vcc, 1.0, v16, 1.0
	v_mul_f32_e32 v20, v19, v18
	v_fma_f32 v21, -v17, v20, v19
	v_fmac_f32_e32 v20, v21, v18
	v_fma_f32 v17, -v17, v20, v19
	v_div_fmas_f32 v17, v17, v18, v20
	v_div_fixup_f32 v16, v17, v16, 1.0
	v_add_f32_e32 v17, v15, v15
	v_div_scale_f32 v18, s[6:7], v17, v17, 1.0
	s_mov_b32 s6, 0x3e2aaaab
	v_rcp_f32_e32 v19, v18
	v_fma_f32 v20, -v18, v19, 1.0
	v_fmac_f32_e32 v19, v20, v19
	v_div_scale_f32 v20, vcc, 1.0, v17, 1.0
	v_mul_f32_e32 v21, v20, v19
	v_fma_f32 v22, -v18, v21, v20
	v_fmac_f32_e32 v21, v22, v19
	v_fma_f32 v18, -v18, v21, v20
	v_div_fmas_f32 v18, v18, v19, v21
	v_div_fixup_f32 v17, v18, v17, 1.0
	v_mov_b32_e32 v18, 0x3d088889
	v_fmac_f32_e32 v18, 0xbcc30c31, v16
	v_add_f32_e32 v17, 1.0, v17
	v_fma_f32 v18, -v16, v18, s6
	v_fmac_f32_e32 v17, v16, v18
	v_div_scale_f32 v16, s[6:7], v15, v15, v17
	v_rcp_f32_e32 v18, v16
	v_fma_f32 v19, -v16, v18, 1.0
	v_fmac_f32_e32 v18, v19, v18
	v_div_scale_f32 v19, vcc, v17, v15, v17
	v_mul_f32_e32 v20, v19, v18
	v_fma_f32 v21, -v16, v20, v19
	v_fmac_f32_e32 v20, v21, v18
	v_fma_f32 v16, -v16, v20, v19
	v_div_fmas_f32 v16, v16, v18, v20
	v_div_fixup_f32 v15, v16, v15, v17
	v_add_f32_e32 v13, v13, v15
	v_fma_mixlo_f16 v11, v11, v13, 0
.LBB58_40:
	s_or_b64 exec, exec, s[12:13]
	v_add_u32_e32 v13, 0x300, v7
	v_cmp_lt_i32_e32 vcc, v13, v4
                                        ; implicit-def: $vgpr13
	s_and_saveexec_b64 s[12:13], vcc
	s_cbranch_execz .LBB58_48
; %bb.41:
	v_cvt_f32_f16_e32 v15, v14
	v_cmp_gt_f16_e32 vcc, 0.5, v14
	v_mov_b32_e32 v14, 0
	v_mov_b32_e32 v13, 1.0
	s_and_saveexec_b64 s[14:15], vcc
	s_cbranch_execz .LBB58_47
; %bb.42:
	v_mul_f32_e32 v13, 0x40490fdb, v15
	s_brev_b32 s6, 18
	v_and_b32_e32 v14, 0x7fffffff, v13
	v_cmp_nlt_f32_e64 s[6:7], |v13|, s6
                                        ; implicit-def: $vgpr16
                                        ; implicit-def: $vgpr17
	s_and_saveexec_b64 s[8:9], s[6:7]
	s_xor_b64 s[16:17], exec, s[8:9]
	s_cbranch_execz .LBB58_44
; %bb.43:
	v_and_b32_e32 v16, 0x7fffff, v14
	v_or_b32_e32 v25, 0x800000, v16
	s_mov_b32 s6, 0xfe5163ab
	v_mad_u64_u32 v[16:17], s[6:7], v25, s6, 0
	v_mov_b32_e32 v18, 0
	s_mov_b32 s6, 0x3c439041
	v_mad_u64_u32 v[19:20], s[6:7], v25, s6, v[17:18]
	s_mov_b32 s6, 0xdb629599
	v_not_b32_e32 v24, 63
	v_mov_b32_e32 v17, v20
	v_mad_u64_u32 v[20:21], s[6:7], v25, s6, v[17:18]
	s_mov_b32 s6, 0xf534ddc0
	v_not_b32_e32 v27, 31
	v_mov_b32_e32 v17, v21
	v_mad_u64_u32 v[21:22], s[6:7], v25, s6, v[17:18]
	v_lshrrev_b32_e32 v17, 23, v14
	v_add_u32_e32 v26, 0xffffff88, v17
	v_mov_b32_e32 v17, v22
	s_mov_b32 s6, 0xfc2757d1
	v_mad_u64_u32 v[22:23], s[6:7], v25, s6, v[17:18]
	v_cmp_lt_u32_e32 vcc, 63, v26
	v_cndmask_b32_e32 v17, 0, v24, vcc
	v_add_u32_e32 v26, v17, v26
	v_mov_b32_e32 v17, v23
	s_mov_b32 s6, 0x4e441529
	v_mad_u64_u32 v[23:24], s[6:7], v25, s6, v[17:18]
	v_cmp_lt_u32_e64 s[6:7], 31, v26
	v_cndmask_b32_e64 v17, 0, v27, s[6:7]
	v_add_u32_e32 v26, v17, v26
	v_mov_b32_e32 v17, v24
	s_mov_b32 s8, 0xa2f9836e
	v_mad_u64_u32 v[17:18], s[8:9], v25, s8, v[17:18]
	v_cmp_lt_u32_e64 s[8:9], 31, v26
	v_cndmask_b32_e64 v24, 0, v27, s[8:9]
	v_cndmask_b32_e32 v25, v23, v21, vcc
	v_cndmask_b32_e32 v17, v17, v22, vcc
	;; [unrolled: 1-line block ×3, first 2 shown]
	v_add_u32_e32 v24, v24, v26
	v_cndmask_b32_e64 v26, v17, v25, s[6:7]
	v_cndmask_b32_e64 v17, v18, v17, s[6:7]
	v_cndmask_b32_e32 v18, v22, v20, vcc
	v_cndmask_b32_e64 v22, v25, v18, s[6:7]
	v_cndmask_b32_e64 v17, v17, v26, s[8:9]
	v_cndmask_b32_e64 v23, v26, v22, s[8:9]
	v_sub_u32_e32 v25, 32, v24
	v_alignbit_b32 v26, v17, v23, v25
	v_cmp_eq_u32_e64 s[10:11], 0, v24
	v_cndmask_b32_e64 v24, v26, v17, s[10:11]
	v_cndmask_b32_e32 v17, v21, v19, vcc
	v_cndmask_b32_e64 v18, v18, v17, s[6:7]
	v_cndmask_b32_e64 v19, v22, v18, s[8:9]
	v_alignbit_b32 v21, v23, v19, v25
	v_cndmask_b32_e32 v16, v20, v16, vcc
	v_cndmask_b32_e64 v21, v21, v23, s[10:11]
	v_bfe_u32 v26, v24, 29, 1
	v_cndmask_b32_e64 v16, v17, v16, s[6:7]
	v_alignbit_b32 v22, v24, v21, 30
	v_sub_u32_e32 v27, 0, v26
	v_cndmask_b32_e64 v16, v18, v16, s[8:9]
	v_xor_b32_e32 v22, v22, v27
	v_alignbit_b32 v17, v19, v16, v25
	v_cndmask_b32_e64 v17, v17, v19, s[10:11]
	v_ffbh_u32_e32 v19, v22
	v_alignbit_b32 v18, v21, v17, 30
	v_min_u32_e32 v19, 32, v19
	v_alignbit_b32 v16, v17, v16, 30
	v_xor_b32_e32 v18, v18, v27
	v_sub_u32_e32 v20, 31, v19
	v_xor_b32_e32 v16, v16, v27
	v_alignbit_b32 v21, v22, v18, v20
	v_alignbit_b32 v16, v18, v16, v20
	;; [unrolled: 1-line block ×3, first 2 shown]
	v_ffbh_u32_e32 v18, v17
	v_min_u32_e32 v18, 32, v18
	v_lshrrev_b32_e32 v23, 29, v24
	v_not_b32_e32 v20, v18
	v_alignbit_b32 v16, v17, v16, v20
	v_lshlrev_b32_e32 v17, 31, v23
	v_or_b32_e32 v20, 0x33000000, v17
	v_add_lshl_u32 v18, v18, v19, 23
	v_lshrrev_b32_e32 v16, 9, v16
	v_sub_u32_e32 v18, v20, v18
	v_or_b32_e32 v17, 0.5, v17
	v_lshlrev_b32_e32 v19, 23, v19
	v_or_b32_e32 v16, v18, v16
	v_lshrrev_b32_e32 v18, 9, v21
	v_sub_u32_e32 v17, v17, v19
	v_or_b32_e32 v17, v18, v17
	s_mov_b32 s6, 0x3fc90fda
	v_mul_f32_e32 v18, 0x3fc90fda, v17
	v_fma_f32 v19, v17, s6, -v18
	v_fmac_f32_e32 v19, 0x33a22168, v17
	v_fmac_f32_e32 v19, 0x3fc90fda, v16
	v_lshrrev_b32_e32 v16, 30, v24
	v_add_f32_e32 v17, v18, v19
	v_add_u32_e32 v16, v26, v16
.LBB58_44:
	s_andn2_saveexec_b64 s[6:7], s[16:17]
	s_cbranch_execz .LBB58_46
; %bb.45:
	s_mov_b32 s8, 0x3f22f983
	v_mul_f32_e64 v16, |v13|, s8
	v_rndne_f32_e32 v18, v16
	s_mov_b32 s8, 0xbfc90fda
	v_cvt_i32_f32_e32 v16, v18
	v_fma_f32 v17, v18, s8, |v13|
	v_fmac_f32_e32 v17, 0xb3a22168, v18
	v_fmac_f32_e32 v17, 0xa7c234c4, v18
.LBB58_46:
	s_or_b64 exec, exec, s[6:7]
	v_mul_f32_e32 v18, v17, v17
	v_mov_b32_e32 v19, 0x3c0881c4
	v_fmac_f32_e32 v19, 0xb94c1982, v18
	v_mov_b32_e32 v20, 0xbe2aaa9d
	v_fmac_f32_e32 v20, v18, v19
	v_mul_f32_e32 v19, v18, v20
	v_fmac_f32_e32 v17, v17, v19
	v_mov_b32_e32 v19, 0xbab64f3b
	v_fmac_f32_e32 v19, 0x37d75334, v18
	v_mov_b32_e32 v20, 0x3d2aabf7
	;; [unrolled: 2-line block ×3, first 2 shown]
	v_fmac_f32_e32 v19, v18, v20
	v_fma_f32 v18, v18, v19, 1.0
	v_and_b32_e32 v19, 1, v16
	v_lshlrev_b32_e32 v16, 30, v16
	v_cmp_eq_u32_e32 vcc, 0, v19
	v_and_b32_e32 v16, 0x80000000, v16
	v_xor_b32_e32 v14, v14, v13
	v_cndmask_b32_e32 v17, v18, v17, vcc
	v_xor_b32_e32 v14, v14, v16
	s_movk_i32 s6, 0x1f8
	v_xor_b32_e32 v14, v14, v17
	v_mov_b32_e32 v16, 0x7fc00000
	v_cmp_class_f32_e64 vcc, v13, s6
	v_cndmask_b32_e32 v13, v16, v14, vcc
	v_mul_f32_e32 v13, v13, v13
	s_mov_b32 s8, 0xc11de9e7
	v_div_scale_f32 v14, s[6:7], v13, v13, s8
	v_div_scale_f32 v16, vcc, s8, v13, s8
	v_sub_f32_e32 v15, 1.0, v15
	v_rcp_f32_e32 v17, v14
	v_fma_f32 v18, -v14, v17, 1.0
	v_fmac_f32_e32 v17, v18, v17
	v_mul_f32_e32 v18, v16, v17
	v_fma_f32 v19, -v14, v18, v16
	v_fmac_f32_e32 v18, v19, v17
	v_fma_f32 v14, -v14, v18, v16
	v_div_fmas_f32 v14, v14, v17, v18
	v_div_fixup_f32 v13, v14, v13, s8
	v_add_f32_e32 v14, 0, v13
	v_mov_b32_e32 v13, -1.0
.LBB58_47:
	s_or_b64 exec, exec, s[14:15]
	v_mul_f32_e32 v16, v15, v15
	v_div_scale_f32 v17, s[6:7], v16, v16, 1.0
	v_add_f32_e32 v15, 1.0, v15
	v_rcp_f32_e32 v18, v17
	v_fma_f32 v19, -v17, v18, 1.0
	v_fmac_f32_e32 v18, v19, v18
	v_div_scale_f32 v19, vcc, 1.0, v16, 1.0
	v_mul_f32_e32 v20, v19, v18
	v_fma_f32 v21, -v17, v20, v19
	v_fmac_f32_e32 v20, v21, v18
	v_fma_f32 v17, -v17, v20, v19
	v_div_fmas_f32 v17, v17, v18, v20
	v_div_fixup_f32 v16, v17, v16, 1.0
	v_add_f32_e32 v14, v14, v16
	v_mul_f32_e32 v16, v15, v15
	v_div_scale_f32 v17, s[6:7], v16, v16, 1.0
	v_add_f32_e32 v15, 1.0, v15
	v_rcp_f32_e32 v18, v17
	v_fma_f32 v19, -v17, v18, 1.0
	v_fmac_f32_e32 v18, v19, v18
	v_div_scale_f32 v19, vcc, 1.0, v16, 1.0
	v_mul_f32_e32 v20, v19, v18
	v_fma_f32 v21, -v17, v20, v19
	v_fmac_f32_e32 v20, v21, v18
	v_fma_f32 v17, -v17, v20, v19
	v_div_fmas_f32 v17, v17, v18, v20
	v_div_fixup_f32 v16, v17, v16, 1.0
	v_add_f32_e32 v14, v14, v16
	;; [unrolled: 14-line block ×6, first 2 shown]
	v_mul_f32_e32 v16, v15, v15
	v_div_scale_f32 v17, s[6:7], v16, v16, 1.0
	v_rcp_f32_e32 v18, v17
	v_fma_f32 v19, -v17, v18, 1.0
	v_fmac_f32_e32 v18, v19, v18
	v_div_scale_f32 v19, vcc, 1.0, v16, 1.0
	v_mul_f32_e32 v20, v19, v18
	v_fma_f32 v21, -v17, v20, v19
	v_fmac_f32_e32 v20, v21, v18
	v_fma_f32 v17, -v17, v20, v19
	v_div_fmas_f32 v17, v17, v18, v20
	v_div_fixup_f32 v16, v17, v16, 1.0
	v_add_f32_e32 v17, v15, v15
	v_div_scale_f32 v18, s[6:7], v17, v17, 1.0
	s_mov_b32 s6, 0x3e2aaaab
	v_rcp_f32_e32 v19, v18
	v_fma_f32 v20, -v18, v19, 1.0
	v_fmac_f32_e32 v19, v20, v19
	v_div_scale_f32 v20, vcc, 1.0, v17, 1.0
	v_mul_f32_e32 v21, v20, v19
	v_fma_f32 v22, -v18, v21, v20
	v_fmac_f32_e32 v21, v22, v19
	v_fma_f32 v18, -v18, v21, v20
	v_div_fmas_f32 v18, v18, v19, v21
	v_div_fixup_f32 v17, v18, v17, 1.0
	v_mov_b32_e32 v18, 0x3d088889
	v_fmac_f32_e32 v18, 0xbcc30c31, v16
	v_add_f32_e32 v17, 1.0, v17
	v_fma_f32 v18, -v16, v18, s6
	v_fmac_f32_e32 v17, v16, v18
	v_div_scale_f32 v16, s[6:7], v15, v15, v17
	v_rcp_f32_e32 v18, v16
	v_fma_f32 v19, -v16, v18, 1.0
	v_fmac_f32_e32 v18, v19, v18
	v_div_scale_f32 v19, vcc, v17, v15, v17
	v_mul_f32_e32 v20, v19, v18
	v_fma_f32 v21, -v16, v20, v19
	v_fmac_f32_e32 v20, v21, v18
	v_fma_f32 v16, -v16, v20, v19
	v_div_fmas_f32 v16, v16, v18, v20
	v_div_fixup_f32 v15, v16, v15, v17
	v_add_f32_e32 v14, v14, v15
	v_fma_mixlo_f16 v13, v13, v14, 0
.LBB58_48:
	s_or_b64 exec, exec, s[12:13]
	v_or_b32_e32 v14, 0x400, v7
	v_cmp_lt_i32_e32 vcc, v14, v4
                                        ; implicit-def: $vgpr14
	s_and_saveexec_b64 s[12:13], vcc
	s_cbranch_execz .LBB58_56
; %bb.49:
	v_cvt_f32_f16_e32 v14, v12
	v_cmp_gt_f16_e32 vcc, 0.5, v12
	v_mov_b32_e32 v15, 0
	v_mov_b32_e32 v12, 1.0
	s_and_saveexec_b64 s[14:15], vcc
	s_cbranch_execz .LBB58_55
; %bb.50:
	v_mul_f32_e32 v12, 0x40490fdb, v14
	s_brev_b32 s6, 18
	v_and_b32_e32 v15, 0x7fffffff, v12
	v_cmp_nlt_f32_e64 s[6:7], |v12|, s6
                                        ; implicit-def: $vgpr16
                                        ; implicit-def: $vgpr17
	s_and_saveexec_b64 s[8:9], s[6:7]
	s_xor_b64 s[16:17], exec, s[8:9]
	s_cbranch_execz .LBB58_52
; %bb.51:
	v_and_b32_e32 v16, 0x7fffff, v15
	v_or_b32_e32 v25, 0x800000, v16
	s_mov_b32 s6, 0xfe5163ab
	v_mad_u64_u32 v[16:17], s[6:7], v25, s6, 0
	v_mov_b32_e32 v18, 0
	s_mov_b32 s6, 0x3c439041
	v_mad_u64_u32 v[19:20], s[6:7], v25, s6, v[17:18]
	s_mov_b32 s6, 0xdb629599
	v_not_b32_e32 v24, 63
	v_mov_b32_e32 v17, v20
	v_mad_u64_u32 v[20:21], s[6:7], v25, s6, v[17:18]
	s_mov_b32 s6, 0xf534ddc0
	v_not_b32_e32 v27, 31
	v_mov_b32_e32 v17, v21
	v_mad_u64_u32 v[21:22], s[6:7], v25, s6, v[17:18]
	v_lshrrev_b32_e32 v17, 23, v15
	v_add_u32_e32 v26, 0xffffff88, v17
	v_mov_b32_e32 v17, v22
	s_mov_b32 s6, 0xfc2757d1
	v_mad_u64_u32 v[22:23], s[6:7], v25, s6, v[17:18]
	v_cmp_lt_u32_e32 vcc, 63, v26
	v_cndmask_b32_e32 v17, 0, v24, vcc
	v_add_u32_e32 v26, v17, v26
	v_mov_b32_e32 v17, v23
	s_mov_b32 s6, 0x4e441529
	v_mad_u64_u32 v[23:24], s[6:7], v25, s6, v[17:18]
	v_cmp_lt_u32_e64 s[6:7], 31, v26
	v_cndmask_b32_e64 v17, 0, v27, s[6:7]
	v_add_u32_e32 v26, v17, v26
	v_mov_b32_e32 v17, v24
	s_mov_b32 s8, 0xa2f9836e
	v_mad_u64_u32 v[17:18], s[8:9], v25, s8, v[17:18]
	v_cmp_lt_u32_e64 s[8:9], 31, v26
	v_cndmask_b32_e64 v24, 0, v27, s[8:9]
	v_cndmask_b32_e32 v25, v23, v21, vcc
	v_cndmask_b32_e32 v17, v17, v22, vcc
	;; [unrolled: 1-line block ×3, first 2 shown]
	v_add_u32_e32 v24, v24, v26
	v_cndmask_b32_e64 v26, v17, v25, s[6:7]
	v_cndmask_b32_e64 v17, v18, v17, s[6:7]
	v_cndmask_b32_e32 v18, v22, v20, vcc
	v_cndmask_b32_e64 v22, v25, v18, s[6:7]
	v_cndmask_b32_e64 v17, v17, v26, s[8:9]
	;; [unrolled: 1-line block ×3, first 2 shown]
	v_sub_u32_e32 v25, 32, v24
	v_alignbit_b32 v26, v17, v23, v25
	v_cmp_eq_u32_e64 s[10:11], 0, v24
	v_cndmask_b32_e64 v24, v26, v17, s[10:11]
	v_cndmask_b32_e32 v17, v21, v19, vcc
	v_cndmask_b32_e64 v18, v18, v17, s[6:7]
	v_cndmask_b32_e64 v19, v22, v18, s[8:9]
	v_alignbit_b32 v21, v23, v19, v25
	v_cndmask_b32_e32 v16, v20, v16, vcc
	v_cndmask_b32_e64 v21, v21, v23, s[10:11]
	v_bfe_u32 v26, v24, 29, 1
	v_cndmask_b32_e64 v16, v17, v16, s[6:7]
	v_alignbit_b32 v22, v24, v21, 30
	v_sub_u32_e32 v27, 0, v26
	v_cndmask_b32_e64 v16, v18, v16, s[8:9]
	v_xor_b32_e32 v22, v22, v27
	v_alignbit_b32 v17, v19, v16, v25
	v_cndmask_b32_e64 v17, v17, v19, s[10:11]
	v_ffbh_u32_e32 v19, v22
	v_alignbit_b32 v18, v21, v17, 30
	v_min_u32_e32 v19, 32, v19
	v_alignbit_b32 v16, v17, v16, 30
	v_xor_b32_e32 v18, v18, v27
	v_sub_u32_e32 v20, 31, v19
	v_xor_b32_e32 v16, v16, v27
	v_alignbit_b32 v21, v22, v18, v20
	v_alignbit_b32 v16, v18, v16, v20
	v_alignbit_b32 v17, v21, v16, 9
	v_ffbh_u32_e32 v18, v17
	v_min_u32_e32 v18, 32, v18
	v_lshrrev_b32_e32 v23, 29, v24
	v_not_b32_e32 v20, v18
	v_alignbit_b32 v16, v17, v16, v20
	v_lshlrev_b32_e32 v17, 31, v23
	v_or_b32_e32 v20, 0x33000000, v17
	v_add_lshl_u32 v18, v18, v19, 23
	v_lshrrev_b32_e32 v16, 9, v16
	v_sub_u32_e32 v18, v20, v18
	v_or_b32_e32 v17, 0.5, v17
	v_lshlrev_b32_e32 v19, 23, v19
	v_or_b32_e32 v16, v18, v16
	v_lshrrev_b32_e32 v18, 9, v21
	v_sub_u32_e32 v17, v17, v19
	v_or_b32_e32 v17, v18, v17
	s_mov_b32 s6, 0x3fc90fda
	v_mul_f32_e32 v18, 0x3fc90fda, v17
	v_fma_f32 v19, v17, s6, -v18
	v_fmac_f32_e32 v19, 0x33a22168, v17
	v_fmac_f32_e32 v19, 0x3fc90fda, v16
	v_lshrrev_b32_e32 v16, 30, v24
	v_add_f32_e32 v17, v18, v19
	v_add_u32_e32 v16, v26, v16
.LBB58_52:
	s_andn2_saveexec_b64 s[6:7], s[16:17]
	s_cbranch_execz .LBB58_54
; %bb.53:
	s_mov_b32 s8, 0x3f22f983
	v_mul_f32_e64 v16, |v12|, s8
	v_rndne_f32_e32 v18, v16
	s_mov_b32 s8, 0xbfc90fda
	v_cvt_i32_f32_e32 v16, v18
	v_fma_f32 v17, v18, s8, |v12|
	v_fmac_f32_e32 v17, 0xb3a22168, v18
	v_fmac_f32_e32 v17, 0xa7c234c4, v18
.LBB58_54:
	s_or_b64 exec, exec, s[6:7]
	v_mul_f32_e32 v18, v17, v17
	v_mov_b32_e32 v19, 0x3c0881c4
	v_fmac_f32_e32 v19, 0xb94c1982, v18
	v_mov_b32_e32 v20, 0xbe2aaa9d
	v_fmac_f32_e32 v20, v18, v19
	v_mul_f32_e32 v19, v18, v20
	v_fmac_f32_e32 v17, v17, v19
	v_mov_b32_e32 v19, 0xbab64f3b
	v_fmac_f32_e32 v19, 0x37d75334, v18
	v_mov_b32_e32 v20, 0x3d2aabf7
	;; [unrolled: 2-line block ×3, first 2 shown]
	v_fmac_f32_e32 v19, v18, v20
	v_fma_f32 v18, v18, v19, 1.0
	v_and_b32_e32 v19, 1, v16
	v_lshlrev_b32_e32 v16, 30, v16
	v_cmp_eq_u32_e32 vcc, 0, v19
	v_and_b32_e32 v16, 0x80000000, v16
	v_xor_b32_e32 v15, v15, v12
	v_cndmask_b32_e32 v17, v18, v17, vcc
	v_xor_b32_e32 v15, v15, v16
	s_movk_i32 s6, 0x1f8
	v_xor_b32_e32 v15, v15, v17
	v_mov_b32_e32 v16, 0x7fc00000
	v_cmp_class_f32_e64 vcc, v12, s6
	v_cndmask_b32_e32 v12, v16, v15, vcc
	v_mul_f32_e32 v12, v12, v12
	s_mov_b32 s8, 0xc11de9e7
	v_div_scale_f32 v15, s[6:7], v12, v12, s8
	v_div_scale_f32 v16, vcc, s8, v12, s8
	v_sub_f32_e32 v14, 1.0, v14
	v_rcp_f32_e32 v17, v15
	v_fma_f32 v18, -v15, v17, 1.0
	v_fmac_f32_e32 v17, v18, v17
	v_mul_f32_e32 v18, v16, v17
	v_fma_f32 v19, -v15, v18, v16
	v_fmac_f32_e32 v18, v19, v17
	v_fma_f32 v15, -v15, v18, v16
	v_div_fmas_f32 v15, v15, v17, v18
	v_div_fixup_f32 v12, v15, v12, s8
	v_add_f32_e32 v15, 0, v12
	v_mov_b32_e32 v12, -1.0
.LBB58_55:
	s_or_b64 exec, exec, s[14:15]
	v_mul_f32_e32 v16, v14, v14
	v_div_scale_f32 v17, s[6:7], v16, v16, 1.0
	v_add_f32_e32 v14, 1.0, v14
	v_rcp_f32_e32 v18, v17
	v_fma_f32 v19, -v17, v18, 1.0
	v_fmac_f32_e32 v18, v19, v18
	v_div_scale_f32 v19, vcc, 1.0, v16, 1.0
	v_mul_f32_e32 v20, v19, v18
	v_fma_f32 v21, -v17, v20, v19
	v_fmac_f32_e32 v20, v21, v18
	v_fma_f32 v17, -v17, v20, v19
	v_div_fmas_f32 v17, v17, v18, v20
	v_div_fixup_f32 v16, v17, v16, 1.0
	v_add_f32_e32 v15, v15, v16
	v_mul_f32_e32 v16, v14, v14
	v_div_scale_f32 v17, s[6:7], v16, v16, 1.0
	v_add_f32_e32 v14, 1.0, v14
	v_rcp_f32_e32 v18, v17
	v_fma_f32 v19, -v17, v18, 1.0
	v_fmac_f32_e32 v18, v19, v18
	v_div_scale_f32 v19, vcc, 1.0, v16, 1.0
	v_mul_f32_e32 v20, v19, v18
	v_fma_f32 v21, -v17, v20, v19
	v_fmac_f32_e32 v20, v21, v18
	v_fma_f32 v17, -v17, v20, v19
	v_div_fmas_f32 v17, v17, v18, v20
	v_div_fixup_f32 v16, v17, v16, 1.0
	v_add_f32_e32 v15, v15, v16
	;; [unrolled: 14-line block ×6, first 2 shown]
	v_mul_f32_e32 v16, v14, v14
	v_div_scale_f32 v17, s[6:7], v16, v16, 1.0
	v_rcp_f32_e32 v18, v17
	v_fma_f32 v19, -v17, v18, 1.0
	v_fmac_f32_e32 v18, v19, v18
	v_div_scale_f32 v19, vcc, 1.0, v16, 1.0
	v_mul_f32_e32 v20, v19, v18
	v_fma_f32 v21, -v17, v20, v19
	v_fmac_f32_e32 v20, v21, v18
	v_fma_f32 v17, -v17, v20, v19
	v_div_fmas_f32 v17, v17, v18, v20
	v_div_fixup_f32 v16, v17, v16, 1.0
	v_add_f32_e32 v17, v14, v14
	v_div_scale_f32 v18, s[6:7], v17, v17, 1.0
	s_mov_b32 s6, 0x3e2aaaab
	v_rcp_f32_e32 v19, v18
	v_fma_f32 v20, -v18, v19, 1.0
	v_fmac_f32_e32 v19, v20, v19
	v_div_scale_f32 v20, vcc, 1.0, v17, 1.0
	v_mul_f32_e32 v21, v20, v19
	v_fma_f32 v22, -v18, v21, v20
	v_fmac_f32_e32 v21, v22, v19
	v_fma_f32 v18, -v18, v21, v20
	v_div_fmas_f32 v18, v18, v19, v21
	v_div_fixup_f32 v17, v18, v17, 1.0
	v_mov_b32_e32 v18, 0x3d088889
	v_fmac_f32_e32 v18, 0xbcc30c31, v16
	v_add_f32_e32 v17, 1.0, v17
	v_fma_f32 v18, -v16, v18, s6
	v_fmac_f32_e32 v17, v16, v18
	v_div_scale_f32 v16, s[6:7], v14, v14, v17
	v_rcp_f32_e32 v18, v16
	v_fma_f32 v19, -v16, v18, 1.0
	v_fmac_f32_e32 v18, v19, v18
	v_div_scale_f32 v19, vcc, v17, v14, v17
	v_mul_f32_e32 v20, v19, v18
	v_fma_f32 v21, -v16, v20, v19
	v_fmac_f32_e32 v20, v21, v18
	v_fma_f32 v16, -v16, v20, v19
	v_div_fmas_f32 v16, v16, v18, v20
	v_div_fixup_f32 v14, v16, v14, v17
	v_add_f32_e32 v14, v15, v14
	v_fma_mixlo_f16 v14, v12, v14, 0
.LBB58_56:
	s_or_b64 exec, exec, s[12:13]
	v_add_u32_e32 v12, 0x500, v7
	v_cmp_lt_i32_e32 vcc, v12, v4
                                        ; implicit-def: $vgpr12
	s_and_saveexec_b64 s[12:13], vcc
	s_cbranch_execz .LBB58_64
; %bb.57:
	v_cvt_f32_f16_e32 v12, v10
	v_cmp_gt_f16_e32 vcc, 0.5, v10
	v_mov_b32_e32 v15, 0
	v_mov_b32_e32 v10, 1.0
	s_and_saveexec_b64 s[14:15], vcc
	s_cbranch_execz .LBB58_63
; %bb.58:
	v_mul_f32_e32 v10, 0x40490fdb, v12
	s_brev_b32 s6, 18
	v_and_b32_e32 v15, 0x7fffffff, v10
	v_cmp_nlt_f32_e64 s[6:7], |v10|, s6
                                        ; implicit-def: $vgpr16
                                        ; implicit-def: $vgpr17
	s_and_saveexec_b64 s[8:9], s[6:7]
	s_xor_b64 s[16:17], exec, s[8:9]
	s_cbranch_execz .LBB58_60
; %bb.59:
	v_and_b32_e32 v16, 0x7fffff, v15
	v_or_b32_e32 v25, 0x800000, v16
	s_mov_b32 s6, 0xfe5163ab
	v_mad_u64_u32 v[16:17], s[6:7], v25, s6, 0
	v_mov_b32_e32 v18, 0
	s_mov_b32 s6, 0x3c439041
	v_mad_u64_u32 v[19:20], s[6:7], v25, s6, v[17:18]
	s_mov_b32 s6, 0xdb629599
	v_not_b32_e32 v24, 63
	v_mov_b32_e32 v17, v20
	v_mad_u64_u32 v[20:21], s[6:7], v25, s6, v[17:18]
	s_mov_b32 s6, 0xf534ddc0
	v_not_b32_e32 v27, 31
	v_mov_b32_e32 v17, v21
	v_mad_u64_u32 v[21:22], s[6:7], v25, s6, v[17:18]
	v_lshrrev_b32_e32 v17, 23, v15
	v_add_u32_e32 v26, 0xffffff88, v17
	v_mov_b32_e32 v17, v22
	s_mov_b32 s6, 0xfc2757d1
	v_mad_u64_u32 v[22:23], s[6:7], v25, s6, v[17:18]
	v_cmp_lt_u32_e32 vcc, 63, v26
	v_cndmask_b32_e32 v17, 0, v24, vcc
	v_add_u32_e32 v26, v17, v26
	v_mov_b32_e32 v17, v23
	s_mov_b32 s6, 0x4e441529
	v_mad_u64_u32 v[23:24], s[6:7], v25, s6, v[17:18]
	v_cmp_lt_u32_e64 s[6:7], 31, v26
	v_cndmask_b32_e64 v17, 0, v27, s[6:7]
	v_add_u32_e32 v26, v17, v26
	v_mov_b32_e32 v17, v24
	s_mov_b32 s8, 0xa2f9836e
	v_mad_u64_u32 v[17:18], s[8:9], v25, s8, v[17:18]
	v_cmp_lt_u32_e64 s[8:9], 31, v26
	v_cndmask_b32_e64 v24, 0, v27, s[8:9]
	v_cndmask_b32_e32 v25, v23, v21, vcc
	v_cndmask_b32_e32 v17, v17, v22, vcc
	;; [unrolled: 1-line block ×3, first 2 shown]
	v_add_u32_e32 v24, v24, v26
	v_cndmask_b32_e64 v26, v17, v25, s[6:7]
	v_cndmask_b32_e64 v17, v18, v17, s[6:7]
	v_cndmask_b32_e32 v18, v22, v20, vcc
	v_cndmask_b32_e64 v22, v25, v18, s[6:7]
	v_cndmask_b32_e64 v17, v17, v26, s[8:9]
	;; [unrolled: 1-line block ×3, first 2 shown]
	v_sub_u32_e32 v25, 32, v24
	v_alignbit_b32 v26, v17, v23, v25
	v_cmp_eq_u32_e64 s[10:11], 0, v24
	v_cndmask_b32_e64 v24, v26, v17, s[10:11]
	v_cndmask_b32_e32 v17, v21, v19, vcc
	v_cndmask_b32_e64 v18, v18, v17, s[6:7]
	v_cndmask_b32_e64 v19, v22, v18, s[8:9]
	v_alignbit_b32 v21, v23, v19, v25
	v_cndmask_b32_e32 v16, v20, v16, vcc
	v_cndmask_b32_e64 v21, v21, v23, s[10:11]
	v_bfe_u32 v26, v24, 29, 1
	v_cndmask_b32_e64 v16, v17, v16, s[6:7]
	v_alignbit_b32 v22, v24, v21, 30
	v_sub_u32_e32 v27, 0, v26
	v_cndmask_b32_e64 v16, v18, v16, s[8:9]
	v_xor_b32_e32 v22, v22, v27
	v_alignbit_b32 v17, v19, v16, v25
	v_cndmask_b32_e64 v17, v17, v19, s[10:11]
	v_ffbh_u32_e32 v19, v22
	v_alignbit_b32 v18, v21, v17, 30
	v_min_u32_e32 v19, 32, v19
	v_alignbit_b32 v16, v17, v16, 30
	v_xor_b32_e32 v18, v18, v27
	v_sub_u32_e32 v20, 31, v19
	v_xor_b32_e32 v16, v16, v27
	v_alignbit_b32 v21, v22, v18, v20
	v_alignbit_b32 v16, v18, v16, v20
	v_alignbit_b32 v17, v21, v16, 9
	v_ffbh_u32_e32 v18, v17
	v_min_u32_e32 v18, 32, v18
	v_lshrrev_b32_e32 v23, 29, v24
	v_not_b32_e32 v20, v18
	v_alignbit_b32 v16, v17, v16, v20
	v_lshlrev_b32_e32 v17, 31, v23
	v_or_b32_e32 v20, 0x33000000, v17
	v_add_lshl_u32 v18, v18, v19, 23
	v_lshrrev_b32_e32 v16, 9, v16
	v_sub_u32_e32 v18, v20, v18
	v_or_b32_e32 v17, 0.5, v17
	v_lshlrev_b32_e32 v19, 23, v19
	v_or_b32_e32 v16, v18, v16
	v_lshrrev_b32_e32 v18, 9, v21
	v_sub_u32_e32 v17, v17, v19
	v_or_b32_e32 v17, v18, v17
	s_mov_b32 s6, 0x3fc90fda
	v_mul_f32_e32 v18, 0x3fc90fda, v17
	v_fma_f32 v19, v17, s6, -v18
	v_fmac_f32_e32 v19, 0x33a22168, v17
	v_fmac_f32_e32 v19, 0x3fc90fda, v16
	v_lshrrev_b32_e32 v16, 30, v24
	v_add_f32_e32 v17, v18, v19
	v_add_u32_e32 v16, v26, v16
.LBB58_60:
	s_andn2_saveexec_b64 s[6:7], s[16:17]
	s_cbranch_execz .LBB58_62
; %bb.61:
	s_mov_b32 s8, 0x3f22f983
	v_mul_f32_e64 v16, |v10|, s8
	v_rndne_f32_e32 v18, v16
	s_mov_b32 s8, 0xbfc90fda
	v_cvt_i32_f32_e32 v16, v18
	v_fma_f32 v17, v18, s8, |v10|
	v_fmac_f32_e32 v17, 0xb3a22168, v18
	v_fmac_f32_e32 v17, 0xa7c234c4, v18
.LBB58_62:
	s_or_b64 exec, exec, s[6:7]
	v_mul_f32_e32 v18, v17, v17
	v_mov_b32_e32 v19, 0x3c0881c4
	v_fmac_f32_e32 v19, 0xb94c1982, v18
	v_mov_b32_e32 v20, 0xbe2aaa9d
	v_fmac_f32_e32 v20, v18, v19
	v_mul_f32_e32 v19, v18, v20
	v_fmac_f32_e32 v17, v17, v19
	v_mov_b32_e32 v19, 0xbab64f3b
	v_fmac_f32_e32 v19, 0x37d75334, v18
	v_mov_b32_e32 v20, 0x3d2aabf7
	;; [unrolled: 2-line block ×3, first 2 shown]
	v_fmac_f32_e32 v19, v18, v20
	v_fma_f32 v18, v18, v19, 1.0
	v_and_b32_e32 v19, 1, v16
	v_lshlrev_b32_e32 v16, 30, v16
	v_cmp_eq_u32_e32 vcc, 0, v19
	v_and_b32_e32 v16, 0x80000000, v16
	v_xor_b32_e32 v15, v15, v10
	v_cndmask_b32_e32 v17, v18, v17, vcc
	v_xor_b32_e32 v15, v15, v16
	s_movk_i32 s6, 0x1f8
	v_xor_b32_e32 v15, v15, v17
	v_mov_b32_e32 v16, 0x7fc00000
	v_cmp_class_f32_e64 vcc, v10, s6
	v_cndmask_b32_e32 v10, v16, v15, vcc
	v_mul_f32_e32 v10, v10, v10
	s_mov_b32 s8, 0xc11de9e7
	v_div_scale_f32 v15, s[6:7], v10, v10, s8
	v_div_scale_f32 v16, vcc, s8, v10, s8
	v_sub_f32_e32 v12, 1.0, v12
	v_rcp_f32_e32 v17, v15
	v_fma_f32 v18, -v15, v17, 1.0
	v_fmac_f32_e32 v17, v18, v17
	v_mul_f32_e32 v18, v16, v17
	v_fma_f32 v19, -v15, v18, v16
	v_fmac_f32_e32 v18, v19, v17
	v_fma_f32 v15, -v15, v18, v16
	v_div_fmas_f32 v15, v15, v17, v18
	v_div_fixup_f32 v10, v15, v10, s8
	v_add_f32_e32 v15, 0, v10
	v_mov_b32_e32 v10, -1.0
.LBB58_63:
	s_or_b64 exec, exec, s[14:15]
	v_mul_f32_e32 v16, v12, v12
	v_div_scale_f32 v17, s[6:7], v16, v16, 1.0
	v_add_f32_e32 v12, 1.0, v12
	v_rcp_f32_e32 v18, v17
	v_fma_f32 v19, -v17, v18, 1.0
	v_fmac_f32_e32 v18, v19, v18
	v_div_scale_f32 v19, vcc, 1.0, v16, 1.0
	v_mul_f32_e32 v20, v19, v18
	v_fma_f32 v21, -v17, v20, v19
	v_fmac_f32_e32 v20, v21, v18
	v_fma_f32 v17, -v17, v20, v19
	v_div_fmas_f32 v17, v17, v18, v20
	v_div_fixup_f32 v16, v17, v16, 1.0
	v_add_f32_e32 v15, v15, v16
	v_mul_f32_e32 v16, v12, v12
	v_div_scale_f32 v17, s[6:7], v16, v16, 1.0
	v_add_f32_e32 v12, 1.0, v12
	v_rcp_f32_e32 v18, v17
	v_fma_f32 v19, -v17, v18, 1.0
	v_fmac_f32_e32 v18, v19, v18
	v_div_scale_f32 v19, vcc, 1.0, v16, 1.0
	v_mul_f32_e32 v20, v19, v18
	v_fma_f32 v21, -v17, v20, v19
	v_fmac_f32_e32 v20, v21, v18
	v_fma_f32 v17, -v17, v20, v19
	v_div_fmas_f32 v17, v17, v18, v20
	v_div_fixup_f32 v16, v17, v16, 1.0
	v_add_f32_e32 v15, v15, v16
	v_mul_f32_e32 v16, v12, v12
	v_div_scale_f32 v17, s[6:7], v16, v16, 1.0
	v_add_f32_e32 v12, 1.0, v12
	v_rcp_f32_e32 v18, v17
	v_fma_f32 v19, -v17, v18, 1.0
	v_fmac_f32_e32 v18, v19, v18
	v_div_scale_f32 v19, vcc, 1.0, v16, 1.0
	v_mul_f32_e32 v20, v19, v18
	v_fma_f32 v21, -v17, v20, v19
	v_fmac_f32_e32 v20, v21, v18
	v_fma_f32 v17, -v17, v20, v19
	v_div_fmas_f32 v17, v17, v18, v20
	v_div_fixup_f32 v16, v17, v16, 1.0
	v_add_f32_e32 v15, v15, v16
	v_mul_f32_e32 v16, v12, v12
	v_div_scale_f32 v17, s[6:7], v16, v16, 1.0
	v_add_f32_e32 v12, 1.0, v12
	v_rcp_f32_e32 v18, v17
	v_fma_f32 v19, -v17, v18, 1.0
	v_fmac_f32_e32 v18, v19, v18
	v_div_scale_f32 v19, vcc, 1.0, v16, 1.0
	v_mul_f32_e32 v20, v19, v18
	v_fma_f32 v21, -v17, v20, v19
	v_fmac_f32_e32 v20, v21, v18
	v_fma_f32 v17, -v17, v20, v19
	v_div_fmas_f32 v17, v17, v18, v20
	v_div_fixup_f32 v16, v17, v16, 1.0
	v_add_f32_e32 v15, v15, v16
	v_mul_f32_e32 v16, v12, v12
	v_div_scale_f32 v17, s[6:7], v16, v16, 1.0
	v_add_f32_e32 v12, 1.0, v12
	v_rcp_f32_e32 v18, v17
	v_fma_f32 v19, -v17, v18, 1.0
	v_fmac_f32_e32 v18, v19, v18
	v_div_scale_f32 v19, vcc, 1.0, v16, 1.0
	v_mul_f32_e32 v20, v19, v18
	v_fma_f32 v21, -v17, v20, v19
	v_fmac_f32_e32 v20, v21, v18
	v_fma_f32 v17, -v17, v20, v19
	v_div_fmas_f32 v17, v17, v18, v20
	v_div_fixup_f32 v16, v17, v16, 1.0
	v_add_f32_e32 v15, v15, v16
	v_mul_f32_e32 v16, v12, v12
	v_div_scale_f32 v17, s[6:7], v16, v16, 1.0
	v_add_f32_e32 v12, 1.0, v12
	v_rcp_f32_e32 v18, v17
	v_fma_f32 v19, -v17, v18, 1.0
	v_fmac_f32_e32 v18, v19, v18
	v_div_scale_f32 v19, vcc, 1.0, v16, 1.0
	v_mul_f32_e32 v20, v19, v18
	v_fma_f32 v21, -v17, v20, v19
	v_fmac_f32_e32 v20, v21, v18
	v_fma_f32 v17, -v17, v20, v19
	v_div_fmas_f32 v17, v17, v18, v20
	v_div_fixup_f32 v16, v17, v16, 1.0
	v_add_f32_e32 v15, v15, v16
	v_mul_f32_e32 v16, v12, v12
	v_div_scale_f32 v17, s[6:7], v16, v16, 1.0
	v_rcp_f32_e32 v18, v17
	v_fma_f32 v19, -v17, v18, 1.0
	v_fmac_f32_e32 v18, v19, v18
	v_div_scale_f32 v19, vcc, 1.0, v16, 1.0
	v_mul_f32_e32 v20, v19, v18
	v_fma_f32 v21, -v17, v20, v19
	v_fmac_f32_e32 v20, v21, v18
	v_fma_f32 v17, -v17, v20, v19
	v_div_fmas_f32 v17, v17, v18, v20
	v_div_fixup_f32 v16, v17, v16, 1.0
	v_add_f32_e32 v17, v12, v12
	v_div_scale_f32 v18, s[6:7], v17, v17, 1.0
	s_mov_b32 s6, 0x3e2aaaab
	v_rcp_f32_e32 v19, v18
	v_fma_f32 v20, -v18, v19, 1.0
	v_fmac_f32_e32 v19, v20, v19
	v_div_scale_f32 v20, vcc, 1.0, v17, 1.0
	v_mul_f32_e32 v21, v20, v19
	v_fma_f32 v22, -v18, v21, v20
	v_fmac_f32_e32 v21, v22, v19
	v_fma_f32 v18, -v18, v21, v20
	v_div_fmas_f32 v18, v18, v19, v21
	v_div_fixup_f32 v17, v18, v17, 1.0
	v_mov_b32_e32 v18, 0x3d088889
	v_fmac_f32_e32 v18, 0xbcc30c31, v16
	v_add_f32_e32 v17, 1.0, v17
	v_fma_f32 v18, -v16, v18, s6
	v_fmac_f32_e32 v17, v16, v18
	v_div_scale_f32 v16, s[6:7], v12, v12, v17
	v_rcp_f32_e32 v18, v16
	v_fma_f32 v19, -v16, v18, 1.0
	v_fmac_f32_e32 v18, v19, v18
	v_div_scale_f32 v19, vcc, v17, v12, v17
	v_mul_f32_e32 v20, v19, v18
	v_fma_f32 v21, -v16, v20, v19
	v_fmac_f32_e32 v20, v21, v18
	v_fma_f32 v16, -v16, v20, v19
	v_div_fmas_f32 v16, v16, v18, v20
	v_div_fixup_f32 v12, v16, v12, v17
	v_add_f32_e32 v12, v15, v12
	v_fma_mixlo_f16 v12, v10, v12, 0
.LBB58_64:
	s_or_b64 exec, exec, s[12:13]
	v_add_u32_e32 v10, 0x600, v7
	v_cmp_lt_i32_e32 vcc, v10, v4
                                        ; implicit-def: $vgpr10
	s_and_saveexec_b64 s[12:13], vcc
	s_cbranch_execz .LBB58_72
; %bb.65:
	v_cvt_f32_f16_e32 v10, v8
	v_cmp_gt_f16_e32 vcc, 0.5, v8
	v_mov_b32_e32 v15, 0
	v_mov_b32_e32 v8, 1.0
	s_and_saveexec_b64 s[14:15], vcc
	s_cbranch_execz .LBB58_71
; %bb.66:
	v_mul_f32_e32 v8, 0x40490fdb, v10
	s_brev_b32 s6, 18
	v_and_b32_e32 v15, 0x7fffffff, v8
	v_cmp_nlt_f32_e64 s[6:7], |v8|, s6
                                        ; implicit-def: $vgpr16
                                        ; implicit-def: $vgpr17
	s_and_saveexec_b64 s[8:9], s[6:7]
	s_xor_b64 s[16:17], exec, s[8:9]
	s_cbranch_execz .LBB58_68
; %bb.67:
	v_and_b32_e32 v16, 0x7fffff, v15
	v_or_b32_e32 v25, 0x800000, v16
	s_mov_b32 s6, 0xfe5163ab
	v_mad_u64_u32 v[16:17], s[6:7], v25, s6, 0
	v_mov_b32_e32 v18, 0
	s_mov_b32 s6, 0x3c439041
	v_mad_u64_u32 v[19:20], s[6:7], v25, s6, v[17:18]
	s_mov_b32 s6, 0xdb629599
	v_not_b32_e32 v24, 63
	v_mov_b32_e32 v17, v20
	v_mad_u64_u32 v[20:21], s[6:7], v25, s6, v[17:18]
	s_mov_b32 s6, 0xf534ddc0
	v_not_b32_e32 v27, 31
	v_mov_b32_e32 v17, v21
	v_mad_u64_u32 v[21:22], s[6:7], v25, s6, v[17:18]
	v_lshrrev_b32_e32 v17, 23, v15
	v_add_u32_e32 v26, 0xffffff88, v17
	v_mov_b32_e32 v17, v22
	s_mov_b32 s6, 0xfc2757d1
	v_mad_u64_u32 v[22:23], s[6:7], v25, s6, v[17:18]
	v_cmp_lt_u32_e32 vcc, 63, v26
	v_cndmask_b32_e32 v17, 0, v24, vcc
	v_add_u32_e32 v26, v17, v26
	v_mov_b32_e32 v17, v23
	s_mov_b32 s6, 0x4e441529
	v_mad_u64_u32 v[23:24], s[6:7], v25, s6, v[17:18]
	v_cmp_lt_u32_e64 s[6:7], 31, v26
	v_cndmask_b32_e64 v17, 0, v27, s[6:7]
	v_add_u32_e32 v26, v17, v26
	v_mov_b32_e32 v17, v24
	s_mov_b32 s8, 0xa2f9836e
	v_mad_u64_u32 v[17:18], s[8:9], v25, s8, v[17:18]
	v_cmp_lt_u32_e64 s[8:9], 31, v26
	v_cndmask_b32_e64 v24, 0, v27, s[8:9]
	v_cndmask_b32_e32 v25, v23, v21, vcc
	v_cndmask_b32_e32 v17, v17, v22, vcc
	;; [unrolled: 1-line block ×3, first 2 shown]
	v_add_u32_e32 v24, v24, v26
	v_cndmask_b32_e64 v26, v17, v25, s[6:7]
	v_cndmask_b32_e64 v17, v18, v17, s[6:7]
	v_cndmask_b32_e32 v18, v22, v20, vcc
	v_cndmask_b32_e64 v22, v25, v18, s[6:7]
	v_cndmask_b32_e64 v17, v17, v26, s[8:9]
	;; [unrolled: 1-line block ×3, first 2 shown]
	v_sub_u32_e32 v25, 32, v24
	v_alignbit_b32 v26, v17, v23, v25
	v_cmp_eq_u32_e64 s[10:11], 0, v24
	v_cndmask_b32_e64 v24, v26, v17, s[10:11]
	v_cndmask_b32_e32 v17, v21, v19, vcc
	v_cndmask_b32_e64 v18, v18, v17, s[6:7]
	v_cndmask_b32_e64 v19, v22, v18, s[8:9]
	v_alignbit_b32 v21, v23, v19, v25
	v_cndmask_b32_e32 v16, v20, v16, vcc
	v_cndmask_b32_e64 v21, v21, v23, s[10:11]
	v_bfe_u32 v26, v24, 29, 1
	v_cndmask_b32_e64 v16, v17, v16, s[6:7]
	v_alignbit_b32 v22, v24, v21, 30
	v_sub_u32_e32 v27, 0, v26
	v_cndmask_b32_e64 v16, v18, v16, s[8:9]
	v_xor_b32_e32 v22, v22, v27
	v_alignbit_b32 v17, v19, v16, v25
	v_cndmask_b32_e64 v17, v17, v19, s[10:11]
	v_ffbh_u32_e32 v19, v22
	v_alignbit_b32 v18, v21, v17, 30
	v_min_u32_e32 v19, 32, v19
	v_alignbit_b32 v16, v17, v16, 30
	v_xor_b32_e32 v18, v18, v27
	v_sub_u32_e32 v20, 31, v19
	v_xor_b32_e32 v16, v16, v27
	v_alignbit_b32 v21, v22, v18, v20
	v_alignbit_b32 v16, v18, v16, v20
	;; [unrolled: 1-line block ×3, first 2 shown]
	v_ffbh_u32_e32 v18, v17
	v_min_u32_e32 v18, 32, v18
	v_lshrrev_b32_e32 v23, 29, v24
	v_not_b32_e32 v20, v18
	v_alignbit_b32 v16, v17, v16, v20
	v_lshlrev_b32_e32 v17, 31, v23
	v_or_b32_e32 v20, 0x33000000, v17
	v_add_lshl_u32 v18, v18, v19, 23
	v_lshrrev_b32_e32 v16, 9, v16
	v_sub_u32_e32 v18, v20, v18
	v_or_b32_e32 v17, 0.5, v17
	v_lshlrev_b32_e32 v19, 23, v19
	v_or_b32_e32 v16, v18, v16
	v_lshrrev_b32_e32 v18, 9, v21
	v_sub_u32_e32 v17, v17, v19
	v_or_b32_e32 v17, v18, v17
	s_mov_b32 s6, 0x3fc90fda
	v_mul_f32_e32 v18, 0x3fc90fda, v17
	v_fma_f32 v19, v17, s6, -v18
	v_fmac_f32_e32 v19, 0x33a22168, v17
	v_fmac_f32_e32 v19, 0x3fc90fda, v16
	v_lshrrev_b32_e32 v16, 30, v24
	v_add_f32_e32 v17, v18, v19
	v_add_u32_e32 v16, v26, v16
.LBB58_68:
	s_andn2_saveexec_b64 s[6:7], s[16:17]
	s_cbranch_execz .LBB58_70
; %bb.69:
	s_mov_b32 s8, 0x3f22f983
	v_mul_f32_e64 v16, |v8|, s8
	v_rndne_f32_e32 v18, v16
	s_mov_b32 s8, 0xbfc90fda
	v_cvt_i32_f32_e32 v16, v18
	v_fma_f32 v17, v18, s8, |v8|
	v_fmac_f32_e32 v17, 0xb3a22168, v18
	v_fmac_f32_e32 v17, 0xa7c234c4, v18
.LBB58_70:
	s_or_b64 exec, exec, s[6:7]
	v_mul_f32_e32 v18, v17, v17
	v_mov_b32_e32 v19, 0x3c0881c4
	v_fmac_f32_e32 v19, 0xb94c1982, v18
	v_mov_b32_e32 v20, 0xbe2aaa9d
	v_fmac_f32_e32 v20, v18, v19
	v_mul_f32_e32 v19, v18, v20
	v_fmac_f32_e32 v17, v17, v19
	v_mov_b32_e32 v19, 0xbab64f3b
	v_fmac_f32_e32 v19, 0x37d75334, v18
	v_mov_b32_e32 v20, 0x3d2aabf7
	;; [unrolled: 2-line block ×3, first 2 shown]
	v_fmac_f32_e32 v19, v18, v20
	v_fma_f32 v18, v18, v19, 1.0
	v_and_b32_e32 v19, 1, v16
	v_lshlrev_b32_e32 v16, 30, v16
	v_cmp_eq_u32_e32 vcc, 0, v19
	v_and_b32_e32 v16, 0x80000000, v16
	v_xor_b32_e32 v15, v15, v8
	v_cndmask_b32_e32 v17, v18, v17, vcc
	v_xor_b32_e32 v15, v15, v16
	s_movk_i32 s6, 0x1f8
	v_xor_b32_e32 v15, v15, v17
	v_mov_b32_e32 v16, 0x7fc00000
	v_cmp_class_f32_e64 vcc, v8, s6
	v_cndmask_b32_e32 v8, v16, v15, vcc
	v_mul_f32_e32 v8, v8, v8
	s_mov_b32 s8, 0xc11de9e7
	v_div_scale_f32 v15, s[6:7], v8, v8, s8
	v_div_scale_f32 v16, vcc, s8, v8, s8
	v_sub_f32_e32 v10, 1.0, v10
	v_rcp_f32_e32 v17, v15
	v_fma_f32 v18, -v15, v17, 1.0
	v_fmac_f32_e32 v17, v18, v17
	v_mul_f32_e32 v18, v16, v17
	v_fma_f32 v19, -v15, v18, v16
	v_fmac_f32_e32 v18, v19, v17
	v_fma_f32 v15, -v15, v18, v16
	v_div_fmas_f32 v15, v15, v17, v18
	v_div_fixup_f32 v8, v15, v8, s8
	v_add_f32_e32 v15, 0, v8
	v_mov_b32_e32 v8, -1.0
.LBB58_71:
	s_or_b64 exec, exec, s[14:15]
	v_mul_f32_e32 v16, v10, v10
	v_div_scale_f32 v17, s[6:7], v16, v16, 1.0
	v_add_f32_e32 v10, 1.0, v10
	v_rcp_f32_e32 v18, v17
	v_fma_f32 v19, -v17, v18, 1.0
	v_fmac_f32_e32 v18, v19, v18
	v_div_scale_f32 v19, vcc, 1.0, v16, 1.0
	v_mul_f32_e32 v20, v19, v18
	v_fma_f32 v21, -v17, v20, v19
	v_fmac_f32_e32 v20, v21, v18
	v_fma_f32 v17, -v17, v20, v19
	v_div_fmas_f32 v17, v17, v18, v20
	v_div_fixup_f32 v16, v17, v16, 1.0
	v_add_f32_e32 v15, v15, v16
	v_mul_f32_e32 v16, v10, v10
	v_div_scale_f32 v17, s[6:7], v16, v16, 1.0
	v_add_f32_e32 v10, 1.0, v10
	v_rcp_f32_e32 v18, v17
	v_fma_f32 v19, -v17, v18, 1.0
	v_fmac_f32_e32 v18, v19, v18
	v_div_scale_f32 v19, vcc, 1.0, v16, 1.0
	v_mul_f32_e32 v20, v19, v18
	v_fma_f32 v21, -v17, v20, v19
	v_fmac_f32_e32 v20, v21, v18
	v_fma_f32 v17, -v17, v20, v19
	v_div_fmas_f32 v17, v17, v18, v20
	v_div_fixup_f32 v16, v17, v16, 1.0
	v_add_f32_e32 v15, v15, v16
	v_mul_f32_e32 v16, v10, v10
	v_div_scale_f32 v17, s[6:7], v16, v16, 1.0
	v_add_f32_e32 v10, 1.0, v10
	v_rcp_f32_e32 v18, v17
	v_fma_f32 v19, -v17, v18, 1.0
	v_fmac_f32_e32 v18, v19, v18
	v_div_scale_f32 v19, vcc, 1.0, v16, 1.0
	v_mul_f32_e32 v20, v19, v18
	v_fma_f32 v21, -v17, v20, v19
	v_fmac_f32_e32 v20, v21, v18
	v_fma_f32 v17, -v17, v20, v19
	v_div_fmas_f32 v17, v17, v18, v20
	v_div_fixup_f32 v16, v17, v16, 1.0
	v_add_f32_e32 v15, v15, v16
	v_mul_f32_e32 v16, v10, v10
	v_div_scale_f32 v17, s[6:7], v16, v16, 1.0
	v_add_f32_e32 v10, 1.0, v10
	v_rcp_f32_e32 v18, v17
	v_fma_f32 v19, -v17, v18, 1.0
	v_fmac_f32_e32 v18, v19, v18
	v_div_scale_f32 v19, vcc, 1.0, v16, 1.0
	v_mul_f32_e32 v20, v19, v18
	v_fma_f32 v21, -v17, v20, v19
	v_fmac_f32_e32 v20, v21, v18
	v_fma_f32 v17, -v17, v20, v19
	v_div_fmas_f32 v17, v17, v18, v20
	v_div_fixup_f32 v16, v17, v16, 1.0
	v_add_f32_e32 v15, v15, v16
	v_mul_f32_e32 v16, v10, v10
	v_div_scale_f32 v17, s[6:7], v16, v16, 1.0
	v_add_f32_e32 v10, 1.0, v10
	v_rcp_f32_e32 v18, v17
	v_fma_f32 v19, -v17, v18, 1.0
	v_fmac_f32_e32 v18, v19, v18
	v_div_scale_f32 v19, vcc, 1.0, v16, 1.0
	v_mul_f32_e32 v20, v19, v18
	v_fma_f32 v21, -v17, v20, v19
	v_fmac_f32_e32 v20, v21, v18
	v_fma_f32 v17, -v17, v20, v19
	v_div_fmas_f32 v17, v17, v18, v20
	v_div_fixup_f32 v16, v17, v16, 1.0
	v_add_f32_e32 v15, v15, v16
	v_mul_f32_e32 v16, v10, v10
	v_div_scale_f32 v17, s[6:7], v16, v16, 1.0
	v_add_f32_e32 v10, 1.0, v10
	v_rcp_f32_e32 v18, v17
	v_fma_f32 v19, -v17, v18, 1.0
	v_fmac_f32_e32 v18, v19, v18
	v_div_scale_f32 v19, vcc, 1.0, v16, 1.0
	v_mul_f32_e32 v20, v19, v18
	v_fma_f32 v21, -v17, v20, v19
	v_fmac_f32_e32 v20, v21, v18
	v_fma_f32 v17, -v17, v20, v19
	v_div_fmas_f32 v17, v17, v18, v20
	v_div_fixup_f32 v16, v17, v16, 1.0
	v_add_f32_e32 v15, v15, v16
	v_mul_f32_e32 v16, v10, v10
	v_div_scale_f32 v17, s[6:7], v16, v16, 1.0
	v_rcp_f32_e32 v18, v17
	v_fma_f32 v19, -v17, v18, 1.0
	v_fmac_f32_e32 v18, v19, v18
	v_div_scale_f32 v19, vcc, 1.0, v16, 1.0
	v_mul_f32_e32 v20, v19, v18
	v_fma_f32 v21, -v17, v20, v19
	v_fmac_f32_e32 v20, v21, v18
	v_fma_f32 v17, -v17, v20, v19
	v_div_fmas_f32 v17, v17, v18, v20
	v_div_fixup_f32 v16, v17, v16, 1.0
	v_add_f32_e32 v17, v10, v10
	v_div_scale_f32 v18, s[6:7], v17, v17, 1.0
	s_mov_b32 s6, 0x3e2aaaab
	v_rcp_f32_e32 v19, v18
	v_fma_f32 v20, -v18, v19, 1.0
	v_fmac_f32_e32 v19, v20, v19
	v_div_scale_f32 v20, vcc, 1.0, v17, 1.0
	v_mul_f32_e32 v21, v20, v19
	v_fma_f32 v22, -v18, v21, v20
	v_fmac_f32_e32 v21, v22, v19
	v_fma_f32 v18, -v18, v21, v20
	v_div_fmas_f32 v18, v18, v19, v21
	v_div_fixup_f32 v17, v18, v17, 1.0
	v_mov_b32_e32 v18, 0x3d088889
	v_fmac_f32_e32 v18, 0xbcc30c31, v16
	v_add_f32_e32 v17, 1.0, v17
	v_fma_f32 v18, -v16, v18, s6
	v_fmac_f32_e32 v17, v16, v18
	v_div_scale_f32 v16, s[6:7], v10, v10, v17
	v_rcp_f32_e32 v18, v16
	v_fma_f32 v19, -v16, v18, 1.0
	v_fmac_f32_e32 v18, v19, v18
	v_div_scale_f32 v19, vcc, v17, v10, v17
	v_mul_f32_e32 v20, v19, v18
	v_fma_f32 v21, -v16, v20, v19
	v_fmac_f32_e32 v20, v21, v18
	v_fma_f32 v16, -v16, v20, v19
	v_div_fmas_f32 v16, v16, v18, v20
	v_div_fixup_f32 v10, v16, v10, v17
	v_add_f32_e32 v10, v15, v10
	v_fma_mixlo_f16 v10, v8, v10, 0
.LBB58_72:
	s_or_b64 exec, exec, s[12:13]
	v_add_u32_e32 v8, 0x700, v7
	v_cmp_lt_i32_e32 vcc, v8, v4
                                        ; implicit-def: $vgpr8
	s_and_saveexec_b64 s[12:13], vcc
	s_cbranch_execnz .LBB58_82
; %bb.73:
	s_or_b64 exec, exec, s[12:13]
	s_and_saveexec_b64 s[6:7], s[4:5]
	s_xor_b64 s[4:5], exec, s[6:7]
	s_cbranch_execnz .LBB58_89
.LBB58_74:
	s_or_b64 exec, exec, s[4:5]
	v_cmp_lt_i32_e32 vcc, v7, v4
	s_and_saveexec_b64 s[4:5], vcc
	s_cbranch_execnz .LBB58_90
.LBB58_75:
	s_or_b64 exec, exec, s[4:5]
	v_cmp_lt_i32_e32 vcc, v7, v4
	s_and_saveexec_b64 s[4:5], vcc
	s_cbranch_execnz .LBB58_91
.LBB58_76:
	s_or_b64 exec, exec, s[4:5]
	v_cmp_lt_i32_e32 vcc, v7, v4
	s_and_saveexec_b64 s[4:5], vcc
	s_cbranch_execnz .LBB58_92
.LBB58_77:
	s_or_b64 exec, exec, s[4:5]
	v_cmp_lt_i32_e32 vcc, v7, v4
	s_and_saveexec_b64 s[4:5], vcc
	s_cbranch_execnz .LBB58_93
.LBB58_78:
	s_or_b64 exec, exec, s[4:5]
	v_cmp_lt_i32_e32 vcc, v7, v4
	s_and_saveexec_b64 s[4:5], vcc
	s_cbranch_execnz .LBB58_94
.LBB58_79:
	s_or_b64 exec, exec, s[4:5]
	v_cmp_lt_i32_e32 vcc, v7, v4
	s_and_saveexec_b64 s[4:5], vcc
	s_cbranch_execnz .LBB58_95
.LBB58_80:
	s_or_b64 exec, exec, s[4:5]
	v_cmp_lt_i32_e32 vcc, v7, v4
	s_and_saveexec_b64 s[4:5], vcc
	s_cbranch_execnz .LBB58_96
.LBB58_81:
	s_or_b64 exec, exec, s[4:5]
	s_waitcnt vmcnt(0) lgkmcnt(0)
	s_setpc_b64 s[30:31]
.LBB58_82:
	v_cvt_f32_f16_e32 v8, v6
	v_cmp_gt_f16_e32 vcc, 0.5, v6
	v_mov_b32_e32 v15, 0
	v_mov_b32_e32 v6, 1.0
	s_and_saveexec_b64 s[14:15], vcc
	s_cbranch_execz .LBB58_88
; %bb.83:
	v_mul_f32_e32 v6, 0x40490fdb, v8
	s_brev_b32 s6, 18
	v_and_b32_e32 v15, 0x7fffffff, v6
	v_cmp_nlt_f32_e64 s[6:7], |v6|, s6
                                        ; implicit-def: $vgpr16
                                        ; implicit-def: $vgpr17
	s_and_saveexec_b64 s[8:9], s[6:7]
	s_xor_b64 s[16:17], exec, s[8:9]
	s_cbranch_execz .LBB58_85
; %bb.84:
	v_and_b32_e32 v16, 0x7fffff, v15
	v_or_b32_e32 v25, 0x800000, v16
	s_mov_b32 s6, 0xfe5163ab
	v_mad_u64_u32 v[16:17], s[6:7], v25, s6, 0
	v_mov_b32_e32 v18, 0
	s_mov_b32 s6, 0x3c439041
	v_mad_u64_u32 v[19:20], s[6:7], v25, s6, v[17:18]
	s_mov_b32 s6, 0xdb629599
	v_not_b32_e32 v24, 63
	v_mov_b32_e32 v17, v20
	v_mad_u64_u32 v[20:21], s[6:7], v25, s6, v[17:18]
	s_mov_b32 s6, 0xf534ddc0
	v_not_b32_e32 v27, 31
	v_mov_b32_e32 v17, v21
	v_mad_u64_u32 v[21:22], s[6:7], v25, s6, v[17:18]
	v_lshrrev_b32_e32 v17, 23, v15
	v_add_u32_e32 v26, 0xffffff88, v17
	v_mov_b32_e32 v17, v22
	s_mov_b32 s6, 0xfc2757d1
	v_mad_u64_u32 v[22:23], s[6:7], v25, s6, v[17:18]
	v_cmp_lt_u32_e32 vcc, 63, v26
	v_cndmask_b32_e32 v17, 0, v24, vcc
	v_add_u32_e32 v26, v17, v26
	v_mov_b32_e32 v17, v23
	s_mov_b32 s6, 0x4e441529
	v_mad_u64_u32 v[23:24], s[6:7], v25, s6, v[17:18]
	v_cmp_lt_u32_e64 s[6:7], 31, v26
	v_cndmask_b32_e64 v17, 0, v27, s[6:7]
	v_add_u32_e32 v26, v17, v26
	v_mov_b32_e32 v17, v24
	s_mov_b32 s8, 0xa2f9836e
	v_mad_u64_u32 v[17:18], s[8:9], v25, s8, v[17:18]
	v_cmp_lt_u32_e64 s[8:9], 31, v26
	v_cndmask_b32_e64 v24, 0, v27, s[8:9]
	v_cndmask_b32_e32 v25, v23, v21, vcc
	v_cndmask_b32_e32 v17, v17, v22, vcc
	;; [unrolled: 1-line block ×3, first 2 shown]
	v_add_u32_e32 v24, v24, v26
	v_cndmask_b32_e64 v26, v17, v25, s[6:7]
	v_cndmask_b32_e64 v17, v18, v17, s[6:7]
	v_cndmask_b32_e32 v18, v22, v20, vcc
	v_cndmask_b32_e64 v22, v25, v18, s[6:7]
	v_cndmask_b32_e64 v17, v17, v26, s[8:9]
	v_cndmask_b32_e64 v23, v26, v22, s[8:9]
	v_sub_u32_e32 v25, 32, v24
	v_alignbit_b32 v26, v17, v23, v25
	v_cmp_eq_u32_e64 s[10:11], 0, v24
	v_cndmask_b32_e64 v24, v26, v17, s[10:11]
	v_cndmask_b32_e32 v17, v21, v19, vcc
	v_cndmask_b32_e64 v18, v18, v17, s[6:7]
	v_cndmask_b32_e64 v19, v22, v18, s[8:9]
	v_alignbit_b32 v21, v23, v19, v25
	v_cndmask_b32_e32 v16, v20, v16, vcc
	v_cndmask_b32_e64 v21, v21, v23, s[10:11]
	v_bfe_u32 v26, v24, 29, 1
	v_cndmask_b32_e64 v16, v17, v16, s[6:7]
	v_alignbit_b32 v22, v24, v21, 30
	v_sub_u32_e32 v27, 0, v26
	v_cndmask_b32_e64 v16, v18, v16, s[8:9]
	v_xor_b32_e32 v22, v22, v27
	v_alignbit_b32 v17, v19, v16, v25
	v_cndmask_b32_e64 v17, v17, v19, s[10:11]
	v_ffbh_u32_e32 v19, v22
	v_alignbit_b32 v18, v21, v17, 30
	v_min_u32_e32 v19, 32, v19
	v_alignbit_b32 v16, v17, v16, 30
	v_xor_b32_e32 v18, v18, v27
	v_sub_u32_e32 v20, 31, v19
	v_xor_b32_e32 v16, v16, v27
	v_alignbit_b32 v21, v22, v18, v20
	v_alignbit_b32 v16, v18, v16, v20
	;; [unrolled: 1-line block ×3, first 2 shown]
	v_ffbh_u32_e32 v18, v17
	v_min_u32_e32 v18, 32, v18
	v_lshrrev_b32_e32 v23, 29, v24
	v_not_b32_e32 v20, v18
	v_alignbit_b32 v16, v17, v16, v20
	v_lshlrev_b32_e32 v17, 31, v23
	v_or_b32_e32 v20, 0x33000000, v17
	v_add_lshl_u32 v18, v18, v19, 23
	v_lshrrev_b32_e32 v16, 9, v16
	v_sub_u32_e32 v18, v20, v18
	v_or_b32_e32 v17, 0.5, v17
	v_lshlrev_b32_e32 v19, 23, v19
	v_or_b32_e32 v16, v18, v16
	v_lshrrev_b32_e32 v18, 9, v21
	v_sub_u32_e32 v17, v17, v19
	v_or_b32_e32 v17, v18, v17
	s_mov_b32 s6, 0x3fc90fda
	v_mul_f32_e32 v18, 0x3fc90fda, v17
	v_fma_f32 v19, v17, s6, -v18
	v_fmac_f32_e32 v19, 0x33a22168, v17
	v_fmac_f32_e32 v19, 0x3fc90fda, v16
	v_lshrrev_b32_e32 v16, 30, v24
	v_add_f32_e32 v17, v18, v19
	v_add_u32_e32 v16, v26, v16
.LBB58_85:
	s_andn2_saveexec_b64 s[6:7], s[16:17]
	s_cbranch_execz .LBB58_87
; %bb.86:
	s_mov_b32 s8, 0x3f22f983
	v_mul_f32_e64 v16, |v6|, s8
	v_rndne_f32_e32 v18, v16
	s_mov_b32 s8, 0xbfc90fda
	v_cvt_i32_f32_e32 v16, v18
	v_fma_f32 v17, v18, s8, |v6|
	v_fmac_f32_e32 v17, 0xb3a22168, v18
	v_fmac_f32_e32 v17, 0xa7c234c4, v18
.LBB58_87:
	s_or_b64 exec, exec, s[6:7]
	v_mul_f32_e32 v18, v17, v17
	v_mov_b32_e32 v19, 0x3c0881c4
	v_fmac_f32_e32 v19, 0xb94c1982, v18
	v_mov_b32_e32 v20, 0xbe2aaa9d
	v_fmac_f32_e32 v20, v18, v19
	v_mul_f32_e32 v19, v18, v20
	v_fmac_f32_e32 v17, v17, v19
	v_mov_b32_e32 v19, 0xbab64f3b
	v_fmac_f32_e32 v19, 0x37d75334, v18
	v_mov_b32_e32 v20, 0x3d2aabf7
	;; [unrolled: 2-line block ×3, first 2 shown]
	v_fmac_f32_e32 v19, v18, v20
	v_fma_f32 v18, v18, v19, 1.0
	v_and_b32_e32 v19, 1, v16
	v_lshlrev_b32_e32 v16, 30, v16
	v_cmp_eq_u32_e32 vcc, 0, v19
	v_and_b32_e32 v16, 0x80000000, v16
	v_xor_b32_e32 v15, v15, v6
	v_cndmask_b32_e32 v17, v18, v17, vcc
	v_xor_b32_e32 v15, v15, v16
	s_movk_i32 s6, 0x1f8
	v_xor_b32_e32 v15, v15, v17
	v_mov_b32_e32 v16, 0x7fc00000
	v_cmp_class_f32_e64 vcc, v6, s6
	v_cndmask_b32_e32 v6, v16, v15, vcc
	v_mul_f32_e32 v6, v6, v6
	s_mov_b32 s8, 0xc11de9e7
	v_div_scale_f32 v15, s[6:7], v6, v6, s8
	v_div_scale_f32 v16, vcc, s8, v6, s8
	v_sub_f32_e32 v8, 1.0, v8
	v_rcp_f32_e32 v17, v15
	v_fma_f32 v18, -v15, v17, 1.0
	v_fmac_f32_e32 v17, v18, v17
	v_mul_f32_e32 v18, v16, v17
	v_fma_f32 v19, -v15, v18, v16
	v_fmac_f32_e32 v18, v19, v17
	v_fma_f32 v15, -v15, v18, v16
	v_div_fmas_f32 v15, v15, v17, v18
	v_div_fixup_f32 v6, v15, v6, s8
	v_add_f32_e32 v15, 0, v6
	v_mov_b32_e32 v6, -1.0
.LBB58_88:
	s_or_b64 exec, exec, s[14:15]
	v_mul_f32_e32 v16, v8, v8
	v_div_scale_f32 v17, s[6:7], v16, v16, 1.0
	v_add_f32_e32 v8, 1.0, v8
	v_rcp_f32_e32 v18, v17
	v_fma_f32 v19, -v17, v18, 1.0
	v_fmac_f32_e32 v18, v19, v18
	v_div_scale_f32 v19, vcc, 1.0, v16, 1.0
	v_mul_f32_e32 v20, v19, v18
	v_fma_f32 v21, -v17, v20, v19
	v_fmac_f32_e32 v20, v21, v18
	v_fma_f32 v17, -v17, v20, v19
	v_div_fmas_f32 v17, v17, v18, v20
	v_div_fixup_f32 v16, v17, v16, 1.0
	v_add_f32_e32 v15, v15, v16
	v_mul_f32_e32 v16, v8, v8
	v_div_scale_f32 v17, s[6:7], v16, v16, 1.0
	v_add_f32_e32 v8, 1.0, v8
	v_rcp_f32_e32 v18, v17
	v_fma_f32 v19, -v17, v18, 1.0
	v_fmac_f32_e32 v18, v19, v18
	v_div_scale_f32 v19, vcc, 1.0, v16, 1.0
	v_mul_f32_e32 v20, v19, v18
	v_fma_f32 v21, -v17, v20, v19
	v_fmac_f32_e32 v20, v21, v18
	v_fma_f32 v17, -v17, v20, v19
	v_div_fmas_f32 v17, v17, v18, v20
	v_div_fixup_f32 v16, v17, v16, 1.0
	v_add_f32_e32 v15, v15, v16
	;; [unrolled: 14-line block ×6, first 2 shown]
	v_mul_f32_e32 v16, v8, v8
	v_div_scale_f32 v17, s[6:7], v16, v16, 1.0
	v_rcp_f32_e32 v18, v17
	v_fma_f32 v19, -v17, v18, 1.0
	v_fmac_f32_e32 v18, v19, v18
	v_div_scale_f32 v19, vcc, 1.0, v16, 1.0
	v_mul_f32_e32 v20, v19, v18
	v_fma_f32 v21, -v17, v20, v19
	v_fmac_f32_e32 v20, v21, v18
	v_fma_f32 v17, -v17, v20, v19
	v_div_fmas_f32 v17, v17, v18, v20
	v_div_fixup_f32 v16, v17, v16, 1.0
	v_add_f32_e32 v17, v8, v8
	v_div_scale_f32 v18, s[6:7], v17, v17, 1.0
	s_mov_b32 s6, 0x3e2aaaab
	v_rcp_f32_e32 v19, v18
	v_fma_f32 v20, -v18, v19, 1.0
	v_fmac_f32_e32 v19, v20, v19
	v_div_scale_f32 v20, vcc, 1.0, v17, 1.0
	v_mul_f32_e32 v21, v20, v19
	v_fma_f32 v22, -v18, v21, v20
	v_fmac_f32_e32 v21, v22, v19
	v_fma_f32 v18, -v18, v21, v20
	v_div_fmas_f32 v18, v18, v19, v21
	v_div_fixup_f32 v17, v18, v17, 1.0
	v_mov_b32_e32 v18, 0x3d088889
	v_fmac_f32_e32 v18, 0xbcc30c31, v16
	v_add_f32_e32 v17, 1.0, v17
	v_fma_f32 v18, -v16, v18, s6
	v_fmac_f32_e32 v17, v16, v18
	v_div_scale_f32 v16, s[6:7], v8, v8, v17
	v_rcp_f32_e32 v18, v16
	v_fma_f32 v19, -v16, v18, 1.0
	v_fmac_f32_e32 v18, v19, v18
	v_div_scale_f32 v19, vcc, v17, v8, v17
	v_mul_f32_e32 v20, v19, v18
	v_fma_f32 v21, -v16, v20, v19
	v_fmac_f32_e32 v20, v21, v18
	v_fma_f32 v16, -v16, v20, v19
	v_div_fmas_f32 v16, v16, v18, v20
	v_div_fixup_f32 v8, v16, v8, v17
	v_add_f32_e32 v8, v15, v8
	v_fma_mixlo_f16 v8, v6, v8, 0
	s_or_b64 exec, exec, s[12:13]
	s_and_saveexec_b64 s[6:7], s[4:5]
	s_xor_b64 s[4:5], exec, s[6:7]
	s_cbranch_execz .LBB58_74
.LBB58_89:
	v_mov_b32_e32 v6, 0
	v_lshlrev_b64 v[5:6], 1, v[5:6]
	v_mov_b32_e32 v7, v3
	v_add_co_u32_e32 v5, vcc, v0, v5
	v_addc_co_u32_e32 v6, vcc, v1, v6, vcc
	flat_store_short v[5:6], v2
	s_or_b64 exec, exec, s[4:5]
	v_cmp_lt_i32_e32 vcc, v7, v4
	s_and_saveexec_b64 s[4:5], vcc
	s_cbranch_execz .LBB58_75
.LBB58_90:
	v_add_u32_e32 v2, s18, v7
	v_mov_b32_e32 v3, 0
	v_lshlrev_b64 v[2:3], 1, v[2:3]
	v_add_u32_e32 v7, 0x100, v7
	v_add_co_u32_e32 v2, vcc, v0, v2
	v_addc_co_u32_e32 v3, vcc, v1, v3, vcc
	flat_store_short v[2:3], v9
	s_or_b64 exec, exec, s[4:5]
	v_cmp_lt_i32_e32 vcc, v7, v4
	s_and_saveexec_b64 s[4:5], vcc
	s_cbranch_execz .LBB58_76
.LBB58_91:
	v_add_u32_e32 v2, s18, v7
	v_mov_b32_e32 v3, 0
	v_lshlrev_b64 v[2:3], 1, v[2:3]
	v_add_u32_e32 v7, 0x100, v7
	v_add_co_u32_e32 v2, vcc, v0, v2
	v_addc_co_u32_e32 v3, vcc, v1, v3, vcc
	flat_store_short v[2:3], v11
	s_or_b64 exec, exec, s[4:5]
	v_cmp_lt_i32_e32 vcc, v7, v4
	s_and_saveexec_b64 s[4:5], vcc
	s_cbranch_execz .LBB58_77
.LBB58_92:
	v_add_u32_e32 v2, s18, v7
	v_mov_b32_e32 v3, 0
	v_lshlrev_b64 v[2:3], 1, v[2:3]
	v_add_u32_e32 v7, 0x100, v7
	v_add_co_u32_e32 v2, vcc, v0, v2
	v_addc_co_u32_e32 v3, vcc, v1, v3, vcc
	flat_store_short v[2:3], v13
	s_or_b64 exec, exec, s[4:5]
	v_cmp_lt_i32_e32 vcc, v7, v4
	s_and_saveexec_b64 s[4:5], vcc
	s_cbranch_execz .LBB58_78
.LBB58_93:
	v_add_u32_e32 v2, s18, v7
	v_mov_b32_e32 v3, 0
	v_lshlrev_b64 v[2:3], 1, v[2:3]
	v_add_u32_e32 v7, 0x100, v7
	v_add_co_u32_e32 v2, vcc, v0, v2
	v_addc_co_u32_e32 v3, vcc, v1, v3, vcc
	flat_store_short v[2:3], v14
	s_or_b64 exec, exec, s[4:5]
	v_cmp_lt_i32_e32 vcc, v7, v4
	s_and_saveexec_b64 s[4:5], vcc
	s_cbranch_execz .LBB58_79
.LBB58_94:
	v_add_u32_e32 v2, s18, v7
	v_mov_b32_e32 v3, 0
	v_lshlrev_b64 v[2:3], 1, v[2:3]
	v_add_u32_e32 v7, 0x100, v7
	v_add_co_u32_e32 v2, vcc, v0, v2
	v_addc_co_u32_e32 v3, vcc, v1, v3, vcc
	flat_store_short v[2:3], v12
	s_or_b64 exec, exec, s[4:5]
	v_cmp_lt_i32_e32 vcc, v7, v4
	s_and_saveexec_b64 s[4:5], vcc
	s_cbranch_execz .LBB58_80
.LBB58_95:
	v_add_u32_e32 v2, s18, v7
	v_mov_b32_e32 v3, 0
	v_lshlrev_b64 v[2:3], 1, v[2:3]
	v_add_u32_e32 v7, 0x100, v7
	v_add_co_u32_e32 v2, vcc, v0, v2
	v_addc_co_u32_e32 v3, vcc, v1, v3, vcc
	flat_store_short v[2:3], v10
	s_or_b64 exec, exec, s[4:5]
	v_cmp_lt_i32_e32 vcc, v7, v4
	s_and_saveexec_b64 s[4:5], vcc
	s_cbranch_execz .LBB58_81
.LBB58_96:
	v_add_u32_e32 v2, s18, v7
	v_mov_b32_e32 v3, 0
	v_lshlrev_b64 v[2:3], 1, v[2:3]
	v_add_co_u32_e32 v0, vcc, v0, v2
	v_addc_co_u32_e32 v1, vcc, v1, v3, vcc
	flat_store_short v[0:1], v8
	s_or_b64 exec, exec, s[4:5]
	s_waitcnt vmcnt(0) lgkmcnt(0)
	s_setpc_b64 s[30:31]
.Lfunc_end58:
	.size	_ZN2at6native25elementwise_kernel_helperILb0EZZZNS0_20trigamma_kernel_cudaERNS_18TensorIteratorBaseEENKUlvE_clEvENKUlvE1_clEvEUlN3c104HalfEE_NS0_6memory8policies11unroll_baseILi256ESt5arrayIPcLm2EE23TrivialOffsetCalculatorILi1EjESG_NS9_15LoadWithoutCastENS9_16StoreWithoutCastELi8ELi1EEEEEvT0_T1_, .Lfunc_end58-_ZN2at6native25elementwise_kernel_helperILb0EZZZNS0_20trigamma_kernel_cudaERNS_18TensorIteratorBaseEENKUlvE_clEvENKUlvE1_clEvEUlN3c104HalfEE_NS0_6memory8policies11unroll_baseILi256ESt5arrayIPcLm2EE23TrivialOffsetCalculatorILi1EjESG_NS9_15LoadWithoutCastENS9_16StoreWithoutCastELi8ELi1EEEEEvT0_T1_
                                        ; -- End function
	.set .L_ZN2at6native25elementwise_kernel_helperILb0EZZZNS0_20trigamma_kernel_cudaERNS_18TensorIteratorBaseEENKUlvE_clEvENKUlvE1_clEvEUlN3c104HalfEE_NS0_6memory8policies11unroll_baseILi256ESt5arrayIPcLm2EE23TrivialOffsetCalculatorILi1EjESG_NS9_15LoadWithoutCastENS9_16StoreWithoutCastELi8ELi1EEEEEvT0_T1_.num_vgpr, 32
	.set .L_ZN2at6native25elementwise_kernel_helperILb0EZZZNS0_20trigamma_kernel_cudaERNS_18TensorIteratorBaseEENKUlvE_clEvENKUlvE1_clEvEUlN3c104HalfEE_NS0_6memory8policies11unroll_baseILi256ESt5arrayIPcLm2EE23TrivialOffsetCalculatorILi1EjESG_NS9_15LoadWithoutCastENS9_16StoreWithoutCastELi8ELi1EEEEEvT0_T1_.num_agpr, 0
	.set .L_ZN2at6native25elementwise_kernel_helperILb0EZZZNS0_20trigamma_kernel_cudaERNS_18TensorIteratorBaseEENKUlvE_clEvENKUlvE1_clEvEUlN3c104HalfEE_NS0_6memory8policies11unroll_baseILi256ESt5arrayIPcLm2EE23TrivialOffsetCalculatorILi1EjESG_NS9_15LoadWithoutCastENS9_16StoreWithoutCastELi8ELi1EEEEEvT0_T1_.numbered_sgpr, 32
	.set .L_ZN2at6native25elementwise_kernel_helperILb0EZZZNS0_20trigamma_kernel_cudaERNS_18TensorIteratorBaseEENKUlvE_clEvENKUlvE1_clEvEUlN3c104HalfEE_NS0_6memory8policies11unroll_baseILi256ESt5arrayIPcLm2EE23TrivialOffsetCalculatorILi1EjESG_NS9_15LoadWithoutCastENS9_16StoreWithoutCastELi8ELi1EEEEEvT0_T1_.num_named_barrier, 0
	.set .L_ZN2at6native25elementwise_kernel_helperILb0EZZZNS0_20trigamma_kernel_cudaERNS_18TensorIteratorBaseEENKUlvE_clEvENKUlvE1_clEvEUlN3c104HalfEE_NS0_6memory8policies11unroll_baseILi256ESt5arrayIPcLm2EE23TrivialOffsetCalculatorILi1EjESG_NS9_15LoadWithoutCastENS9_16StoreWithoutCastELi8ELi1EEEEEvT0_T1_.private_seg_size, 0
	.set .L_ZN2at6native25elementwise_kernel_helperILb0EZZZNS0_20trigamma_kernel_cudaERNS_18TensorIteratorBaseEENKUlvE_clEvENKUlvE1_clEvEUlN3c104HalfEE_NS0_6memory8policies11unroll_baseILi256ESt5arrayIPcLm2EE23TrivialOffsetCalculatorILi1EjESG_NS9_15LoadWithoutCastENS9_16StoreWithoutCastELi8ELi1EEEEEvT0_T1_.uses_vcc, 1
	.set .L_ZN2at6native25elementwise_kernel_helperILb0EZZZNS0_20trigamma_kernel_cudaERNS_18TensorIteratorBaseEENKUlvE_clEvENKUlvE1_clEvEUlN3c104HalfEE_NS0_6memory8policies11unroll_baseILi256ESt5arrayIPcLm2EE23TrivialOffsetCalculatorILi1EjESG_NS9_15LoadWithoutCastENS9_16StoreWithoutCastELi8ELi1EEEEEvT0_T1_.uses_flat_scratch, 0
	.set .L_ZN2at6native25elementwise_kernel_helperILb0EZZZNS0_20trigamma_kernel_cudaERNS_18TensorIteratorBaseEENKUlvE_clEvENKUlvE1_clEvEUlN3c104HalfEE_NS0_6memory8policies11unroll_baseILi256ESt5arrayIPcLm2EE23TrivialOffsetCalculatorILi1EjESG_NS9_15LoadWithoutCastENS9_16StoreWithoutCastELi8ELi1EEEEEvT0_T1_.has_dyn_sized_stack, 0
	.set .L_ZN2at6native25elementwise_kernel_helperILb0EZZZNS0_20trigamma_kernel_cudaERNS_18TensorIteratorBaseEENKUlvE_clEvENKUlvE1_clEvEUlN3c104HalfEE_NS0_6memory8policies11unroll_baseILi256ESt5arrayIPcLm2EE23TrivialOffsetCalculatorILi1EjESG_NS9_15LoadWithoutCastENS9_16StoreWithoutCastELi8ELi1EEEEEvT0_T1_.has_recursion, 0
	.set .L_ZN2at6native25elementwise_kernel_helperILb0EZZZNS0_20trigamma_kernel_cudaERNS_18TensorIteratorBaseEENKUlvE_clEvENKUlvE1_clEvEUlN3c104HalfEE_NS0_6memory8policies11unroll_baseILi256ESt5arrayIPcLm2EE23TrivialOffsetCalculatorILi1EjESG_NS9_15LoadWithoutCastENS9_16StoreWithoutCastELi8ELi1EEEEEvT0_T1_.has_indirect_call, 0
	.section	.AMDGPU.csdata,"",@progbits
; Function info:
; codeLenInByte = 15316
; TotalNumSgprs: 36
; NumVgprs: 32
; ScratchSize: 0
; MemoryBound: 0
	.text
	.p2align	2                               ; -- Begin function _ZN2at6native25elementwise_kernel_helperILb0EZZZNS0_20trigamma_kernel_cudaERNS_18TensorIteratorBaseEENKUlvE_clEvENKUlvE1_clEvEUlN3c104HalfEE_NS0_6memory8policies10vectorizedILi8ESt5arrayIPcLm2EELi8EEEEEvT0_T1_
	.type	_ZN2at6native25elementwise_kernel_helperILb0EZZZNS0_20trigamma_kernel_cudaERNS_18TensorIteratorBaseEENKUlvE_clEvENKUlvE1_clEvEUlN3c104HalfEE_NS0_6memory8policies10vectorizedILi8ESt5arrayIPcLm2EELi8EEEEEvT0_T1_,@function
_ZN2at6native25elementwise_kernel_helperILb0EZZZNS0_20trigamma_kernel_cudaERNS_18TensorIteratorBaseEENKUlvE_clEvENKUlvE1_clEvEUlN3c104HalfEE_NS0_6memory8policies10vectorizedILi8ESt5arrayIPcLm2EELi8EEEEEvT0_T1_: ; @_ZN2at6native25elementwise_kernel_helperILb0EZZZNS0_20trigamma_kernel_cudaERNS_18TensorIteratorBaseEENKUlvE_clEvENKUlvE1_clEvEUlN3c104HalfEE_NS0_6memory8policies10vectorizedILi8ESt5arrayIPcLm2EELi8EEEEEvT0_T1_
; %bb.0:
	s_waitcnt vmcnt(0) expcnt(0) lgkmcnt(0)
	s_lshl_b32 s4, s12, 11
	s_ashr_i32 s5, s4, 31
	s_lshl_b64 s[10:11], s[4:5], 1
	v_mov_b32_e32 v4, s11
	v_add_co_u32_e32 v2, vcc, s10, v2
	v_addc_co_u32_e32 v3, vcc, v3, v4, vcc
	v_and_b32_e32 v4, 0x3ff, v31
	v_lshlrev_b32_e32 v6, 4, v4
	v_add_co_u32_e32 v2, vcc, v2, v6
	v_addc_co_u32_e32 v3, vcc, 0, v3, vcc
	flat_load_dwordx4 v[2:5], v[2:3]
	v_mov_b32_e32 v10, 0
	v_mov_b32_e32 v9, 1.0
	s_waitcnt vmcnt(0) lgkmcnt(0)
	v_cvt_f32_f16_e32 v8, v2
	v_cmp_gt_f16_e32 vcc, 0.5, v2
	s_and_saveexec_b64 s[12:13], vcc
	s_cbranch_execz .LBB59_6
; %bb.1:
	v_mul_f32_e32 v7, 0x40490fdb, v8
	s_brev_b32 s4, 18
	v_and_b32_e32 v9, 0x7fffffff, v7
	v_cmp_nlt_f32_e64 s[4:5], |v7|, s4
                                        ; implicit-def: $vgpr10
                                        ; implicit-def: $vgpr11
	s_and_saveexec_b64 s[6:7], s[4:5]
	s_xor_b64 s[14:15], exec, s[6:7]
	s_cbranch_execz .LBB59_3
; %bb.2:
	v_and_b32_e32 v10, 0x7fffff, v9
	v_or_b32_e32 v19, 0x800000, v10
	s_mov_b32 s4, 0xfe5163ab
	v_mad_u64_u32 v[10:11], s[4:5], v19, s4, 0
	v_mov_b32_e32 v12, 0
	s_mov_b32 s4, 0x3c439041
	v_mad_u64_u32 v[13:14], s[4:5], v19, s4, v[11:12]
	s_mov_b32 s4, 0xdb629599
	v_not_b32_e32 v18, 63
	v_mov_b32_e32 v11, v14
	v_mad_u64_u32 v[14:15], s[4:5], v19, s4, v[11:12]
	s_mov_b32 s4, 0xf534ddc0
	v_not_b32_e32 v21, 31
	v_mov_b32_e32 v11, v15
	v_mad_u64_u32 v[15:16], s[4:5], v19, s4, v[11:12]
	v_lshrrev_b32_e32 v11, 23, v9
	v_add_u32_e32 v20, 0xffffff88, v11
	v_mov_b32_e32 v11, v16
	s_mov_b32 s4, 0xfc2757d1
	v_mad_u64_u32 v[16:17], s[4:5], v19, s4, v[11:12]
	v_cmp_lt_u32_e32 vcc, 63, v20
	v_cndmask_b32_e32 v11, 0, v18, vcc
	v_add_u32_e32 v20, v11, v20
	v_mov_b32_e32 v11, v17
	s_mov_b32 s4, 0x4e441529
	v_mad_u64_u32 v[17:18], s[4:5], v19, s4, v[11:12]
	v_cmp_lt_u32_e64 s[4:5], 31, v20
	v_cndmask_b32_e64 v11, 0, v21, s[4:5]
	v_add_u32_e32 v20, v11, v20
	v_mov_b32_e32 v11, v18
	s_mov_b32 s6, 0xa2f9836e
	v_mad_u64_u32 v[11:12], s[6:7], v19, s6, v[11:12]
	v_cmp_lt_u32_e64 s[6:7], 31, v20
	v_cndmask_b32_e64 v18, 0, v21, s[6:7]
	v_cndmask_b32_e32 v19, v17, v15, vcc
	v_cndmask_b32_e32 v11, v11, v16, vcc
	;; [unrolled: 1-line block ×3, first 2 shown]
	v_add_u32_e32 v18, v18, v20
	v_cndmask_b32_e64 v20, v11, v19, s[4:5]
	v_cndmask_b32_e64 v11, v12, v11, s[4:5]
	v_cndmask_b32_e32 v12, v16, v14, vcc
	v_cndmask_b32_e64 v16, v19, v12, s[4:5]
	v_cndmask_b32_e64 v11, v11, v20, s[6:7]
	;; [unrolled: 1-line block ×3, first 2 shown]
	v_sub_u32_e32 v19, 32, v18
	v_alignbit_b32 v20, v11, v17, v19
	v_cmp_eq_u32_e64 s[8:9], 0, v18
	v_cndmask_b32_e64 v18, v20, v11, s[8:9]
	v_cndmask_b32_e32 v11, v15, v13, vcc
	v_cndmask_b32_e64 v12, v12, v11, s[4:5]
	v_cndmask_b32_e64 v13, v16, v12, s[6:7]
	v_alignbit_b32 v15, v17, v13, v19
	v_cndmask_b32_e32 v10, v14, v10, vcc
	v_cndmask_b32_e64 v15, v15, v17, s[8:9]
	v_bfe_u32 v20, v18, 29, 1
	v_cndmask_b32_e64 v10, v11, v10, s[4:5]
	v_alignbit_b32 v16, v18, v15, 30
	v_sub_u32_e32 v21, 0, v20
	v_cndmask_b32_e64 v10, v12, v10, s[6:7]
	v_xor_b32_e32 v16, v16, v21
	v_alignbit_b32 v11, v13, v10, v19
	v_cndmask_b32_e64 v11, v11, v13, s[8:9]
	v_ffbh_u32_e32 v13, v16
	v_alignbit_b32 v12, v15, v11, 30
	v_min_u32_e32 v13, 32, v13
	v_alignbit_b32 v10, v11, v10, 30
	v_xor_b32_e32 v12, v12, v21
	v_sub_u32_e32 v14, 31, v13
	v_xor_b32_e32 v10, v10, v21
	v_alignbit_b32 v15, v16, v12, v14
	v_alignbit_b32 v10, v12, v10, v14
	;; [unrolled: 1-line block ×3, first 2 shown]
	v_ffbh_u32_e32 v12, v11
	v_min_u32_e32 v12, 32, v12
	v_lshrrev_b32_e32 v17, 29, v18
	v_not_b32_e32 v14, v12
	v_alignbit_b32 v10, v11, v10, v14
	v_lshlrev_b32_e32 v11, 31, v17
	v_or_b32_e32 v14, 0x33000000, v11
	v_add_lshl_u32 v12, v12, v13, 23
	v_lshrrev_b32_e32 v10, 9, v10
	v_sub_u32_e32 v12, v14, v12
	v_or_b32_e32 v11, 0.5, v11
	v_lshlrev_b32_e32 v13, 23, v13
	v_or_b32_e32 v10, v12, v10
	v_lshrrev_b32_e32 v12, 9, v15
	v_sub_u32_e32 v11, v11, v13
	v_or_b32_e32 v11, v12, v11
	s_mov_b32 s4, 0x3fc90fda
	v_mul_f32_e32 v12, 0x3fc90fda, v11
	v_fma_f32 v13, v11, s4, -v12
	v_fmac_f32_e32 v13, 0x33a22168, v11
	v_fmac_f32_e32 v13, 0x3fc90fda, v10
	v_lshrrev_b32_e32 v10, 30, v18
	v_add_f32_e32 v11, v12, v13
	v_add_u32_e32 v10, v20, v10
.LBB59_3:
	s_andn2_saveexec_b64 s[4:5], s[14:15]
	s_cbranch_execz .LBB59_5
; %bb.4:
	s_mov_b32 s6, 0x3f22f983
	v_mul_f32_e64 v10, |v7|, s6
	v_rndne_f32_e32 v12, v10
	s_mov_b32 s6, 0xbfc90fda
	v_cvt_i32_f32_e32 v10, v12
	v_fma_f32 v11, v12, s6, |v7|
	v_fmac_f32_e32 v11, 0xb3a22168, v12
	v_fmac_f32_e32 v11, 0xa7c234c4, v12
.LBB59_5:
	s_or_b64 exec, exec, s[4:5]
	v_mul_f32_e32 v12, v11, v11
	v_mov_b32_e32 v13, 0x3c0881c4
	v_fmac_f32_e32 v13, 0xb94c1982, v12
	v_mov_b32_e32 v14, 0xbe2aaa9d
	v_fmac_f32_e32 v14, v12, v13
	v_mul_f32_e32 v13, v12, v14
	v_fmac_f32_e32 v11, v11, v13
	v_mov_b32_e32 v13, 0xbab64f3b
	v_fmac_f32_e32 v13, 0x37d75334, v12
	v_mov_b32_e32 v14, 0x3d2aabf7
	v_fmac_f32_e32 v14, v12, v13
	v_mov_b32_e32 v13, 0xbf000004
	v_fmac_f32_e32 v13, v12, v14
	v_fma_f32 v12, v12, v13, 1.0
	v_and_b32_e32 v13, 1, v10
	v_lshlrev_b32_e32 v10, 30, v10
	v_cmp_eq_u32_e32 vcc, 0, v13
	v_and_b32_e32 v10, 0x80000000, v10
	v_xor_b32_e32 v9, v9, v7
	v_cndmask_b32_e32 v11, v12, v11, vcc
	v_xor_b32_e32 v9, v9, v10
	s_movk_i32 s4, 0x1f8
	v_xor_b32_e32 v9, v9, v11
	v_mov_b32_e32 v10, 0x7fc00000
	v_cmp_class_f32_e64 vcc, v7, s4
	v_cndmask_b32_e32 v7, v10, v9, vcc
	v_mul_f32_e32 v7, v7, v7
	s_mov_b32 s6, 0xc11de9e7
	v_div_scale_f32 v9, s[4:5], v7, v7, s6
	v_div_scale_f32 v10, vcc, s6, v7, s6
	v_sub_f32_e32 v8, 1.0, v8
	v_rcp_f32_e32 v11, v9
	v_fma_f32 v12, -v9, v11, 1.0
	v_fmac_f32_e32 v11, v12, v11
	v_mul_f32_e32 v12, v10, v11
	v_fma_f32 v13, -v9, v12, v10
	v_fmac_f32_e32 v12, v13, v11
	v_fma_f32 v9, -v9, v12, v10
	v_div_fmas_f32 v9, v9, v11, v12
	v_div_fixup_f32 v7, v9, v7, s6
	v_add_f32_e32 v10, 0, v7
	v_mov_b32_e32 v9, -1.0
.LBB59_6:
	s_or_b64 exec, exec, s[12:13]
	v_cvt_f32_f16_sdwa v12, v2 dst_sel:DWORD dst_unused:UNUSED_PAD src0_sel:WORD_1
	v_mov_b32_e32 v7, 0x3800
	v_cmp_lt_f16_sdwa s[4:5], v2, v7 src0_sel:WORD_1 src1_sel:DWORD
	v_mov_b32_e32 v2, 0
	v_mov_b32_e32 v7, 1.0
	s_and_saveexec_b64 s[12:13], s[4:5]
	s_cbranch_execz .LBB59_12
; %bb.7:
	v_mul_f32_e32 v2, 0x40490fdb, v12
	s_brev_b32 s4, 18
	v_and_b32_e32 v7, 0x7fffffff, v2
	v_cmp_nlt_f32_e64 s[4:5], |v2|, s4
                                        ; implicit-def: $vgpr11
                                        ; implicit-def: $vgpr13
	s_and_saveexec_b64 s[6:7], s[4:5]
	s_xor_b64 s[14:15], exec, s[6:7]
	s_cbranch_execz .LBB59_9
; %bb.8:
	v_and_b32_e32 v11, 0x7fffff, v7
	v_or_b32_e32 v11, 0x800000, v11
	s_mov_b32 s4, 0xfe5163ab
	v_mad_u64_u32 v[13:14], s[4:5], v11, s4, 0
	v_mov_b32_e32 v15, 0
	s_mov_b32 s4, 0x3c439041
	v_mad_u64_u32 v[16:17], s[4:5], v11, s4, v[14:15]
	s_mov_b32 s4, 0xdb629599
	v_not_b32_e32 v21, 63
	v_mov_b32_e32 v14, v17
	v_mad_u64_u32 v[17:18], s[4:5], v11, s4, v[14:15]
	s_mov_b32 s4, 0xf534ddc0
	v_not_b32_e32 v23, 31
	v_mov_b32_e32 v14, v18
	v_mad_u64_u32 v[18:19], s[4:5], v11, s4, v[14:15]
	v_lshrrev_b32_e32 v14, 23, v7
	v_add_u32_e32 v22, 0xffffff88, v14
	v_mov_b32_e32 v14, v19
	s_mov_b32 s4, 0xfc2757d1
	v_mad_u64_u32 v[19:20], s[4:5], v11, s4, v[14:15]
	v_cmp_lt_u32_e32 vcc, 63, v22
	v_cndmask_b32_e32 v14, 0, v21, vcc
	v_add_u32_e32 v22, v14, v22
	v_mov_b32_e32 v14, v20
	s_mov_b32 s4, 0x4e441529
	v_mad_u64_u32 v[20:21], s[4:5], v11, s4, v[14:15]
	v_cmp_lt_u32_e64 s[4:5], 31, v22
	v_cndmask_b32_e64 v14, 0, v23, s[4:5]
	v_add_u32_e32 v22, v14, v22
	v_mov_b32_e32 v14, v21
	s_mov_b32 s6, 0xa2f9836e
	v_mad_u64_u32 v[14:15], s[6:7], v11, s6, v[14:15]
	v_cmp_lt_u32_e64 s[6:7], 31, v22
	v_cndmask_b32_e64 v11, 0, v23, s[6:7]
	v_cndmask_b32_e32 v21, v20, v18, vcc
	v_cndmask_b32_e32 v14, v14, v19, vcc
	;; [unrolled: 1-line block ×3, first 2 shown]
	v_add_u32_e32 v11, v11, v22
	v_cndmask_b32_e64 v22, v14, v21, s[4:5]
	v_cndmask_b32_e64 v14, v15, v14, s[4:5]
	v_cndmask_b32_e32 v15, v19, v17, vcc
	v_cndmask_b32_e64 v19, v21, v15, s[4:5]
	v_cndmask_b32_e64 v14, v14, v22, s[6:7]
	;; [unrolled: 1-line block ×3, first 2 shown]
	v_sub_u32_e32 v21, 32, v11
	v_alignbit_b32 v22, v14, v20, v21
	v_cmp_eq_u32_e64 s[8:9], 0, v11
	v_cndmask_b32_e64 v11, v22, v14, s[8:9]
	v_cndmask_b32_e32 v14, v18, v16, vcc
	v_cndmask_b32_e64 v15, v15, v14, s[4:5]
	v_cndmask_b32_e64 v16, v19, v15, s[6:7]
	v_alignbit_b32 v18, v20, v16, v21
	v_cndmask_b32_e32 v13, v17, v13, vcc
	v_cndmask_b32_e64 v18, v18, v20, s[8:9]
	v_bfe_u32 v22, v11, 29, 1
	v_cndmask_b32_e64 v13, v14, v13, s[4:5]
	v_alignbit_b32 v19, v11, v18, 30
	v_sub_u32_e32 v23, 0, v22
	v_cndmask_b32_e64 v13, v15, v13, s[6:7]
	v_xor_b32_e32 v19, v19, v23
	v_alignbit_b32 v14, v16, v13, v21
	v_cndmask_b32_e64 v14, v14, v16, s[8:9]
	v_ffbh_u32_e32 v16, v19
	v_alignbit_b32 v15, v18, v14, 30
	v_min_u32_e32 v16, 32, v16
	v_alignbit_b32 v13, v14, v13, 30
	v_xor_b32_e32 v15, v15, v23
	v_sub_u32_e32 v17, 31, v16
	v_xor_b32_e32 v13, v13, v23
	v_alignbit_b32 v18, v19, v15, v17
	v_alignbit_b32 v13, v15, v13, v17
	v_alignbit_b32 v14, v18, v13, 9
	v_ffbh_u32_e32 v15, v14
	v_min_u32_e32 v15, 32, v15
	v_lshrrev_b32_e32 v20, 29, v11
	v_not_b32_e32 v17, v15
	v_alignbit_b32 v13, v14, v13, v17
	v_lshlrev_b32_e32 v14, 31, v20
	v_or_b32_e32 v17, 0x33000000, v14
	v_add_lshl_u32 v15, v15, v16, 23
	v_lshrrev_b32_e32 v13, 9, v13
	v_sub_u32_e32 v15, v17, v15
	v_or_b32_e32 v14, 0.5, v14
	v_lshlrev_b32_e32 v16, 23, v16
	v_or_b32_e32 v13, v15, v13
	v_lshrrev_b32_e32 v15, 9, v18
	v_sub_u32_e32 v14, v14, v16
	v_or_b32_e32 v14, v15, v14
	s_mov_b32 s4, 0x3fc90fda
	v_mul_f32_e32 v15, 0x3fc90fda, v14
	v_fma_f32 v16, v14, s4, -v15
	v_fmac_f32_e32 v16, 0x33a22168, v14
	v_fmac_f32_e32 v16, 0x3fc90fda, v13
	v_lshrrev_b32_e32 v11, 30, v11
	v_add_f32_e32 v13, v15, v16
	v_add_u32_e32 v11, v22, v11
.LBB59_9:
	s_andn2_saveexec_b64 s[4:5], s[14:15]
	s_cbranch_execz .LBB59_11
; %bb.10:
	s_mov_b32 s6, 0x3f22f983
	v_mul_f32_e64 v11, |v2|, s6
	v_rndne_f32_e32 v14, v11
	s_mov_b32 s6, 0xbfc90fda
	v_cvt_i32_f32_e32 v11, v14
	v_fma_f32 v13, v14, s6, |v2|
	v_fmac_f32_e32 v13, 0xb3a22168, v14
	v_fmac_f32_e32 v13, 0xa7c234c4, v14
.LBB59_11:
	s_or_b64 exec, exec, s[4:5]
	v_mul_f32_e32 v14, v13, v13
	v_mov_b32_e32 v15, 0x3c0881c4
	v_fmac_f32_e32 v15, 0xb94c1982, v14
	v_mov_b32_e32 v16, 0xbe2aaa9d
	v_fmac_f32_e32 v16, v14, v15
	v_mul_f32_e32 v15, v14, v16
	v_fmac_f32_e32 v13, v13, v15
	v_mov_b32_e32 v15, 0xbab64f3b
	v_fmac_f32_e32 v15, 0x37d75334, v14
	v_mov_b32_e32 v16, 0x3d2aabf7
	;; [unrolled: 2-line block ×3, first 2 shown]
	v_fmac_f32_e32 v15, v14, v16
	v_fma_f32 v14, v14, v15, 1.0
	v_and_b32_e32 v15, 1, v11
	v_lshlrev_b32_e32 v11, 30, v11
	v_cmp_eq_u32_e32 vcc, 0, v15
	v_and_b32_e32 v11, 0x80000000, v11
	v_xor_b32_e32 v7, v7, v2
	v_cndmask_b32_e32 v13, v14, v13, vcc
	v_xor_b32_e32 v7, v7, v11
	s_movk_i32 s4, 0x1f8
	v_xor_b32_e32 v7, v7, v13
	v_mov_b32_e32 v11, 0x7fc00000
	v_cmp_class_f32_e64 vcc, v2, s4
	v_cndmask_b32_e32 v2, v11, v7, vcc
	v_mul_f32_e32 v2, v2, v2
	s_mov_b32 s6, 0xc11de9e7
	v_div_scale_f32 v7, s[4:5], v2, v2, s6
	v_div_scale_f32 v11, vcc, s6, v2, s6
	v_sub_f32_e32 v12, 1.0, v12
	v_rcp_f32_e32 v13, v7
	v_fma_f32 v14, -v7, v13, 1.0
	v_fmac_f32_e32 v13, v14, v13
	v_mul_f32_e32 v14, v11, v13
	v_fma_f32 v15, -v7, v14, v11
	v_fmac_f32_e32 v14, v15, v13
	v_fma_f32 v7, -v7, v14, v11
	v_div_fmas_f32 v7, v7, v13, v14
	v_div_fixup_f32 v2, v7, v2, s6
	v_add_f32_e32 v2, 0, v2
	v_mov_b32_e32 v7, -1.0
.LBB59_12:
	s_or_b64 exec, exec, s[12:13]
	v_cvt_f32_f16_e32 v13, v3
	v_cmp_gt_f16_e32 vcc, 0.5, v3
	v_mov_b32_e32 v16, 0
	v_mov_b32_e32 v15, 1.0
	s_and_saveexec_b64 s[12:13], vcc
	s_cbranch_execz .LBB59_18
; %bb.13:
	v_mul_f32_e32 v11, 0x40490fdb, v13
	s_brev_b32 s4, 18
	v_and_b32_e32 v14, 0x7fffffff, v11
	v_cmp_nlt_f32_e64 s[4:5], |v11|, s4
                                        ; implicit-def: $vgpr15
                                        ; implicit-def: $vgpr16
	s_and_saveexec_b64 s[6:7], s[4:5]
	s_xor_b64 s[14:15], exec, s[6:7]
	s_cbranch_execz .LBB59_15
; %bb.14:
	v_and_b32_e32 v15, 0x7fffff, v14
	v_or_b32_e32 v24, 0x800000, v15
	s_mov_b32 s4, 0xfe5163ab
	v_mad_u64_u32 v[15:16], s[4:5], v24, s4, 0
	v_mov_b32_e32 v17, 0
	s_mov_b32 s4, 0x3c439041
	v_mad_u64_u32 v[18:19], s[4:5], v24, s4, v[16:17]
	s_mov_b32 s4, 0xdb629599
	v_not_b32_e32 v23, 63
	v_mov_b32_e32 v16, v19
	v_mad_u64_u32 v[19:20], s[4:5], v24, s4, v[16:17]
	s_mov_b32 s4, 0xf534ddc0
	v_not_b32_e32 v26, 31
	v_mov_b32_e32 v16, v20
	v_mad_u64_u32 v[20:21], s[4:5], v24, s4, v[16:17]
	v_lshrrev_b32_e32 v16, 23, v14
	v_add_u32_e32 v25, 0xffffff88, v16
	v_mov_b32_e32 v16, v21
	s_mov_b32 s4, 0xfc2757d1
	v_mad_u64_u32 v[21:22], s[4:5], v24, s4, v[16:17]
	v_cmp_lt_u32_e32 vcc, 63, v25
	v_cndmask_b32_e32 v16, 0, v23, vcc
	v_add_u32_e32 v25, v16, v25
	v_mov_b32_e32 v16, v22
	s_mov_b32 s4, 0x4e441529
	v_mad_u64_u32 v[22:23], s[4:5], v24, s4, v[16:17]
	v_cmp_lt_u32_e64 s[4:5], 31, v25
	v_cndmask_b32_e64 v16, 0, v26, s[4:5]
	v_add_u32_e32 v25, v16, v25
	v_mov_b32_e32 v16, v23
	s_mov_b32 s6, 0xa2f9836e
	v_mad_u64_u32 v[16:17], s[6:7], v24, s6, v[16:17]
	v_cmp_lt_u32_e64 s[6:7], 31, v25
	v_cndmask_b32_e64 v23, 0, v26, s[6:7]
	v_cndmask_b32_e32 v24, v22, v20, vcc
	v_cndmask_b32_e32 v16, v16, v21, vcc
	;; [unrolled: 1-line block ×3, first 2 shown]
	v_add_u32_e32 v23, v23, v25
	v_cndmask_b32_e64 v25, v16, v24, s[4:5]
	v_cndmask_b32_e64 v16, v17, v16, s[4:5]
	v_cndmask_b32_e32 v17, v21, v19, vcc
	v_cndmask_b32_e64 v21, v24, v17, s[4:5]
	v_cndmask_b32_e64 v16, v16, v25, s[6:7]
	;; [unrolled: 1-line block ×3, first 2 shown]
	v_sub_u32_e32 v24, 32, v23
	v_alignbit_b32 v25, v16, v22, v24
	v_cmp_eq_u32_e64 s[8:9], 0, v23
	v_cndmask_b32_e64 v23, v25, v16, s[8:9]
	v_cndmask_b32_e32 v16, v20, v18, vcc
	v_cndmask_b32_e64 v17, v17, v16, s[4:5]
	v_cndmask_b32_e64 v18, v21, v17, s[6:7]
	v_alignbit_b32 v20, v22, v18, v24
	v_cndmask_b32_e32 v15, v19, v15, vcc
	v_cndmask_b32_e64 v20, v20, v22, s[8:9]
	v_bfe_u32 v25, v23, 29, 1
	v_cndmask_b32_e64 v15, v16, v15, s[4:5]
	v_alignbit_b32 v21, v23, v20, 30
	v_sub_u32_e32 v26, 0, v25
	v_cndmask_b32_e64 v15, v17, v15, s[6:7]
	v_xor_b32_e32 v21, v21, v26
	v_alignbit_b32 v16, v18, v15, v24
	v_cndmask_b32_e64 v16, v16, v18, s[8:9]
	v_ffbh_u32_e32 v18, v21
	v_alignbit_b32 v17, v20, v16, 30
	v_min_u32_e32 v18, 32, v18
	v_alignbit_b32 v15, v16, v15, 30
	v_xor_b32_e32 v17, v17, v26
	v_sub_u32_e32 v19, 31, v18
	v_xor_b32_e32 v15, v15, v26
	v_alignbit_b32 v20, v21, v17, v19
	v_alignbit_b32 v15, v17, v15, v19
	;; [unrolled: 1-line block ×3, first 2 shown]
	v_ffbh_u32_e32 v17, v16
	v_min_u32_e32 v17, 32, v17
	v_lshrrev_b32_e32 v22, 29, v23
	v_not_b32_e32 v19, v17
	v_alignbit_b32 v15, v16, v15, v19
	v_lshlrev_b32_e32 v16, 31, v22
	v_or_b32_e32 v19, 0x33000000, v16
	v_add_lshl_u32 v17, v17, v18, 23
	v_lshrrev_b32_e32 v15, 9, v15
	v_sub_u32_e32 v17, v19, v17
	v_or_b32_e32 v16, 0.5, v16
	v_lshlrev_b32_e32 v18, 23, v18
	v_or_b32_e32 v15, v17, v15
	v_lshrrev_b32_e32 v17, 9, v20
	v_sub_u32_e32 v16, v16, v18
	v_or_b32_e32 v16, v17, v16
	s_mov_b32 s4, 0x3fc90fda
	v_mul_f32_e32 v17, 0x3fc90fda, v16
	v_fma_f32 v18, v16, s4, -v17
	v_fmac_f32_e32 v18, 0x33a22168, v16
	v_fmac_f32_e32 v18, 0x3fc90fda, v15
	v_lshrrev_b32_e32 v15, 30, v23
	v_add_f32_e32 v16, v17, v18
	v_add_u32_e32 v15, v25, v15
.LBB59_15:
	s_andn2_saveexec_b64 s[4:5], s[14:15]
	s_cbranch_execz .LBB59_17
; %bb.16:
	s_mov_b32 s6, 0x3f22f983
	v_mul_f32_e64 v15, |v11|, s6
	v_rndne_f32_e32 v17, v15
	s_mov_b32 s6, 0xbfc90fda
	v_cvt_i32_f32_e32 v15, v17
	v_fma_f32 v16, v17, s6, |v11|
	v_fmac_f32_e32 v16, 0xb3a22168, v17
	v_fmac_f32_e32 v16, 0xa7c234c4, v17
.LBB59_17:
	s_or_b64 exec, exec, s[4:5]
	v_mul_f32_e32 v17, v16, v16
	v_mov_b32_e32 v18, 0x3c0881c4
	v_fmac_f32_e32 v18, 0xb94c1982, v17
	v_mov_b32_e32 v19, 0xbe2aaa9d
	v_fmac_f32_e32 v19, v17, v18
	v_mul_f32_e32 v18, v17, v19
	v_fmac_f32_e32 v16, v16, v18
	v_mov_b32_e32 v18, 0xbab64f3b
	v_fmac_f32_e32 v18, 0x37d75334, v17
	v_mov_b32_e32 v19, 0x3d2aabf7
	;; [unrolled: 2-line block ×3, first 2 shown]
	v_fmac_f32_e32 v18, v17, v19
	v_fma_f32 v17, v17, v18, 1.0
	v_and_b32_e32 v18, 1, v15
	v_lshlrev_b32_e32 v15, 30, v15
	v_cmp_eq_u32_e32 vcc, 0, v18
	v_and_b32_e32 v15, 0x80000000, v15
	v_xor_b32_e32 v14, v14, v11
	v_cndmask_b32_e32 v16, v17, v16, vcc
	v_xor_b32_e32 v14, v14, v15
	s_movk_i32 s4, 0x1f8
	v_xor_b32_e32 v14, v14, v16
	v_mov_b32_e32 v15, 0x7fc00000
	v_cmp_class_f32_e64 vcc, v11, s4
	v_cndmask_b32_e32 v11, v15, v14, vcc
	v_mul_f32_e32 v11, v11, v11
	s_mov_b32 s6, 0xc11de9e7
	v_div_scale_f32 v14, s[4:5], v11, v11, s6
	v_div_scale_f32 v15, vcc, s6, v11, s6
	v_sub_f32_e32 v13, 1.0, v13
	v_rcp_f32_e32 v16, v14
	v_fma_f32 v17, -v14, v16, 1.0
	v_fmac_f32_e32 v16, v17, v16
	v_mul_f32_e32 v17, v15, v16
	v_fma_f32 v18, -v14, v17, v15
	v_fmac_f32_e32 v17, v18, v16
	v_fma_f32 v14, -v14, v17, v15
	v_div_fmas_f32 v14, v14, v16, v17
	v_mov_b32_e32 v15, -1.0
	v_div_fixup_f32 v11, v14, v11, s6
	v_add_f32_e32 v16, 0, v11
.LBB59_18:
	s_or_b64 exec, exec, s[12:13]
	v_cvt_f32_f16_sdwa v17, v3 dst_sel:DWORD dst_unused:UNUSED_PAD src0_sel:WORD_1
	v_mov_b32_e32 v11, 0x3800
	v_cmp_lt_f16_sdwa s[4:5], v3, v11 src0_sel:WORD_1 src1_sel:DWORD
	v_mov_b32_e32 v3, 0
	v_mov_b32_e32 v11, 1.0
	s_and_saveexec_b64 s[12:13], s[4:5]
	s_cbranch_execz .LBB59_24
; %bb.19:
	v_mul_f32_e32 v3, 0x40490fdb, v17
	s_brev_b32 s4, 18
	v_and_b32_e32 v11, 0x7fffffff, v3
	v_cmp_nlt_f32_e64 s[4:5], |v3|, s4
                                        ; implicit-def: $vgpr14
                                        ; implicit-def: $vgpr18
	s_and_saveexec_b64 s[6:7], s[4:5]
	s_xor_b64 s[14:15], exec, s[6:7]
	s_cbranch_execz .LBB59_21
; %bb.20:
	v_and_b32_e32 v14, 0x7fffff, v11
	v_or_b32_e32 v14, 0x800000, v14
	s_mov_b32 s4, 0xfe5163ab
	v_mad_u64_u32 v[18:19], s[4:5], v14, s4, 0
	v_mov_b32_e32 v20, 0
	s_mov_b32 s4, 0x3c439041
	v_mad_u64_u32 v[21:22], s[4:5], v14, s4, v[19:20]
	s_mov_b32 s4, 0xdb629599
	v_not_b32_e32 v26, 63
	v_mov_b32_e32 v19, v22
	v_mad_u64_u32 v[22:23], s[4:5], v14, s4, v[19:20]
	s_mov_b32 s4, 0xf534ddc0
	v_not_b32_e32 v28, 31
	v_mov_b32_e32 v19, v23
	v_mad_u64_u32 v[23:24], s[4:5], v14, s4, v[19:20]
	v_lshrrev_b32_e32 v19, 23, v11
	v_add_u32_e32 v27, 0xffffff88, v19
	v_mov_b32_e32 v19, v24
	s_mov_b32 s4, 0xfc2757d1
	v_mad_u64_u32 v[24:25], s[4:5], v14, s4, v[19:20]
	v_cmp_lt_u32_e32 vcc, 63, v27
	v_cndmask_b32_e32 v19, 0, v26, vcc
	v_add_u32_e32 v27, v19, v27
	v_mov_b32_e32 v19, v25
	s_mov_b32 s4, 0x4e441529
	v_mad_u64_u32 v[25:26], s[4:5], v14, s4, v[19:20]
	v_cmp_lt_u32_e64 s[4:5], 31, v27
	v_cndmask_b32_e64 v19, 0, v28, s[4:5]
	v_add_u32_e32 v27, v19, v27
	v_mov_b32_e32 v19, v26
	s_mov_b32 s6, 0xa2f9836e
	v_mad_u64_u32 v[19:20], s[6:7], v14, s6, v[19:20]
	v_cmp_lt_u32_e64 s[6:7], 31, v27
	v_cndmask_b32_e64 v14, 0, v28, s[6:7]
	v_cndmask_b32_e32 v26, v25, v23, vcc
	v_cndmask_b32_e32 v19, v19, v24, vcc
	;; [unrolled: 1-line block ×3, first 2 shown]
	v_add_u32_e32 v14, v14, v27
	v_cndmask_b32_e64 v27, v19, v26, s[4:5]
	v_cndmask_b32_e64 v19, v20, v19, s[4:5]
	v_cndmask_b32_e32 v20, v24, v22, vcc
	v_cndmask_b32_e64 v24, v26, v20, s[4:5]
	v_cndmask_b32_e64 v19, v19, v27, s[6:7]
	;; [unrolled: 1-line block ×3, first 2 shown]
	v_sub_u32_e32 v26, 32, v14
	v_alignbit_b32 v27, v19, v25, v26
	v_cmp_eq_u32_e64 s[8:9], 0, v14
	v_cndmask_b32_e64 v14, v27, v19, s[8:9]
	v_cndmask_b32_e32 v19, v23, v21, vcc
	v_cndmask_b32_e64 v20, v20, v19, s[4:5]
	v_cndmask_b32_e64 v21, v24, v20, s[6:7]
	v_alignbit_b32 v23, v25, v21, v26
	v_cndmask_b32_e32 v18, v22, v18, vcc
	v_cndmask_b32_e64 v23, v23, v25, s[8:9]
	v_bfe_u32 v27, v14, 29, 1
	v_cndmask_b32_e64 v18, v19, v18, s[4:5]
	v_alignbit_b32 v24, v14, v23, 30
	v_sub_u32_e32 v28, 0, v27
	v_cndmask_b32_e64 v18, v20, v18, s[6:7]
	v_xor_b32_e32 v24, v24, v28
	v_alignbit_b32 v19, v21, v18, v26
	v_cndmask_b32_e64 v19, v19, v21, s[8:9]
	v_ffbh_u32_e32 v21, v24
	v_alignbit_b32 v20, v23, v19, 30
	v_min_u32_e32 v21, 32, v21
	v_alignbit_b32 v18, v19, v18, 30
	v_xor_b32_e32 v20, v20, v28
	v_sub_u32_e32 v22, 31, v21
	v_xor_b32_e32 v18, v18, v28
	v_alignbit_b32 v23, v24, v20, v22
	v_alignbit_b32 v18, v20, v18, v22
	;; [unrolled: 1-line block ×3, first 2 shown]
	v_ffbh_u32_e32 v20, v19
	v_min_u32_e32 v20, 32, v20
	v_lshrrev_b32_e32 v25, 29, v14
	v_not_b32_e32 v22, v20
	v_alignbit_b32 v18, v19, v18, v22
	v_lshlrev_b32_e32 v19, 31, v25
	v_or_b32_e32 v22, 0x33000000, v19
	v_add_lshl_u32 v20, v20, v21, 23
	v_lshrrev_b32_e32 v18, 9, v18
	v_sub_u32_e32 v20, v22, v20
	v_or_b32_e32 v19, 0.5, v19
	v_lshlrev_b32_e32 v21, 23, v21
	v_or_b32_e32 v18, v20, v18
	v_lshrrev_b32_e32 v20, 9, v23
	v_sub_u32_e32 v19, v19, v21
	v_or_b32_e32 v19, v20, v19
	s_mov_b32 s4, 0x3fc90fda
	v_mul_f32_e32 v20, 0x3fc90fda, v19
	v_fma_f32 v21, v19, s4, -v20
	v_fmac_f32_e32 v21, 0x33a22168, v19
	v_fmac_f32_e32 v21, 0x3fc90fda, v18
	v_lshrrev_b32_e32 v14, 30, v14
	v_add_f32_e32 v18, v20, v21
	v_add_u32_e32 v14, v27, v14
.LBB59_21:
	s_andn2_saveexec_b64 s[4:5], s[14:15]
	s_cbranch_execz .LBB59_23
; %bb.22:
	s_mov_b32 s6, 0x3f22f983
	v_mul_f32_e64 v14, |v3|, s6
	v_rndne_f32_e32 v19, v14
	s_mov_b32 s6, 0xbfc90fda
	v_cvt_i32_f32_e32 v14, v19
	v_fma_f32 v18, v19, s6, |v3|
	v_fmac_f32_e32 v18, 0xb3a22168, v19
	v_fmac_f32_e32 v18, 0xa7c234c4, v19
.LBB59_23:
	s_or_b64 exec, exec, s[4:5]
	v_mul_f32_e32 v19, v18, v18
	v_mov_b32_e32 v20, 0x3c0881c4
	v_fmac_f32_e32 v20, 0xb94c1982, v19
	v_mov_b32_e32 v21, 0xbe2aaa9d
	v_fmac_f32_e32 v21, v19, v20
	v_mul_f32_e32 v20, v19, v21
	v_fmac_f32_e32 v18, v18, v20
	v_mov_b32_e32 v20, 0xbab64f3b
	v_fmac_f32_e32 v20, 0x37d75334, v19
	v_mov_b32_e32 v21, 0x3d2aabf7
	;; [unrolled: 2-line block ×3, first 2 shown]
	v_fmac_f32_e32 v20, v19, v21
	v_fma_f32 v19, v19, v20, 1.0
	v_and_b32_e32 v20, 1, v14
	v_lshlrev_b32_e32 v14, 30, v14
	v_cmp_eq_u32_e32 vcc, 0, v20
	v_and_b32_e32 v14, 0x80000000, v14
	v_xor_b32_e32 v11, v11, v3
	v_cndmask_b32_e32 v18, v19, v18, vcc
	v_xor_b32_e32 v11, v11, v14
	s_movk_i32 s4, 0x1f8
	v_xor_b32_e32 v11, v11, v18
	v_mov_b32_e32 v14, 0x7fc00000
	v_cmp_class_f32_e64 vcc, v3, s4
	v_cndmask_b32_e32 v3, v14, v11, vcc
	v_mul_f32_e32 v3, v3, v3
	s_mov_b32 s6, 0xc11de9e7
	v_div_scale_f32 v11, s[4:5], v3, v3, s6
	v_div_scale_f32 v14, vcc, s6, v3, s6
	v_sub_f32_e32 v17, 1.0, v17
	v_rcp_f32_e32 v18, v11
	v_fma_f32 v19, -v11, v18, 1.0
	v_fmac_f32_e32 v18, v19, v18
	v_mul_f32_e32 v19, v14, v18
	v_fma_f32 v20, -v11, v19, v14
	v_fmac_f32_e32 v19, v20, v18
	v_fma_f32 v11, -v11, v19, v14
	v_div_fmas_f32 v11, v11, v18, v19
	v_div_fixup_f32 v3, v11, v3, s6
	v_add_f32_e32 v3, 0, v3
	v_mov_b32_e32 v11, -1.0
.LBB59_24:
	s_or_b64 exec, exec, s[12:13]
	v_cvt_f32_f16_e32 v20, v4
	v_cmp_gt_f16_e32 vcc, 0.5, v4
	v_mov_b32_e32 v25, 0
	v_mov_b32_e32 v22, 1.0
	s_and_saveexec_b64 s[12:13], vcc
	s_cbranch_execz .LBB59_30
; %bb.25:
	v_mul_f32_e32 v14, 0x40490fdb, v20
	s_brev_b32 s4, 18
	v_and_b32_e32 v18, 0x7fffffff, v14
	v_cmp_nlt_f32_e64 s[4:5], |v14|, s4
                                        ; implicit-def: $vgpr19
                                        ; implicit-def: $vgpr21
	s_and_saveexec_b64 s[6:7], s[4:5]
	s_xor_b64 s[14:15], exec, s[6:7]
	s_cbranch_execz .LBB59_27
; %bb.26:
	v_and_b32_e32 v19, 0x7fffff, v18
	v_or_b32_e32 v19, 0x800000, v19
	s_mov_b32 s4, 0xfe5163ab
	v_mad_u64_u32 v[21:22], s[4:5], v19, s4, 0
	v_mov_b32_e32 v23, 0
	s_mov_b32 s4, 0x3c439041
	v_mad_u64_u32 v[24:25], s[4:5], v19, s4, v[22:23]
	s_mov_b32 s4, 0xdb629599
	v_not_b32_e32 v29, 63
	v_mov_b32_e32 v22, v25
	v_mad_u64_u32 v[25:26], s[4:5], v19, s4, v[22:23]
	s_mov_b32 s4, 0xf534ddc0
	v_not_b32_e32 v31, 31
	v_mov_b32_e32 v22, v26
	v_mad_u64_u32 v[26:27], s[4:5], v19, s4, v[22:23]
	v_lshrrev_b32_e32 v22, 23, v18
	v_add_u32_e32 v30, 0xffffff88, v22
	v_mov_b32_e32 v22, v27
	s_mov_b32 s4, 0xfc2757d1
	v_mad_u64_u32 v[27:28], s[4:5], v19, s4, v[22:23]
	v_cmp_lt_u32_e32 vcc, 63, v30
	v_cndmask_b32_e32 v22, 0, v29, vcc
	v_add_u32_e32 v30, v22, v30
	v_mov_b32_e32 v22, v28
	s_mov_b32 s4, 0x4e441529
	v_mad_u64_u32 v[28:29], s[4:5], v19, s4, v[22:23]
	v_cmp_lt_u32_e64 s[4:5], 31, v30
	v_cndmask_b32_e64 v22, 0, v31, s[4:5]
	v_add_u32_e32 v30, v22, v30
	v_mov_b32_e32 v22, v29
	s_mov_b32 s6, 0xa2f9836e
	v_mad_u64_u32 v[22:23], s[6:7], v19, s6, v[22:23]
	v_cmp_lt_u32_e64 s[6:7], 31, v30
	v_cndmask_b32_e64 v19, 0, v31, s[6:7]
	v_cndmask_b32_e32 v29, v28, v26, vcc
	v_cndmask_b32_e32 v22, v22, v27, vcc
	v_cndmask_b32_e32 v23, v23, v28, vcc
	v_add_u32_e32 v19, v19, v30
	v_cndmask_b32_e64 v30, v22, v29, s[4:5]
	v_cndmask_b32_e64 v22, v23, v22, s[4:5]
	v_cndmask_b32_e32 v23, v27, v25, vcc
	v_cndmask_b32_e64 v27, v29, v23, s[4:5]
	v_cndmask_b32_e64 v22, v22, v30, s[6:7]
	;; [unrolled: 1-line block ×3, first 2 shown]
	v_sub_u32_e32 v29, 32, v19
	v_alignbit_b32 v30, v22, v28, v29
	v_cmp_eq_u32_e64 s[8:9], 0, v19
	v_cndmask_b32_e64 v19, v30, v22, s[8:9]
	v_cndmask_b32_e32 v22, v26, v24, vcc
	v_cndmask_b32_e64 v23, v23, v22, s[4:5]
	v_cndmask_b32_e64 v24, v27, v23, s[6:7]
	v_alignbit_b32 v26, v28, v24, v29
	v_cndmask_b32_e32 v21, v25, v21, vcc
	v_cndmask_b32_e64 v26, v26, v28, s[8:9]
	v_bfe_u32 v30, v19, 29, 1
	v_cndmask_b32_e64 v21, v22, v21, s[4:5]
	v_alignbit_b32 v27, v19, v26, 30
	v_sub_u32_e32 v31, 0, v30
	v_cndmask_b32_e64 v21, v23, v21, s[6:7]
	v_xor_b32_e32 v27, v27, v31
	v_alignbit_b32 v22, v24, v21, v29
	v_cndmask_b32_e64 v22, v22, v24, s[8:9]
	v_ffbh_u32_e32 v24, v27
	v_alignbit_b32 v23, v26, v22, 30
	v_min_u32_e32 v24, 32, v24
	v_alignbit_b32 v21, v22, v21, 30
	v_xor_b32_e32 v23, v23, v31
	v_sub_u32_e32 v25, 31, v24
	v_xor_b32_e32 v21, v21, v31
	v_alignbit_b32 v26, v27, v23, v25
	v_alignbit_b32 v21, v23, v21, v25
	;; [unrolled: 1-line block ×3, first 2 shown]
	v_ffbh_u32_e32 v23, v22
	v_min_u32_e32 v23, 32, v23
	v_lshrrev_b32_e32 v28, 29, v19
	v_not_b32_e32 v25, v23
	v_alignbit_b32 v21, v22, v21, v25
	v_lshlrev_b32_e32 v22, 31, v28
	v_or_b32_e32 v25, 0x33000000, v22
	v_add_lshl_u32 v23, v23, v24, 23
	v_lshrrev_b32_e32 v21, 9, v21
	v_sub_u32_e32 v23, v25, v23
	v_or_b32_e32 v22, 0.5, v22
	v_lshlrev_b32_e32 v24, 23, v24
	v_or_b32_e32 v21, v23, v21
	v_lshrrev_b32_e32 v23, 9, v26
	v_sub_u32_e32 v22, v22, v24
	v_or_b32_e32 v22, v23, v22
	s_mov_b32 s4, 0x3fc90fda
	v_mul_f32_e32 v23, 0x3fc90fda, v22
	v_fma_f32 v24, v22, s4, -v23
	v_fmac_f32_e32 v24, 0x33a22168, v22
	v_fmac_f32_e32 v24, 0x3fc90fda, v21
	v_lshrrev_b32_e32 v19, 30, v19
	v_add_f32_e32 v21, v23, v24
	v_add_u32_e32 v19, v30, v19
.LBB59_27:
	s_andn2_saveexec_b64 s[4:5], s[14:15]
	s_cbranch_execz .LBB59_29
; %bb.28:
	s_mov_b32 s6, 0x3f22f983
	v_mul_f32_e64 v19, |v14|, s6
	v_rndne_f32_e32 v22, v19
	s_mov_b32 s6, 0xbfc90fda
	v_cvt_i32_f32_e32 v19, v22
	v_fma_f32 v21, v22, s6, |v14|
	v_fmac_f32_e32 v21, 0xb3a22168, v22
	v_fmac_f32_e32 v21, 0xa7c234c4, v22
.LBB59_29:
	s_or_b64 exec, exec, s[4:5]
	v_mul_f32_e32 v22, v21, v21
	v_mov_b32_e32 v23, 0x3c0881c4
	v_fmac_f32_e32 v23, 0xb94c1982, v22
	v_mov_b32_e32 v24, 0xbe2aaa9d
	v_fmac_f32_e32 v24, v22, v23
	v_mul_f32_e32 v23, v22, v24
	v_fmac_f32_e32 v21, v21, v23
	v_mov_b32_e32 v23, 0xbab64f3b
	v_fmac_f32_e32 v23, 0x37d75334, v22
	v_mov_b32_e32 v24, 0x3d2aabf7
	;; [unrolled: 2-line block ×3, first 2 shown]
	v_fmac_f32_e32 v23, v22, v24
	v_fma_f32 v22, v22, v23, 1.0
	v_and_b32_e32 v23, 1, v19
	v_lshlrev_b32_e32 v19, 30, v19
	v_cmp_eq_u32_e32 vcc, 0, v23
	v_and_b32_e32 v19, 0x80000000, v19
	v_xor_b32_e32 v18, v18, v14
	v_cndmask_b32_e32 v21, v22, v21, vcc
	v_xor_b32_e32 v18, v18, v19
	s_movk_i32 s4, 0x1f8
	v_xor_b32_e32 v18, v18, v21
	v_mov_b32_e32 v19, 0x7fc00000
	v_cmp_class_f32_e64 vcc, v14, s4
	v_cndmask_b32_e32 v14, v19, v18, vcc
	v_mul_f32_e32 v14, v14, v14
	s_mov_b32 s6, 0xc11de9e7
	v_div_scale_f32 v18, s[4:5], v14, v14, s6
	v_div_scale_f32 v19, vcc, s6, v14, s6
	v_sub_f32_e32 v20, 1.0, v20
	v_rcp_f32_e32 v21, v18
	v_fma_f32 v22, -v18, v21, 1.0
	v_fmac_f32_e32 v21, v22, v21
	v_mul_f32_e32 v22, v19, v21
	v_fma_f32 v23, -v18, v22, v19
	v_fmac_f32_e32 v22, v23, v21
	v_fma_f32 v18, -v18, v22, v19
	v_div_fmas_f32 v18, v18, v21, v22
	v_mov_b32_e32 v22, -1.0
	v_div_fixup_f32 v14, v18, v14, s6
	v_add_f32_e32 v25, 0, v14
.LBB59_30:
	s_or_b64 exec, exec, s[12:13]
	v_cvt_f32_f16_sdwa v24, v4 dst_sel:DWORD dst_unused:UNUSED_PAD src0_sel:WORD_1
	v_mov_b32_e32 v14, 0x3800
	v_cmp_lt_f16_sdwa s[4:5], v4, v14 src0_sel:WORD_1 src1_sel:DWORD
	v_mov_b32_e32 v4, 0
	v_mov_b32_e32 v14, 1.0
	s_and_saveexec_b64 s[12:13], s[4:5]
	s_cbranch_execz .LBB59_36
; %bb.31:
	v_mul_f32_e32 v4, 0x40490fdb, v24
	s_brev_b32 s4, 18
	v_and_b32_e32 v14, 0x7fffffff, v4
	v_cmp_nlt_f32_e64 s[4:5], |v4|, s4
                                        ; implicit-def: $vgpr18
                                        ; implicit-def: $vgpr19
	s_and_saveexec_b64 s[6:7], s[4:5]
	s_xor_b64 s[14:15], exec, s[6:7]
	s_cbranch_execz .LBB59_33
; %bb.32:
	v_and_b32_e32 v18, 0x7fffff, v14
	v_or_b32_e32 v21, 0x800000, v18
	s_mov_b32 s4, 0xfe5163ab
	v_mad_u64_u32 v[18:19], s[4:5], v21, s4, 0
	v_mov_b32_e32 v27, 0
	s_mov_b32 s4, 0x3c439041
	v_mov_b32_e32 v26, v19
	v_mad_u64_u32 v[28:29], s[4:5], v21, s4, v[26:27]
	s_mov_b32 s4, 0xdb629599
	v_lshrrev_b32_e32 v19, 23, v14
	v_mov_b32_e32 v26, v29
	v_mad_u64_u32 v[29:30], s[4:5], v21, s4, v[26:27]
	s_mov_b32 s4, 0xf534ddc0
	v_add_u32_e32 v19, 0xffffff88, v19
	v_mov_b32_e32 v26, v30
	v_mad_u64_u32 v[30:31], s[4:5], v21, s4, v[26:27]
	s_mov_b32 s4, 0xfc2757d1
	v_not_b32_e32 v23, 63
	v_mov_b32_e32 v26, v31
	v_mad_u64_u32 v[31:32], s[4:5], v21, s4, v[26:27]
	v_cmp_lt_u32_e32 vcc, 63, v19
	s_mov_b32 s4, 0x4e441529
	v_mov_b32_e32 v26, v32
	v_cndmask_b32_e32 v23, 0, v23, vcc
	v_mad_u64_u32 v[32:33], s[4:5], v21, s4, v[26:27]
	v_add_u32_e32 v19, v23, v19
	v_not_b32_e32 v23, 31
	v_cmp_lt_u32_e64 s[4:5], 31, v19
	v_cndmask_b32_e64 v26, 0, v23, s[4:5]
	v_add_u32_e32 v19, v26, v19
	v_mov_b32_e32 v26, v33
	s_mov_b32 s6, 0xa2f9836e
	v_mad_u64_u32 v[26:27], s[6:7], v21, s6, v[26:27]
	v_cmp_lt_u32_e64 s[6:7], 31, v19
	v_cndmask_b32_e64 v21, 0, v23, s[6:7]
	v_add_u32_e32 v19, v21, v19
	v_cndmask_b32_e32 v21, v32, v30, vcc
	v_cndmask_b32_e32 v23, v26, v31, vcc
	;; [unrolled: 1-line block ×3, first 2 shown]
	v_cndmask_b32_e64 v26, v23, v21, s[4:5]
	v_cndmask_b32_e64 v23, v27, v23, s[4:5]
	v_cndmask_b32_e32 v27, v31, v29, vcc
	v_cndmask_b32_e64 v21, v21, v27, s[4:5]
	v_sub_u32_e32 v31, 32, v19
	v_cmp_eq_u32_e64 s[8:9], 0, v19
	v_cndmask_b32_e32 v19, v30, v28, vcc
	v_cndmask_b32_e64 v23, v23, v26, s[6:7]
	v_cndmask_b32_e64 v26, v26, v21, s[6:7]
	;; [unrolled: 1-line block ×3, first 2 shown]
	v_alignbit_b32 v32, v23, v26, v31
	v_cndmask_b32_e64 v21, v21, v27, s[6:7]
	v_cndmask_b32_e32 v18, v29, v18, vcc
	v_cndmask_b32_e64 v23, v32, v23, s[8:9]
	v_alignbit_b32 v28, v26, v21, v31
	v_cndmask_b32_e64 v18, v19, v18, s[4:5]
	v_cndmask_b32_e64 v26, v28, v26, s[8:9]
	v_bfe_u32 v32, v23, 29, 1
	v_cndmask_b32_e64 v18, v27, v18, s[6:7]
	v_alignbit_b32 v28, v23, v26, 30
	v_sub_u32_e32 v33, 0, v32
	v_alignbit_b32 v19, v21, v18, v31
	v_xor_b32_e32 v28, v28, v33
	v_cndmask_b32_e64 v19, v19, v21, s[8:9]
	v_alignbit_b32 v21, v26, v19, 30
	v_ffbh_u32_e32 v26, v28
	v_min_u32_e32 v26, 32, v26
	v_alignbit_b32 v18, v19, v18, 30
	v_xor_b32_e32 v21, v21, v33
	v_sub_u32_e32 v27, 31, v26
	v_xor_b32_e32 v18, v18, v33
	v_alignbit_b32 v28, v28, v21, v27
	v_alignbit_b32 v18, v21, v18, v27
	v_alignbit_b32 v19, v28, v18, 9
	v_ffbh_u32_e32 v21, v19
	v_min_u32_e32 v21, 32, v21
	v_lshrrev_b32_e32 v30, 29, v23
	v_not_b32_e32 v27, v21
	v_alignbit_b32 v18, v19, v18, v27
	v_lshlrev_b32_e32 v19, 31, v30
	v_or_b32_e32 v27, 0x33000000, v19
	v_add_lshl_u32 v21, v21, v26, 23
	v_lshrrev_b32_e32 v18, 9, v18
	v_sub_u32_e32 v21, v27, v21
	v_or_b32_e32 v19, 0.5, v19
	v_lshlrev_b32_e32 v26, 23, v26
	v_or_b32_e32 v18, v21, v18
	v_lshrrev_b32_e32 v21, 9, v28
	v_sub_u32_e32 v19, v19, v26
	v_or_b32_e32 v19, v21, v19
	s_mov_b32 s4, 0x3fc90fda
	v_mul_f32_e32 v21, 0x3fc90fda, v19
	v_fma_f32 v26, v19, s4, -v21
	v_fmac_f32_e32 v26, 0x33a22168, v19
	v_fmac_f32_e32 v26, 0x3fc90fda, v18
	v_lshrrev_b32_e32 v18, 30, v23
	v_add_f32_e32 v19, v21, v26
	v_add_u32_e32 v18, v32, v18
.LBB59_33:
	s_andn2_saveexec_b64 s[4:5], s[14:15]
	s_cbranch_execz .LBB59_35
; %bb.34:
	s_mov_b32 s6, 0x3f22f983
	v_mul_f32_e64 v18, |v4|, s6
	v_rndne_f32_e32 v21, v18
	s_mov_b32 s6, 0xbfc90fda
	v_cvt_i32_f32_e32 v18, v21
	v_fma_f32 v19, v21, s6, |v4|
	v_fmac_f32_e32 v19, 0xb3a22168, v21
	v_fmac_f32_e32 v19, 0xa7c234c4, v21
.LBB59_35:
	s_or_b64 exec, exec, s[4:5]
	v_mul_f32_e32 v21, v19, v19
	v_mov_b32_e32 v23, 0x3c0881c4
	v_fmac_f32_e32 v23, 0xb94c1982, v21
	v_mov_b32_e32 v26, 0xbe2aaa9d
	v_fmac_f32_e32 v26, v21, v23
	v_mul_f32_e32 v23, v21, v26
	v_fmac_f32_e32 v19, v19, v23
	v_mov_b32_e32 v23, 0xbab64f3b
	v_fmac_f32_e32 v23, 0x37d75334, v21
	v_mov_b32_e32 v26, 0x3d2aabf7
	;; [unrolled: 2-line block ×3, first 2 shown]
	v_fmac_f32_e32 v23, v21, v26
	v_fma_f32 v21, v21, v23, 1.0
	v_and_b32_e32 v23, 1, v18
	v_lshlrev_b32_e32 v18, 30, v18
	v_cmp_eq_u32_e32 vcc, 0, v23
	v_and_b32_e32 v18, 0x80000000, v18
	v_xor_b32_e32 v14, v14, v4
	v_cndmask_b32_e32 v19, v21, v19, vcc
	v_xor_b32_e32 v14, v14, v18
	s_movk_i32 s4, 0x1f8
	v_xor_b32_e32 v14, v14, v19
	v_mov_b32_e32 v18, 0x7fc00000
	v_cmp_class_f32_e64 vcc, v4, s4
	v_cndmask_b32_e32 v4, v18, v14, vcc
	v_mul_f32_e32 v4, v4, v4
	s_mov_b32 s6, 0xc11de9e7
	v_div_scale_f32 v14, s[4:5], v4, v4, s6
	v_div_scale_f32 v18, vcc, s6, v4, s6
	v_sub_f32_e32 v24, 1.0, v24
	v_rcp_f32_e32 v19, v14
	v_fma_f32 v21, -v14, v19, 1.0
	v_fmac_f32_e32 v19, v21, v19
	v_mul_f32_e32 v21, v18, v19
	v_fma_f32 v23, -v14, v21, v18
	v_fmac_f32_e32 v21, v23, v19
	v_fma_f32 v14, -v14, v21, v18
	v_div_fmas_f32 v14, v14, v19, v21
	v_div_fixup_f32 v4, v14, v4, s6
	v_add_f32_e32 v4, 0, v4
	v_mov_b32_e32 v14, -1.0
.LBB59_36:
	s_or_b64 exec, exec, s[12:13]
	v_cvt_f32_f16_e32 v23, v5
	v_cmp_gt_f16_e32 vcc, 0.5, v5
	v_mov_b32_e32 v27, 0
	v_mov_b32_e32 v26, 1.0
	s_and_saveexec_b64 s[12:13], vcc
	s_cbranch_execz .LBB59_42
; %bb.37:
	v_mul_f32_e32 v18, 0x40490fdb, v23
	s_brev_b32 s4, 18
	v_and_b32_e32 v19, 0x7fffffff, v18
	v_cmp_nlt_f32_e64 s[4:5], |v18|, s4
                                        ; implicit-def: $vgpr21
                                        ; implicit-def: $vgpr26
	s_and_saveexec_b64 s[6:7], s[4:5]
	s_xor_b64 s[14:15], exec, s[6:7]
	s_cbranch_execz .LBB59_39
; %bb.38:
	v_and_b32_e32 v21, 0x7fffff, v19
	v_or_b32_e32 v21, 0x800000, v21
	s_mov_b32 s4, 0xfe5163ab
	v_mad_u64_u32 v[26:27], s[4:5], v21, s4, 0
	v_mov_b32_e32 v28, 0
	s_mov_b32 s4, 0x3c439041
	v_mad_u64_u32 v[29:30], s[4:5], v21, s4, v[27:28]
	s_mov_b32 s4, 0xdb629599
	v_not_b32_e32 v34, 63
	v_mov_b32_e32 v27, v30
	v_mad_u64_u32 v[30:31], s[4:5], v21, s4, v[27:28]
	s_mov_b32 s4, 0xf534ddc0
	v_not_b32_e32 v36, 31
	v_mov_b32_e32 v27, v31
	v_mad_u64_u32 v[31:32], s[4:5], v21, s4, v[27:28]
	v_lshrrev_b32_e32 v27, 23, v19
	v_add_u32_e32 v35, 0xffffff88, v27
	v_mov_b32_e32 v27, v32
	s_mov_b32 s4, 0xfc2757d1
	v_mad_u64_u32 v[32:33], s[4:5], v21, s4, v[27:28]
	v_cmp_lt_u32_e32 vcc, 63, v35
	v_cndmask_b32_e32 v27, 0, v34, vcc
	v_add_u32_e32 v35, v27, v35
	v_mov_b32_e32 v27, v33
	s_mov_b32 s4, 0x4e441529
	v_mad_u64_u32 v[33:34], s[4:5], v21, s4, v[27:28]
	v_cmp_lt_u32_e64 s[4:5], 31, v35
	v_cndmask_b32_e64 v27, 0, v36, s[4:5]
	v_add_u32_e32 v35, v27, v35
	v_mov_b32_e32 v27, v34
	s_mov_b32 s6, 0xa2f9836e
	v_mad_u64_u32 v[27:28], s[6:7], v21, s6, v[27:28]
	v_cmp_lt_u32_e64 s[6:7], 31, v35
	v_cndmask_b32_e64 v21, 0, v36, s[6:7]
	v_cndmask_b32_e32 v34, v33, v31, vcc
	v_cndmask_b32_e32 v27, v27, v32, vcc
	;; [unrolled: 1-line block ×3, first 2 shown]
	v_add_u32_e32 v21, v21, v35
	v_cndmask_b32_e64 v35, v27, v34, s[4:5]
	v_cndmask_b32_e64 v27, v28, v27, s[4:5]
	v_cndmask_b32_e32 v28, v32, v30, vcc
	v_cndmask_b32_e64 v32, v34, v28, s[4:5]
	v_cndmask_b32_e64 v27, v27, v35, s[6:7]
	;; [unrolled: 1-line block ×3, first 2 shown]
	v_sub_u32_e32 v34, 32, v21
	v_alignbit_b32 v35, v27, v33, v34
	v_cmp_eq_u32_e64 s[8:9], 0, v21
	v_cndmask_b32_e64 v21, v35, v27, s[8:9]
	v_cndmask_b32_e32 v27, v31, v29, vcc
	v_cndmask_b32_e64 v28, v28, v27, s[4:5]
	v_cndmask_b32_e64 v29, v32, v28, s[6:7]
	v_alignbit_b32 v31, v33, v29, v34
	v_cndmask_b32_e32 v26, v30, v26, vcc
	v_cndmask_b32_e64 v31, v31, v33, s[8:9]
	v_bfe_u32 v35, v21, 29, 1
	v_cndmask_b32_e64 v26, v27, v26, s[4:5]
	v_alignbit_b32 v32, v21, v31, 30
	v_sub_u32_e32 v36, 0, v35
	v_cndmask_b32_e64 v26, v28, v26, s[6:7]
	v_xor_b32_e32 v32, v32, v36
	v_alignbit_b32 v27, v29, v26, v34
	v_cndmask_b32_e64 v27, v27, v29, s[8:9]
	v_ffbh_u32_e32 v29, v32
	v_alignbit_b32 v28, v31, v27, 30
	v_min_u32_e32 v29, 32, v29
	v_alignbit_b32 v26, v27, v26, 30
	v_xor_b32_e32 v28, v28, v36
	v_sub_u32_e32 v30, 31, v29
	v_xor_b32_e32 v26, v26, v36
	v_alignbit_b32 v31, v32, v28, v30
	v_alignbit_b32 v26, v28, v26, v30
	;; [unrolled: 1-line block ×3, first 2 shown]
	v_ffbh_u32_e32 v28, v27
	v_min_u32_e32 v28, 32, v28
	v_lshrrev_b32_e32 v33, 29, v21
	v_not_b32_e32 v30, v28
	v_alignbit_b32 v26, v27, v26, v30
	v_lshlrev_b32_e32 v27, 31, v33
	v_or_b32_e32 v30, 0x33000000, v27
	v_add_lshl_u32 v28, v28, v29, 23
	v_lshrrev_b32_e32 v26, 9, v26
	v_sub_u32_e32 v28, v30, v28
	v_or_b32_e32 v27, 0.5, v27
	v_lshlrev_b32_e32 v29, 23, v29
	v_or_b32_e32 v26, v28, v26
	v_lshrrev_b32_e32 v28, 9, v31
	v_sub_u32_e32 v27, v27, v29
	v_or_b32_e32 v27, v28, v27
	s_mov_b32 s4, 0x3fc90fda
	v_mul_f32_e32 v28, 0x3fc90fda, v27
	v_fma_f32 v29, v27, s4, -v28
	v_fmac_f32_e32 v29, 0x33a22168, v27
	v_fmac_f32_e32 v29, 0x3fc90fda, v26
	v_lshrrev_b32_e32 v21, 30, v21
	v_add_f32_e32 v26, v28, v29
	v_add_u32_e32 v21, v35, v21
.LBB59_39:
	s_andn2_saveexec_b64 s[4:5], s[14:15]
	s_cbranch_execz .LBB59_41
; %bb.40:
	s_mov_b32 s6, 0x3f22f983
	v_mul_f32_e64 v21, |v18|, s6
	v_rndne_f32_e32 v27, v21
	s_mov_b32 s6, 0xbfc90fda
	v_cvt_i32_f32_e32 v21, v27
	v_fma_f32 v26, v27, s6, |v18|
	v_fmac_f32_e32 v26, 0xb3a22168, v27
	v_fmac_f32_e32 v26, 0xa7c234c4, v27
.LBB59_41:
	s_or_b64 exec, exec, s[4:5]
	v_mul_f32_e32 v27, v26, v26
	v_mov_b32_e32 v28, 0x3c0881c4
	v_fmac_f32_e32 v28, 0xb94c1982, v27
	v_mov_b32_e32 v29, 0xbe2aaa9d
	v_fmac_f32_e32 v29, v27, v28
	v_mul_f32_e32 v28, v27, v29
	v_fmac_f32_e32 v26, v26, v28
	v_mov_b32_e32 v28, 0xbab64f3b
	v_fmac_f32_e32 v28, 0x37d75334, v27
	v_mov_b32_e32 v29, 0x3d2aabf7
	;; [unrolled: 2-line block ×3, first 2 shown]
	v_fmac_f32_e32 v28, v27, v29
	v_fma_f32 v27, v27, v28, 1.0
	v_and_b32_e32 v28, 1, v21
	v_lshlrev_b32_e32 v21, 30, v21
	v_cmp_eq_u32_e32 vcc, 0, v28
	v_and_b32_e32 v21, 0x80000000, v21
	v_xor_b32_e32 v19, v19, v18
	v_cndmask_b32_e32 v26, v27, v26, vcc
	v_xor_b32_e32 v19, v19, v21
	s_movk_i32 s4, 0x1f8
	v_xor_b32_e32 v19, v19, v26
	v_mov_b32_e32 v21, 0x7fc00000
	v_cmp_class_f32_e64 vcc, v18, s4
	v_cndmask_b32_e32 v18, v21, v19, vcc
	v_mul_f32_e32 v18, v18, v18
	s_mov_b32 s6, 0xc11de9e7
	v_div_scale_f32 v19, s[4:5], v18, v18, s6
	v_div_scale_f32 v21, vcc, s6, v18, s6
	v_sub_f32_e32 v23, 1.0, v23
	v_rcp_f32_e32 v26, v19
	v_fma_f32 v27, -v19, v26, 1.0
	v_fmac_f32_e32 v26, v27, v26
	v_mul_f32_e32 v27, v21, v26
	v_fma_f32 v28, -v19, v27, v21
	v_fmac_f32_e32 v27, v28, v26
	v_fma_f32 v19, -v19, v27, v21
	v_div_fmas_f32 v19, v19, v26, v27
	v_mov_b32_e32 v26, -1.0
	v_div_fixup_f32 v18, v19, v18, s6
	v_add_f32_e32 v27, 0, v18
.LBB59_42:
	s_or_b64 exec, exec, s[12:13]
	v_cvt_f32_f16_sdwa v19, v5 dst_sel:DWORD dst_unused:UNUSED_PAD src0_sel:WORD_1
	v_mov_b32_e32 v18, 0x3800
	v_cmp_lt_f16_sdwa s[4:5], v5, v18 src0_sel:WORD_1 src1_sel:DWORD
	v_mov_b32_e32 v21, 0
	v_mov_b32_e32 v18, 1.0
	s_and_saveexec_b64 s[12:13], s[4:5]
	s_cbranch_execz .LBB59_48
; %bb.43:
	v_mul_f32_e32 v5, 0x40490fdb, v19
	s_brev_b32 s4, 18
	v_and_b32_e32 v18, 0x7fffffff, v5
	v_cmp_nlt_f32_e64 s[4:5], |v5|, s4
                                        ; implicit-def: $vgpr21
                                        ; implicit-def: $vgpr28
	s_and_saveexec_b64 s[6:7], s[4:5]
	s_xor_b64 s[14:15], exec, s[6:7]
	s_cbranch_execz .LBB59_45
; %bb.44:
	v_and_b32_e32 v21, 0x7fffff, v18
	v_or_b32_e32 v21, 0x800000, v21
	s_mov_b32 s4, 0xfe5163ab
	v_mad_u64_u32 v[28:29], s[4:5], v21, s4, 0
	v_mov_b32_e32 v30, 0
	s_mov_b32 s4, 0x3c439041
	v_mad_u64_u32 v[31:32], s[4:5], v21, s4, v[29:30]
	s_mov_b32 s4, 0xdb629599
	v_not_b32_e32 v36, 63
	v_mov_b32_e32 v29, v32
	v_mad_u64_u32 v[32:33], s[4:5], v21, s4, v[29:30]
	s_mov_b32 s4, 0xf534ddc0
	v_not_b32_e32 v38, 31
	v_mov_b32_e32 v29, v33
	v_mad_u64_u32 v[33:34], s[4:5], v21, s4, v[29:30]
	v_lshrrev_b32_e32 v29, 23, v18
	v_add_u32_e32 v37, 0xffffff88, v29
	v_mov_b32_e32 v29, v34
	s_mov_b32 s4, 0xfc2757d1
	v_mad_u64_u32 v[34:35], s[4:5], v21, s4, v[29:30]
	v_cmp_lt_u32_e32 vcc, 63, v37
	v_cndmask_b32_e32 v29, 0, v36, vcc
	v_add_u32_e32 v37, v29, v37
	v_mov_b32_e32 v29, v35
	s_mov_b32 s4, 0x4e441529
	v_mad_u64_u32 v[35:36], s[4:5], v21, s4, v[29:30]
	v_cmp_lt_u32_e64 s[4:5], 31, v37
	v_cndmask_b32_e64 v29, 0, v38, s[4:5]
	v_add_u32_e32 v37, v29, v37
	v_mov_b32_e32 v29, v36
	s_mov_b32 s6, 0xa2f9836e
	v_mad_u64_u32 v[29:30], s[6:7], v21, s6, v[29:30]
	v_cmp_lt_u32_e64 s[6:7], 31, v37
	v_cndmask_b32_e64 v21, 0, v38, s[6:7]
	v_cndmask_b32_e32 v36, v35, v33, vcc
	v_cndmask_b32_e32 v29, v29, v34, vcc
	;; [unrolled: 1-line block ×3, first 2 shown]
	v_add_u32_e32 v21, v21, v37
	v_cndmask_b32_e64 v37, v29, v36, s[4:5]
	v_cndmask_b32_e64 v29, v30, v29, s[4:5]
	v_cndmask_b32_e32 v30, v34, v32, vcc
	v_cndmask_b32_e64 v34, v36, v30, s[4:5]
	v_cndmask_b32_e64 v29, v29, v37, s[6:7]
	;; [unrolled: 1-line block ×3, first 2 shown]
	v_sub_u32_e32 v36, 32, v21
	v_alignbit_b32 v37, v29, v35, v36
	v_cmp_eq_u32_e64 s[8:9], 0, v21
	v_cndmask_b32_e64 v21, v37, v29, s[8:9]
	v_cndmask_b32_e32 v29, v33, v31, vcc
	v_cndmask_b32_e64 v30, v30, v29, s[4:5]
	v_cndmask_b32_e64 v31, v34, v30, s[6:7]
	v_alignbit_b32 v33, v35, v31, v36
	v_cndmask_b32_e32 v28, v32, v28, vcc
	v_cndmask_b32_e64 v33, v33, v35, s[8:9]
	v_bfe_u32 v37, v21, 29, 1
	v_cndmask_b32_e64 v28, v29, v28, s[4:5]
	v_alignbit_b32 v34, v21, v33, 30
	v_sub_u32_e32 v38, 0, v37
	v_cndmask_b32_e64 v28, v30, v28, s[6:7]
	v_xor_b32_e32 v34, v34, v38
	v_alignbit_b32 v29, v31, v28, v36
	v_cndmask_b32_e64 v29, v29, v31, s[8:9]
	v_ffbh_u32_e32 v31, v34
	v_alignbit_b32 v30, v33, v29, 30
	v_min_u32_e32 v31, 32, v31
	v_alignbit_b32 v28, v29, v28, 30
	v_xor_b32_e32 v30, v30, v38
	v_sub_u32_e32 v32, 31, v31
	v_xor_b32_e32 v28, v28, v38
	v_alignbit_b32 v33, v34, v30, v32
	v_alignbit_b32 v28, v30, v28, v32
	;; [unrolled: 1-line block ×3, first 2 shown]
	v_ffbh_u32_e32 v30, v29
	v_min_u32_e32 v30, 32, v30
	v_lshrrev_b32_e32 v35, 29, v21
	v_not_b32_e32 v32, v30
	v_alignbit_b32 v28, v29, v28, v32
	v_lshlrev_b32_e32 v29, 31, v35
	v_or_b32_e32 v32, 0x33000000, v29
	v_add_lshl_u32 v30, v30, v31, 23
	v_lshrrev_b32_e32 v28, 9, v28
	v_sub_u32_e32 v30, v32, v30
	v_or_b32_e32 v29, 0.5, v29
	v_lshlrev_b32_e32 v31, 23, v31
	v_or_b32_e32 v28, v30, v28
	v_lshrrev_b32_e32 v30, 9, v33
	v_sub_u32_e32 v29, v29, v31
	v_or_b32_e32 v29, v30, v29
	s_mov_b32 s4, 0x3fc90fda
	v_mul_f32_e32 v30, 0x3fc90fda, v29
	v_fma_f32 v31, v29, s4, -v30
	v_fmac_f32_e32 v31, 0x33a22168, v29
	v_fmac_f32_e32 v31, 0x3fc90fda, v28
	v_lshrrev_b32_e32 v21, 30, v21
	v_add_f32_e32 v28, v30, v31
	v_add_u32_e32 v21, v37, v21
.LBB59_45:
	s_andn2_saveexec_b64 s[4:5], s[14:15]
	s_cbranch_execz .LBB59_47
; %bb.46:
	s_mov_b32 s6, 0x3f22f983
	v_mul_f32_e64 v21, |v5|, s6
	v_rndne_f32_e32 v29, v21
	s_mov_b32 s6, 0xbfc90fda
	v_cvt_i32_f32_e32 v21, v29
	v_fma_f32 v28, v29, s6, |v5|
	v_fmac_f32_e32 v28, 0xb3a22168, v29
	v_fmac_f32_e32 v28, 0xa7c234c4, v29
.LBB59_47:
	s_or_b64 exec, exec, s[4:5]
	v_mul_f32_e32 v29, v28, v28
	v_mov_b32_e32 v30, 0x3c0881c4
	v_fmac_f32_e32 v30, 0xb94c1982, v29
	v_mov_b32_e32 v31, 0xbe2aaa9d
	v_fmac_f32_e32 v31, v29, v30
	v_mul_f32_e32 v30, v29, v31
	v_fmac_f32_e32 v28, v28, v30
	v_mov_b32_e32 v30, 0xbab64f3b
	v_fmac_f32_e32 v30, 0x37d75334, v29
	v_mov_b32_e32 v31, 0x3d2aabf7
	;; [unrolled: 2-line block ×3, first 2 shown]
	v_fmac_f32_e32 v30, v29, v31
	v_fma_f32 v29, v29, v30, 1.0
	v_and_b32_e32 v30, 1, v21
	v_lshlrev_b32_e32 v21, 30, v21
	v_cmp_eq_u32_e32 vcc, 0, v30
	v_and_b32_e32 v21, 0x80000000, v21
	v_xor_b32_e32 v18, v18, v5
	v_cndmask_b32_e32 v28, v29, v28, vcc
	v_xor_b32_e32 v18, v18, v21
	s_movk_i32 s4, 0x1f8
	v_xor_b32_e32 v18, v18, v28
	v_mov_b32_e32 v21, 0x7fc00000
	v_cmp_class_f32_e64 vcc, v5, s4
	v_cndmask_b32_e32 v5, v21, v18, vcc
	v_mul_f32_e32 v5, v5, v5
	s_mov_b32 s6, 0xc11de9e7
	v_div_scale_f32 v18, s[4:5], v5, v5, s6
	v_div_scale_f32 v21, vcc, s6, v5, s6
	v_sub_f32_e32 v19, 1.0, v19
	v_rcp_f32_e32 v28, v18
	v_fma_f32 v29, -v18, v28, 1.0
	v_fmac_f32_e32 v28, v29, v28
	v_mul_f32_e32 v29, v21, v28
	v_fma_f32 v30, -v18, v29, v21
	v_fmac_f32_e32 v29, v30, v28
	v_fma_f32 v18, -v18, v29, v21
	v_div_fmas_f32 v18, v18, v28, v29
	v_div_fixup_f32 v5, v18, v5, s6
	v_add_f32_e32 v21, 0, v5
	v_mov_b32_e32 v18, -1.0
.LBB59_48:
	s_or_b64 exec, exec, s[12:13]
	v_mul_f32_e32 v5, v23, v23
	v_div_scale_f32 v28, s[4:5], v5, v5, 1.0
	v_add_f32_e32 v23, 1.0, v23
	v_rcp_f32_e32 v29, v28
	v_fma_f32 v30, -v28, v29, 1.0
	v_fmac_f32_e32 v29, v30, v29
	v_div_scale_f32 v30, vcc, 1.0, v5, 1.0
	v_mul_f32_e32 v31, v30, v29
	v_fma_f32 v32, -v28, v31, v30
	v_fmac_f32_e32 v31, v32, v29
	v_fma_f32 v28, -v28, v31, v30
	v_div_fmas_f32 v28, v28, v29, v31
	v_div_fixup_f32 v5, v28, v5, 1.0
	v_add_f32_e32 v5, v27, v5
	v_mul_f32_e32 v27, v23, v23
	v_div_scale_f32 v28, s[4:5], v27, v27, 1.0
	v_add_f32_e32 v23, 1.0, v23
	v_rcp_f32_e32 v29, v28
	v_fma_f32 v30, -v28, v29, 1.0
	v_fmac_f32_e32 v29, v30, v29
	v_div_scale_f32 v30, vcc, 1.0, v27, 1.0
	v_mul_f32_e32 v31, v30, v29
	v_fma_f32 v32, -v28, v31, v30
	v_fmac_f32_e32 v31, v32, v29
	v_fma_f32 v28, -v28, v31, v30
	v_div_fmas_f32 v28, v28, v29, v31
	v_div_fixup_f32 v27, v28, v27, 1.0
	v_add_f32_e32 v5, v5, v27
	;; [unrolled: 14-line block ×5, first 2 shown]
	v_mul_f32_e32 v27, v23, v23
	v_div_scale_f32 v28, s[4:5], v27, v27, 1.0
	v_rcp_f32_e32 v29, v28
	v_fma_f32 v30, -v28, v29, 1.0
	v_fmac_f32_e32 v29, v30, v29
	v_div_scale_f32 v30, vcc, 1.0, v27, 1.0
	v_mul_f32_e32 v31, v30, v29
	v_fma_f32 v32, -v28, v31, v30
	v_fmac_f32_e32 v31, v32, v29
	v_fma_f32 v28, -v28, v31, v30
	v_div_fmas_f32 v28, v28, v29, v31
	v_div_fixup_f32 v27, v28, v27, 1.0
	v_add_f32_e32 v5, v5, v27
	v_add_f32_e32 v27, 1.0, v23
	v_add_f32_e32 v23, v27, v27
	v_div_scale_f32 v28, s[4:5], v23, v23, 1.0
	v_rcp_f32_e32 v29, v28
	v_fma_f32 v30, -v28, v29, 1.0
	v_fmac_f32_e32 v29, v30, v29
	v_div_scale_f32 v30, vcc, 1.0, v23, 1.0
	v_mul_f32_e32 v31, v30, v29
	v_fma_f32 v32, -v28, v31, v30
	v_fmac_f32_e32 v31, v32, v29
	v_fma_f32 v28, -v28, v31, v30
	v_div_fmas_f32 v28, v28, v29, v31
	v_div_fixup_f32 v23, v28, v23, 1.0
	v_add_f32_e32 v28, 1.0, v23
	v_mul_f32_e32 v23, v27, v27
	v_div_scale_f32 v29, s[4:5], v23, v23, 1.0
	s_mov_b32 s4, 0x3e2aaaab
	v_rcp_f32_e32 v30, v29
	v_fma_f32 v31, -v29, v30, 1.0
	v_fmac_f32_e32 v30, v31, v30
	v_div_scale_f32 v31, vcc, 1.0, v23, 1.0
	v_mul_f32_e32 v32, v31, v30
	v_fma_f32 v33, -v29, v32, v31
	v_fmac_f32_e32 v32, v33, v30
	v_fma_f32 v29, -v29, v32, v31
	v_div_fmas_f32 v29, v29, v30, v32
	v_mov_b32_e32 v30, 0x3d088889
	v_div_fixup_f32 v29, v29, v23, 1.0
	v_fmac_f32_e32 v30, 0xbcc30c31, v29
	v_fma_f32 v30, -v29, v30, s4
	v_fmac_f32_e32 v28, v29, v30
	v_div_scale_f32 v29, s[6:7], v27, v27, v28
	v_mov_b32_e32 v23, 0x3d088889
	v_rcp_f32_e32 v30, v29
	v_fma_f32 v31, -v29, v30, 1.0
	v_fmac_f32_e32 v30, v31, v30
	v_div_scale_f32 v31, vcc, v28, v27, v28
	v_mul_f32_e32 v32, v31, v30
	v_fma_f32 v33, -v29, v32, v31
	v_fmac_f32_e32 v32, v33, v30
	v_fma_f32 v29, -v29, v32, v31
	v_div_fmas_f32 v29, v29, v30, v32
	v_div_fixup_f32 v27, v29, v27, v28
	v_add_f32_e32 v5, v5, v27
	v_fma_mixlo_f16 v5, v26, v5, 0
	v_mul_f32_e32 v26, v24, v24
	v_div_scale_f32 v27, s[6:7], v26, v26, 1.0
	v_add_f32_e32 v24, 1.0, v24
	v_rcp_f32_e32 v28, v27
	v_fma_f32 v29, -v27, v28, 1.0
	v_fmac_f32_e32 v28, v29, v28
	v_div_scale_f32 v29, vcc, 1.0, v26, 1.0
	v_mul_f32_e32 v30, v29, v28
	v_fma_f32 v31, -v27, v30, v29
	v_fmac_f32_e32 v30, v31, v28
	v_fma_f32 v27, -v27, v30, v29
	v_div_fmas_f32 v27, v27, v28, v30
	v_div_fixup_f32 v26, v27, v26, 1.0
	v_add_f32_e32 v4, v4, v26
	v_mul_f32_e32 v26, v24, v24
	v_div_scale_f32 v27, s[6:7], v26, v26, 1.0
	v_add_f32_e32 v24, 1.0, v24
	v_rcp_f32_e32 v28, v27
	v_fma_f32 v29, -v27, v28, 1.0
	v_fmac_f32_e32 v28, v29, v28
	v_div_scale_f32 v29, vcc, 1.0, v26, 1.0
	v_mul_f32_e32 v30, v29, v28
	v_fma_f32 v31, -v27, v30, v29
	v_fmac_f32_e32 v30, v31, v28
	v_fma_f32 v27, -v27, v30, v29
	v_div_fmas_f32 v27, v27, v28, v30
	v_div_fixup_f32 v26, v27, v26, 1.0
	v_add_f32_e32 v4, v4, v26
	;; [unrolled: 14-line block ×6, first 2 shown]
	v_add_f32_e32 v26, v24, v24
	v_div_scale_f32 v27, s[6:7], v26, v26, 1.0
	v_rcp_f32_e32 v28, v27
	v_fma_f32 v29, -v27, v28, 1.0
	v_fmac_f32_e32 v28, v29, v28
	v_div_scale_f32 v29, vcc, 1.0, v26, 1.0
	v_mul_f32_e32 v30, v29, v28
	v_fma_f32 v31, -v27, v30, v29
	v_fmac_f32_e32 v30, v31, v28
	v_fma_f32 v27, -v27, v30, v29
	v_div_fmas_f32 v27, v27, v28, v30
	v_div_fixup_f32 v26, v27, v26, 1.0
	v_mul_f32_e32 v27, v24, v24
	v_div_scale_f32 v28, s[6:7], v27, v27, 1.0
	v_add_f32_e32 v26, 1.0, v26
	v_rcp_f32_e32 v29, v28
	v_fma_f32 v30, -v28, v29, 1.0
	v_fmac_f32_e32 v29, v30, v29
	v_div_scale_f32 v30, vcc, 1.0, v27, 1.0
	v_mul_f32_e32 v31, v30, v29
	v_fma_f32 v32, -v28, v31, v30
	v_fmac_f32_e32 v31, v32, v29
	v_fma_f32 v28, -v28, v31, v30
	v_div_fmas_f32 v28, v28, v29, v31
	v_div_fixup_f32 v27, v28, v27, 1.0
	v_mov_b32_e32 v28, 0x3d088889
	v_fmac_f32_e32 v28, 0xbcc30c31, v27
	v_fma_f32 v28, -v27, v28, s4
	v_fmac_f32_e32 v26, v27, v28
	v_div_scale_f32 v27, s[6:7], v24, v24, v26
	v_rcp_f32_e32 v28, v27
	v_fma_f32 v29, -v27, v28, 1.0
	v_fmac_f32_e32 v28, v29, v28
	v_div_scale_f32 v29, vcc, v26, v24, v26
	v_mul_f32_e32 v30, v29, v28
	v_fma_f32 v31, -v27, v30, v29
	v_fmac_f32_e32 v30, v31, v28
	v_fma_f32 v27, -v27, v30, v29
	v_div_fmas_f32 v27, v27, v28, v30
	v_div_fixup_f32 v24, v27, v24, v26
	v_add_f32_e32 v24, v4, v24
	v_mul_f32_e32 v4, v20, v20
	v_div_scale_f32 v26, s[6:7], v4, v4, 1.0
	v_add_f32_e32 v20, 1.0, v20
	v_rcp_f32_e32 v27, v26
	v_fma_f32 v28, -v26, v27, 1.0
	v_fmac_f32_e32 v27, v28, v27
	v_div_scale_f32 v28, vcc, 1.0, v4, 1.0
	v_mul_f32_e32 v29, v28, v27
	v_fma_f32 v30, -v26, v29, v28
	v_fmac_f32_e32 v29, v30, v27
	v_fma_f32 v26, -v26, v29, v28
	v_div_fmas_f32 v26, v26, v27, v29
	v_div_fixup_f32 v4, v26, v4, 1.0
	v_add_f32_e32 v4, v25, v4
	v_mul_f32_e32 v25, v20, v20
	v_div_scale_f32 v26, s[6:7], v25, v25, 1.0
	v_add_f32_e32 v20, 1.0, v20
	v_rcp_f32_e32 v27, v26
	v_fma_f32 v28, -v26, v27, 1.0
	v_fmac_f32_e32 v27, v28, v27
	v_div_scale_f32 v28, vcc, 1.0, v25, 1.0
	v_mul_f32_e32 v29, v28, v27
	v_fma_f32 v30, -v26, v29, v28
	v_fmac_f32_e32 v29, v30, v27
	v_fma_f32 v26, -v26, v29, v28
	v_div_fmas_f32 v26, v26, v27, v29
	v_div_fixup_f32 v25, v26, v25, 1.0
	;; [unrolled: 14-line block ×6, first 2 shown]
	v_add_f32_e32 v4, v4, v25
	v_add_f32_e32 v25, v20, v20
	v_div_scale_f32 v26, s[6:7], v25, v25, 1.0
	v_rcp_f32_e32 v27, v26
	v_fma_f32 v28, -v26, v27, 1.0
	v_fmac_f32_e32 v27, v28, v27
	v_div_scale_f32 v28, vcc, 1.0, v25, 1.0
	v_mul_f32_e32 v29, v28, v27
	v_fma_f32 v30, -v26, v29, v28
	v_fmac_f32_e32 v29, v30, v27
	v_fma_f32 v26, -v26, v29, v28
	v_div_fmas_f32 v26, v26, v27, v29
	v_div_fixup_f32 v25, v26, v25, 1.0
	v_mul_f32_e32 v26, v20, v20
	v_div_scale_f32 v27, s[6:7], v26, v26, 1.0
	v_add_f32_e32 v25, 1.0, v25
	v_rcp_f32_e32 v28, v27
	v_fma_f32 v29, -v27, v28, 1.0
	v_fmac_f32_e32 v28, v29, v28
	v_div_scale_f32 v29, vcc, 1.0, v26, 1.0
	v_mul_f32_e32 v30, v29, v28
	v_fma_f32 v31, -v27, v30, v29
	v_fmac_f32_e32 v30, v31, v28
	v_fma_f32 v27, -v27, v30, v29
	v_div_fmas_f32 v27, v27, v28, v30
	v_div_fixup_f32 v26, v27, v26, 1.0
	v_mov_b32_e32 v27, 0x3d088889
	v_fmac_f32_e32 v27, 0xbcc30c31, v26
	v_fma_f32 v27, -v26, v27, s4
	v_fmac_f32_e32 v25, v26, v27
	v_div_scale_f32 v26, s[6:7], v20, v20, v25
	v_rcp_f32_e32 v27, v26
	v_fma_f32 v28, -v26, v27, 1.0
	v_fmac_f32_e32 v27, v28, v27
	v_div_scale_f32 v28, vcc, v25, v20, v25
	v_mul_f32_e32 v29, v28, v27
	v_fma_f32 v30, -v26, v29, v28
	v_fmac_f32_e32 v29, v30, v27
	v_fma_f32 v26, -v26, v29, v28
	v_div_fmas_f32 v26, v26, v27, v29
	v_div_fixup_f32 v20, v26, v20, v25
	v_add_f32_e32 v4, v4, v20
	v_mul_f32_e32 v20, v17, v17
	v_fma_mixlo_f16 v4, v22, v4, 0
	v_div_scale_f32 v22, s[6:7], v20, v20, 1.0
	v_add_f32_e32 v17, 1.0, v17
	v_fma_mixhi_f16 v4, v14, v24, 0
	v_rcp_f32_e32 v25, v22
	v_fma_f32 v26, -v22, v25, 1.0
	v_fmac_f32_e32 v25, v26, v25
	v_div_scale_f32 v26, vcc, 1.0, v20, 1.0
	v_mul_f32_e32 v27, v26, v25
	v_fma_f32 v28, -v22, v27, v26
	v_fmac_f32_e32 v27, v28, v25
	v_fma_f32 v22, -v22, v27, v26
	v_div_fmas_f32 v22, v22, v25, v27
	v_div_fixup_f32 v20, v22, v20, 1.0
	v_add_f32_e32 v3, v3, v20
	v_mul_f32_e32 v20, v17, v17
	v_div_scale_f32 v22, s[6:7], v20, v20, 1.0
	v_add_f32_e32 v17, 1.0, v17
	v_rcp_f32_e32 v25, v22
	v_fma_f32 v26, -v22, v25, 1.0
	v_fmac_f32_e32 v25, v26, v25
	v_div_scale_f32 v26, vcc, 1.0, v20, 1.0
	v_mul_f32_e32 v27, v26, v25
	v_fma_f32 v28, -v22, v27, v26
	v_fmac_f32_e32 v27, v28, v25
	v_fma_f32 v22, -v22, v27, v26
	v_div_fmas_f32 v22, v22, v25, v27
	v_div_fixup_f32 v20, v22, v20, 1.0
	v_add_f32_e32 v3, v3, v20
	v_mul_f32_e32 v20, v17, v17
	v_div_scale_f32 v22, s[6:7], v20, v20, 1.0
	v_add_f32_e32 v17, 1.0, v17
	;; [unrolled: 14-line block ×5, first 2 shown]
	v_rcp_f32_e32 v25, v22
	v_fma_f32 v26, -v22, v25, 1.0
	v_fmac_f32_e32 v25, v26, v25
	v_div_scale_f32 v26, vcc, 1.0, v20, 1.0
	v_mul_f32_e32 v27, v26, v25
	v_fma_f32 v28, -v22, v27, v26
	v_fmac_f32_e32 v27, v28, v25
	v_fma_f32 v22, -v22, v27, v26
	v_div_fmas_f32 v22, v22, v25, v27
	v_div_fixup_f32 v20, v22, v20, 1.0
	v_add_f32_e32 v3, v3, v20
	v_add_f32_e32 v20, v17, v17
	v_div_scale_f32 v22, s[6:7], v20, v20, 1.0
	v_rcp_f32_e32 v25, v22
	v_fma_f32 v26, -v22, v25, 1.0
	v_fmac_f32_e32 v25, v26, v25
	v_div_scale_f32 v26, vcc, 1.0, v20, 1.0
	v_mul_f32_e32 v27, v26, v25
	v_fma_f32 v28, -v22, v27, v26
	v_fmac_f32_e32 v27, v28, v25
	v_fma_f32 v22, -v22, v27, v26
	v_div_fmas_f32 v22, v22, v25, v27
	v_div_fixup_f32 v20, v22, v20, 1.0
	v_mul_f32_e32 v22, v17, v17
	v_div_scale_f32 v25, s[6:7], v22, v22, 1.0
	v_add_f32_e32 v20, 1.0, v20
	v_rcp_f32_e32 v26, v25
	v_fma_f32 v27, -v25, v26, 1.0
	v_fmac_f32_e32 v26, v27, v26
	v_div_scale_f32 v27, vcc, 1.0, v22, 1.0
	v_mul_f32_e32 v28, v27, v26
	v_fma_f32 v29, -v25, v28, v27
	v_fmac_f32_e32 v28, v29, v26
	v_fma_f32 v25, -v25, v28, v27
	v_div_fmas_f32 v25, v25, v26, v28
	v_div_fixup_f32 v22, v25, v22, 1.0
	v_mov_b32_e32 v25, 0x3d088889
	v_fmac_f32_e32 v25, 0xbcc30c31, v22
	v_fma_f32 v25, -v22, v25, s4
	v_fmac_f32_e32 v20, v22, v25
	v_div_scale_f32 v22, s[6:7], v17, v17, v20
	v_rcp_f32_e32 v25, v22
	v_fma_f32 v26, -v22, v25, 1.0
	v_fmac_f32_e32 v25, v26, v25
	v_div_scale_f32 v26, vcc, v20, v17, v20
	v_mul_f32_e32 v27, v26, v25
	v_fma_f32 v28, -v22, v27, v26
	v_fmac_f32_e32 v27, v28, v25
	v_fma_f32 v22, -v22, v27, v26
	v_div_fmas_f32 v22, v22, v25, v27
	v_div_fixup_f32 v17, v22, v17, v20
	v_add_f32_e32 v17, v3, v17
	v_mul_f32_e32 v3, v13, v13
	v_div_scale_f32 v20, s[6:7], v3, v3, 1.0
	v_add_f32_e32 v13, 1.0, v13
	v_rcp_f32_e32 v22, v20
	v_fma_f32 v25, -v20, v22, 1.0
	v_fmac_f32_e32 v22, v25, v22
	v_div_scale_f32 v25, vcc, 1.0, v3, 1.0
	v_mul_f32_e32 v26, v25, v22
	v_fma_f32 v27, -v20, v26, v25
	v_fmac_f32_e32 v26, v27, v22
	v_fma_f32 v20, -v20, v26, v25
	v_div_fmas_f32 v20, v20, v22, v26
	v_div_fixup_f32 v3, v20, v3, 1.0
	v_add_f32_e32 v3, v16, v3
	v_mul_f32_e32 v16, v13, v13
	v_div_scale_f32 v20, s[6:7], v16, v16, 1.0
	v_add_f32_e32 v13, 1.0, v13
	v_rcp_f32_e32 v22, v20
	v_fma_f32 v25, -v20, v22, 1.0
	v_fmac_f32_e32 v22, v25, v22
	v_div_scale_f32 v25, vcc, 1.0, v16, 1.0
	v_mul_f32_e32 v26, v25, v22
	v_fma_f32 v27, -v20, v26, v25
	v_fmac_f32_e32 v26, v27, v22
	v_fma_f32 v20, -v20, v26, v25
	v_div_fmas_f32 v20, v20, v22, v26
	v_div_fixup_f32 v16, v20, v16, 1.0
	;; [unrolled: 14-line block ×6, first 2 shown]
	v_add_f32_e32 v3, v3, v16
	v_add_f32_e32 v16, v13, v13
	v_div_scale_f32 v20, s[6:7], v16, v16, 1.0
	v_rcp_f32_e32 v22, v20
	v_fma_f32 v25, -v20, v22, 1.0
	v_fmac_f32_e32 v22, v25, v22
	v_div_scale_f32 v25, vcc, 1.0, v16, 1.0
	v_mul_f32_e32 v26, v25, v22
	v_fma_f32 v27, -v20, v26, v25
	v_fmac_f32_e32 v26, v27, v22
	v_fma_f32 v20, -v20, v26, v25
	v_div_fmas_f32 v20, v20, v22, v26
	v_div_fixup_f32 v16, v20, v16, 1.0
	v_mul_f32_e32 v20, v13, v13
	v_div_scale_f32 v22, s[6:7], v20, v20, 1.0
	v_add_f32_e32 v16, 1.0, v16
	v_rcp_f32_e32 v25, v22
	v_fma_f32 v26, -v22, v25, 1.0
	v_fmac_f32_e32 v25, v26, v25
	v_div_scale_f32 v26, vcc, 1.0, v20, 1.0
	v_mul_f32_e32 v27, v26, v25
	v_fma_f32 v28, -v22, v27, v26
	v_fmac_f32_e32 v27, v28, v25
	v_fma_f32 v22, -v22, v27, v26
	v_div_fmas_f32 v22, v22, v25, v27
	v_div_fixup_f32 v20, v22, v20, 1.0
	v_mov_b32_e32 v22, 0x3d088889
	v_fmac_f32_e32 v22, 0xbcc30c31, v20
	v_fma_f32 v22, -v20, v22, s4
	v_fmac_f32_e32 v16, v20, v22
	v_div_scale_f32 v20, s[6:7], v13, v13, v16
	v_rcp_f32_e32 v22, v20
	v_fma_f32 v25, -v20, v22, 1.0
	v_fmac_f32_e32 v22, v25, v22
	v_div_scale_f32 v25, vcc, v16, v13, v16
	v_mul_f32_e32 v26, v25, v22
	v_fma_f32 v27, -v20, v26, v25
	v_fmac_f32_e32 v26, v27, v22
	v_fma_f32 v20, -v20, v26, v25
	v_div_fmas_f32 v20, v20, v22, v26
	v_div_fixup_f32 v13, v20, v13, v16
	v_add_f32_e32 v3, v3, v13
	v_mul_f32_e32 v13, v12, v12
	v_fma_mixlo_f16 v3, v15, v3, 0
	v_div_scale_f32 v15, s[6:7], v13, v13, 1.0
	v_add_f32_e32 v12, 1.0, v12
	v_fma_mixhi_f16 v3, v11, v17, 0
	v_rcp_f32_e32 v16, v15
	v_fma_f32 v20, -v15, v16, 1.0
	v_fmac_f32_e32 v16, v20, v16
	v_div_scale_f32 v20, vcc, 1.0, v13, 1.0
	v_mul_f32_e32 v22, v20, v16
	v_fma_f32 v25, -v15, v22, v20
	v_fmac_f32_e32 v22, v25, v16
	v_fma_f32 v15, -v15, v22, v20
	v_div_fmas_f32 v15, v15, v16, v22
	v_div_fixup_f32 v13, v15, v13, 1.0
	v_add_f32_e32 v2, v2, v13
	v_mul_f32_e32 v13, v12, v12
	v_div_scale_f32 v15, s[6:7], v13, v13, 1.0
	v_add_f32_e32 v12, 1.0, v12
	v_rcp_f32_e32 v16, v15
	v_fma_f32 v20, -v15, v16, 1.0
	v_fmac_f32_e32 v16, v20, v16
	v_div_scale_f32 v20, vcc, 1.0, v13, 1.0
	v_mul_f32_e32 v22, v20, v16
	v_fma_f32 v25, -v15, v22, v20
	v_fmac_f32_e32 v22, v25, v16
	v_fma_f32 v15, -v15, v22, v20
	v_div_fmas_f32 v15, v15, v16, v22
	v_div_fixup_f32 v13, v15, v13, 1.0
	v_add_f32_e32 v2, v2, v13
	v_mul_f32_e32 v13, v12, v12
	v_div_scale_f32 v15, s[6:7], v13, v13, 1.0
	v_add_f32_e32 v12, 1.0, v12
	;; [unrolled: 14-line block ×5, first 2 shown]
	v_rcp_f32_e32 v16, v15
	v_fma_f32 v20, -v15, v16, 1.0
	v_fmac_f32_e32 v16, v20, v16
	v_div_scale_f32 v20, vcc, 1.0, v13, 1.0
	v_mul_f32_e32 v22, v20, v16
	v_fma_f32 v25, -v15, v22, v20
	v_fmac_f32_e32 v22, v25, v16
	v_fma_f32 v15, -v15, v22, v20
	v_div_fmas_f32 v15, v15, v16, v22
	v_div_fixup_f32 v13, v15, v13, 1.0
	v_add_f32_e32 v2, v2, v13
	v_add_f32_e32 v13, v12, v12
	v_div_scale_f32 v15, s[6:7], v13, v13, 1.0
	v_rcp_f32_e32 v16, v15
	v_fma_f32 v20, -v15, v16, 1.0
	v_fmac_f32_e32 v16, v20, v16
	v_div_scale_f32 v20, vcc, 1.0, v13, 1.0
	v_mul_f32_e32 v22, v20, v16
	v_fma_f32 v25, -v15, v22, v20
	v_fmac_f32_e32 v22, v25, v16
	v_fma_f32 v15, -v15, v22, v20
	v_div_fmas_f32 v15, v15, v16, v22
	v_div_fixup_f32 v13, v15, v13, 1.0
	v_mul_f32_e32 v15, v12, v12
	v_div_scale_f32 v16, s[6:7], v15, v15, 1.0
	v_add_f32_e32 v13, 1.0, v13
	v_rcp_f32_e32 v20, v16
	v_fma_f32 v22, -v16, v20, 1.0
	v_fmac_f32_e32 v20, v22, v20
	v_div_scale_f32 v22, vcc, 1.0, v15, 1.0
	v_mul_f32_e32 v25, v22, v20
	v_fma_f32 v26, -v16, v25, v22
	v_fmac_f32_e32 v25, v26, v20
	v_fma_f32 v16, -v16, v25, v22
	v_div_fmas_f32 v16, v16, v20, v25
	v_div_fixup_f32 v15, v16, v15, 1.0
	v_mov_b32_e32 v16, 0x3d088889
	v_fmac_f32_e32 v16, 0xbcc30c31, v15
	v_fma_f32 v16, -v15, v16, s4
	v_fmac_f32_e32 v13, v15, v16
	v_div_scale_f32 v15, s[6:7], v12, v12, v13
	v_rcp_f32_e32 v16, v15
	v_fma_f32 v20, -v15, v16, 1.0
	v_fmac_f32_e32 v16, v20, v16
	v_div_scale_f32 v20, vcc, v13, v12, v13
	v_mul_f32_e32 v22, v20, v16
	v_fma_f32 v25, -v15, v22, v20
	v_fmac_f32_e32 v22, v25, v16
	v_fma_f32 v15, -v15, v22, v20
	v_div_fmas_f32 v15, v15, v16, v22
	v_div_fixup_f32 v12, v15, v12, v13
	v_add_f32_e32 v12, v2, v12
	v_mul_f32_e32 v2, v8, v8
	v_div_scale_f32 v13, s[6:7], v2, v2, 1.0
	v_add_f32_e32 v8, 1.0, v8
	v_rcp_f32_e32 v15, v13
	v_fma_f32 v16, -v13, v15, 1.0
	v_fmac_f32_e32 v15, v16, v15
	v_div_scale_f32 v16, vcc, 1.0, v2, 1.0
	v_mul_f32_e32 v20, v16, v15
	v_fma_f32 v22, -v13, v20, v16
	v_fmac_f32_e32 v20, v22, v15
	v_fma_f32 v13, -v13, v20, v16
	v_div_fmas_f32 v13, v13, v15, v20
	v_div_fixup_f32 v2, v13, v2, 1.0
	v_add_f32_e32 v2, v10, v2
	v_mul_f32_e32 v10, v8, v8
	v_div_scale_f32 v13, s[6:7], v10, v10, 1.0
	v_add_f32_e32 v8, 1.0, v8
	v_rcp_f32_e32 v15, v13
	v_fma_f32 v16, -v13, v15, 1.0
	v_fmac_f32_e32 v15, v16, v15
	v_div_scale_f32 v16, vcc, 1.0, v10, 1.0
	v_mul_f32_e32 v20, v16, v15
	v_fma_f32 v22, -v13, v20, v16
	v_fmac_f32_e32 v20, v22, v15
	v_fma_f32 v13, -v13, v20, v16
	v_div_fmas_f32 v13, v13, v15, v20
	v_div_fixup_f32 v10, v13, v10, 1.0
	;; [unrolled: 14-line block ×6, first 2 shown]
	v_add_f32_e32 v2, v2, v10
	v_add_f32_e32 v10, v8, v8
	v_div_scale_f32 v13, s[6:7], v10, v10, 1.0
	v_rcp_f32_e32 v15, v13
	v_fma_f32 v16, -v13, v15, 1.0
	v_fmac_f32_e32 v15, v16, v15
	v_div_scale_f32 v16, vcc, 1.0, v10, 1.0
	v_mul_f32_e32 v20, v16, v15
	v_fma_f32 v22, -v13, v20, v16
	v_fmac_f32_e32 v20, v22, v15
	v_fma_f32 v13, -v13, v20, v16
	v_div_fmas_f32 v13, v13, v15, v20
	v_div_fixup_f32 v10, v13, v10, 1.0
	v_mul_f32_e32 v13, v8, v8
	v_div_scale_f32 v15, s[6:7], v13, v13, 1.0
	v_add_f32_e32 v10, 1.0, v10
	v_rcp_f32_e32 v16, v15
	v_fma_f32 v20, -v15, v16, 1.0
	v_fmac_f32_e32 v16, v20, v16
	v_div_scale_f32 v20, vcc, 1.0, v13, 1.0
	v_mul_f32_e32 v22, v20, v16
	v_fma_f32 v25, -v15, v22, v20
	v_fmac_f32_e32 v22, v25, v16
	v_fma_f32 v15, -v15, v22, v20
	v_div_fmas_f32 v15, v15, v16, v22
	v_div_fixup_f32 v13, v15, v13, 1.0
	v_mov_b32_e32 v15, 0x3d088889
	v_fmac_f32_e32 v15, 0xbcc30c31, v13
	v_fma_f32 v15, -v13, v15, s4
	v_fmac_f32_e32 v10, v13, v15
	v_div_scale_f32 v13, s[6:7], v8, v8, v10
	v_rcp_f32_e32 v15, v13
	v_fma_f32 v16, -v13, v15, 1.0
	v_fmac_f32_e32 v15, v16, v15
	v_div_scale_f32 v16, vcc, v10, v8, v10
	v_mul_f32_e32 v20, v16, v15
	v_fma_f32 v22, -v13, v20, v16
	v_fmac_f32_e32 v20, v22, v15
	v_fma_f32 v13, -v13, v20, v16
	v_div_fmas_f32 v13, v13, v15, v20
	v_div_fixup_f32 v8, v13, v8, v10
	v_add_f32_e32 v2, v2, v8
	v_mul_f32_e32 v8, v19, v19
	v_fma_mixlo_f16 v2, v9, v2, 0
	v_div_scale_f32 v9, s[6:7], v8, v8, 1.0
	v_fma_mixhi_f16 v2, v7, v12, 0
	v_rcp_f32_e32 v10, v9
	v_fma_f32 v13, -v9, v10, 1.0
	v_fmac_f32_e32 v10, v13, v10
	v_div_scale_f32 v13, vcc, 1.0, v8, 1.0
	v_mul_f32_e32 v15, v13, v10
	v_fma_f32 v16, -v9, v15, v13
	v_fmac_f32_e32 v15, v16, v10
	v_fma_f32 v9, -v9, v15, v13
	v_div_fmas_f32 v9, v9, v10, v15
	v_div_fixup_f32 v8, v9, v8, 1.0
	v_add_f32_e32 v9, 1.0, v19
	v_mul_f32_e32 v10, v9, v9
	v_div_scale_f32 v13, s[6:7], v10, v10, 1.0
	v_add_f32_e32 v8, v21, v8
	v_add_f32_e32 v9, 1.0, v9
	v_rcp_f32_e32 v15, v13
	v_fma_f32 v16, -v13, v15, 1.0
	v_fmac_f32_e32 v15, v16, v15
	v_div_scale_f32 v16, vcc, 1.0, v10, 1.0
	v_mul_f32_e32 v19, v16, v15
	v_fma_f32 v20, -v13, v19, v16
	v_fmac_f32_e32 v19, v20, v15
	v_fma_f32 v13, -v13, v19, v16
	v_div_fmas_f32 v13, v13, v15, v19
	v_div_fixup_f32 v10, v13, v10, 1.0
	v_add_f32_e32 v8, v8, v10
	v_mul_f32_e32 v10, v9, v9
	v_div_scale_f32 v13, s[6:7], v10, v10, 1.0
	v_add_f32_e32 v9, 1.0, v9
	v_rcp_f32_e32 v15, v13
	v_fma_f32 v16, -v13, v15, 1.0
	v_fmac_f32_e32 v15, v16, v15
	v_div_scale_f32 v16, vcc, 1.0, v10, 1.0
	v_mul_f32_e32 v19, v16, v15
	v_fma_f32 v20, -v13, v19, v16
	v_fmac_f32_e32 v19, v20, v15
	v_fma_f32 v13, -v13, v19, v16
	v_div_fmas_f32 v13, v13, v15, v19
	v_div_fixup_f32 v10, v13, v10, 1.0
	v_add_f32_e32 v8, v8, v10
	v_mul_f32_e32 v10, v9, v9
	v_div_scale_f32 v13, s[6:7], v10, v10, 1.0
	;; [unrolled: 14-line block ×5, first 2 shown]
	v_rcp_f32_e32 v15, v13
	v_fma_f32 v16, -v13, v15, 1.0
	v_fmac_f32_e32 v15, v16, v15
	v_div_scale_f32 v16, vcc, 1.0, v10, 1.0
	v_mul_f32_e32 v19, v16, v15
	v_fma_f32 v20, -v13, v19, v16
	v_fmac_f32_e32 v19, v20, v15
	v_fma_f32 v13, -v13, v19, v16
	v_div_fmas_f32 v13, v13, v15, v19
	v_div_fixup_f32 v10, v13, v10, 1.0
	v_add_f32_e32 v13, v9, v9
	v_div_scale_f32 v15, s[6:7], v13, v13, 1.0
	v_fmac_f32_e32 v23, 0xbcc30c31, v10
	v_rcp_f32_e32 v16, v15
	v_fma_f32 v19, -v15, v16, 1.0
	v_fmac_f32_e32 v16, v19, v16
	v_div_scale_f32 v19, vcc, 1.0, v13, 1.0
	v_mul_f32_e32 v20, v19, v16
	v_fma_f32 v21, -v15, v20, v19
	v_fmac_f32_e32 v20, v21, v16
	v_fma_f32 v15, -v15, v20, v19
	v_div_fmas_f32 v15, v15, v16, v20
	v_div_fixup_f32 v13, v15, v13, 1.0
	v_add_f32_e32 v13, 1.0, v13
	v_fma_f32 v15, -v10, v23, s4
	v_fmac_f32_e32 v13, v10, v15
	v_div_scale_f32 v10, s[4:5], v9, v9, v13
	v_rcp_f32_e32 v15, v10
	v_fma_f32 v16, -v10, v15, 1.0
	v_fmac_f32_e32 v15, v16, v15
	v_div_scale_f32 v16, vcc, v13, v9, v13
	v_mul_f32_e32 v19, v16, v15
	v_fma_f32 v20, -v10, v19, v16
	v_fmac_f32_e32 v19, v20, v15
	v_fma_f32 v10, -v10, v19, v16
	v_div_fmas_f32 v10, v10, v15, v19
	v_add_co_u32_e32 v0, vcc, s10, v0
	v_div_fixup_f32 v9, v10, v9, v13
	v_add_f32_e32 v8, v8, v9
	v_mov_b32_e32 v9, s11
	v_addc_co_u32_e32 v1, vcc, v1, v9, vcc
	v_add_co_u32_e32 v0, vcc, v0, v6
	v_addc_co_u32_e32 v1, vcc, 0, v1, vcc
	v_fma_mixhi_f16 v5, v18, v8, 0
	flat_store_dwordx4 v[0:1], v[2:5]
	s_waitcnt vmcnt(0) lgkmcnt(0)
	s_setpc_b64 s[30:31]
.Lfunc_end59:
	.size	_ZN2at6native25elementwise_kernel_helperILb0EZZZNS0_20trigamma_kernel_cudaERNS_18TensorIteratorBaseEENKUlvE_clEvENKUlvE1_clEvEUlN3c104HalfEE_NS0_6memory8policies10vectorizedILi8ESt5arrayIPcLm2EELi8EEEEEvT0_T1_, .Lfunc_end59-_ZN2at6native25elementwise_kernel_helperILb0EZZZNS0_20trigamma_kernel_cudaERNS_18TensorIteratorBaseEENKUlvE_clEvENKUlvE1_clEvEUlN3c104HalfEE_NS0_6memory8policies10vectorizedILi8ESt5arrayIPcLm2EELi8EEEEEvT0_T1_
                                        ; -- End function
	.set .L_ZN2at6native25elementwise_kernel_helperILb0EZZZNS0_20trigamma_kernel_cudaERNS_18TensorIteratorBaseEENKUlvE_clEvENKUlvE1_clEvEUlN3c104HalfEE_NS0_6memory8policies10vectorizedILi8ESt5arrayIPcLm2EELi8EEEEEvT0_T1_.num_vgpr, 39
	.set .L_ZN2at6native25elementwise_kernel_helperILb0EZZZNS0_20trigamma_kernel_cudaERNS_18TensorIteratorBaseEENKUlvE_clEvENKUlvE1_clEvEUlN3c104HalfEE_NS0_6memory8policies10vectorizedILi8ESt5arrayIPcLm2EELi8EEEEEvT0_T1_.num_agpr, 0
	.set .L_ZN2at6native25elementwise_kernel_helperILb0EZZZNS0_20trigamma_kernel_cudaERNS_18TensorIteratorBaseEENKUlvE_clEvENKUlvE1_clEvEUlN3c104HalfEE_NS0_6memory8policies10vectorizedILi8ESt5arrayIPcLm2EELi8EEEEEvT0_T1_.numbered_sgpr, 32
	.set .L_ZN2at6native25elementwise_kernel_helperILb0EZZZNS0_20trigamma_kernel_cudaERNS_18TensorIteratorBaseEENKUlvE_clEvENKUlvE1_clEvEUlN3c104HalfEE_NS0_6memory8policies10vectorizedILi8ESt5arrayIPcLm2EELi8EEEEEvT0_T1_.num_named_barrier, 0
	.set .L_ZN2at6native25elementwise_kernel_helperILb0EZZZNS0_20trigamma_kernel_cudaERNS_18TensorIteratorBaseEENKUlvE_clEvENKUlvE1_clEvEUlN3c104HalfEE_NS0_6memory8policies10vectorizedILi8ESt5arrayIPcLm2EELi8EEEEEvT0_T1_.private_seg_size, 0
	.set .L_ZN2at6native25elementwise_kernel_helperILb0EZZZNS0_20trigamma_kernel_cudaERNS_18TensorIteratorBaseEENKUlvE_clEvENKUlvE1_clEvEUlN3c104HalfEE_NS0_6memory8policies10vectorizedILi8ESt5arrayIPcLm2EELi8EEEEEvT0_T1_.uses_vcc, 1
	.set .L_ZN2at6native25elementwise_kernel_helperILb0EZZZNS0_20trigamma_kernel_cudaERNS_18TensorIteratorBaseEENKUlvE_clEvENKUlvE1_clEvEUlN3c104HalfEE_NS0_6memory8policies10vectorizedILi8ESt5arrayIPcLm2EELi8EEEEEvT0_T1_.uses_flat_scratch, 0
	.set .L_ZN2at6native25elementwise_kernel_helperILb0EZZZNS0_20trigamma_kernel_cudaERNS_18TensorIteratorBaseEENKUlvE_clEvENKUlvE1_clEvEUlN3c104HalfEE_NS0_6memory8policies10vectorizedILi8ESt5arrayIPcLm2EELi8EEEEEvT0_T1_.has_dyn_sized_stack, 0
	.set .L_ZN2at6native25elementwise_kernel_helperILb0EZZZNS0_20trigamma_kernel_cudaERNS_18TensorIteratorBaseEENKUlvE_clEvENKUlvE1_clEvEUlN3c104HalfEE_NS0_6memory8policies10vectorizedILi8ESt5arrayIPcLm2EELi8EEEEEvT0_T1_.has_recursion, 0
	.set .L_ZN2at6native25elementwise_kernel_helperILb0EZZZNS0_20trigamma_kernel_cudaERNS_18TensorIteratorBaseEENKUlvE_clEvENKUlvE1_clEvEUlN3c104HalfEE_NS0_6memory8policies10vectorizedILi8ESt5arrayIPcLm2EELi8EEEEEvT0_T1_.has_indirect_call, 0
	.section	.AMDGPU.csdata,"",@progbits
; Function info:
; codeLenInByte = 14124
; TotalNumSgprs: 36
; NumVgprs: 39
; ScratchSize: 0
; MemoryBound: 0
	.section	.text._ZN2at6native29vectorized_elementwise_kernelILi16EZZZNS0_20trigamma_kernel_cudaERNS_18TensorIteratorBaseEENKUlvE_clEvENKUlvE1_clEvEUlN3c104HalfEE_St5arrayIPcLm2EEEEviT0_T1_,"axG",@progbits,_ZN2at6native29vectorized_elementwise_kernelILi16EZZZNS0_20trigamma_kernel_cudaERNS_18TensorIteratorBaseEENKUlvE_clEvENKUlvE1_clEvEUlN3c104HalfEE_St5arrayIPcLm2EEEEviT0_T1_,comdat
	.globl	_ZN2at6native29vectorized_elementwise_kernelILi16EZZZNS0_20trigamma_kernel_cudaERNS_18TensorIteratorBaseEENKUlvE_clEvENKUlvE1_clEvEUlN3c104HalfEE_St5arrayIPcLm2EEEEviT0_T1_ ; -- Begin function _ZN2at6native29vectorized_elementwise_kernelILi16EZZZNS0_20trigamma_kernel_cudaERNS_18TensorIteratorBaseEENKUlvE_clEvENKUlvE1_clEvEUlN3c104HalfEE_St5arrayIPcLm2EEEEviT0_T1_
	.p2align	8
	.type	_ZN2at6native29vectorized_elementwise_kernelILi16EZZZNS0_20trigamma_kernel_cudaERNS_18TensorIteratorBaseEENKUlvE_clEvENKUlvE1_clEvEUlN3c104HalfEE_St5arrayIPcLm2EEEEviT0_T1_,@function
_ZN2at6native29vectorized_elementwise_kernelILi16EZZZNS0_20trigamma_kernel_cudaERNS_18TensorIteratorBaseEENKUlvE_clEvENKUlvE1_clEvEUlN3c104HalfEE_St5arrayIPcLm2EEEEviT0_T1_: ; @_ZN2at6native29vectorized_elementwise_kernelILi16EZZZNS0_20trigamma_kernel_cudaERNS_18TensorIteratorBaseEENKUlvE_clEvENKUlvE1_clEvEUlN3c104HalfEE_St5arrayIPcLm2EEEEviT0_T1_
; %bb.0:
	s_mov_b32 s16, s6
	s_load_dword s6, s[4:5], 0x0
	s_load_dwordx4 s[20:23], s[4:5], 0x8
	s_add_u32 s0, s0, s7
	s_addc_u32 s1, s1, 0
	s_lshl_b32 s4, s16, 11
	s_waitcnt lgkmcnt(0)
	s_sub_i32 s17, s6, s4
	v_mov_b32_e32 v39, v0
	s_cmpk_gt_i32 s17, 0x7ff
	s_mov_b64 s[4:5], -1
	s_mov_b32 s32, 0
	s_cbranch_scc1 .LBB60_3
; %bb.1:
	s_andn2_b64 vcc, exec, s[4:5]
	s_cbranch_vccz .LBB60_4
.LBB60_2:
	s_endpgm
.LBB60_3:
	s_getpc_b64 s[4:5]
	s_add_u32 s4, s4, _ZN2at6native25elementwise_kernel_helperILb0EZZZNS0_20trigamma_kernel_cudaERNS_18TensorIteratorBaseEENKUlvE_clEvENKUlvE1_clEvEUlN3c104HalfEE_NS0_6memory8policies10vectorizedILi8ESt5arrayIPcLm2EELi8EEEEEvT0_T1_@rel32@lo+4
	s_addc_u32 s5, s5, _ZN2at6native25elementwise_kernel_helperILb0EZZZNS0_20trigamma_kernel_cudaERNS_18TensorIteratorBaseEENKUlvE_clEvENKUlvE1_clEvEUlN3c104HalfEE_NS0_6memory8policies10vectorizedILi8ESt5arrayIPcLm2EELi8EEEEEvT0_T1_@rel32@hi+12
	s_mov_b32 s12, s16
	v_mov_b32_e32 v31, v39
	v_mov_b32_e32 v0, s20
	;; [unrolled: 1-line block ×5, first 2 shown]
	s_swappc_b64 s[30:31], s[4:5]
	s_cbranch_execnz .LBB60_2
.LBB60_4:
	s_getpc_b64 s[4:5]
	s_add_u32 s4, s4, _ZN2at6native25elementwise_kernel_helperILb0EZZZNS0_20trigamma_kernel_cudaERNS_18TensorIteratorBaseEENKUlvE_clEvENKUlvE1_clEvEUlN3c104HalfEE_NS0_6memory8policies11unroll_baseILi256ESt5arrayIPcLm2EE23TrivialOffsetCalculatorILi1EjESG_NS9_15LoadWithoutCastENS9_16StoreWithoutCastELi8ELi1EEEEEvT0_T1_@rel32@lo+4
	s_addc_u32 s5, s5, _ZN2at6native25elementwise_kernel_helperILb0EZZZNS0_20trigamma_kernel_cudaERNS_18TensorIteratorBaseEENKUlvE_clEvENKUlvE1_clEvEUlN3c104HalfEE_NS0_6memory8policies11unroll_baseILi256ESt5arrayIPcLm2EE23TrivialOffsetCalculatorILi1EjESG_NS9_15LoadWithoutCastENS9_16StoreWithoutCastELi8ELi1EEEEEvT0_T1_@rel32@hi+12
	s_mov_b32 s12, s16
	v_mov_b32_e32 v31, v39
	v_mov_b32_e32 v0, s20
	;; [unrolled: 1-line block ×6, first 2 shown]
	s_swappc_b64 s[30:31], s[4:5]
	s_endpgm
	.section	.rodata,"a",@progbits
	.p2align	6, 0x0
	.amdhsa_kernel _ZN2at6native29vectorized_elementwise_kernelILi16EZZZNS0_20trigamma_kernel_cudaERNS_18TensorIteratorBaseEENKUlvE_clEvENKUlvE1_clEvEUlN3c104HalfEE_St5arrayIPcLm2EEEEviT0_T1_
		.amdhsa_group_segment_fixed_size 0
		.amdhsa_private_segment_fixed_size 0
		.amdhsa_kernarg_size 24
		.amdhsa_user_sgpr_count 6
		.amdhsa_user_sgpr_private_segment_buffer 1
		.amdhsa_user_sgpr_dispatch_ptr 0
		.amdhsa_user_sgpr_queue_ptr 0
		.amdhsa_user_sgpr_kernarg_segment_ptr 1
		.amdhsa_user_sgpr_dispatch_id 0
		.amdhsa_user_sgpr_flat_scratch_init 0
		.amdhsa_user_sgpr_private_segment_size 0
		.amdhsa_uses_dynamic_stack 0
		.amdhsa_system_sgpr_private_segment_wavefront_offset 0
		.amdhsa_system_sgpr_workgroup_id_x 1
		.amdhsa_system_sgpr_workgroup_id_y 0
		.amdhsa_system_sgpr_workgroup_id_z 0
		.amdhsa_system_sgpr_workgroup_info 0
		.amdhsa_system_vgpr_workitem_id 0
		.amdhsa_next_free_vgpr 40
		.amdhsa_next_free_sgpr 33
		.amdhsa_reserve_vcc 1
		.amdhsa_reserve_flat_scratch 0
		.amdhsa_float_round_mode_32 0
		.amdhsa_float_round_mode_16_64 0
		.amdhsa_float_denorm_mode_32 3
		.amdhsa_float_denorm_mode_16_64 3
		.amdhsa_dx10_clamp 1
		.amdhsa_ieee_mode 1
		.amdhsa_fp16_overflow 0
		.amdhsa_exception_fp_ieee_invalid_op 0
		.amdhsa_exception_fp_denorm_src 0
		.amdhsa_exception_fp_ieee_div_zero 0
		.amdhsa_exception_fp_ieee_overflow 0
		.amdhsa_exception_fp_ieee_underflow 0
		.amdhsa_exception_fp_ieee_inexact 0
		.amdhsa_exception_int_div_zero 0
	.end_amdhsa_kernel
	.section	.text._ZN2at6native29vectorized_elementwise_kernelILi16EZZZNS0_20trigamma_kernel_cudaERNS_18TensorIteratorBaseEENKUlvE_clEvENKUlvE1_clEvEUlN3c104HalfEE_St5arrayIPcLm2EEEEviT0_T1_,"axG",@progbits,_ZN2at6native29vectorized_elementwise_kernelILi16EZZZNS0_20trigamma_kernel_cudaERNS_18TensorIteratorBaseEENKUlvE_clEvENKUlvE1_clEvEUlN3c104HalfEE_St5arrayIPcLm2EEEEviT0_T1_,comdat
.Lfunc_end60:
	.size	_ZN2at6native29vectorized_elementwise_kernelILi16EZZZNS0_20trigamma_kernel_cudaERNS_18TensorIteratorBaseEENKUlvE_clEvENKUlvE1_clEvEUlN3c104HalfEE_St5arrayIPcLm2EEEEviT0_T1_, .Lfunc_end60-_ZN2at6native29vectorized_elementwise_kernelILi16EZZZNS0_20trigamma_kernel_cudaERNS_18TensorIteratorBaseEENKUlvE_clEvENKUlvE1_clEvEUlN3c104HalfEE_St5arrayIPcLm2EEEEviT0_T1_
                                        ; -- End function
	.set _ZN2at6native29vectorized_elementwise_kernelILi16EZZZNS0_20trigamma_kernel_cudaERNS_18TensorIteratorBaseEENKUlvE_clEvENKUlvE1_clEvEUlN3c104HalfEE_St5arrayIPcLm2EEEEviT0_T1_.num_vgpr, max(40, .L_ZN2at6native25elementwise_kernel_helperILb0EZZZNS0_20trigamma_kernel_cudaERNS_18TensorIteratorBaseEENKUlvE_clEvENKUlvE1_clEvEUlN3c104HalfEE_NS0_6memory8policies10vectorizedILi8ESt5arrayIPcLm2EELi8EEEEEvT0_T1_.num_vgpr, .L_ZN2at6native25elementwise_kernel_helperILb0EZZZNS0_20trigamma_kernel_cudaERNS_18TensorIteratorBaseEENKUlvE_clEvENKUlvE1_clEvEUlN3c104HalfEE_NS0_6memory8policies11unroll_baseILi256ESt5arrayIPcLm2EE23TrivialOffsetCalculatorILi1EjESG_NS9_15LoadWithoutCastENS9_16StoreWithoutCastELi8ELi1EEEEEvT0_T1_.num_vgpr)
	.set _ZN2at6native29vectorized_elementwise_kernelILi16EZZZNS0_20trigamma_kernel_cudaERNS_18TensorIteratorBaseEENKUlvE_clEvENKUlvE1_clEvEUlN3c104HalfEE_St5arrayIPcLm2EEEEviT0_T1_.num_agpr, max(0, .L_ZN2at6native25elementwise_kernel_helperILb0EZZZNS0_20trigamma_kernel_cudaERNS_18TensorIteratorBaseEENKUlvE_clEvENKUlvE1_clEvEUlN3c104HalfEE_NS0_6memory8policies10vectorizedILi8ESt5arrayIPcLm2EELi8EEEEEvT0_T1_.num_agpr, .L_ZN2at6native25elementwise_kernel_helperILb0EZZZNS0_20trigamma_kernel_cudaERNS_18TensorIteratorBaseEENKUlvE_clEvENKUlvE1_clEvEUlN3c104HalfEE_NS0_6memory8policies11unroll_baseILi256ESt5arrayIPcLm2EE23TrivialOffsetCalculatorILi1EjESG_NS9_15LoadWithoutCastENS9_16StoreWithoutCastELi8ELi1EEEEEvT0_T1_.num_agpr)
	.set _ZN2at6native29vectorized_elementwise_kernelILi16EZZZNS0_20trigamma_kernel_cudaERNS_18TensorIteratorBaseEENKUlvE_clEvENKUlvE1_clEvEUlN3c104HalfEE_St5arrayIPcLm2EEEEviT0_T1_.numbered_sgpr, max(33, .L_ZN2at6native25elementwise_kernel_helperILb0EZZZNS0_20trigamma_kernel_cudaERNS_18TensorIteratorBaseEENKUlvE_clEvENKUlvE1_clEvEUlN3c104HalfEE_NS0_6memory8policies10vectorizedILi8ESt5arrayIPcLm2EELi8EEEEEvT0_T1_.numbered_sgpr, .L_ZN2at6native25elementwise_kernel_helperILb0EZZZNS0_20trigamma_kernel_cudaERNS_18TensorIteratorBaseEENKUlvE_clEvENKUlvE1_clEvEUlN3c104HalfEE_NS0_6memory8policies11unroll_baseILi256ESt5arrayIPcLm2EE23TrivialOffsetCalculatorILi1EjESG_NS9_15LoadWithoutCastENS9_16StoreWithoutCastELi8ELi1EEEEEvT0_T1_.numbered_sgpr)
	.set _ZN2at6native29vectorized_elementwise_kernelILi16EZZZNS0_20trigamma_kernel_cudaERNS_18TensorIteratorBaseEENKUlvE_clEvENKUlvE1_clEvEUlN3c104HalfEE_St5arrayIPcLm2EEEEviT0_T1_.num_named_barrier, max(0, .L_ZN2at6native25elementwise_kernel_helperILb0EZZZNS0_20trigamma_kernel_cudaERNS_18TensorIteratorBaseEENKUlvE_clEvENKUlvE1_clEvEUlN3c104HalfEE_NS0_6memory8policies10vectorizedILi8ESt5arrayIPcLm2EELi8EEEEEvT0_T1_.num_named_barrier, .L_ZN2at6native25elementwise_kernel_helperILb0EZZZNS0_20trigamma_kernel_cudaERNS_18TensorIteratorBaseEENKUlvE_clEvENKUlvE1_clEvEUlN3c104HalfEE_NS0_6memory8policies11unroll_baseILi256ESt5arrayIPcLm2EE23TrivialOffsetCalculatorILi1EjESG_NS9_15LoadWithoutCastENS9_16StoreWithoutCastELi8ELi1EEEEEvT0_T1_.num_named_barrier)
	.set _ZN2at6native29vectorized_elementwise_kernelILi16EZZZNS0_20trigamma_kernel_cudaERNS_18TensorIteratorBaseEENKUlvE_clEvENKUlvE1_clEvEUlN3c104HalfEE_St5arrayIPcLm2EEEEviT0_T1_.private_seg_size, 0+max(.L_ZN2at6native25elementwise_kernel_helperILb0EZZZNS0_20trigamma_kernel_cudaERNS_18TensorIteratorBaseEENKUlvE_clEvENKUlvE1_clEvEUlN3c104HalfEE_NS0_6memory8policies10vectorizedILi8ESt5arrayIPcLm2EELi8EEEEEvT0_T1_.private_seg_size, .L_ZN2at6native25elementwise_kernel_helperILb0EZZZNS0_20trigamma_kernel_cudaERNS_18TensorIteratorBaseEENKUlvE_clEvENKUlvE1_clEvEUlN3c104HalfEE_NS0_6memory8policies11unroll_baseILi256ESt5arrayIPcLm2EE23TrivialOffsetCalculatorILi1EjESG_NS9_15LoadWithoutCastENS9_16StoreWithoutCastELi8ELi1EEEEEvT0_T1_.private_seg_size)
	.set _ZN2at6native29vectorized_elementwise_kernelILi16EZZZNS0_20trigamma_kernel_cudaERNS_18TensorIteratorBaseEENKUlvE_clEvENKUlvE1_clEvEUlN3c104HalfEE_St5arrayIPcLm2EEEEviT0_T1_.uses_vcc, or(1, .L_ZN2at6native25elementwise_kernel_helperILb0EZZZNS0_20trigamma_kernel_cudaERNS_18TensorIteratorBaseEENKUlvE_clEvENKUlvE1_clEvEUlN3c104HalfEE_NS0_6memory8policies10vectorizedILi8ESt5arrayIPcLm2EELi8EEEEEvT0_T1_.uses_vcc, .L_ZN2at6native25elementwise_kernel_helperILb0EZZZNS0_20trigamma_kernel_cudaERNS_18TensorIteratorBaseEENKUlvE_clEvENKUlvE1_clEvEUlN3c104HalfEE_NS0_6memory8policies11unroll_baseILi256ESt5arrayIPcLm2EE23TrivialOffsetCalculatorILi1EjESG_NS9_15LoadWithoutCastENS9_16StoreWithoutCastELi8ELi1EEEEEvT0_T1_.uses_vcc)
	.set _ZN2at6native29vectorized_elementwise_kernelILi16EZZZNS0_20trigamma_kernel_cudaERNS_18TensorIteratorBaseEENKUlvE_clEvENKUlvE1_clEvEUlN3c104HalfEE_St5arrayIPcLm2EEEEviT0_T1_.uses_flat_scratch, or(0, .L_ZN2at6native25elementwise_kernel_helperILb0EZZZNS0_20trigamma_kernel_cudaERNS_18TensorIteratorBaseEENKUlvE_clEvENKUlvE1_clEvEUlN3c104HalfEE_NS0_6memory8policies10vectorizedILi8ESt5arrayIPcLm2EELi8EEEEEvT0_T1_.uses_flat_scratch, .L_ZN2at6native25elementwise_kernel_helperILb0EZZZNS0_20trigamma_kernel_cudaERNS_18TensorIteratorBaseEENKUlvE_clEvENKUlvE1_clEvEUlN3c104HalfEE_NS0_6memory8policies11unroll_baseILi256ESt5arrayIPcLm2EE23TrivialOffsetCalculatorILi1EjESG_NS9_15LoadWithoutCastENS9_16StoreWithoutCastELi8ELi1EEEEEvT0_T1_.uses_flat_scratch)
	.set _ZN2at6native29vectorized_elementwise_kernelILi16EZZZNS0_20trigamma_kernel_cudaERNS_18TensorIteratorBaseEENKUlvE_clEvENKUlvE1_clEvEUlN3c104HalfEE_St5arrayIPcLm2EEEEviT0_T1_.has_dyn_sized_stack, or(0, .L_ZN2at6native25elementwise_kernel_helperILb0EZZZNS0_20trigamma_kernel_cudaERNS_18TensorIteratorBaseEENKUlvE_clEvENKUlvE1_clEvEUlN3c104HalfEE_NS0_6memory8policies10vectorizedILi8ESt5arrayIPcLm2EELi8EEEEEvT0_T1_.has_dyn_sized_stack, .L_ZN2at6native25elementwise_kernel_helperILb0EZZZNS0_20trigamma_kernel_cudaERNS_18TensorIteratorBaseEENKUlvE_clEvENKUlvE1_clEvEUlN3c104HalfEE_NS0_6memory8policies11unroll_baseILi256ESt5arrayIPcLm2EE23TrivialOffsetCalculatorILi1EjESG_NS9_15LoadWithoutCastENS9_16StoreWithoutCastELi8ELi1EEEEEvT0_T1_.has_dyn_sized_stack)
	.set _ZN2at6native29vectorized_elementwise_kernelILi16EZZZNS0_20trigamma_kernel_cudaERNS_18TensorIteratorBaseEENKUlvE_clEvENKUlvE1_clEvEUlN3c104HalfEE_St5arrayIPcLm2EEEEviT0_T1_.has_recursion, or(0, .L_ZN2at6native25elementwise_kernel_helperILb0EZZZNS0_20trigamma_kernel_cudaERNS_18TensorIteratorBaseEENKUlvE_clEvENKUlvE1_clEvEUlN3c104HalfEE_NS0_6memory8policies10vectorizedILi8ESt5arrayIPcLm2EELi8EEEEEvT0_T1_.has_recursion, .L_ZN2at6native25elementwise_kernel_helperILb0EZZZNS0_20trigamma_kernel_cudaERNS_18TensorIteratorBaseEENKUlvE_clEvENKUlvE1_clEvEUlN3c104HalfEE_NS0_6memory8policies11unroll_baseILi256ESt5arrayIPcLm2EE23TrivialOffsetCalculatorILi1EjESG_NS9_15LoadWithoutCastENS9_16StoreWithoutCastELi8ELi1EEEEEvT0_T1_.has_recursion)
	.set _ZN2at6native29vectorized_elementwise_kernelILi16EZZZNS0_20trigamma_kernel_cudaERNS_18TensorIteratorBaseEENKUlvE_clEvENKUlvE1_clEvEUlN3c104HalfEE_St5arrayIPcLm2EEEEviT0_T1_.has_indirect_call, or(0, .L_ZN2at6native25elementwise_kernel_helperILb0EZZZNS0_20trigamma_kernel_cudaERNS_18TensorIteratorBaseEENKUlvE_clEvENKUlvE1_clEvEUlN3c104HalfEE_NS0_6memory8policies10vectorizedILi8ESt5arrayIPcLm2EELi8EEEEEvT0_T1_.has_indirect_call, .L_ZN2at6native25elementwise_kernel_helperILb0EZZZNS0_20trigamma_kernel_cudaERNS_18TensorIteratorBaseEENKUlvE_clEvENKUlvE1_clEvEUlN3c104HalfEE_NS0_6memory8policies11unroll_baseILi256ESt5arrayIPcLm2EE23TrivialOffsetCalculatorILi1EjESG_NS9_15LoadWithoutCastENS9_16StoreWithoutCastELi8ELi1EEEEEvT0_T1_.has_indirect_call)
	.section	.AMDGPU.csdata,"",@progbits
; Kernel info:
; codeLenInByte = 180
; TotalNumSgprs: 37
; NumVgprs: 40
; ScratchSize: 0
; MemoryBound: 0
; FloatMode: 240
; IeeeMode: 1
; LDSByteSize: 0 bytes/workgroup (compile time only)
; SGPRBlocks: 4
; VGPRBlocks: 9
; NumSGPRsForWavesPerEU: 37
; NumVGPRsForWavesPerEU: 40
; Occupancy: 6
; WaveLimiterHint : 0
; COMPUTE_PGM_RSRC2:SCRATCH_EN: 0
; COMPUTE_PGM_RSRC2:USER_SGPR: 6
; COMPUTE_PGM_RSRC2:TRAP_HANDLER: 0
; COMPUTE_PGM_RSRC2:TGID_X_EN: 1
; COMPUTE_PGM_RSRC2:TGID_Y_EN: 0
; COMPUTE_PGM_RSRC2:TGID_Z_EN: 0
; COMPUTE_PGM_RSRC2:TIDIG_COMP_CNT: 0
	.section	.text._ZN2at6native29vectorized_elementwise_kernelILi8EZZZNS0_20trigamma_kernel_cudaERNS_18TensorIteratorBaseEENKUlvE_clEvENKUlvE1_clEvEUlN3c104HalfEE_St5arrayIPcLm2EEEEviT0_T1_,"axG",@progbits,_ZN2at6native29vectorized_elementwise_kernelILi8EZZZNS0_20trigamma_kernel_cudaERNS_18TensorIteratorBaseEENKUlvE_clEvENKUlvE1_clEvEUlN3c104HalfEE_St5arrayIPcLm2EEEEviT0_T1_,comdat
	.globl	_ZN2at6native29vectorized_elementwise_kernelILi8EZZZNS0_20trigamma_kernel_cudaERNS_18TensorIteratorBaseEENKUlvE_clEvENKUlvE1_clEvEUlN3c104HalfEE_St5arrayIPcLm2EEEEviT0_T1_ ; -- Begin function _ZN2at6native29vectorized_elementwise_kernelILi8EZZZNS0_20trigamma_kernel_cudaERNS_18TensorIteratorBaseEENKUlvE_clEvENKUlvE1_clEvEUlN3c104HalfEE_St5arrayIPcLm2EEEEviT0_T1_
	.p2align	8
	.type	_ZN2at6native29vectorized_elementwise_kernelILi8EZZZNS0_20trigamma_kernel_cudaERNS_18TensorIteratorBaseEENKUlvE_clEvENKUlvE1_clEvEUlN3c104HalfEE_St5arrayIPcLm2EEEEviT0_T1_,@function
_ZN2at6native29vectorized_elementwise_kernelILi8EZZZNS0_20trigamma_kernel_cudaERNS_18TensorIteratorBaseEENKUlvE_clEvENKUlvE1_clEvEUlN3c104HalfEE_St5arrayIPcLm2EEEEviT0_T1_: ; @_ZN2at6native29vectorized_elementwise_kernelILi8EZZZNS0_20trigamma_kernel_cudaERNS_18TensorIteratorBaseEENKUlvE_clEvENKUlvE1_clEvEUlN3c104HalfEE_St5arrayIPcLm2EEEEviT0_T1_
; %bb.0:
	s_mov_b32 s16, s6
	s_load_dword s6, s[4:5], 0x0
	s_load_dwordx4 s[20:23], s[4:5], 0x8
	s_add_u32 s0, s0, s7
	s_addc_u32 s1, s1, 0
	s_lshl_b32 s4, s16, 11
	s_waitcnt lgkmcnt(0)
	s_sub_i32 s17, s6, s4
	v_mov_b32_e32 v39, v0
	s_cmpk_gt_i32 s17, 0x7ff
	s_mov_b64 s[4:5], -1
	s_mov_b32 s32, 0
	s_cbranch_scc1 .LBB61_3
; %bb.1:
	s_andn2_b64 vcc, exec, s[4:5]
	s_cbranch_vccz .LBB61_4
.LBB61_2:
	s_endpgm
.LBB61_3:
	s_getpc_b64 s[4:5]
	s_add_u32 s4, s4, _ZN2at6native25elementwise_kernel_helperILb0EZZZNS0_20trigamma_kernel_cudaERNS_18TensorIteratorBaseEENKUlvE_clEvENKUlvE1_clEvEUlN3c104HalfEE_NS0_6memory8policies10vectorizedILi8ESt5arrayIPcLm2EELi8EEEEEvT0_T1_@rel32@lo+4
	s_addc_u32 s5, s5, _ZN2at6native25elementwise_kernel_helperILb0EZZZNS0_20trigamma_kernel_cudaERNS_18TensorIteratorBaseEENKUlvE_clEvENKUlvE1_clEvEUlN3c104HalfEE_NS0_6memory8policies10vectorizedILi8ESt5arrayIPcLm2EELi8EEEEEvT0_T1_@rel32@hi+12
	s_mov_b32 s12, s16
	v_mov_b32_e32 v31, v39
	v_mov_b32_e32 v0, s20
	;; [unrolled: 1-line block ×5, first 2 shown]
	s_swappc_b64 s[30:31], s[4:5]
	s_cbranch_execnz .LBB61_2
.LBB61_4:
	s_getpc_b64 s[4:5]
	s_add_u32 s4, s4, _ZN2at6native25elementwise_kernel_helperILb0EZZZNS0_20trigamma_kernel_cudaERNS_18TensorIteratorBaseEENKUlvE_clEvENKUlvE1_clEvEUlN3c104HalfEE_NS0_6memory8policies11unroll_baseILi256ESt5arrayIPcLm2EE23TrivialOffsetCalculatorILi1EjESG_NS9_15LoadWithoutCastENS9_16StoreWithoutCastELi8ELi1EEEEEvT0_T1_@rel32@lo+4
	s_addc_u32 s5, s5, _ZN2at6native25elementwise_kernel_helperILb0EZZZNS0_20trigamma_kernel_cudaERNS_18TensorIteratorBaseEENKUlvE_clEvENKUlvE1_clEvEUlN3c104HalfEE_NS0_6memory8policies11unroll_baseILi256ESt5arrayIPcLm2EE23TrivialOffsetCalculatorILi1EjESG_NS9_15LoadWithoutCastENS9_16StoreWithoutCastELi8ELi1EEEEEvT0_T1_@rel32@hi+12
	s_mov_b32 s12, s16
	v_mov_b32_e32 v31, v39
	v_mov_b32_e32 v0, s20
	;; [unrolled: 1-line block ×6, first 2 shown]
	s_swappc_b64 s[30:31], s[4:5]
	s_endpgm
	.section	.rodata,"a",@progbits
	.p2align	6, 0x0
	.amdhsa_kernel _ZN2at6native29vectorized_elementwise_kernelILi8EZZZNS0_20trigamma_kernel_cudaERNS_18TensorIteratorBaseEENKUlvE_clEvENKUlvE1_clEvEUlN3c104HalfEE_St5arrayIPcLm2EEEEviT0_T1_
		.amdhsa_group_segment_fixed_size 0
		.amdhsa_private_segment_fixed_size 0
		.amdhsa_kernarg_size 24
		.amdhsa_user_sgpr_count 6
		.amdhsa_user_sgpr_private_segment_buffer 1
		.amdhsa_user_sgpr_dispatch_ptr 0
		.amdhsa_user_sgpr_queue_ptr 0
		.amdhsa_user_sgpr_kernarg_segment_ptr 1
		.amdhsa_user_sgpr_dispatch_id 0
		.amdhsa_user_sgpr_flat_scratch_init 0
		.amdhsa_user_sgpr_private_segment_size 0
		.amdhsa_uses_dynamic_stack 0
		.amdhsa_system_sgpr_private_segment_wavefront_offset 0
		.amdhsa_system_sgpr_workgroup_id_x 1
		.amdhsa_system_sgpr_workgroup_id_y 0
		.amdhsa_system_sgpr_workgroup_id_z 0
		.amdhsa_system_sgpr_workgroup_info 0
		.amdhsa_system_vgpr_workitem_id 0
		.amdhsa_next_free_vgpr 40
		.amdhsa_next_free_sgpr 33
		.amdhsa_reserve_vcc 1
		.amdhsa_reserve_flat_scratch 0
		.amdhsa_float_round_mode_32 0
		.amdhsa_float_round_mode_16_64 0
		.amdhsa_float_denorm_mode_32 3
		.amdhsa_float_denorm_mode_16_64 3
		.amdhsa_dx10_clamp 1
		.amdhsa_ieee_mode 1
		.amdhsa_fp16_overflow 0
		.amdhsa_exception_fp_ieee_invalid_op 0
		.amdhsa_exception_fp_denorm_src 0
		.amdhsa_exception_fp_ieee_div_zero 0
		.amdhsa_exception_fp_ieee_overflow 0
		.amdhsa_exception_fp_ieee_underflow 0
		.amdhsa_exception_fp_ieee_inexact 0
		.amdhsa_exception_int_div_zero 0
	.end_amdhsa_kernel
	.section	.text._ZN2at6native29vectorized_elementwise_kernelILi8EZZZNS0_20trigamma_kernel_cudaERNS_18TensorIteratorBaseEENKUlvE_clEvENKUlvE1_clEvEUlN3c104HalfEE_St5arrayIPcLm2EEEEviT0_T1_,"axG",@progbits,_ZN2at6native29vectorized_elementwise_kernelILi8EZZZNS0_20trigamma_kernel_cudaERNS_18TensorIteratorBaseEENKUlvE_clEvENKUlvE1_clEvEUlN3c104HalfEE_St5arrayIPcLm2EEEEviT0_T1_,comdat
.Lfunc_end61:
	.size	_ZN2at6native29vectorized_elementwise_kernelILi8EZZZNS0_20trigamma_kernel_cudaERNS_18TensorIteratorBaseEENKUlvE_clEvENKUlvE1_clEvEUlN3c104HalfEE_St5arrayIPcLm2EEEEviT0_T1_, .Lfunc_end61-_ZN2at6native29vectorized_elementwise_kernelILi8EZZZNS0_20trigamma_kernel_cudaERNS_18TensorIteratorBaseEENKUlvE_clEvENKUlvE1_clEvEUlN3c104HalfEE_St5arrayIPcLm2EEEEviT0_T1_
                                        ; -- End function
	.set _ZN2at6native29vectorized_elementwise_kernelILi8EZZZNS0_20trigamma_kernel_cudaERNS_18TensorIteratorBaseEENKUlvE_clEvENKUlvE1_clEvEUlN3c104HalfEE_St5arrayIPcLm2EEEEviT0_T1_.num_vgpr, max(40, .L_ZN2at6native25elementwise_kernel_helperILb0EZZZNS0_20trigamma_kernel_cudaERNS_18TensorIteratorBaseEENKUlvE_clEvENKUlvE1_clEvEUlN3c104HalfEE_NS0_6memory8policies10vectorizedILi8ESt5arrayIPcLm2EELi8EEEEEvT0_T1_.num_vgpr, .L_ZN2at6native25elementwise_kernel_helperILb0EZZZNS0_20trigamma_kernel_cudaERNS_18TensorIteratorBaseEENKUlvE_clEvENKUlvE1_clEvEUlN3c104HalfEE_NS0_6memory8policies11unroll_baseILi256ESt5arrayIPcLm2EE23TrivialOffsetCalculatorILi1EjESG_NS9_15LoadWithoutCastENS9_16StoreWithoutCastELi8ELi1EEEEEvT0_T1_.num_vgpr)
	.set _ZN2at6native29vectorized_elementwise_kernelILi8EZZZNS0_20trigamma_kernel_cudaERNS_18TensorIteratorBaseEENKUlvE_clEvENKUlvE1_clEvEUlN3c104HalfEE_St5arrayIPcLm2EEEEviT0_T1_.num_agpr, max(0, .L_ZN2at6native25elementwise_kernel_helperILb0EZZZNS0_20trigamma_kernel_cudaERNS_18TensorIteratorBaseEENKUlvE_clEvENKUlvE1_clEvEUlN3c104HalfEE_NS0_6memory8policies10vectorizedILi8ESt5arrayIPcLm2EELi8EEEEEvT0_T1_.num_agpr, .L_ZN2at6native25elementwise_kernel_helperILb0EZZZNS0_20trigamma_kernel_cudaERNS_18TensorIteratorBaseEENKUlvE_clEvENKUlvE1_clEvEUlN3c104HalfEE_NS0_6memory8policies11unroll_baseILi256ESt5arrayIPcLm2EE23TrivialOffsetCalculatorILi1EjESG_NS9_15LoadWithoutCastENS9_16StoreWithoutCastELi8ELi1EEEEEvT0_T1_.num_agpr)
	.set _ZN2at6native29vectorized_elementwise_kernelILi8EZZZNS0_20trigamma_kernel_cudaERNS_18TensorIteratorBaseEENKUlvE_clEvENKUlvE1_clEvEUlN3c104HalfEE_St5arrayIPcLm2EEEEviT0_T1_.numbered_sgpr, max(33, .L_ZN2at6native25elementwise_kernel_helperILb0EZZZNS0_20trigamma_kernel_cudaERNS_18TensorIteratorBaseEENKUlvE_clEvENKUlvE1_clEvEUlN3c104HalfEE_NS0_6memory8policies10vectorizedILi8ESt5arrayIPcLm2EELi8EEEEEvT0_T1_.numbered_sgpr, .L_ZN2at6native25elementwise_kernel_helperILb0EZZZNS0_20trigamma_kernel_cudaERNS_18TensorIteratorBaseEENKUlvE_clEvENKUlvE1_clEvEUlN3c104HalfEE_NS0_6memory8policies11unroll_baseILi256ESt5arrayIPcLm2EE23TrivialOffsetCalculatorILi1EjESG_NS9_15LoadWithoutCastENS9_16StoreWithoutCastELi8ELi1EEEEEvT0_T1_.numbered_sgpr)
	.set _ZN2at6native29vectorized_elementwise_kernelILi8EZZZNS0_20trigamma_kernel_cudaERNS_18TensorIteratorBaseEENKUlvE_clEvENKUlvE1_clEvEUlN3c104HalfEE_St5arrayIPcLm2EEEEviT0_T1_.num_named_barrier, max(0, .L_ZN2at6native25elementwise_kernel_helperILb0EZZZNS0_20trigamma_kernel_cudaERNS_18TensorIteratorBaseEENKUlvE_clEvENKUlvE1_clEvEUlN3c104HalfEE_NS0_6memory8policies10vectorizedILi8ESt5arrayIPcLm2EELi8EEEEEvT0_T1_.num_named_barrier, .L_ZN2at6native25elementwise_kernel_helperILb0EZZZNS0_20trigamma_kernel_cudaERNS_18TensorIteratorBaseEENKUlvE_clEvENKUlvE1_clEvEUlN3c104HalfEE_NS0_6memory8policies11unroll_baseILi256ESt5arrayIPcLm2EE23TrivialOffsetCalculatorILi1EjESG_NS9_15LoadWithoutCastENS9_16StoreWithoutCastELi8ELi1EEEEEvT0_T1_.num_named_barrier)
	.set _ZN2at6native29vectorized_elementwise_kernelILi8EZZZNS0_20trigamma_kernel_cudaERNS_18TensorIteratorBaseEENKUlvE_clEvENKUlvE1_clEvEUlN3c104HalfEE_St5arrayIPcLm2EEEEviT0_T1_.private_seg_size, 0+max(.L_ZN2at6native25elementwise_kernel_helperILb0EZZZNS0_20trigamma_kernel_cudaERNS_18TensorIteratorBaseEENKUlvE_clEvENKUlvE1_clEvEUlN3c104HalfEE_NS0_6memory8policies10vectorizedILi8ESt5arrayIPcLm2EELi8EEEEEvT0_T1_.private_seg_size, .L_ZN2at6native25elementwise_kernel_helperILb0EZZZNS0_20trigamma_kernel_cudaERNS_18TensorIteratorBaseEENKUlvE_clEvENKUlvE1_clEvEUlN3c104HalfEE_NS0_6memory8policies11unroll_baseILi256ESt5arrayIPcLm2EE23TrivialOffsetCalculatorILi1EjESG_NS9_15LoadWithoutCastENS9_16StoreWithoutCastELi8ELi1EEEEEvT0_T1_.private_seg_size)
	.set _ZN2at6native29vectorized_elementwise_kernelILi8EZZZNS0_20trigamma_kernel_cudaERNS_18TensorIteratorBaseEENKUlvE_clEvENKUlvE1_clEvEUlN3c104HalfEE_St5arrayIPcLm2EEEEviT0_T1_.uses_vcc, or(1, .L_ZN2at6native25elementwise_kernel_helperILb0EZZZNS0_20trigamma_kernel_cudaERNS_18TensorIteratorBaseEENKUlvE_clEvENKUlvE1_clEvEUlN3c104HalfEE_NS0_6memory8policies10vectorizedILi8ESt5arrayIPcLm2EELi8EEEEEvT0_T1_.uses_vcc, .L_ZN2at6native25elementwise_kernel_helperILb0EZZZNS0_20trigamma_kernel_cudaERNS_18TensorIteratorBaseEENKUlvE_clEvENKUlvE1_clEvEUlN3c104HalfEE_NS0_6memory8policies11unroll_baseILi256ESt5arrayIPcLm2EE23TrivialOffsetCalculatorILi1EjESG_NS9_15LoadWithoutCastENS9_16StoreWithoutCastELi8ELi1EEEEEvT0_T1_.uses_vcc)
	.set _ZN2at6native29vectorized_elementwise_kernelILi8EZZZNS0_20trigamma_kernel_cudaERNS_18TensorIteratorBaseEENKUlvE_clEvENKUlvE1_clEvEUlN3c104HalfEE_St5arrayIPcLm2EEEEviT0_T1_.uses_flat_scratch, or(0, .L_ZN2at6native25elementwise_kernel_helperILb0EZZZNS0_20trigamma_kernel_cudaERNS_18TensorIteratorBaseEENKUlvE_clEvENKUlvE1_clEvEUlN3c104HalfEE_NS0_6memory8policies10vectorizedILi8ESt5arrayIPcLm2EELi8EEEEEvT0_T1_.uses_flat_scratch, .L_ZN2at6native25elementwise_kernel_helperILb0EZZZNS0_20trigamma_kernel_cudaERNS_18TensorIteratorBaseEENKUlvE_clEvENKUlvE1_clEvEUlN3c104HalfEE_NS0_6memory8policies11unroll_baseILi256ESt5arrayIPcLm2EE23TrivialOffsetCalculatorILi1EjESG_NS9_15LoadWithoutCastENS9_16StoreWithoutCastELi8ELi1EEEEEvT0_T1_.uses_flat_scratch)
	.set _ZN2at6native29vectorized_elementwise_kernelILi8EZZZNS0_20trigamma_kernel_cudaERNS_18TensorIteratorBaseEENKUlvE_clEvENKUlvE1_clEvEUlN3c104HalfEE_St5arrayIPcLm2EEEEviT0_T1_.has_dyn_sized_stack, or(0, .L_ZN2at6native25elementwise_kernel_helperILb0EZZZNS0_20trigamma_kernel_cudaERNS_18TensorIteratorBaseEENKUlvE_clEvENKUlvE1_clEvEUlN3c104HalfEE_NS0_6memory8policies10vectorizedILi8ESt5arrayIPcLm2EELi8EEEEEvT0_T1_.has_dyn_sized_stack, .L_ZN2at6native25elementwise_kernel_helperILb0EZZZNS0_20trigamma_kernel_cudaERNS_18TensorIteratorBaseEENKUlvE_clEvENKUlvE1_clEvEUlN3c104HalfEE_NS0_6memory8policies11unroll_baseILi256ESt5arrayIPcLm2EE23TrivialOffsetCalculatorILi1EjESG_NS9_15LoadWithoutCastENS9_16StoreWithoutCastELi8ELi1EEEEEvT0_T1_.has_dyn_sized_stack)
	.set _ZN2at6native29vectorized_elementwise_kernelILi8EZZZNS0_20trigamma_kernel_cudaERNS_18TensorIteratorBaseEENKUlvE_clEvENKUlvE1_clEvEUlN3c104HalfEE_St5arrayIPcLm2EEEEviT0_T1_.has_recursion, or(0, .L_ZN2at6native25elementwise_kernel_helperILb0EZZZNS0_20trigamma_kernel_cudaERNS_18TensorIteratorBaseEENKUlvE_clEvENKUlvE1_clEvEUlN3c104HalfEE_NS0_6memory8policies10vectorizedILi8ESt5arrayIPcLm2EELi8EEEEEvT0_T1_.has_recursion, .L_ZN2at6native25elementwise_kernel_helperILb0EZZZNS0_20trigamma_kernel_cudaERNS_18TensorIteratorBaseEENKUlvE_clEvENKUlvE1_clEvEUlN3c104HalfEE_NS0_6memory8policies11unroll_baseILi256ESt5arrayIPcLm2EE23TrivialOffsetCalculatorILi1EjESG_NS9_15LoadWithoutCastENS9_16StoreWithoutCastELi8ELi1EEEEEvT0_T1_.has_recursion)
	.set _ZN2at6native29vectorized_elementwise_kernelILi8EZZZNS0_20trigamma_kernel_cudaERNS_18TensorIteratorBaseEENKUlvE_clEvENKUlvE1_clEvEUlN3c104HalfEE_St5arrayIPcLm2EEEEviT0_T1_.has_indirect_call, or(0, .L_ZN2at6native25elementwise_kernel_helperILb0EZZZNS0_20trigamma_kernel_cudaERNS_18TensorIteratorBaseEENKUlvE_clEvENKUlvE1_clEvEUlN3c104HalfEE_NS0_6memory8policies10vectorizedILi8ESt5arrayIPcLm2EELi8EEEEEvT0_T1_.has_indirect_call, .L_ZN2at6native25elementwise_kernel_helperILb0EZZZNS0_20trigamma_kernel_cudaERNS_18TensorIteratorBaseEENKUlvE_clEvENKUlvE1_clEvEUlN3c104HalfEE_NS0_6memory8policies11unroll_baseILi256ESt5arrayIPcLm2EE23TrivialOffsetCalculatorILi1EjESG_NS9_15LoadWithoutCastENS9_16StoreWithoutCastELi8ELi1EEEEEvT0_T1_.has_indirect_call)
	.section	.AMDGPU.csdata,"",@progbits
; Kernel info:
; codeLenInByte = 180
; TotalNumSgprs: 37
; NumVgprs: 40
; ScratchSize: 0
; MemoryBound: 0
; FloatMode: 240
; IeeeMode: 1
; LDSByteSize: 0 bytes/workgroup (compile time only)
; SGPRBlocks: 4
; VGPRBlocks: 9
; NumSGPRsForWavesPerEU: 37
; NumVGPRsForWavesPerEU: 40
; Occupancy: 6
; WaveLimiterHint : 0
; COMPUTE_PGM_RSRC2:SCRATCH_EN: 0
; COMPUTE_PGM_RSRC2:USER_SGPR: 6
; COMPUTE_PGM_RSRC2:TRAP_HANDLER: 0
; COMPUTE_PGM_RSRC2:TGID_X_EN: 1
; COMPUTE_PGM_RSRC2:TGID_Y_EN: 0
; COMPUTE_PGM_RSRC2:TGID_Z_EN: 0
; COMPUTE_PGM_RSRC2:TIDIG_COMP_CNT: 0
	.section	.text._ZN2at6native29vectorized_elementwise_kernelILi4EZZZNS0_20trigamma_kernel_cudaERNS_18TensorIteratorBaseEENKUlvE_clEvENKUlvE1_clEvEUlN3c104HalfEE_St5arrayIPcLm2EEEEviT0_T1_,"axG",@progbits,_ZN2at6native29vectorized_elementwise_kernelILi4EZZZNS0_20trigamma_kernel_cudaERNS_18TensorIteratorBaseEENKUlvE_clEvENKUlvE1_clEvEUlN3c104HalfEE_St5arrayIPcLm2EEEEviT0_T1_,comdat
	.globl	_ZN2at6native29vectorized_elementwise_kernelILi4EZZZNS0_20trigamma_kernel_cudaERNS_18TensorIteratorBaseEENKUlvE_clEvENKUlvE1_clEvEUlN3c104HalfEE_St5arrayIPcLm2EEEEviT0_T1_ ; -- Begin function _ZN2at6native29vectorized_elementwise_kernelILi4EZZZNS0_20trigamma_kernel_cudaERNS_18TensorIteratorBaseEENKUlvE_clEvENKUlvE1_clEvEUlN3c104HalfEE_St5arrayIPcLm2EEEEviT0_T1_
	.p2align	8
	.type	_ZN2at6native29vectorized_elementwise_kernelILi4EZZZNS0_20trigamma_kernel_cudaERNS_18TensorIteratorBaseEENKUlvE_clEvENKUlvE1_clEvEUlN3c104HalfEE_St5arrayIPcLm2EEEEviT0_T1_,@function
_ZN2at6native29vectorized_elementwise_kernelILi4EZZZNS0_20trigamma_kernel_cudaERNS_18TensorIteratorBaseEENKUlvE_clEvENKUlvE1_clEvEUlN3c104HalfEE_St5arrayIPcLm2EEEEviT0_T1_: ; @_ZN2at6native29vectorized_elementwise_kernelILi4EZZZNS0_20trigamma_kernel_cudaERNS_18TensorIteratorBaseEENKUlvE_clEvENKUlvE1_clEvEUlN3c104HalfEE_St5arrayIPcLm2EEEEviT0_T1_
; %bb.0:
	s_add_u32 s0, s0, s7
	s_load_dword s7, s[4:5], 0x0
	s_load_dwordx4 s[16:19], s[4:5], 0x8
	s_addc_u32 s1, s1, 0
	s_lshl_b32 s4, s6, 11
	s_mov_b64 s[8:9], -1
	s_waitcnt lgkmcnt(0)
	s_sub_i32 s7, s7, s4
	s_cmpk_gt_i32 s7, 0x7ff
	s_mov_b32 s32, 0
	s_cbranch_scc1 .LBB62_3
; %bb.1:
	s_and_b64 vcc, exec, s[8:9]
	s_cbranch_vccnz .LBB62_52
.LBB62_2:
	s_endpgm
.LBB62_3:
	s_ashr_i32 s5, s4, 31
	s_lshl_b64 s[12:13], s[4:5], 1
	s_add_u32 s4, s18, s12
	s_addc_u32 s5, s19, s13
	v_lshlrev_b32_e32 v5, 3, v0
	global_load_dwordx2 v[3:4], v5, s[4:5]
	global_load_dwordx2 v[1:2], v5, s[4:5] offset:2048
	v_mov_b32_e32 v9, 0
	v_mov_b32_e32 v8, 1.0
	s_waitcnt vmcnt(1)
	v_cvt_f32_f16_e32 v7, v3
	v_cmp_gt_f16_e32 vcc, 0.5, v3
	s_and_saveexec_b64 s[14:15], vcc
	s_cbranch_execz .LBB62_9
; %bb.4:
	v_mul_f32_e32 v6, 0x40490fdb, v7
	s_brev_b32 s4, 18
	v_and_b32_e32 v8, 0x7fffffff, v6
	v_cmp_nlt_f32_e64 s[4:5], |v6|, s4
                                        ; implicit-def: $vgpr9
                                        ; implicit-def: $vgpr10
	s_and_saveexec_b64 s[8:9], s[4:5]
	s_xor_b64 s[20:21], exec, s[8:9]
	s_cbranch_execz .LBB62_6
; %bb.5:
	v_and_b32_e32 v9, 0x7fffff, v8
	v_or_b32_e32 v18, 0x800000, v9
	s_mov_b32 s4, 0xfe5163ab
	v_mad_u64_u32 v[9:10], s[4:5], v18, s4, 0
	v_mov_b32_e32 v11, 0
	s_mov_b32 s4, 0x3c439041
	v_mad_u64_u32 v[12:13], s[4:5], v18, s4, v[10:11]
	s_mov_b32 s4, 0xdb629599
	v_not_b32_e32 v17, 63
	v_mov_b32_e32 v10, v13
	v_mad_u64_u32 v[13:14], s[4:5], v18, s4, v[10:11]
	s_mov_b32 s4, 0xf534ddc0
	v_not_b32_e32 v20, 31
	v_mov_b32_e32 v10, v14
	v_mad_u64_u32 v[14:15], s[4:5], v18, s4, v[10:11]
	v_lshrrev_b32_e32 v10, 23, v8
	v_add_u32_e32 v19, 0xffffff88, v10
	v_mov_b32_e32 v10, v15
	s_mov_b32 s4, 0xfc2757d1
	v_mad_u64_u32 v[15:16], s[4:5], v18, s4, v[10:11]
	v_cmp_lt_u32_e32 vcc, 63, v19
	v_cndmask_b32_e32 v10, 0, v17, vcc
	v_add_u32_e32 v19, v10, v19
	v_mov_b32_e32 v10, v16
	s_mov_b32 s4, 0x4e441529
	v_mad_u64_u32 v[16:17], s[4:5], v18, s4, v[10:11]
	v_cmp_lt_u32_e64 s[4:5], 31, v19
	v_cndmask_b32_e64 v10, 0, v20, s[4:5]
	v_add_u32_e32 v19, v10, v19
	v_mov_b32_e32 v10, v17
	s_mov_b32 s8, 0xa2f9836e
	v_mad_u64_u32 v[10:11], s[8:9], v18, s8, v[10:11]
	v_cmp_lt_u32_e64 s[8:9], 31, v19
	v_cndmask_b32_e64 v17, 0, v20, s[8:9]
	v_cndmask_b32_e32 v18, v16, v14, vcc
	v_cndmask_b32_e32 v10, v10, v15, vcc
	;; [unrolled: 1-line block ×3, first 2 shown]
	v_add_u32_e32 v17, v17, v19
	v_cndmask_b32_e64 v19, v10, v18, s[4:5]
	v_cndmask_b32_e64 v10, v11, v10, s[4:5]
	v_cndmask_b32_e32 v11, v15, v13, vcc
	v_cndmask_b32_e64 v15, v18, v11, s[4:5]
	v_cndmask_b32_e64 v10, v10, v19, s[8:9]
	;; [unrolled: 1-line block ×3, first 2 shown]
	v_sub_u32_e32 v18, 32, v17
	v_alignbit_b32 v19, v10, v16, v18
	v_cmp_eq_u32_e64 s[10:11], 0, v17
	v_cndmask_b32_e64 v17, v19, v10, s[10:11]
	v_cndmask_b32_e32 v10, v14, v12, vcc
	v_cndmask_b32_e64 v11, v11, v10, s[4:5]
	v_cndmask_b32_e64 v12, v15, v11, s[8:9]
	v_alignbit_b32 v14, v16, v12, v18
	v_cndmask_b32_e32 v9, v13, v9, vcc
	v_cndmask_b32_e64 v14, v14, v16, s[10:11]
	v_bfe_u32 v19, v17, 29, 1
	v_cndmask_b32_e64 v9, v10, v9, s[4:5]
	v_alignbit_b32 v15, v17, v14, 30
	v_sub_u32_e32 v20, 0, v19
	v_cndmask_b32_e64 v9, v11, v9, s[8:9]
	v_xor_b32_e32 v15, v15, v20
	v_alignbit_b32 v10, v12, v9, v18
	v_cndmask_b32_e64 v10, v10, v12, s[10:11]
	v_ffbh_u32_e32 v12, v15
	v_alignbit_b32 v11, v14, v10, 30
	v_min_u32_e32 v12, 32, v12
	v_alignbit_b32 v9, v10, v9, 30
	v_xor_b32_e32 v11, v11, v20
	v_sub_u32_e32 v13, 31, v12
	v_xor_b32_e32 v9, v9, v20
	v_alignbit_b32 v14, v15, v11, v13
	v_alignbit_b32 v9, v11, v9, v13
	;; [unrolled: 1-line block ×3, first 2 shown]
	v_ffbh_u32_e32 v11, v10
	v_min_u32_e32 v11, 32, v11
	v_lshrrev_b32_e32 v16, 29, v17
	v_not_b32_e32 v13, v11
	v_alignbit_b32 v9, v10, v9, v13
	v_lshlrev_b32_e32 v10, 31, v16
	v_or_b32_e32 v13, 0x33000000, v10
	v_add_lshl_u32 v11, v11, v12, 23
	v_lshrrev_b32_e32 v9, 9, v9
	v_sub_u32_e32 v11, v13, v11
	v_or_b32_e32 v10, 0.5, v10
	v_lshlrev_b32_e32 v12, 23, v12
	v_or_b32_e32 v9, v11, v9
	v_lshrrev_b32_e32 v11, 9, v14
	v_sub_u32_e32 v10, v10, v12
	v_or_b32_e32 v10, v11, v10
	s_mov_b32 s4, 0x3fc90fda
	v_mul_f32_e32 v11, 0x3fc90fda, v10
	v_fma_f32 v12, v10, s4, -v11
	v_fmac_f32_e32 v12, 0x33a22168, v10
	v_fmac_f32_e32 v12, 0x3fc90fda, v9
	v_lshrrev_b32_e32 v9, 30, v17
	v_add_f32_e32 v10, v11, v12
	v_add_u32_e32 v9, v19, v9
.LBB62_6:
	s_andn2_saveexec_b64 s[4:5], s[20:21]
	s_cbranch_execz .LBB62_8
; %bb.7:
	s_mov_b32 s8, 0x3f22f983
	v_mul_f32_e64 v9, |v6|, s8
	v_rndne_f32_e32 v11, v9
	s_mov_b32 s8, 0xbfc90fda
	v_cvt_i32_f32_e32 v9, v11
	v_fma_f32 v10, v11, s8, |v6|
	v_fmac_f32_e32 v10, 0xb3a22168, v11
	v_fmac_f32_e32 v10, 0xa7c234c4, v11
.LBB62_8:
	s_or_b64 exec, exec, s[4:5]
	v_mul_f32_e32 v11, v10, v10
	v_mov_b32_e32 v12, 0x3c0881c4
	v_fmac_f32_e32 v12, 0xb94c1982, v11
	v_mov_b32_e32 v13, 0xbe2aaa9d
	v_fmac_f32_e32 v13, v11, v12
	v_mul_f32_e32 v12, v11, v13
	v_fmac_f32_e32 v10, v10, v12
	v_mov_b32_e32 v12, 0xbab64f3b
	v_fmac_f32_e32 v12, 0x37d75334, v11
	v_mov_b32_e32 v13, 0x3d2aabf7
	;; [unrolled: 2-line block ×3, first 2 shown]
	v_fmac_f32_e32 v12, v11, v13
	v_fma_f32 v11, v11, v12, 1.0
	v_and_b32_e32 v12, 1, v9
	v_lshlrev_b32_e32 v9, 30, v9
	v_cmp_eq_u32_e32 vcc, 0, v12
	v_and_b32_e32 v9, 0x80000000, v9
	v_xor_b32_e32 v8, v8, v6
	v_cndmask_b32_e32 v10, v11, v10, vcc
	v_xor_b32_e32 v8, v8, v9
	s_movk_i32 s4, 0x1f8
	v_xor_b32_e32 v8, v8, v10
	v_mov_b32_e32 v9, 0x7fc00000
	v_cmp_class_f32_e64 vcc, v6, s4
	v_cndmask_b32_e32 v6, v9, v8, vcc
	v_mul_f32_e32 v6, v6, v6
	s_mov_b32 s8, 0xc11de9e7
	v_div_scale_f32 v8, s[4:5], v6, v6, s8
	v_div_scale_f32 v9, vcc, s8, v6, s8
	v_sub_f32_e32 v7, 1.0, v7
	v_rcp_f32_e32 v10, v8
	v_fma_f32 v11, -v8, v10, 1.0
	v_fmac_f32_e32 v10, v11, v10
	v_mul_f32_e32 v11, v9, v10
	v_fma_f32 v12, -v8, v11, v9
	v_fmac_f32_e32 v11, v12, v10
	v_fma_f32 v8, -v8, v11, v9
	v_div_fmas_f32 v8, v8, v10, v11
	v_div_fixup_f32 v6, v8, v6, s8
	v_add_f32_e32 v9, 0, v6
	v_mov_b32_e32 v8, -1.0
.LBB62_9:
	s_or_b64 exec, exec, s[14:15]
	v_cvt_f32_f16_sdwa v11, v3 dst_sel:DWORD dst_unused:UNUSED_PAD src0_sel:WORD_1
	v_mov_b32_e32 v6, 0x3800
	v_cmp_lt_f16_sdwa s[4:5], v3, v6 src0_sel:WORD_1 src1_sel:DWORD
	v_mov_b32_e32 v3, 0
	v_mov_b32_e32 v6, 1.0
	s_and_saveexec_b64 s[14:15], s[4:5]
	s_cbranch_execz .LBB62_15
; %bb.10:
	v_mul_f32_e32 v3, 0x40490fdb, v11
	s_brev_b32 s4, 18
	v_and_b32_e32 v6, 0x7fffffff, v3
	v_cmp_nlt_f32_e64 s[4:5], |v3|, s4
                                        ; implicit-def: $vgpr10
                                        ; implicit-def: $vgpr12
	s_and_saveexec_b64 s[8:9], s[4:5]
	s_xor_b64 s[20:21], exec, s[8:9]
	s_cbranch_execz .LBB62_12
; %bb.11:
	v_and_b32_e32 v10, 0x7fffff, v6
	v_or_b32_e32 v10, 0x800000, v10
	s_mov_b32 s4, 0xfe5163ab
	v_mad_u64_u32 v[12:13], s[4:5], v10, s4, 0
	v_mov_b32_e32 v14, 0
	s_mov_b32 s4, 0x3c439041
	v_mad_u64_u32 v[15:16], s[4:5], v10, s4, v[13:14]
	s_mov_b32 s4, 0xdb629599
	v_not_b32_e32 v20, 63
	v_mov_b32_e32 v13, v16
	v_mad_u64_u32 v[16:17], s[4:5], v10, s4, v[13:14]
	s_mov_b32 s4, 0xf534ddc0
	v_not_b32_e32 v22, 31
	v_mov_b32_e32 v13, v17
	v_mad_u64_u32 v[17:18], s[4:5], v10, s4, v[13:14]
	v_lshrrev_b32_e32 v13, 23, v6
	v_add_u32_e32 v21, 0xffffff88, v13
	v_mov_b32_e32 v13, v18
	s_mov_b32 s4, 0xfc2757d1
	v_mad_u64_u32 v[18:19], s[4:5], v10, s4, v[13:14]
	v_cmp_lt_u32_e32 vcc, 63, v21
	v_cndmask_b32_e32 v13, 0, v20, vcc
	v_add_u32_e32 v21, v13, v21
	v_mov_b32_e32 v13, v19
	s_mov_b32 s4, 0x4e441529
	v_mad_u64_u32 v[19:20], s[4:5], v10, s4, v[13:14]
	v_cmp_lt_u32_e64 s[4:5], 31, v21
	v_cndmask_b32_e64 v13, 0, v22, s[4:5]
	v_add_u32_e32 v21, v13, v21
	v_mov_b32_e32 v13, v20
	s_mov_b32 s8, 0xa2f9836e
	v_mad_u64_u32 v[13:14], s[8:9], v10, s8, v[13:14]
	v_cmp_lt_u32_e64 s[8:9], 31, v21
	v_cndmask_b32_e64 v10, 0, v22, s[8:9]
	v_cndmask_b32_e32 v20, v19, v17, vcc
	v_cndmask_b32_e32 v13, v13, v18, vcc
	;; [unrolled: 1-line block ×3, first 2 shown]
	v_add_u32_e32 v10, v10, v21
	v_cndmask_b32_e64 v21, v13, v20, s[4:5]
	v_cndmask_b32_e64 v13, v14, v13, s[4:5]
	v_cndmask_b32_e32 v14, v18, v16, vcc
	v_cndmask_b32_e64 v18, v20, v14, s[4:5]
	v_cndmask_b32_e64 v13, v13, v21, s[8:9]
	;; [unrolled: 1-line block ×3, first 2 shown]
	v_sub_u32_e32 v20, 32, v10
	v_alignbit_b32 v21, v13, v19, v20
	v_cmp_eq_u32_e64 s[10:11], 0, v10
	v_cndmask_b32_e64 v10, v21, v13, s[10:11]
	v_cndmask_b32_e32 v13, v17, v15, vcc
	v_cndmask_b32_e64 v14, v14, v13, s[4:5]
	v_cndmask_b32_e64 v15, v18, v14, s[8:9]
	v_alignbit_b32 v17, v19, v15, v20
	v_cndmask_b32_e32 v12, v16, v12, vcc
	v_cndmask_b32_e64 v17, v17, v19, s[10:11]
	v_bfe_u32 v21, v10, 29, 1
	v_cndmask_b32_e64 v12, v13, v12, s[4:5]
	v_alignbit_b32 v18, v10, v17, 30
	v_sub_u32_e32 v22, 0, v21
	v_cndmask_b32_e64 v12, v14, v12, s[8:9]
	v_xor_b32_e32 v18, v18, v22
	v_alignbit_b32 v13, v15, v12, v20
	v_cndmask_b32_e64 v13, v13, v15, s[10:11]
	v_ffbh_u32_e32 v15, v18
	v_alignbit_b32 v14, v17, v13, 30
	v_min_u32_e32 v15, 32, v15
	v_alignbit_b32 v12, v13, v12, 30
	v_xor_b32_e32 v14, v14, v22
	v_sub_u32_e32 v16, 31, v15
	v_xor_b32_e32 v12, v12, v22
	v_alignbit_b32 v17, v18, v14, v16
	v_alignbit_b32 v12, v14, v12, v16
	;; [unrolled: 1-line block ×3, first 2 shown]
	v_ffbh_u32_e32 v14, v13
	v_min_u32_e32 v14, 32, v14
	v_lshrrev_b32_e32 v19, 29, v10
	v_not_b32_e32 v16, v14
	v_alignbit_b32 v12, v13, v12, v16
	v_lshlrev_b32_e32 v13, 31, v19
	v_or_b32_e32 v16, 0x33000000, v13
	v_add_lshl_u32 v14, v14, v15, 23
	v_lshrrev_b32_e32 v12, 9, v12
	v_sub_u32_e32 v14, v16, v14
	v_or_b32_e32 v13, 0.5, v13
	v_lshlrev_b32_e32 v15, 23, v15
	v_or_b32_e32 v12, v14, v12
	v_lshrrev_b32_e32 v14, 9, v17
	v_sub_u32_e32 v13, v13, v15
	v_or_b32_e32 v13, v14, v13
	s_mov_b32 s4, 0x3fc90fda
	v_mul_f32_e32 v14, 0x3fc90fda, v13
	v_fma_f32 v15, v13, s4, -v14
	v_fmac_f32_e32 v15, 0x33a22168, v13
	v_fmac_f32_e32 v15, 0x3fc90fda, v12
	v_lshrrev_b32_e32 v10, 30, v10
	v_add_f32_e32 v12, v14, v15
	v_add_u32_e32 v10, v21, v10
.LBB62_12:
	s_andn2_saveexec_b64 s[4:5], s[20:21]
	s_cbranch_execz .LBB62_14
; %bb.13:
	s_mov_b32 s8, 0x3f22f983
	v_mul_f32_e64 v10, |v3|, s8
	v_rndne_f32_e32 v13, v10
	s_mov_b32 s8, 0xbfc90fda
	v_cvt_i32_f32_e32 v10, v13
	v_fma_f32 v12, v13, s8, |v3|
	v_fmac_f32_e32 v12, 0xb3a22168, v13
	v_fmac_f32_e32 v12, 0xa7c234c4, v13
.LBB62_14:
	s_or_b64 exec, exec, s[4:5]
	v_mul_f32_e32 v13, v12, v12
	v_mov_b32_e32 v14, 0x3c0881c4
	v_fmac_f32_e32 v14, 0xb94c1982, v13
	v_mov_b32_e32 v15, 0xbe2aaa9d
	v_fmac_f32_e32 v15, v13, v14
	v_mul_f32_e32 v14, v13, v15
	v_fmac_f32_e32 v12, v12, v14
	v_mov_b32_e32 v14, 0xbab64f3b
	v_fmac_f32_e32 v14, 0x37d75334, v13
	v_mov_b32_e32 v15, 0x3d2aabf7
	v_fmac_f32_e32 v15, v13, v14
	v_mov_b32_e32 v14, 0xbf000004
	v_fmac_f32_e32 v14, v13, v15
	v_fma_f32 v13, v13, v14, 1.0
	v_and_b32_e32 v14, 1, v10
	v_lshlrev_b32_e32 v10, 30, v10
	v_cmp_eq_u32_e32 vcc, 0, v14
	v_and_b32_e32 v10, 0x80000000, v10
	v_xor_b32_e32 v6, v6, v3
	v_cndmask_b32_e32 v12, v13, v12, vcc
	v_xor_b32_e32 v6, v6, v10
	s_movk_i32 s4, 0x1f8
	v_xor_b32_e32 v6, v6, v12
	v_mov_b32_e32 v10, 0x7fc00000
	v_cmp_class_f32_e64 vcc, v3, s4
	v_cndmask_b32_e32 v3, v10, v6, vcc
	v_mul_f32_e32 v3, v3, v3
	s_mov_b32 s8, 0xc11de9e7
	v_div_scale_f32 v6, s[4:5], v3, v3, s8
	v_div_scale_f32 v10, vcc, s8, v3, s8
	v_sub_f32_e32 v11, 1.0, v11
	v_rcp_f32_e32 v12, v6
	v_fma_f32 v13, -v6, v12, 1.0
	v_fmac_f32_e32 v12, v13, v12
	v_mul_f32_e32 v13, v10, v12
	v_fma_f32 v14, -v6, v13, v10
	v_fmac_f32_e32 v13, v14, v12
	v_fma_f32 v6, -v6, v13, v10
	v_div_fmas_f32 v6, v6, v12, v13
	v_div_fixup_f32 v3, v6, v3, s8
	v_add_f32_e32 v3, 0, v3
	v_mov_b32_e32 v6, -1.0
.LBB62_15:
	s_or_b64 exec, exec, s[14:15]
	v_cvt_f32_f16_e32 v12, v4
	v_cmp_gt_f16_e32 vcc, 0.5, v4
	v_mov_b32_e32 v15, 0
	v_mov_b32_e32 v14, 1.0
	s_and_saveexec_b64 s[14:15], vcc
	s_cbranch_execz .LBB62_21
; %bb.16:
	v_mul_f32_e32 v10, 0x40490fdb, v12
	s_brev_b32 s4, 18
	v_and_b32_e32 v13, 0x7fffffff, v10
	v_cmp_nlt_f32_e64 s[4:5], |v10|, s4
                                        ; implicit-def: $vgpr14
                                        ; implicit-def: $vgpr15
	s_and_saveexec_b64 s[8:9], s[4:5]
	s_xor_b64 s[20:21], exec, s[8:9]
	s_cbranch_execz .LBB62_18
; %bb.17:
	v_and_b32_e32 v14, 0x7fffff, v13
	v_or_b32_e32 v23, 0x800000, v14
	s_mov_b32 s4, 0xfe5163ab
	v_mad_u64_u32 v[14:15], s[4:5], v23, s4, 0
	v_mov_b32_e32 v16, 0
	s_mov_b32 s4, 0x3c439041
	v_mad_u64_u32 v[17:18], s[4:5], v23, s4, v[15:16]
	s_mov_b32 s4, 0xdb629599
	v_not_b32_e32 v22, 63
	v_mov_b32_e32 v15, v18
	v_mad_u64_u32 v[18:19], s[4:5], v23, s4, v[15:16]
	s_mov_b32 s4, 0xf534ddc0
	v_not_b32_e32 v25, 31
	v_mov_b32_e32 v15, v19
	v_mad_u64_u32 v[19:20], s[4:5], v23, s4, v[15:16]
	v_lshrrev_b32_e32 v15, 23, v13
	v_add_u32_e32 v24, 0xffffff88, v15
	v_mov_b32_e32 v15, v20
	s_mov_b32 s4, 0xfc2757d1
	v_mad_u64_u32 v[20:21], s[4:5], v23, s4, v[15:16]
	v_cmp_lt_u32_e32 vcc, 63, v24
	v_cndmask_b32_e32 v15, 0, v22, vcc
	v_add_u32_e32 v24, v15, v24
	v_mov_b32_e32 v15, v21
	s_mov_b32 s4, 0x4e441529
	v_mad_u64_u32 v[21:22], s[4:5], v23, s4, v[15:16]
	v_cmp_lt_u32_e64 s[4:5], 31, v24
	v_cndmask_b32_e64 v15, 0, v25, s[4:5]
	v_add_u32_e32 v24, v15, v24
	v_mov_b32_e32 v15, v22
	s_mov_b32 s8, 0xa2f9836e
	v_mad_u64_u32 v[15:16], s[8:9], v23, s8, v[15:16]
	v_cmp_lt_u32_e64 s[8:9], 31, v24
	v_cndmask_b32_e64 v22, 0, v25, s[8:9]
	v_cndmask_b32_e32 v23, v21, v19, vcc
	v_cndmask_b32_e32 v15, v15, v20, vcc
	;; [unrolled: 1-line block ×3, first 2 shown]
	v_add_u32_e32 v22, v22, v24
	v_cndmask_b32_e64 v24, v15, v23, s[4:5]
	v_cndmask_b32_e64 v15, v16, v15, s[4:5]
	v_cndmask_b32_e32 v16, v20, v18, vcc
	v_cndmask_b32_e64 v20, v23, v16, s[4:5]
	v_cndmask_b32_e64 v15, v15, v24, s[8:9]
	v_cndmask_b32_e64 v21, v24, v20, s[8:9]
	v_sub_u32_e32 v23, 32, v22
	v_alignbit_b32 v24, v15, v21, v23
	v_cmp_eq_u32_e64 s[10:11], 0, v22
	v_cndmask_b32_e64 v22, v24, v15, s[10:11]
	v_cndmask_b32_e32 v15, v19, v17, vcc
	v_cndmask_b32_e64 v16, v16, v15, s[4:5]
	v_cndmask_b32_e64 v17, v20, v16, s[8:9]
	v_alignbit_b32 v19, v21, v17, v23
	v_cndmask_b32_e32 v14, v18, v14, vcc
	v_cndmask_b32_e64 v19, v19, v21, s[10:11]
	v_bfe_u32 v24, v22, 29, 1
	v_cndmask_b32_e64 v14, v15, v14, s[4:5]
	v_alignbit_b32 v20, v22, v19, 30
	v_sub_u32_e32 v25, 0, v24
	v_cndmask_b32_e64 v14, v16, v14, s[8:9]
	v_xor_b32_e32 v20, v20, v25
	v_alignbit_b32 v15, v17, v14, v23
	v_cndmask_b32_e64 v15, v15, v17, s[10:11]
	v_ffbh_u32_e32 v17, v20
	v_alignbit_b32 v16, v19, v15, 30
	v_min_u32_e32 v17, 32, v17
	v_alignbit_b32 v14, v15, v14, 30
	v_xor_b32_e32 v16, v16, v25
	v_sub_u32_e32 v18, 31, v17
	v_xor_b32_e32 v14, v14, v25
	v_alignbit_b32 v19, v20, v16, v18
	v_alignbit_b32 v14, v16, v14, v18
	;; [unrolled: 1-line block ×3, first 2 shown]
	v_ffbh_u32_e32 v16, v15
	v_min_u32_e32 v16, 32, v16
	v_lshrrev_b32_e32 v21, 29, v22
	v_not_b32_e32 v18, v16
	v_alignbit_b32 v14, v15, v14, v18
	v_lshlrev_b32_e32 v15, 31, v21
	v_or_b32_e32 v18, 0x33000000, v15
	v_add_lshl_u32 v16, v16, v17, 23
	v_lshrrev_b32_e32 v14, 9, v14
	v_sub_u32_e32 v16, v18, v16
	v_or_b32_e32 v15, 0.5, v15
	v_lshlrev_b32_e32 v17, 23, v17
	v_or_b32_e32 v14, v16, v14
	v_lshrrev_b32_e32 v16, 9, v19
	v_sub_u32_e32 v15, v15, v17
	v_or_b32_e32 v15, v16, v15
	s_mov_b32 s4, 0x3fc90fda
	v_mul_f32_e32 v16, 0x3fc90fda, v15
	v_fma_f32 v17, v15, s4, -v16
	v_fmac_f32_e32 v17, 0x33a22168, v15
	v_fmac_f32_e32 v17, 0x3fc90fda, v14
	v_lshrrev_b32_e32 v14, 30, v22
	v_add_f32_e32 v15, v16, v17
	v_add_u32_e32 v14, v24, v14
.LBB62_18:
	s_andn2_saveexec_b64 s[4:5], s[20:21]
	s_cbranch_execz .LBB62_20
; %bb.19:
	s_mov_b32 s8, 0x3f22f983
	v_mul_f32_e64 v14, |v10|, s8
	v_rndne_f32_e32 v16, v14
	s_mov_b32 s8, 0xbfc90fda
	v_cvt_i32_f32_e32 v14, v16
	v_fma_f32 v15, v16, s8, |v10|
	v_fmac_f32_e32 v15, 0xb3a22168, v16
	v_fmac_f32_e32 v15, 0xa7c234c4, v16
.LBB62_20:
	s_or_b64 exec, exec, s[4:5]
	v_mul_f32_e32 v16, v15, v15
	v_mov_b32_e32 v17, 0x3c0881c4
	v_fmac_f32_e32 v17, 0xb94c1982, v16
	v_mov_b32_e32 v18, 0xbe2aaa9d
	v_fmac_f32_e32 v18, v16, v17
	v_mul_f32_e32 v17, v16, v18
	v_fmac_f32_e32 v15, v15, v17
	v_mov_b32_e32 v17, 0xbab64f3b
	v_fmac_f32_e32 v17, 0x37d75334, v16
	v_mov_b32_e32 v18, 0x3d2aabf7
	;; [unrolled: 2-line block ×3, first 2 shown]
	v_fmac_f32_e32 v17, v16, v18
	v_fma_f32 v16, v16, v17, 1.0
	v_and_b32_e32 v17, 1, v14
	v_lshlrev_b32_e32 v14, 30, v14
	v_cmp_eq_u32_e32 vcc, 0, v17
	v_and_b32_e32 v14, 0x80000000, v14
	v_xor_b32_e32 v13, v13, v10
	v_cndmask_b32_e32 v15, v16, v15, vcc
	v_xor_b32_e32 v13, v13, v14
	s_movk_i32 s4, 0x1f8
	v_xor_b32_e32 v13, v13, v15
	v_mov_b32_e32 v14, 0x7fc00000
	v_cmp_class_f32_e64 vcc, v10, s4
	v_cndmask_b32_e32 v10, v14, v13, vcc
	v_mul_f32_e32 v10, v10, v10
	s_mov_b32 s8, 0xc11de9e7
	v_div_scale_f32 v13, s[4:5], v10, v10, s8
	v_div_scale_f32 v14, vcc, s8, v10, s8
	v_sub_f32_e32 v12, 1.0, v12
	v_rcp_f32_e32 v15, v13
	v_fma_f32 v16, -v13, v15, 1.0
	v_fmac_f32_e32 v15, v16, v15
	v_mul_f32_e32 v16, v14, v15
	v_fma_f32 v17, -v13, v16, v14
	v_fmac_f32_e32 v16, v17, v15
	v_fma_f32 v13, -v13, v16, v14
	v_div_fmas_f32 v13, v13, v15, v16
	v_mov_b32_e32 v14, -1.0
	v_div_fixup_f32 v10, v13, v10, s8
	v_add_f32_e32 v15, 0, v10
.LBB62_21:
	s_or_b64 exec, exec, s[14:15]
	v_cvt_f32_f16_sdwa v16, v4 dst_sel:DWORD dst_unused:UNUSED_PAD src0_sel:WORD_1
	v_mov_b32_e32 v10, 0x3800
	v_cmp_lt_f16_sdwa s[4:5], v4, v10 src0_sel:WORD_1 src1_sel:DWORD
	v_mov_b32_e32 v4, 0
	v_mov_b32_e32 v10, 1.0
	s_and_saveexec_b64 s[14:15], s[4:5]
	s_cbranch_execz .LBB62_27
; %bb.22:
	v_mul_f32_e32 v4, 0x40490fdb, v16
	s_brev_b32 s4, 18
	v_and_b32_e32 v10, 0x7fffffff, v4
	v_cmp_nlt_f32_e64 s[4:5], |v4|, s4
                                        ; implicit-def: $vgpr13
                                        ; implicit-def: $vgpr17
	s_and_saveexec_b64 s[8:9], s[4:5]
	s_xor_b64 s[20:21], exec, s[8:9]
	s_cbranch_execz .LBB62_24
; %bb.23:
	v_and_b32_e32 v13, 0x7fffff, v10
	v_or_b32_e32 v13, 0x800000, v13
	s_mov_b32 s4, 0xfe5163ab
	v_mad_u64_u32 v[17:18], s[4:5], v13, s4, 0
	v_mov_b32_e32 v19, 0
	s_mov_b32 s4, 0x3c439041
	v_mad_u64_u32 v[20:21], s[4:5], v13, s4, v[18:19]
	s_mov_b32 s4, 0xdb629599
	v_not_b32_e32 v25, 63
	v_mov_b32_e32 v18, v21
	v_mad_u64_u32 v[21:22], s[4:5], v13, s4, v[18:19]
	s_mov_b32 s4, 0xf534ddc0
	v_not_b32_e32 v27, 31
	v_mov_b32_e32 v18, v22
	v_mad_u64_u32 v[22:23], s[4:5], v13, s4, v[18:19]
	v_lshrrev_b32_e32 v18, 23, v10
	v_add_u32_e32 v26, 0xffffff88, v18
	v_mov_b32_e32 v18, v23
	s_mov_b32 s4, 0xfc2757d1
	v_mad_u64_u32 v[23:24], s[4:5], v13, s4, v[18:19]
	v_cmp_lt_u32_e32 vcc, 63, v26
	v_cndmask_b32_e32 v18, 0, v25, vcc
	v_add_u32_e32 v26, v18, v26
	v_mov_b32_e32 v18, v24
	s_mov_b32 s4, 0x4e441529
	v_mad_u64_u32 v[24:25], s[4:5], v13, s4, v[18:19]
	v_cmp_lt_u32_e64 s[4:5], 31, v26
	v_cndmask_b32_e64 v18, 0, v27, s[4:5]
	v_add_u32_e32 v26, v18, v26
	v_mov_b32_e32 v18, v25
	s_mov_b32 s8, 0xa2f9836e
	v_mad_u64_u32 v[18:19], s[8:9], v13, s8, v[18:19]
	v_cmp_lt_u32_e64 s[8:9], 31, v26
	v_cndmask_b32_e64 v13, 0, v27, s[8:9]
	v_cndmask_b32_e32 v25, v24, v22, vcc
	v_cndmask_b32_e32 v18, v18, v23, vcc
	;; [unrolled: 1-line block ×3, first 2 shown]
	v_add_u32_e32 v13, v13, v26
	v_cndmask_b32_e64 v26, v18, v25, s[4:5]
	v_cndmask_b32_e64 v18, v19, v18, s[4:5]
	v_cndmask_b32_e32 v19, v23, v21, vcc
	v_cndmask_b32_e64 v23, v25, v19, s[4:5]
	v_cndmask_b32_e64 v18, v18, v26, s[8:9]
	;; [unrolled: 1-line block ×3, first 2 shown]
	v_sub_u32_e32 v25, 32, v13
	v_alignbit_b32 v26, v18, v24, v25
	v_cmp_eq_u32_e64 s[10:11], 0, v13
	v_cndmask_b32_e64 v13, v26, v18, s[10:11]
	v_cndmask_b32_e32 v18, v22, v20, vcc
	v_cndmask_b32_e64 v19, v19, v18, s[4:5]
	v_cndmask_b32_e64 v20, v23, v19, s[8:9]
	v_alignbit_b32 v22, v24, v20, v25
	v_cndmask_b32_e32 v17, v21, v17, vcc
	v_cndmask_b32_e64 v22, v22, v24, s[10:11]
	v_bfe_u32 v26, v13, 29, 1
	v_cndmask_b32_e64 v17, v18, v17, s[4:5]
	v_alignbit_b32 v23, v13, v22, 30
	v_sub_u32_e32 v27, 0, v26
	v_cndmask_b32_e64 v17, v19, v17, s[8:9]
	v_xor_b32_e32 v23, v23, v27
	v_alignbit_b32 v18, v20, v17, v25
	v_cndmask_b32_e64 v18, v18, v20, s[10:11]
	v_ffbh_u32_e32 v20, v23
	v_alignbit_b32 v19, v22, v18, 30
	v_min_u32_e32 v20, 32, v20
	v_alignbit_b32 v17, v18, v17, 30
	v_xor_b32_e32 v19, v19, v27
	v_sub_u32_e32 v21, 31, v20
	v_xor_b32_e32 v17, v17, v27
	v_alignbit_b32 v22, v23, v19, v21
	v_alignbit_b32 v17, v19, v17, v21
	;; [unrolled: 1-line block ×3, first 2 shown]
	v_ffbh_u32_e32 v19, v18
	v_min_u32_e32 v19, 32, v19
	v_lshrrev_b32_e32 v24, 29, v13
	v_not_b32_e32 v21, v19
	v_alignbit_b32 v17, v18, v17, v21
	v_lshlrev_b32_e32 v18, 31, v24
	v_or_b32_e32 v21, 0x33000000, v18
	v_add_lshl_u32 v19, v19, v20, 23
	v_lshrrev_b32_e32 v17, 9, v17
	v_sub_u32_e32 v19, v21, v19
	v_or_b32_e32 v18, 0.5, v18
	v_lshlrev_b32_e32 v20, 23, v20
	v_or_b32_e32 v17, v19, v17
	v_lshrrev_b32_e32 v19, 9, v22
	v_sub_u32_e32 v18, v18, v20
	v_or_b32_e32 v18, v19, v18
	s_mov_b32 s4, 0x3fc90fda
	v_mul_f32_e32 v19, 0x3fc90fda, v18
	v_fma_f32 v20, v18, s4, -v19
	v_fmac_f32_e32 v20, 0x33a22168, v18
	v_fmac_f32_e32 v20, 0x3fc90fda, v17
	v_lshrrev_b32_e32 v13, 30, v13
	v_add_f32_e32 v17, v19, v20
	v_add_u32_e32 v13, v26, v13
.LBB62_24:
	s_andn2_saveexec_b64 s[4:5], s[20:21]
	s_cbranch_execz .LBB62_26
; %bb.25:
	s_mov_b32 s8, 0x3f22f983
	v_mul_f32_e64 v13, |v4|, s8
	v_rndne_f32_e32 v18, v13
	s_mov_b32 s8, 0xbfc90fda
	v_cvt_i32_f32_e32 v13, v18
	v_fma_f32 v17, v18, s8, |v4|
	v_fmac_f32_e32 v17, 0xb3a22168, v18
	v_fmac_f32_e32 v17, 0xa7c234c4, v18
.LBB62_26:
	s_or_b64 exec, exec, s[4:5]
	v_mul_f32_e32 v18, v17, v17
	v_mov_b32_e32 v19, 0x3c0881c4
	v_fmac_f32_e32 v19, 0xb94c1982, v18
	v_mov_b32_e32 v20, 0xbe2aaa9d
	v_fmac_f32_e32 v20, v18, v19
	v_mul_f32_e32 v19, v18, v20
	v_fmac_f32_e32 v17, v17, v19
	v_mov_b32_e32 v19, 0xbab64f3b
	v_fmac_f32_e32 v19, 0x37d75334, v18
	v_mov_b32_e32 v20, 0x3d2aabf7
	;; [unrolled: 2-line block ×3, first 2 shown]
	v_fmac_f32_e32 v19, v18, v20
	v_fma_f32 v18, v18, v19, 1.0
	v_and_b32_e32 v19, 1, v13
	v_lshlrev_b32_e32 v13, 30, v13
	v_cmp_eq_u32_e32 vcc, 0, v19
	v_and_b32_e32 v13, 0x80000000, v13
	v_xor_b32_e32 v10, v10, v4
	v_cndmask_b32_e32 v17, v18, v17, vcc
	v_xor_b32_e32 v10, v10, v13
	s_movk_i32 s4, 0x1f8
	v_xor_b32_e32 v10, v10, v17
	v_mov_b32_e32 v13, 0x7fc00000
	v_cmp_class_f32_e64 vcc, v4, s4
	v_cndmask_b32_e32 v4, v13, v10, vcc
	v_mul_f32_e32 v4, v4, v4
	s_mov_b32 s8, 0xc11de9e7
	v_div_scale_f32 v10, s[4:5], v4, v4, s8
	v_div_scale_f32 v13, vcc, s8, v4, s8
	v_sub_f32_e32 v16, 1.0, v16
	v_rcp_f32_e32 v17, v10
	v_fma_f32 v18, -v10, v17, 1.0
	v_fmac_f32_e32 v17, v18, v17
	v_mul_f32_e32 v18, v13, v17
	v_fma_f32 v19, -v10, v18, v13
	v_fmac_f32_e32 v18, v19, v17
	v_fma_f32 v10, -v10, v18, v13
	v_div_fmas_f32 v10, v10, v17, v18
	v_div_fixup_f32 v4, v10, v4, s8
	v_add_f32_e32 v4, 0, v4
	v_mov_b32_e32 v10, -1.0
.LBB62_27:
	s_or_b64 exec, exec, s[14:15]
	s_waitcnt vmcnt(0)
	v_cvt_f32_f16_e32 v19, v1
	v_cmp_gt_f16_e32 vcc, 0.5, v1
	v_mov_b32_e32 v24, 0
	v_mov_b32_e32 v21, 1.0
	s_and_saveexec_b64 s[14:15], vcc
	s_cbranch_execz .LBB62_33
; %bb.28:
	v_mul_f32_e32 v13, 0x40490fdb, v19
	s_brev_b32 s4, 18
	v_and_b32_e32 v17, 0x7fffffff, v13
	v_cmp_nlt_f32_e64 s[4:5], |v13|, s4
                                        ; implicit-def: $vgpr18
                                        ; implicit-def: $vgpr20
	s_and_saveexec_b64 s[8:9], s[4:5]
	s_xor_b64 s[20:21], exec, s[8:9]
	s_cbranch_execz .LBB62_30
; %bb.29:
	v_and_b32_e32 v18, 0x7fffff, v17
	v_or_b32_e32 v18, 0x800000, v18
	s_mov_b32 s4, 0xfe5163ab
	v_mad_u64_u32 v[20:21], s[4:5], v18, s4, 0
	v_mov_b32_e32 v22, 0
	s_mov_b32 s4, 0x3c439041
	v_mad_u64_u32 v[23:24], s[4:5], v18, s4, v[21:22]
	s_mov_b32 s4, 0xdb629599
	v_not_b32_e32 v28, 63
	v_mov_b32_e32 v21, v24
	v_mad_u64_u32 v[24:25], s[4:5], v18, s4, v[21:22]
	s_mov_b32 s4, 0xf534ddc0
	v_not_b32_e32 v30, 31
	v_mov_b32_e32 v21, v25
	v_mad_u64_u32 v[25:26], s[4:5], v18, s4, v[21:22]
	v_lshrrev_b32_e32 v21, 23, v17
	v_add_u32_e32 v29, 0xffffff88, v21
	v_mov_b32_e32 v21, v26
	s_mov_b32 s4, 0xfc2757d1
	v_mad_u64_u32 v[26:27], s[4:5], v18, s4, v[21:22]
	v_cmp_lt_u32_e32 vcc, 63, v29
	v_cndmask_b32_e32 v21, 0, v28, vcc
	v_add_u32_e32 v29, v21, v29
	v_mov_b32_e32 v21, v27
	s_mov_b32 s4, 0x4e441529
	v_mad_u64_u32 v[27:28], s[4:5], v18, s4, v[21:22]
	v_cmp_lt_u32_e64 s[4:5], 31, v29
	v_cndmask_b32_e64 v21, 0, v30, s[4:5]
	v_add_u32_e32 v29, v21, v29
	v_mov_b32_e32 v21, v28
	s_mov_b32 s8, 0xa2f9836e
	v_mad_u64_u32 v[21:22], s[8:9], v18, s8, v[21:22]
	v_cmp_lt_u32_e64 s[8:9], 31, v29
	v_cndmask_b32_e64 v18, 0, v30, s[8:9]
	v_cndmask_b32_e32 v28, v27, v25, vcc
	v_cndmask_b32_e32 v21, v21, v26, vcc
	;; [unrolled: 1-line block ×3, first 2 shown]
	v_add_u32_e32 v18, v18, v29
	v_cndmask_b32_e64 v29, v21, v28, s[4:5]
	v_cndmask_b32_e64 v21, v22, v21, s[4:5]
	v_cndmask_b32_e32 v22, v26, v24, vcc
	v_cndmask_b32_e64 v26, v28, v22, s[4:5]
	v_cndmask_b32_e64 v21, v21, v29, s[8:9]
	v_cndmask_b32_e64 v27, v29, v26, s[8:9]
	v_sub_u32_e32 v28, 32, v18
	v_alignbit_b32 v29, v21, v27, v28
	v_cmp_eq_u32_e64 s[10:11], 0, v18
	v_cndmask_b32_e64 v18, v29, v21, s[10:11]
	v_cndmask_b32_e32 v21, v25, v23, vcc
	v_cndmask_b32_e64 v22, v22, v21, s[4:5]
	v_cndmask_b32_e64 v23, v26, v22, s[8:9]
	v_alignbit_b32 v25, v27, v23, v28
	v_cndmask_b32_e32 v20, v24, v20, vcc
	v_cndmask_b32_e64 v25, v25, v27, s[10:11]
	v_bfe_u32 v29, v18, 29, 1
	v_cndmask_b32_e64 v20, v21, v20, s[4:5]
	v_alignbit_b32 v26, v18, v25, 30
	v_sub_u32_e32 v30, 0, v29
	v_cndmask_b32_e64 v20, v22, v20, s[8:9]
	v_xor_b32_e32 v26, v26, v30
	v_alignbit_b32 v21, v23, v20, v28
	v_cndmask_b32_e64 v21, v21, v23, s[10:11]
	v_ffbh_u32_e32 v23, v26
	v_alignbit_b32 v22, v25, v21, 30
	v_min_u32_e32 v23, 32, v23
	v_alignbit_b32 v20, v21, v20, 30
	v_xor_b32_e32 v22, v22, v30
	v_sub_u32_e32 v24, 31, v23
	v_xor_b32_e32 v20, v20, v30
	v_alignbit_b32 v25, v26, v22, v24
	v_alignbit_b32 v20, v22, v20, v24
	;; [unrolled: 1-line block ×3, first 2 shown]
	v_ffbh_u32_e32 v22, v21
	v_min_u32_e32 v22, 32, v22
	v_lshrrev_b32_e32 v27, 29, v18
	v_not_b32_e32 v24, v22
	v_alignbit_b32 v20, v21, v20, v24
	v_lshlrev_b32_e32 v21, 31, v27
	v_or_b32_e32 v24, 0x33000000, v21
	v_add_lshl_u32 v22, v22, v23, 23
	v_lshrrev_b32_e32 v20, 9, v20
	v_sub_u32_e32 v22, v24, v22
	v_or_b32_e32 v21, 0.5, v21
	v_lshlrev_b32_e32 v23, 23, v23
	v_or_b32_e32 v20, v22, v20
	v_lshrrev_b32_e32 v22, 9, v25
	v_sub_u32_e32 v21, v21, v23
	v_or_b32_e32 v21, v22, v21
	s_mov_b32 s4, 0x3fc90fda
	v_mul_f32_e32 v22, 0x3fc90fda, v21
	v_fma_f32 v23, v21, s4, -v22
	v_fmac_f32_e32 v23, 0x33a22168, v21
	v_fmac_f32_e32 v23, 0x3fc90fda, v20
	v_lshrrev_b32_e32 v18, 30, v18
	v_add_f32_e32 v20, v22, v23
	v_add_u32_e32 v18, v29, v18
.LBB62_30:
	s_andn2_saveexec_b64 s[4:5], s[20:21]
	s_cbranch_execz .LBB62_32
; %bb.31:
	s_mov_b32 s8, 0x3f22f983
	v_mul_f32_e64 v18, |v13|, s8
	v_rndne_f32_e32 v21, v18
	s_mov_b32 s8, 0xbfc90fda
	v_cvt_i32_f32_e32 v18, v21
	v_fma_f32 v20, v21, s8, |v13|
	v_fmac_f32_e32 v20, 0xb3a22168, v21
	v_fmac_f32_e32 v20, 0xa7c234c4, v21
.LBB62_32:
	s_or_b64 exec, exec, s[4:5]
	v_mul_f32_e32 v21, v20, v20
	v_mov_b32_e32 v22, 0x3c0881c4
	v_fmac_f32_e32 v22, 0xb94c1982, v21
	v_mov_b32_e32 v23, 0xbe2aaa9d
	v_fmac_f32_e32 v23, v21, v22
	v_mul_f32_e32 v22, v21, v23
	v_fmac_f32_e32 v20, v20, v22
	v_mov_b32_e32 v22, 0xbab64f3b
	v_fmac_f32_e32 v22, 0x37d75334, v21
	v_mov_b32_e32 v23, 0x3d2aabf7
	;; [unrolled: 2-line block ×3, first 2 shown]
	v_fmac_f32_e32 v22, v21, v23
	v_fma_f32 v21, v21, v22, 1.0
	v_and_b32_e32 v22, 1, v18
	v_lshlrev_b32_e32 v18, 30, v18
	v_cmp_eq_u32_e32 vcc, 0, v22
	v_and_b32_e32 v18, 0x80000000, v18
	v_xor_b32_e32 v17, v17, v13
	v_cndmask_b32_e32 v20, v21, v20, vcc
	v_xor_b32_e32 v17, v17, v18
	s_movk_i32 s4, 0x1f8
	v_xor_b32_e32 v17, v17, v20
	v_mov_b32_e32 v18, 0x7fc00000
	v_cmp_class_f32_e64 vcc, v13, s4
	v_cndmask_b32_e32 v13, v18, v17, vcc
	v_mul_f32_e32 v13, v13, v13
	s_mov_b32 s8, 0xc11de9e7
	v_div_scale_f32 v17, s[4:5], v13, v13, s8
	v_div_scale_f32 v18, vcc, s8, v13, s8
	v_sub_f32_e32 v19, 1.0, v19
	v_rcp_f32_e32 v20, v17
	v_fma_f32 v21, -v17, v20, 1.0
	v_fmac_f32_e32 v20, v21, v20
	v_mul_f32_e32 v21, v18, v20
	v_fma_f32 v22, -v17, v21, v18
	v_fmac_f32_e32 v21, v22, v20
	v_fma_f32 v17, -v17, v21, v18
	v_div_fmas_f32 v17, v17, v20, v21
	v_mov_b32_e32 v21, -1.0
	v_div_fixup_f32 v13, v17, v13, s8
	v_add_f32_e32 v24, 0, v13
.LBB62_33:
	s_or_b64 exec, exec, s[14:15]
	v_cvt_f32_f16_sdwa v23, v1 dst_sel:DWORD dst_unused:UNUSED_PAD src0_sel:WORD_1
	v_mov_b32_e32 v13, 0x3800
	v_cmp_lt_f16_sdwa s[4:5], v1, v13 src0_sel:WORD_1 src1_sel:DWORD
	v_mov_b32_e32 v1, 0
	v_mov_b32_e32 v13, 1.0
	s_and_saveexec_b64 s[14:15], s[4:5]
	s_cbranch_execz .LBB62_39
; %bb.34:
	v_mul_f32_e32 v1, 0x40490fdb, v23
	s_brev_b32 s4, 18
	v_and_b32_e32 v13, 0x7fffffff, v1
	v_cmp_nlt_f32_e64 s[4:5], |v1|, s4
                                        ; implicit-def: $vgpr17
                                        ; implicit-def: $vgpr18
	s_and_saveexec_b64 s[8:9], s[4:5]
	s_xor_b64 s[20:21], exec, s[8:9]
	s_cbranch_execz .LBB62_36
; %bb.35:
	v_and_b32_e32 v17, 0x7fffff, v13
	v_or_b32_e32 v20, 0x800000, v17
	s_mov_b32 s4, 0xfe5163ab
	v_mad_u64_u32 v[17:18], s[4:5], v20, s4, 0
	v_mov_b32_e32 v26, 0
	s_mov_b32 s4, 0x3c439041
	v_mov_b32_e32 v25, v18
	v_mad_u64_u32 v[27:28], s[4:5], v20, s4, v[25:26]
	s_mov_b32 s4, 0xdb629599
	v_lshrrev_b32_e32 v18, 23, v13
	v_mov_b32_e32 v25, v28
	v_mad_u64_u32 v[28:29], s[4:5], v20, s4, v[25:26]
	s_mov_b32 s4, 0xf534ddc0
	v_add_u32_e32 v18, 0xffffff88, v18
	v_mov_b32_e32 v25, v29
	v_mad_u64_u32 v[29:30], s[4:5], v20, s4, v[25:26]
	s_mov_b32 s4, 0xfc2757d1
	v_not_b32_e32 v22, 63
	v_mov_b32_e32 v25, v30
	v_mad_u64_u32 v[30:31], s[4:5], v20, s4, v[25:26]
	v_cmp_lt_u32_e32 vcc, 63, v18
	s_mov_b32 s4, 0x4e441529
	v_mov_b32_e32 v25, v31
	v_cndmask_b32_e32 v22, 0, v22, vcc
	v_mad_u64_u32 v[31:32], s[4:5], v20, s4, v[25:26]
	v_add_u32_e32 v18, v22, v18
	v_not_b32_e32 v22, 31
	v_cmp_lt_u32_e64 s[4:5], 31, v18
	v_cndmask_b32_e64 v25, 0, v22, s[4:5]
	v_add_u32_e32 v18, v25, v18
	v_mov_b32_e32 v25, v32
	s_mov_b32 s8, 0xa2f9836e
	v_mad_u64_u32 v[25:26], s[8:9], v20, s8, v[25:26]
	v_cmp_lt_u32_e64 s[8:9], 31, v18
	v_cndmask_b32_e64 v20, 0, v22, s[8:9]
	v_add_u32_e32 v18, v20, v18
	v_cndmask_b32_e32 v20, v31, v29, vcc
	v_cndmask_b32_e32 v22, v25, v30, vcc
	;; [unrolled: 1-line block ×3, first 2 shown]
	v_cndmask_b32_e64 v25, v22, v20, s[4:5]
	v_cndmask_b32_e64 v22, v26, v22, s[4:5]
	v_cndmask_b32_e32 v26, v30, v28, vcc
	v_cndmask_b32_e64 v20, v20, v26, s[4:5]
	v_sub_u32_e32 v30, 32, v18
	v_cmp_eq_u32_e64 s[10:11], 0, v18
	v_cndmask_b32_e32 v18, v29, v27, vcc
	v_cndmask_b32_e64 v22, v22, v25, s[8:9]
	v_cndmask_b32_e64 v25, v25, v20, s[8:9]
	;; [unrolled: 1-line block ×3, first 2 shown]
	v_alignbit_b32 v31, v22, v25, v30
	v_cndmask_b32_e64 v20, v20, v26, s[8:9]
	v_cndmask_b32_e32 v17, v28, v17, vcc
	v_cndmask_b32_e64 v22, v31, v22, s[10:11]
	v_alignbit_b32 v27, v25, v20, v30
	v_cndmask_b32_e64 v17, v18, v17, s[4:5]
	v_cndmask_b32_e64 v25, v27, v25, s[10:11]
	v_bfe_u32 v31, v22, 29, 1
	v_cndmask_b32_e64 v17, v26, v17, s[8:9]
	v_alignbit_b32 v27, v22, v25, 30
	v_sub_u32_e32 v32, 0, v31
	v_alignbit_b32 v18, v20, v17, v30
	v_xor_b32_e32 v27, v27, v32
	v_cndmask_b32_e64 v18, v18, v20, s[10:11]
	v_alignbit_b32 v20, v25, v18, 30
	v_ffbh_u32_e32 v25, v27
	v_min_u32_e32 v25, 32, v25
	v_alignbit_b32 v17, v18, v17, 30
	v_xor_b32_e32 v20, v20, v32
	v_sub_u32_e32 v26, 31, v25
	v_xor_b32_e32 v17, v17, v32
	v_alignbit_b32 v27, v27, v20, v26
	v_alignbit_b32 v17, v20, v17, v26
	;; [unrolled: 1-line block ×3, first 2 shown]
	v_ffbh_u32_e32 v20, v18
	v_min_u32_e32 v20, 32, v20
	v_lshrrev_b32_e32 v29, 29, v22
	v_not_b32_e32 v26, v20
	v_alignbit_b32 v17, v18, v17, v26
	v_lshlrev_b32_e32 v18, 31, v29
	v_or_b32_e32 v26, 0x33000000, v18
	v_add_lshl_u32 v20, v20, v25, 23
	v_lshrrev_b32_e32 v17, 9, v17
	v_sub_u32_e32 v20, v26, v20
	v_or_b32_e32 v18, 0.5, v18
	v_lshlrev_b32_e32 v25, 23, v25
	v_or_b32_e32 v17, v20, v17
	v_lshrrev_b32_e32 v20, 9, v27
	v_sub_u32_e32 v18, v18, v25
	v_or_b32_e32 v18, v20, v18
	s_mov_b32 s4, 0x3fc90fda
	v_mul_f32_e32 v20, 0x3fc90fda, v18
	v_fma_f32 v25, v18, s4, -v20
	v_fmac_f32_e32 v25, 0x33a22168, v18
	v_fmac_f32_e32 v25, 0x3fc90fda, v17
	v_lshrrev_b32_e32 v17, 30, v22
	v_add_f32_e32 v18, v20, v25
	v_add_u32_e32 v17, v31, v17
.LBB62_36:
	s_andn2_saveexec_b64 s[4:5], s[20:21]
	s_cbranch_execz .LBB62_38
; %bb.37:
	s_mov_b32 s8, 0x3f22f983
	v_mul_f32_e64 v17, |v1|, s8
	v_rndne_f32_e32 v20, v17
	s_mov_b32 s8, 0xbfc90fda
	v_cvt_i32_f32_e32 v17, v20
	v_fma_f32 v18, v20, s8, |v1|
	v_fmac_f32_e32 v18, 0xb3a22168, v20
	v_fmac_f32_e32 v18, 0xa7c234c4, v20
.LBB62_38:
	s_or_b64 exec, exec, s[4:5]
	v_mul_f32_e32 v20, v18, v18
	v_mov_b32_e32 v22, 0x3c0881c4
	v_fmac_f32_e32 v22, 0xb94c1982, v20
	v_mov_b32_e32 v25, 0xbe2aaa9d
	v_fmac_f32_e32 v25, v20, v22
	v_mul_f32_e32 v22, v20, v25
	v_fmac_f32_e32 v18, v18, v22
	v_mov_b32_e32 v22, 0xbab64f3b
	v_fmac_f32_e32 v22, 0x37d75334, v20
	v_mov_b32_e32 v25, 0x3d2aabf7
	;; [unrolled: 2-line block ×3, first 2 shown]
	v_fmac_f32_e32 v22, v20, v25
	v_fma_f32 v20, v20, v22, 1.0
	v_and_b32_e32 v22, 1, v17
	v_lshlrev_b32_e32 v17, 30, v17
	v_cmp_eq_u32_e32 vcc, 0, v22
	v_and_b32_e32 v17, 0x80000000, v17
	v_xor_b32_e32 v13, v13, v1
	v_cndmask_b32_e32 v18, v20, v18, vcc
	v_xor_b32_e32 v13, v13, v17
	s_movk_i32 s4, 0x1f8
	v_xor_b32_e32 v13, v13, v18
	v_mov_b32_e32 v17, 0x7fc00000
	v_cmp_class_f32_e64 vcc, v1, s4
	v_cndmask_b32_e32 v1, v17, v13, vcc
	v_mul_f32_e32 v1, v1, v1
	s_mov_b32 s8, 0xc11de9e7
	v_div_scale_f32 v13, s[4:5], v1, v1, s8
	v_div_scale_f32 v17, vcc, s8, v1, s8
	v_sub_f32_e32 v23, 1.0, v23
	v_rcp_f32_e32 v18, v13
	v_fma_f32 v20, -v13, v18, 1.0
	v_fmac_f32_e32 v18, v20, v18
	v_mul_f32_e32 v20, v17, v18
	v_fma_f32 v22, -v13, v20, v17
	v_fmac_f32_e32 v20, v22, v18
	v_fma_f32 v13, -v13, v20, v17
	v_div_fmas_f32 v13, v13, v18, v20
	v_div_fixup_f32 v1, v13, v1, s8
	v_add_f32_e32 v1, 0, v1
	v_mov_b32_e32 v13, -1.0
.LBB62_39:
	s_or_b64 exec, exec, s[14:15]
	v_cvt_f32_f16_e32 v22, v2
	v_cmp_gt_f16_e32 vcc, 0.5, v2
	v_mov_b32_e32 v26, 0
	v_mov_b32_e32 v25, 1.0
	s_and_saveexec_b64 s[14:15], vcc
	s_cbranch_execz .LBB62_45
; %bb.40:
	v_mul_f32_e32 v17, 0x40490fdb, v22
	s_brev_b32 s4, 18
	v_and_b32_e32 v18, 0x7fffffff, v17
	v_cmp_nlt_f32_e64 s[4:5], |v17|, s4
                                        ; implicit-def: $vgpr20
                                        ; implicit-def: $vgpr25
	s_and_saveexec_b64 s[8:9], s[4:5]
	s_xor_b64 s[20:21], exec, s[8:9]
	s_cbranch_execz .LBB62_42
; %bb.41:
	v_and_b32_e32 v20, 0x7fffff, v18
	v_or_b32_e32 v20, 0x800000, v20
	s_mov_b32 s4, 0xfe5163ab
	v_mad_u64_u32 v[25:26], s[4:5], v20, s4, 0
	v_mov_b32_e32 v27, 0
	s_mov_b32 s4, 0x3c439041
	v_mad_u64_u32 v[28:29], s[4:5], v20, s4, v[26:27]
	s_mov_b32 s4, 0xdb629599
	v_not_b32_e32 v33, 63
	v_mov_b32_e32 v26, v29
	v_mad_u64_u32 v[29:30], s[4:5], v20, s4, v[26:27]
	s_mov_b32 s4, 0xf534ddc0
	v_not_b32_e32 v35, 31
	v_mov_b32_e32 v26, v30
	v_mad_u64_u32 v[30:31], s[4:5], v20, s4, v[26:27]
	v_lshrrev_b32_e32 v26, 23, v18
	v_add_u32_e32 v34, 0xffffff88, v26
	v_mov_b32_e32 v26, v31
	s_mov_b32 s4, 0xfc2757d1
	v_mad_u64_u32 v[31:32], s[4:5], v20, s4, v[26:27]
	v_cmp_lt_u32_e32 vcc, 63, v34
	v_cndmask_b32_e32 v26, 0, v33, vcc
	v_add_u32_e32 v34, v26, v34
	v_mov_b32_e32 v26, v32
	s_mov_b32 s4, 0x4e441529
	v_mad_u64_u32 v[32:33], s[4:5], v20, s4, v[26:27]
	v_cmp_lt_u32_e64 s[4:5], 31, v34
	v_cndmask_b32_e64 v26, 0, v35, s[4:5]
	v_add_u32_e32 v34, v26, v34
	v_mov_b32_e32 v26, v33
	s_mov_b32 s8, 0xa2f9836e
	v_mad_u64_u32 v[26:27], s[8:9], v20, s8, v[26:27]
	v_cmp_lt_u32_e64 s[8:9], 31, v34
	v_cndmask_b32_e64 v20, 0, v35, s[8:9]
	v_cndmask_b32_e32 v33, v32, v30, vcc
	v_cndmask_b32_e32 v26, v26, v31, vcc
	;; [unrolled: 1-line block ×3, first 2 shown]
	v_add_u32_e32 v20, v20, v34
	v_cndmask_b32_e64 v34, v26, v33, s[4:5]
	v_cndmask_b32_e64 v26, v27, v26, s[4:5]
	v_cndmask_b32_e32 v27, v31, v29, vcc
	v_cndmask_b32_e64 v31, v33, v27, s[4:5]
	v_cndmask_b32_e64 v26, v26, v34, s[8:9]
	;; [unrolled: 1-line block ×3, first 2 shown]
	v_sub_u32_e32 v33, 32, v20
	v_alignbit_b32 v34, v26, v32, v33
	v_cmp_eq_u32_e64 s[10:11], 0, v20
	v_cndmask_b32_e64 v20, v34, v26, s[10:11]
	v_cndmask_b32_e32 v26, v30, v28, vcc
	v_cndmask_b32_e64 v27, v27, v26, s[4:5]
	v_cndmask_b32_e64 v28, v31, v27, s[8:9]
	v_alignbit_b32 v30, v32, v28, v33
	v_cndmask_b32_e32 v25, v29, v25, vcc
	v_cndmask_b32_e64 v30, v30, v32, s[10:11]
	v_bfe_u32 v34, v20, 29, 1
	v_cndmask_b32_e64 v25, v26, v25, s[4:5]
	v_alignbit_b32 v31, v20, v30, 30
	v_sub_u32_e32 v35, 0, v34
	v_cndmask_b32_e64 v25, v27, v25, s[8:9]
	v_xor_b32_e32 v31, v31, v35
	v_alignbit_b32 v26, v28, v25, v33
	v_cndmask_b32_e64 v26, v26, v28, s[10:11]
	v_ffbh_u32_e32 v28, v31
	v_alignbit_b32 v27, v30, v26, 30
	v_min_u32_e32 v28, 32, v28
	v_alignbit_b32 v25, v26, v25, 30
	v_xor_b32_e32 v27, v27, v35
	v_sub_u32_e32 v29, 31, v28
	v_xor_b32_e32 v25, v25, v35
	v_alignbit_b32 v30, v31, v27, v29
	v_alignbit_b32 v25, v27, v25, v29
	;; [unrolled: 1-line block ×3, first 2 shown]
	v_ffbh_u32_e32 v27, v26
	v_min_u32_e32 v27, 32, v27
	v_lshrrev_b32_e32 v32, 29, v20
	v_not_b32_e32 v29, v27
	v_alignbit_b32 v25, v26, v25, v29
	v_lshlrev_b32_e32 v26, 31, v32
	v_or_b32_e32 v29, 0x33000000, v26
	v_add_lshl_u32 v27, v27, v28, 23
	v_lshrrev_b32_e32 v25, 9, v25
	v_sub_u32_e32 v27, v29, v27
	v_or_b32_e32 v26, 0.5, v26
	v_lshlrev_b32_e32 v28, 23, v28
	v_or_b32_e32 v25, v27, v25
	v_lshrrev_b32_e32 v27, 9, v30
	v_sub_u32_e32 v26, v26, v28
	v_or_b32_e32 v26, v27, v26
	s_mov_b32 s4, 0x3fc90fda
	v_mul_f32_e32 v27, 0x3fc90fda, v26
	v_fma_f32 v28, v26, s4, -v27
	v_fmac_f32_e32 v28, 0x33a22168, v26
	v_fmac_f32_e32 v28, 0x3fc90fda, v25
	v_lshrrev_b32_e32 v20, 30, v20
	v_add_f32_e32 v25, v27, v28
	v_add_u32_e32 v20, v34, v20
.LBB62_42:
	s_andn2_saveexec_b64 s[4:5], s[20:21]
	s_cbranch_execz .LBB62_44
; %bb.43:
	s_mov_b32 s8, 0x3f22f983
	v_mul_f32_e64 v20, |v17|, s8
	v_rndne_f32_e32 v26, v20
	s_mov_b32 s8, 0xbfc90fda
	v_cvt_i32_f32_e32 v20, v26
	v_fma_f32 v25, v26, s8, |v17|
	v_fmac_f32_e32 v25, 0xb3a22168, v26
	v_fmac_f32_e32 v25, 0xa7c234c4, v26
.LBB62_44:
	s_or_b64 exec, exec, s[4:5]
	v_mul_f32_e32 v26, v25, v25
	v_mov_b32_e32 v27, 0x3c0881c4
	v_fmac_f32_e32 v27, 0xb94c1982, v26
	v_mov_b32_e32 v28, 0xbe2aaa9d
	v_fmac_f32_e32 v28, v26, v27
	v_mul_f32_e32 v27, v26, v28
	v_fmac_f32_e32 v25, v25, v27
	v_mov_b32_e32 v27, 0xbab64f3b
	v_fmac_f32_e32 v27, 0x37d75334, v26
	v_mov_b32_e32 v28, 0x3d2aabf7
	;; [unrolled: 2-line block ×3, first 2 shown]
	v_fmac_f32_e32 v27, v26, v28
	v_fma_f32 v26, v26, v27, 1.0
	v_and_b32_e32 v27, 1, v20
	v_lshlrev_b32_e32 v20, 30, v20
	v_cmp_eq_u32_e32 vcc, 0, v27
	v_and_b32_e32 v20, 0x80000000, v20
	v_xor_b32_e32 v18, v18, v17
	v_cndmask_b32_e32 v25, v26, v25, vcc
	v_xor_b32_e32 v18, v18, v20
	s_movk_i32 s4, 0x1f8
	v_xor_b32_e32 v18, v18, v25
	v_mov_b32_e32 v20, 0x7fc00000
	v_cmp_class_f32_e64 vcc, v17, s4
	v_cndmask_b32_e32 v17, v20, v18, vcc
	v_mul_f32_e32 v17, v17, v17
	s_mov_b32 s8, 0xc11de9e7
	v_div_scale_f32 v18, s[4:5], v17, v17, s8
	v_div_scale_f32 v20, vcc, s8, v17, s8
	v_sub_f32_e32 v22, 1.0, v22
	v_rcp_f32_e32 v25, v18
	v_fma_f32 v26, -v18, v25, 1.0
	v_fmac_f32_e32 v25, v26, v25
	v_mul_f32_e32 v26, v20, v25
	v_fma_f32 v27, -v18, v26, v20
	v_fmac_f32_e32 v26, v27, v25
	v_fma_f32 v18, -v18, v26, v20
	v_div_fmas_f32 v18, v18, v25, v26
	v_mov_b32_e32 v25, -1.0
	v_div_fixup_f32 v17, v18, v17, s8
	v_add_f32_e32 v26, 0, v17
.LBB62_45:
	s_or_b64 exec, exec, s[14:15]
	v_cvt_f32_f16_sdwa v18, v2 dst_sel:DWORD dst_unused:UNUSED_PAD src0_sel:WORD_1
	v_mov_b32_e32 v17, 0x3800
	v_cmp_lt_f16_sdwa s[4:5], v2, v17 src0_sel:WORD_1 src1_sel:DWORD
	v_mov_b32_e32 v20, 0
	v_mov_b32_e32 v17, 1.0
	s_and_saveexec_b64 s[14:15], s[4:5]
	s_cbranch_execz .LBB62_51
; %bb.46:
	v_mul_f32_e32 v2, 0x40490fdb, v18
	s_brev_b32 s4, 18
	v_and_b32_e32 v17, 0x7fffffff, v2
	v_cmp_nlt_f32_e64 s[4:5], |v2|, s4
                                        ; implicit-def: $vgpr20
                                        ; implicit-def: $vgpr27
	s_and_saveexec_b64 s[8:9], s[4:5]
	s_xor_b64 s[20:21], exec, s[8:9]
	s_cbranch_execz .LBB62_48
; %bb.47:
	v_and_b32_e32 v20, 0x7fffff, v17
	v_or_b32_e32 v20, 0x800000, v20
	s_mov_b32 s4, 0xfe5163ab
	v_mad_u64_u32 v[27:28], s[4:5], v20, s4, 0
	v_mov_b32_e32 v29, 0
	s_mov_b32 s4, 0x3c439041
	v_mad_u64_u32 v[30:31], s[4:5], v20, s4, v[28:29]
	s_mov_b32 s4, 0xdb629599
	v_not_b32_e32 v35, 63
	v_mov_b32_e32 v28, v31
	v_mad_u64_u32 v[31:32], s[4:5], v20, s4, v[28:29]
	s_mov_b32 s4, 0xf534ddc0
	v_not_b32_e32 v37, 31
	v_mov_b32_e32 v28, v32
	v_mad_u64_u32 v[32:33], s[4:5], v20, s4, v[28:29]
	v_lshrrev_b32_e32 v28, 23, v17
	v_add_u32_e32 v36, 0xffffff88, v28
	v_mov_b32_e32 v28, v33
	s_mov_b32 s4, 0xfc2757d1
	v_mad_u64_u32 v[33:34], s[4:5], v20, s4, v[28:29]
	v_cmp_lt_u32_e32 vcc, 63, v36
	v_cndmask_b32_e32 v28, 0, v35, vcc
	v_add_u32_e32 v36, v28, v36
	v_mov_b32_e32 v28, v34
	s_mov_b32 s4, 0x4e441529
	v_mad_u64_u32 v[34:35], s[4:5], v20, s4, v[28:29]
	v_cmp_lt_u32_e64 s[4:5], 31, v36
	v_cndmask_b32_e64 v28, 0, v37, s[4:5]
	v_add_u32_e32 v36, v28, v36
	v_mov_b32_e32 v28, v35
	s_mov_b32 s8, 0xa2f9836e
	v_mad_u64_u32 v[28:29], s[8:9], v20, s8, v[28:29]
	v_cmp_lt_u32_e64 s[8:9], 31, v36
	v_cndmask_b32_e64 v20, 0, v37, s[8:9]
	v_cndmask_b32_e32 v35, v34, v32, vcc
	v_cndmask_b32_e32 v28, v28, v33, vcc
	;; [unrolled: 1-line block ×3, first 2 shown]
	v_add_u32_e32 v20, v20, v36
	v_cndmask_b32_e64 v36, v28, v35, s[4:5]
	v_cndmask_b32_e64 v28, v29, v28, s[4:5]
	v_cndmask_b32_e32 v29, v33, v31, vcc
	v_cndmask_b32_e64 v33, v35, v29, s[4:5]
	v_cndmask_b32_e64 v28, v28, v36, s[8:9]
	v_cndmask_b32_e64 v34, v36, v33, s[8:9]
	v_sub_u32_e32 v35, 32, v20
	v_alignbit_b32 v36, v28, v34, v35
	v_cmp_eq_u32_e64 s[10:11], 0, v20
	v_cndmask_b32_e64 v20, v36, v28, s[10:11]
	v_cndmask_b32_e32 v28, v32, v30, vcc
	v_cndmask_b32_e64 v29, v29, v28, s[4:5]
	v_cndmask_b32_e64 v30, v33, v29, s[8:9]
	v_alignbit_b32 v32, v34, v30, v35
	v_cndmask_b32_e32 v27, v31, v27, vcc
	v_cndmask_b32_e64 v32, v32, v34, s[10:11]
	v_bfe_u32 v36, v20, 29, 1
	v_cndmask_b32_e64 v27, v28, v27, s[4:5]
	v_alignbit_b32 v33, v20, v32, 30
	v_sub_u32_e32 v37, 0, v36
	v_cndmask_b32_e64 v27, v29, v27, s[8:9]
	v_xor_b32_e32 v33, v33, v37
	v_alignbit_b32 v28, v30, v27, v35
	v_cndmask_b32_e64 v28, v28, v30, s[10:11]
	v_ffbh_u32_e32 v30, v33
	v_alignbit_b32 v29, v32, v28, 30
	v_min_u32_e32 v30, 32, v30
	v_alignbit_b32 v27, v28, v27, 30
	v_xor_b32_e32 v29, v29, v37
	v_sub_u32_e32 v31, 31, v30
	v_xor_b32_e32 v27, v27, v37
	v_alignbit_b32 v32, v33, v29, v31
	v_alignbit_b32 v27, v29, v27, v31
	;; [unrolled: 1-line block ×3, first 2 shown]
	v_ffbh_u32_e32 v29, v28
	v_min_u32_e32 v29, 32, v29
	v_lshrrev_b32_e32 v34, 29, v20
	v_not_b32_e32 v31, v29
	v_alignbit_b32 v27, v28, v27, v31
	v_lshlrev_b32_e32 v28, 31, v34
	v_or_b32_e32 v31, 0x33000000, v28
	v_add_lshl_u32 v29, v29, v30, 23
	v_lshrrev_b32_e32 v27, 9, v27
	v_sub_u32_e32 v29, v31, v29
	v_or_b32_e32 v28, 0.5, v28
	v_lshlrev_b32_e32 v30, 23, v30
	v_or_b32_e32 v27, v29, v27
	v_lshrrev_b32_e32 v29, 9, v32
	v_sub_u32_e32 v28, v28, v30
	v_or_b32_e32 v28, v29, v28
	s_mov_b32 s4, 0x3fc90fda
	v_mul_f32_e32 v29, 0x3fc90fda, v28
	v_fma_f32 v30, v28, s4, -v29
	v_fmac_f32_e32 v30, 0x33a22168, v28
	v_fmac_f32_e32 v30, 0x3fc90fda, v27
	v_lshrrev_b32_e32 v20, 30, v20
	v_add_f32_e32 v27, v29, v30
	v_add_u32_e32 v20, v36, v20
.LBB62_48:
	s_andn2_saveexec_b64 s[4:5], s[20:21]
	s_cbranch_execz .LBB62_50
; %bb.49:
	s_mov_b32 s8, 0x3f22f983
	v_mul_f32_e64 v20, |v2|, s8
	v_rndne_f32_e32 v28, v20
	s_mov_b32 s8, 0xbfc90fda
	v_cvt_i32_f32_e32 v20, v28
	v_fma_f32 v27, v28, s8, |v2|
	v_fmac_f32_e32 v27, 0xb3a22168, v28
	v_fmac_f32_e32 v27, 0xa7c234c4, v28
.LBB62_50:
	s_or_b64 exec, exec, s[4:5]
	v_mul_f32_e32 v28, v27, v27
	v_mov_b32_e32 v29, 0x3c0881c4
	v_fmac_f32_e32 v29, 0xb94c1982, v28
	v_mov_b32_e32 v30, 0xbe2aaa9d
	v_fmac_f32_e32 v30, v28, v29
	v_mul_f32_e32 v29, v28, v30
	v_fmac_f32_e32 v27, v27, v29
	v_mov_b32_e32 v29, 0xbab64f3b
	v_fmac_f32_e32 v29, 0x37d75334, v28
	v_mov_b32_e32 v30, 0x3d2aabf7
	;; [unrolled: 2-line block ×3, first 2 shown]
	v_fmac_f32_e32 v29, v28, v30
	v_fma_f32 v28, v28, v29, 1.0
	v_and_b32_e32 v29, 1, v20
	v_lshlrev_b32_e32 v20, 30, v20
	v_cmp_eq_u32_e32 vcc, 0, v29
	v_and_b32_e32 v20, 0x80000000, v20
	v_xor_b32_e32 v17, v17, v2
	v_cndmask_b32_e32 v27, v28, v27, vcc
	v_xor_b32_e32 v17, v17, v20
	s_movk_i32 s4, 0x1f8
	v_xor_b32_e32 v17, v17, v27
	v_mov_b32_e32 v20, 0x7fc00000
	v_cmp_class_f32_e64 vcc, v2, s4
	v_cndmask_b32_e32 v2, v20, v17, vcc
	v_mul_f32_e32 v2, v2, v2
	s_mov_b32 s8, 0xc11de9e7
	v_div_scale_f32 v17, s[4:5], v2, v2, s8
	v_div_scale_f32 v20, vcc, s8, v2, s8
	v_sub_f32_e32 v18, 1.0, v18
	v_rcp_f32_e32 v27, v17
	v_fma_f32 v28, -v17, v27, 1.0
	v_fmac_f32_e32 v27, v28, v27
	v_mul_f32_e32 v28, v20, v27
	v_fma_f32 v29, -v17, v28, v20
	v_fmac_f32_e32 v28, v29, v27
	v_fma_f32 v17, -v17, v28, v20
	v_div_fmas_f32 v17, v17, v27, v28
	v_div_fixup_f32 v2, v17, v2, s8
	v_add_f32_e32 v20, 0, v2
	v_mov_b32_e32 v17, -1.0
.LBB62_51:
	s_or_b64 exec, exec, s[14:15]
	v_mul_f32_e32 v2, v22, v22
	v_div_scale_f32 v27, s[4:5], v2, v2, 1.0
	v_add_f32_e32 v22, 1.0, v22
	v_rcp_f32_e32 v28, v27
	v_fma_f32 v29, -v27, v28, 1.0
	v_fmac_f32_e32 v28, v29, v28
	v_div_scale_f32 v29, vcc, 1.0, v2, 1.0
	v_mul_f32_e32 v30, v29, v28
	v_fma_f32 v31, -v27, v30, v29
	v_fmac_f32_e32 v30, v31, v28
	v_fma_f32 v27, -v27, v30, v29
	v_div_fmas_f32 v27, v27, v28, v30
	v_div_fixup_f32 v2, v27, v2, 1.0
	v_add_f32_e32 v2, v26, v2
	v_mul_f32_e32 v26, v22, v22
	v_div_scale_f32 v27, s[4:5], v26, v26, 1.0
	v_add_f32_e32 v22, 1.0, v22
	v_rcp_f32_e32 v28, v27
	v_fma_f32 v29, -v27, v28, 1.0
	v_fmac_f32_e32 v28, v29, v28
	v_div_scale_f32 v29, vcc, 1.0, v26, 1.0
	v_mul_f32_e32 v30, v29, v28
	v_fma_f32 v31, -v27, v30, v29
	v_fmac_f32_e32 v30, v31, v28
	v_fma_f32 v27, -v27, v30, v29
	v_div_fmas_f32 v27, v27, v28, v30
	v_div_fixup_f32 v26, v27, v26, 1.0
	v_add_f32_e32 v2, v2, v26
	;; [unrolled: 14-line block ×5, first 2 shown]
	v_mul_f32_e32 v26, v22, v22
	v_div_scale_f32 v27, s[4:5], v26, v26, 1.0
	v_rcp_f32_e32 v28, v27
	v_fma_f32 v29, -v27, v28, 1.0
	v_fmac_f32_e32 v28, v29, v28
	v_div_scale_f32 v29, vcc, 1.0, v26, 1.0
	v_mul_f32_e32 v30, v29, v28
	v_fma_f32 v31, -v27, v30, v29
	v_fmac_f32_e32 v30, v31, v28
	v_fma_f32 v27, -v27, v30, v29
	v_div_fmas_f32 v27, v27, v28, v30
	v_div_fixup_f32 v26, v27, v26, 1.0
	v_add_f32_e32 v2, v2, v26
	v_add_f32_e32 v26, 1.0, v22
	v_add_f32_e32 v22, v26, v26
	v_div_scale_f32 v27, s[4:5], v22, v22, 1.0
	v_rcp_f32_e32 v28, v27
	v_fma_f32 v29, -v27, v28, 1.0
	v_fmac_f32_e32 v28, v29, v28
	v_div_scale_f32 v29, vcc, 1.0, v22, 1.0
	v_mul_f32_e32 v30, v29, v28
	v_fma_f32 v31, -v27, v30, v29
	v_fmac_f32_e32 v30, v31, v28
	v_fma_f32 v27, -v27, v30, v29
	v_div_fmas_f32 v27, v27, v28, v30
	v_div_fixup_f32 v22, v27, v22, 1.0
	v_add_f32_e32 v27, 1.0, v22
	v_mul_f32_e32 v22, v26, v26
	v_div_scale_f32 v28, s[4:5], v22, v22, 1.0
	s_mov_b32 s4, 0x3e2aaaab
	v_rcp_f32_e32 v29, v28
	v_fma_f32 v30, -v28, v29, 1.0
	v_fmac_f32_e32 v29, v30, v29
	v_div_scale_f32 v30, vcc, 1.0, v22, 1.0
	v_mul_f32_e32 v31, v30, v29
	v_fma_f32 v32, -v28, v31, v30
	v_fmac_f32_e32 v31, v32, v29
	v_fma_f32 v28, -v28, v31, v30
	v_div_fmas_f32 v28, v28, v29, v31
	v_mov_b32_e32 v29, 0x3d088889
	v_div_fixup_f32 v28, v28, v22, 1.0
	v_fmac_f32_e32 v29, 0xbcc30c31, v28
	v_fma_f32 v29, -v28, v29, s4
	v_fmac_f32_e32 v27, v28, v29
	v_div_scale_f32 v28, s[8:9], v26, v26, v27
	v_mov_b32_e32 v22, 0x3d088889
	v_rcp_f32_e32 v29, v28
	v_fma_f32 v30, -v28, v29, 1.0
	v_fmac_f32_e32 v29, v30, v29
	v_div_scale_f32 v30, vcc, v27, v26, v27
	v_mul_f32_e32 v31, v30, v29
	v_fma_f32 v32, -v28, v31, v30
	v_fmac_f32_e32 v31, v32, v29
	v_fma_f32 v28, -v28, v31, v30
	v_div_fmas_f32 v28, v28, v29, v31
	v_div_fixup_f32 v26, v28, v26, v27
	v_add_f32_e32 v2, v2, v26
	v_fma_mixlo_f16 v2, v25, v2, 0
	v_mul_f32_e32 v25, v23, v23
	v_div_scale_f32 v26, s[8:9], v25, v25, 1.0
	v_add_f32_e32 v23, 1.0, v23
	v_rcp_f32_e32 v27, v26
	v_fma_f32 v28, -v26, v27, 1.0
	v_fmac_f32_e32 v27, v28, v27
	v_div_scale_f32 v28, vcc, 1.0, v25, 1.0
	v_mul_f32_e32 v29, v28, v27
	v_fma_f32 v30, -v26, v29, v28
	v_fmac_f32_e32 v29, v30, v27
	v_fma_f32 v26, -v26, v29, v28
	v_div_fmas_f32 v26, v26, v27, v29
	v_div_fixup_f32 v25, v26, v25, 1.0
	v_add_f32_e32 v1, v1, v25
	v_mul_f32_e32 v25, v23, v23
	v_div_scale_f32 v26, s[8:9], v25, v25, 1.0
	v_add_f32_e32 v23, 1.0, v23
	v_rcp_f32_e32 v27, v26
	v_fma_f32 v28, -v26, v27, 1.0
	v_fmac_f32_e32 v27, v28, v27
	v_div_scale_f32 v28, vcc, 1.0, v25, 1.0
	v_mul_f32_e32 v29, v28, v27
	v_fma_f32 v30, -v26, v29, v28
	v_fmac_f32_e32 v29, v30, v27
	v_fma_f32 v26, -v26, v29, v28
	v_div_fmas_f32 v26, v26, v27, v29
	v_div_fixup_f32 v25, v26, v25, 1.0
	v_add_f32_e32 v1, v1, v25
	;; [unrolled: 14-line block ×6, first 2 shown]
	v_add_f32_e32 v25, v23, v23
	v_div_scale_f32 v26, s[8:9], v25, v25, 1.0
	v_rcp_f32_e32 v27, v26
	v_fma_f32 v28, -v26, v27, 1.0
	v_fmac_f32_e32 v27, v28, v27
	v_div_scale_f32 v28, vcc, 1.0, v25, 1.0
	v_mul_f32_e32 v29, v28, v27
	v_fma_f32 v30, -v26, v29, v28
	v_fmac_f32_e32 v29, v30, v27
	v_fma_f32 v26, -v26, v29, v28
	v_div_fmas_f32 v26, v26, v27, v29
	v_div_fixup_f32 v25, v26, v25, 1.0
	v_mul_f32_e32 v26, v23, v23
	v_div_scale_f32 v27, s[8:9], v26, v26, 1.0
	v_add_f32_e32 v25, 1.0, v25
	v_rcp_f32_e32 v28, v27
	v_fma_f32 v29, -v27, v28, 1.0
	v_fmac_f32_e32 v28, v29, v28
	v_div_scale_f32 v29, vcc, 1.0, v26, 1.0
	v_mul_f32_e32 v30, v29, v28
	v_fma_f32 v31, -v27, v30, v29
	v_fmac_f32_e32 v30, v31, v28
	v_fma_f32 v27, -v27, v30, v29
	v_div_fmas_f32 v27, v27, v28, v30
	v_div_fixup_f32 v26, v27, v26, 1.0
	v_mov_b32_e32 v27, 0x3d088889
	v_fmac_f32_e32 v27, 0xbcc30c31, v26
	v_fma_f32 v27, -v26, v27, s4
	v_fmac_f32_e32 v25, v26, v27
	v_div_scale_f32 v26, s[8:9], v23, v23, v25
	v_rcp_f32_e32 v27, v26
	v_fma_f32 v28, -v26, v27, 1.0
	v_fmac_f32_e32 v27, v28, v27
	v_div_scale_f32 v28, vcc, v25, v23, v25
	v_mul_f32_e32 v29, v28, v27
	v_fma_f32 v30, -v26, v29, v28
	v_fmac_f32_e32 v29, v30, v27
	v_fma_f32 v26, -v26, v29, v28
	v_div_fmas_f32 v26, v26, v27, v29
	v_div_fixup_f32 v23, v26, v23, v25
	v_add_f32_e32 v23, v1, v23
	v_mul_f32_e32 v1, v19, v19
	v_div_scale_f32 v25, s[8:9], v1, v1, 1.0
	v_add_f32_e32 v19, 1.0, v19
	v_rcp_f32_e32 v26, v25
	v_fma_f32 v27, -v25, v26, 1.0
	v_fmac_f32_e32 v26, v27, v26
	v_div_scale_f32 v27, vcc, 1.0, v1, 1.0
	v_mul_f32_e32 v28, v27, v26
	v_fma_f32 v29, -v25, v28, v27
	v_fmac_f32_e32 v28, v29, v26
	v_fma_f32 v25, -v25, v28, v27
	v_div_fmas_f32 v25, v25, v26, v28
	v_div_fixup_f32 v1, v25, v1, 1.0
	v_add_f32_e32 v1, v24, v1
	v_mul_f32_e32 v24, v19, v19
	v_div_scale_f32 v25, s[8:9], v24, v24, 1.0
	v_add_f32_e32 v19, 1.0, v19
	v_rcp_f32_e32 v26, v25
	v_fma_f32 v27, -v25, v26, 1.0
	v_fmac_f32_e32 v26, v27, v26
	v_div_scale_f32 v27, vcc, 1.0, v24, 1.0
	v_mul_f32_e32 v28, v27, v26
	v_fma_f32 v29, -v25, v28, v27
	v_fmac_f32_e32 v28, v29, v26
	v_fma_f32 v25, -v25, v28, v27
	v_div_fmas_f32 v25, v25, v26, v28
	v_div_fixup_f32 v24, v25, v24, 1.0
	;; [unrolled: 14-line block ×6, first 2 shown]
	v_add_f32_e32 v1, v1, v24
	v_add_f32_e32 v24, v19, v19
	v_div_scale_f32 v25, s[8:9], v24, v24, 1.0
	v_rcp_f32_e32 v26, v25
	v_fma_f32 v27, -v25, v26, 1.0
	v_fmac_f32_e32 v26, v27, v26
	v_div_scale_f32 v27, vcc, 1.0, v24, 1.0
	v_mul_f32_e32 v28, v27, v26
	v_fma_f32 v29, -v25, v28, v27
	v_fmac_f32_e32 v28, v29, v26
	v_fma_f32 v25, -v25, v28, v27
	v_div_fmas_f32 v25, v25, v26, v28
	v_div_fixup_f32 v24, v25, v24, 1.0
	v_mul_f32_e32 v25, v19, v19
	v_div_scale_f32 v26, s[8:9], v25, v25, 1.0
	v_add_f32_e32 v24, 1.0, v24
	v_rcp_f32_e32 v27, v26
	v_fma_f32 v28, -v26, v27, 1.0
	v_fmac_f32_e32 v27, v28, v27
	v_div_scale_f32 v28, vcc, 1.0, v25, 1.0
	v_mul_f32_e32 v29, v28, v27
	v_fma_f32 v30, -v26, v29, v28
	v_fmac_f32_e32 v29, v30, v27
	v_fma_f32 v26, -v26, v29, v28
	v_div_fmas_f32 v26, v26, v27, v29
	v_div_fixup_f32 v25, v26, v25, 1.0
	v_mov_b32_e32 v26, 0x3d088889
	v_fmac_f32_e32 v26, 0xbcc30c31, v25
	v_fma_f32 v26, -v25, v26, s4
	v_fmac_f32_e32 v24, v25, v26
	v_div_scale_f32 v25, s[8:9], v19, v19, v24
	v_rcp_f32_e32 v26, v25
	v_fma_f32 v27, -v25, v26, 1.0
	v_fmac_f32_e32 v26, v27, v26
	v_div_scale_f32 v27, vcc, v24, v19, v24
	v_mul_f32_e32 v28, v27, v26
	v_fma_f32 v29, -v25, v28, v27
	v_fmac_f32_e32 v28, v29, v26
	v_fma_f32 v25, -v25, v28, v27
	v_div_fmas_f32 v25, v25, v26, v28
	v_div_fixup_f32 v19, v25, v19, v24
	v_add_f32_e32 v1, v1, v19
	v_mul_f32_e32 v19, v16, v16
	v_fma_mixlo_f16 v1, v21, v1, 0
	v_div_scale_f32 v21, s[8:9], v19, v19, 1.0
	v_add_f32_e32 v16, 1.0, v16
	v_fma_mixhi_f16 v1, v13, v23, 0
	v_rcp_f32_e32 v24, v21
	v_fma_f32 v25, -v21, v24, 1.0
	v_fmac_f32_e32 v24, v25, v24
	v_div_scale_f32 v25, vcc, 1.0, v19, 1.0
	v_mul_f32_e32 v26, v25, v24
	v_fma_f32 v27, -v21, v26, v25
	v_fmac_f32_e32 v26, v27, v24
	v_fma_f32 v21, -v21, v26, v25
	v_div_fmas_f32 v21, v21, v24, v26
	v_div_fixup_f32 v19, v21, v19, 1.0
	v_add_f32_e32 v4, v4, v19
	v_mul_f32_e32 v19, v16, v16
	v_div_scale_f32 v21, s[8:9], v19, v19, 1.0
	v_add_f32_e32 v16, 1.0, v16
	v_rcp_f32_e32 v24, v21
	v_fma_f32 v25, -v21, v24, 1.0
	v_fmac_f32_e32 v24, v25, v24
	v_div_scale_f32 v25, vcc, 1.0, v19, 1.0
	v_mul_f32_e32 v26, v25, v24
	v_fma_f32 v27, -v21, v26, v25
	v_fmac_f32_e32 v26, v27, v24
	v_fma_f32 v21, -v21, v26, v25
	v_div_fmas_f32 v21, v21, v24, v26
	v_div_fixup_f32 v19, v21, v19, 1.0
	v_add_f32_e32 v4, v4, v19
	v_mul_f32_e32 v19, v16, v16
	v_div_scale_f32 v21, s[8:9], v19, v19, 1.0
	v_add_f32_e32 v16, 1.0, v16
	;; [unrolled: 14-line block ×5, first 2 shown]
	v_rcp_f32_e32 v24, v21
	v_fma_f32 v25, -v21, v24, 1.0
	v_fmac_f32_e32 v24, v25, v24
	v_div_scale_f32 v25, vcc, 1.0, v19, 1.0
	v_mul_f32_e32 v26, v25, v24
	v_fma_f32 v27, -v21, v26, v25
	v_fmac_f32_e32 v26, v27, v24
	v_fma_f32 v21, -v21, v26, v25
	v_div_fmas_f32 v21, v21, v24, v26
	v_div_fixup_f32 v19, v21, v19, 1.0
	v_add_f32_e32 v4, v4, v19
	v_add_f32_e32 v19, v16, v16
	v_div_scale_f32 v21, s[8:9], v19, v19, 1.0
	v_rcp_f32_e32 v24, v21
	v_fma_f32 v25, -v21, v24, 1.0
	v_fmac_f32_e32 v24, v25, v24
	v_div_scale_f32 v25, vcc, 1.0, v19, 1.0
	v_mul_f32_e32 v26, v25, v24
	v_fma_f32 v27, -v21, v26, v25
	v_fmac_f32_e32 v26, v27, v24
	v_fma_f32 v21, -v21, v26, v25
	v_div_fmas_f32 v21, v21, v24, v26
	v_div_fixup_f32 v19, v21, v19, 1.0
	v_mul_f32_e32 v21, v16, v16
	v_div_scale_f32 v24, s[8:9], v21, v21, 1.0
	v_add_f32_e32 v19, 1.0, v19
	v_rcp_f32_e32 v25, v24
	v_fma_f32 v26, -v24, v25, 1.0
	v_fmac_f32_e32 v25, v26, v25
	v_div_scale_f32 v26, vcc, 1.0, v21, 1.0
	v_mul_f32_e32 v27, v26, v25
	v_fma_f32 v28, -v24, v27, v26
	v_fmac_f32_e32 v27, v28, v25
	v_fma_f32 v24, -v24, v27, v26
	v_div_fmas_f32 v24, v24, v25, v27
	v_div_fixup_f32 v21, v24, v21, 1.0
	v_mov_b32_e32 v24, 0x3d088889
	v_fmac_f32_e32 v24, 0xbcc30c31, v21
	v_fma_f32 v24, -v21, v24, s4
	v_fmac_f32_e32 v19, v21, v24
	v_div_scale_f32 v21, s[8:9], v16, v16, v19
	v_rcp_f32_e32 v24, v21
	v_fma_f32 v25, -v21, v24, 1.0
	v_fmac_f32_e32 v24, v25, v24
	v_div_scale_f32 v25, vcc, v19, v16, v19
	v_mul_f32_e32 v26, v25, v24
	v_fma_f32 v27, -v21, v26, v25
	v_fmac_f32_e32 v26, v27, v24
	v_fma_f32 v21, -v21, v26, v25
	v_div_fmas_f32 v21, v21, v24, v26
	v_div_fixup_f32 v16, v21, v16, v19
	v_add_f32_e32 v16, v4, v16
	v_mul_f32_e32 v4, v12, v12
	v_div_scale_f32 v19, s[8:9], v4, v4, 1.0
	v_add_f32_e32 v12, 1.0, v12
	v_rcp_f32_e32 v21, v19
	v_fma_f32 v24, -v19, v21, 1.0
	v_fmac_f32_e32 v21, v24, v21
	v_div_scale_f32 v24, vcc, 1.0, v4, 1.0
	v_mul_f32_e32 v25, v24, v21
	v_fma_f32 v26, -v19, v25, v24
	v_fmac_f32_e32 v25, v26, v21
	v_fma_f32 v19, -v19, v25, v24
	v_div_fmas_f32 v19, v19, v21, v25
	v_div_fixup_f32 v4, v19, v4, 1.0
	v_add_f32_e32 v4, v15, v4
	v_mul_f32_e32 v15, v12, v12
	v_div_scale_f32 v19, s[8:9], v15, v15, 1.0
	v_add_f32_e32 v12, 1.0, v12
	v_rcp_f32_e32 v21, v19
	v_fma_f32 v24, -v19, v21, 1.0
	v_fmac_f32_e32 v21, v24, v21
	v_div_scale_f32 v24, vcc, 1.0, v15, 1.0
	v_mul_f32_e32 v25, v24, v21
	v_fma_f32 v26, -v19, v25, v24
	v_fmac_f32_e32 v25, v26, v21
	v_fma_f32 v19, -v19, v25, v24
	v_div_fmas_f32 v19, v19, v21, v25
	v_div_fixup_f32 v15, v19, v15, 1.0
	;; [unrolled: 14-line block ×6, first 2 shown]
	v_add_f32_e32 v4, v4, v15
	v_add_f32_e32 v15, v12, v12
	v_div_scale_f32 v19, s[8:9], v15, v15, 1.0
	v_rcp_f32_e32 v21, v19
	v_fma_f32 v24, -v19, v21, 1.0
	v_fmac_f32_e32 v21, v24, v21
	v_div_scale_f32 v24, vcc, 1.0, v15, 1.0
	v_mul_f32_e32 v25, v24, v21
	v_fma_f32 v26, -v19, v25, v24
	v_fmac_f32_e32 v25, v26, v21
	v_fma_f32 v19, -v19, v25, v24
	v_div_fmas_f32 v19, v19, v21, v25
	v_div_fixup_f32 v15, v19, v15, 1.0
	v_mul_f32_e32 v19, v12, v12
	v_div_scale_f32 v21, s[8:9], v19, v19, 1.0
	v_add_f32_e32 v15, 1.0, v15
	v_rcp_f32_e32 v24, v21
	v_fma_f32 v25, -v21, v24, 1.0
	v_fmac_f32_e32 v24, v25, v24
	v_div_scale_f32 v25, vcc, 1.0, v19, 1.0
	v_mul_f32_e32 v26, v25, v24
	v_fma_f32 v27, -v21, v26, v25
	v_fmac_f32_e32 v26, v27, v24
	v_fma_f32 v21, -v21, v26, v25
	v_div_fmas_f32 v21, v21, v24, v26
	v_div_fixup_f32 v19, v21, v19, 1.0
	v_mov_b32_e32 v21, 0x3d088889
	v_fmac_f32_e32 v21, 0xbcc30c31, v19
	v_fma_f32 v21, -v19, v21, s4
	v_fmac_f32_e32 v15, v19, v21
	v_div_scale_f32 v19, s[8:9], v12, v12, v15
	v_rcp_f32_e32 v21, v19
	v_fma_f32 v24, -v19, v21, 1.0
	v_fmac_f32_e32 v21, v24, v21
	v_div_scale_f32 v24, vcc, v15, v12, v15
	v_mul_f32_e32 v25, v24, v21
	v_fma_f32 v26, -v19, v25, v24
	v_fmac_f32_e32 v25, v26, v21
	v_fma_f32 v19, -v19, v25, v24
	v_div_fmas_f32 v19, v19, v21, v25
	v_div_fixup_f32 v12, v19, v12, v15
	v_add_f32_e32 v4, v4, v12
	v_mul_f32_e32 v12, v11, v11
	v_fma_mixlo_f16 v4, v14, v4, 0
	v_div_scale_f32 v14, s[8:9], v12, v12, 1.0
	v_add_f32_e32 v11, 1.0, v11
	v_fma_mixhi_f16 v4, v10, v16, 0
	v_rcp_f32_e32 v15, v14
	v_fma_f32 v19, -v14, v15, 1.0
	v_fmac_f32_e32 v15, v19, v15
	v_div_scale_f32 v19, vcc, 1.0, v12, 1.0
	v_mul_f32_e32 v21, v19, v15
	v_fma_f32 v24, -v14, v21, v19
	v_fmac_f32_e32 v21, v24, v15
	v_fma_f32 v14, -v14, v21, v19
	v_div_fmas_f32 v14, v14, v15, v21
	v_div_fixup_f32 v12, v14, v12, 1.0
	v_add_f32_e32 v3, v3, v12
	v_mul_f32_e32 v12, v11, v11
	v_div_scale_f32 v14, s[8:9], v12, v12, 1.0
	v_add_f32_e32 v11, 1.0, v11
	v_rcp_f32_e32 v15, v14
	v_fma_f32 v19, -v14, v15, 1.0
	v_fmac_f32_e32 v15, v19, v15
	v_div_scale_f32 v19, vcc, 1.0, v12, 1.0
	v_mul_f32_e32 v21, v19, v15
	v_fma_f32 v24, -v14, v21, v19
	v_fmac_f32_e32 v21, v24, v15
	v_fma_f32 v14, -v14, v21, v19
	v_div_fmas_f32 v14, v14, v15, v21
	v_div_fixup_f32 v12, v14, v12, 1.0
	v_add_f32_e32 v3, v3, v12
	v_mul_f32_e32 v12, v11, v11
	v_div_scale_f32 v14, s[8:9], v12, v12, 1.0
	v_add_f32_e32 v11, 1.0, v11
	;; [unrolled: 14-line block ×5, first 2 shown]
	v_rcp_f32_e32 v15, v14
	v_fma_f32 v19, -v14, v15, 1.0
	v_fmac_f32_e32 v15, v19, v15
	v_div_scale_f32 v19, vcc, 1.0, v12, 1.0
	v_mul_f32_e32 v21, v19, v15
	v_fma_f32 v24, -v14, v21, v19
	v_fmac_f32_e32 v21, v24, v15
	v_fma_f32 v14, -v14, v21, v19
	v_div_fmas_f32 v14, v14, v15, v21
	v_div_fixup_f32 v12, v14, v12, 1.0
	v_add_f32_e32 v3, v3, v12
	v_add_f32_e32 v12, v11, v11
	v_div_scale_f32 v14, s[8:9], v12, v12, 1.0
	v_rcp_f32_e32 v15, v14
	v_fma_f32 v19, -v14, v15, 1.0
	v_fmac_f32_e32 v15, v19, v15
	v_div_scale_f32 v19, vcc, 1.0, v12, 1.0
	v_mul_f32_e32 v21, v19, v15
	v_fma_f32 v24, -v14, v21, v19
	v_fmac_f32_e32 v21, v24, v15
	v_fma_f32 v14, -v14, v21, v19
	v_div_fmas_f32 v14, v14, v15, v21
	v_div_fixup_f32 v12, v14, v12, 1.0
	v_mul_f32_e32 v14, v11, v11
	v_div_scale_f32 v15, s[8:9], v14, v14, 1.0
	v_add_f32_e32 v12, 1.0, v12
	v_rcp_f32_e32 v19, v15
	v_fma_f32 v21, -v15, v19, 1.0
	v_fmac_f32_e32 v19, v21, v19
	v_div_scale_f32 v21, vcc, 1.0, v14, 1.0
	v_mul_f32_e32 v24, v21, v19
	v_fma_f32 v25, -v15, v24, v21
	v_fmac_f32_e32 v24, v25, v19
	v_fma_f32 v15, -v15, v24, v21
	v_div_fmas_f32 v15, v15, v19, v24
	v_div_fixup_f32 v14, v15, v14, 1.0
	v_mov_b32_e32 v15, 0x3d088889
	v_fmac_f32_e32 v15, 0xbcc30c31, v14
	v_fma_f32 v15, -v14, v15, s4
	v_fmac_f32_e32 v12, v14, v15
	v_div_scale_f32 v14, s[8:9], v11, v11, v12
	v_rcp_f32_e32 v15, v14
	v_fma_f32 v19, -v14, v15, 1.0
	v_fmac_f32_e32 v15, v19, v15
	v_div_scale_f32 v19, vcc, v12, v11, v12
	v_mul_f32_e32 v21, v19, v15
	v_fma_f32 v24, -v14, v21, v19
	v_fmac_f32_e32 v21, v24, v15
	v_fma_f32 v14, -v14, v21, v19
	v_div_fmas_f32 v14, v14, v15, v21
	v_div_fixup_f32 v11, v14, v11, v12
	v_add_f32_e32 v11, v3, v11
	v_mul_f32_e32 v3, v7, v7
	v_div_scale_f32 v12, s[8:9], v3, v3, 1.0
	v_add_f32_e32 v7, 1.0, v7
	v_rcp_f32_e32 v14, v12
	v_fma_f32 v15, -v12, v14, 1.0
	v_fmac_f32_e32 v14, v15, v14
	v_div_scale_f32 v15, vcc, 1.0, v3, 1.0
	v_mul_f32_e32 v19, v15, v14
	v_fma_f32 v21, -v12, v19, v15
	v_fmac_f32_e32 v19, v21, v14
	v_fma_f32 v12, -v12, v19, v15
	v_div_fmas_f32 v12, v12, v14, v19
	v_div_fixup_f32 v3, v12, v3, 1.0
	v_add_f32_e32 v3, v9, v3
	v_mul_f32_e32 v9, v7, v7
	v_div_scale_f32 v12, s[8:9], v9, v9, 1.0
	v_add_f32_e32 v7, 1.0, v7
	v_rcp_f32_e32 v14, v12
	v_fma_f32 v15, -v12, v14, 1.0
	v_fmac_f32_e32 v14, v15, v14
	v_div_scale_f32 v15, vcc, 1.0, v9, 1.0
	v_mul_f32_e32 v19, v15, v14
	v_fma_f32 v21, -v12, v19, v15
	v_fmac_f32_e32 v19, v21, v14
	v_fma_f32 v12, -v12, v19, v15
	v_div_fmas_f32 v12, v12, v14, v19
	v_div_fixup_f32 v9, v12, v9, 1.0
	;; [unrolled: 14-line block ×6, first 2 shown]
	v_add_f32_e32 v3, v3, v9
	v_add_f32_e32 v9, v7, v7
	v_div_scale_f32 v12, s[8:9], v9, v9, 1.0
	v_rcp_f32_e32 v14, v12
	v_fma_f32 v15, -v12, v14, 1.0
	v_fmac_f32_e32 v14, v15, v14
	v_div_scale_f32 v15, vcc, 1.0, v9, 1.0
	v_mul_f32_e32 v19, v15, v14
	v_fma_f32 v21, -v12, v19, v15
	v_fmac_f32_e32 v19, v21, v14
	v_fma_f32 v12, -v12, v19, v15
	v_div_fmas_f32 v12, v12, v14, v19
	v_div_fixup_f32 v9, v12, v9, 1.0
	v_mul_f32_e32 v12, v7, v7
	v_div_scale_f32 v14, s[8:9], v12, v12, 1.0
	v_add_f32_e32 v9, 1.0, v9
	v_rcp_f32_e32 v15, v14
	v_fma_f32 v19, -v14, v15, 1.0
	v_fmac_f32_e32 v15, v19, v15
	v_div_scale_f32 v19, vcc, 1.0, v12, 1.0
	v_mul_f32_e32 v21, v19, v15
	v_fma_f32 v24, -v14, v21, v19
	v_fmac_f32_e32 v21, v24, v15
	v_fma_f32 v14, -v14, v21, v19
	v_div_fmas_f32 v14, v14, v15, v21
	v_div_fixup_f32 v12, v14, v12, 1.0
	v_mov_b32_e32 v14, 0x3d088889
	v_fmac_f32_e32 v14, 0xbcc30c31, v12
	v_fma_f32 v14, -v12, v14, s4
	v_fmac_f32_e32 v9, v12, v14
	v_div_scale_f32 v12, s[8:9], v7, v7, v9
	v_rcp_f32_e32 v14, v12
	v_fma_f32 v15, -v12, v14, 1.0
	v_fmac_f32_e32 v14, v15, v14
	v_div_scale_f32 v15, vcc, v9, v7, v9
	v_mul_f32_e32 v19, v15, v14
	v_fma_f32 v21, -v12, v19, v15
	v_fmac_f32_e32 v19, v21, v14
	v_fma_f32 v12, -v12, v19, v15
	v_div_fmas_f32 v12, v12, v14, v19
	v_div_fixup_f32 v7, v12, v7, v9
	v_add_f32_e32 v3, v3, v7
	v_mul_f32_e32 v7, v18, v18
	v_fma_mixlo_f16 v3, v8, v3, 0
	v_div_scale_f32 v8, s[8:9], v7, v7, 1.0
	v_fma_mixhi_f16 v3, v6, v11, 0
	v_rcp_f32_e32 v9, v8
	v_fma_f32 v12, -v8, v9, 1.0
	v_fmac_f32_e32 v9, v12, v9
	v_div_scale_f32 v12, vcc, 1.0, v7, 1.0
	v_mul_f32_e32 v14, v12, v9
	v_fma_f32 v15, -v8, v14, v12
	v_fmac_f32_e32 v14, v15, v9
	v_fma_f32 v8, -v8, v14, v12
	v_div_fmas_f32 v8, v8, v9, v14
	v_div_fixup_f32 v7, v8, v7, 1.0
	v_add_f32_e32 v8, 1.0, v18
	v_mul_f32_e32 v9, v8, v8
	v_div_scale_f32 v12, s[8:9], v9, v9, 1.0
	v_add_f32_e32 v7, v20, v7
	v_add_f32_e32 v8, 1.0, v8
	v_rcp_f32_e32 v14, v12
	v_fma_f32 v15, -v12, v14, 1.0
	v_fmac_f32_e32 v14, v15, v14
	v_div_scale_f32 v15, vcc, 1.0, v9, 1.0
	v_mul_f32_e32 v18, v15, v14
	v_fma_f32 v19, -v12, v18, v15
	v_fmac_f32_e32 v18, v19, v14
	v_fma_f32 v12, -v12, v18, v15
	v_div_fmas_f32 v12, v12, v14, v18
	v_div_fixup_f32 v9, v12, v9, 1.0
	v_add_f32_e32 v7, v7, v9
	v_mul_f32_e32 v9, v8, v8
	v_div_scale_f32 v12, s[8:9], v9, v9, 1.0
	v_add_f32_e32 v8, 1.0, v8
	v_rcp_f32_e32 v14, v12
	v_fma_f32 v15, -v12, v14, 1.0
	v_fmac_f32_e32 v14, v15, v14
	v_div_scale_f32 v15, vcc, 1.0, v9, 1.0
	v_mul_f32_e32 v18, v15, v14
	v_fma_f32 v19, -v12, v18, v15
	v_fmac_f32_e32 v18, v19, v14
	v_fma_f32 v12, -v12, v18, v15
	v_div_fmas_f32 v12, v12, v14, v18
	v_div_fixup_f32 v9, v12, v9, 1.0
	v_add_f32_e32 v7, v7, v9
	v_mul_f32_e32 v9, v8, v8
	v_div_scale_f32 v12, s[8:9], v9, v9, 1.0
	;; [unrolled: 14-line block ×5, first 2 shown]
	v_rcp_f32_e32 v14, v12
	v_fma_f32 v15, -v12, v14, 1.0
	v_fmac_f32_e32 v14, v15, v14
	v_div_scale_f32 v15, vcc, 1.0, v9, 1.0
	v_mul_f32_e32 v18, v15, v14
	v_fma_f32 v19, -v12, v18, v15
	v_fmac_f32_e32 v18, v19, v14
	v_fma_f32 v12, -v12, v18, v15
	v_div_fmas_f32 v12, v12, v14, v18
	v_div_fixup_f32 v9, v12, v9, 1.0
	v_add_f32_e32 v12, v8, v8
	v_div_scale_f32 v14, s[8:9], v12, v12, 1.0
	v_fmac_f32_e32 v22, 0xbcc30c31, v9
	v_rcp_f32_e32 v15, v14
	v_fma_f32 v18, -v14, v15, 1.0
	v_fmac_f32_e32 v15, v18, v15
	v_div_scale_f32 v18, vcc, 1.0, v12, 1.0
	v_mul_f32_e32 v19, v18, v15
	v_fma_f32 v20, -v14, v19, v18
	v_fmac_f32_e32 v19, v20, v15
	v_fma_f32 v14, -v14, v19, v18
	v_div_fmas_f32 v14, v14, v15, v19
	v_div_fixup_f32 v12, v14, v12, 1.0
	v_add_f32_e32 v12, 1.0, v12
	v_fma_f32 v14, -v9, v22, s4
	v_fmac_f32_e32 v12, v9, v14
	v_div_scale_f32 v9, s[4:5], v8, v8, v12
	s_add_u32 s4, s16, s12
	s_addc_u32 s5, s17, s13
	v_rcp_f32_e32 v14, v9
	s_nop 1
	global_store_dwordx2 v5, v[3:4], s[4:5]
	v_fma_f32 v15, -v9, v14, 1.0
	v_fmac_f32_e32 v14, v15, v14
	v_div_scale_f32 v15, vcc, v12, v8, v12
	v_mul_f32_e32 v18, v15, v14
	v_fma_f32 v19, -v9, v18, v15
	v_fmac_f32_e32 v18, v19, v14
	v_fma_f32 v9, -v9, v18, v15
	v_div_fmas_f32 v9, v9, v14, v18
	v_div_fixup_f32 v8, v9, v8, v12
	v_add_f32_e32 v7, v7, v8
	v_fma_mixhi_f16 v2, v17, v7, 0
	global_store_dwordx2 v5, v[1:2], s[4:5] offset:2048
	s_branch .LBB62_2
.LBB62_52:
	s_getpc_b64 s[4:5]
	s_add_u32 s4, s4, _ZN2at6native25elementwise_kernel_helperILb0EZZZNS0_20trigamma_kernel_cudaERNS_18TensorIteratorBaseEENKUlvE_clEvENKUlvE1_clEvEUlN3c104HalfEE_NS0_6memory8policies11unroll_baseILi256ESt5arrayIPcLm2EE23TrivialOffsetCalculatorILi1EjESG_NS9_15LoadWithoutCastENS9_16StoreWithoutCastELi8ELi1EEEEEvT0_T1_@rel32@lo+4
	s_addc_u32 s5, s5, _ZN2at6native25elementwise_kernel_helperILb0EZZZNS0_20trigamma_kernel_cudaERNS_18TensorIteratorBaseEENKUlvE_clEvENKUlvE1_clEvEUlN3c104HalfEE_NS0_6memory8policies11unroll_baseILi256ESt5arrayIPcLm2EE23TrivialOffsetCalculatorILi1EjESG_NS9_15LoadWithoutCastENS9_16StoreWithoutCastELi8ELi1EEEEEvT0_T1_@rel32@hi+12
	s_mov_b32 s12, s6
	v_mov_b32_e32 v31, v0
	v_mov_b32_e32 v0, s16
	;; [unrolled: 1-line block ×6, first 2 shown]
	s_swappc_b64 s[30:31], s[4:5]
	s_endpgm
	.section	.rodata,"a",@progbits
	.p2align	6, 0x0
	.amdhsa_kernel _ZN2at6native29vectorized_elementwise_kernelILi4EZZZNS0_20trigamma_kernel_cudaERNS_18TensorIteratorBaseEENKUlvE_clEvENKUlvE1_clEvEUlN3c104HalfEE_St5arrayIPcLm2EEEEviT0_T1_
		.amdhsa_group_segment_fixed_size 0
		.amdhsa_private_segment_fixed_size 0
		.amdhsa_kernarg_size 24
		.amdhsa_user_sgpr_count 6
		.amdhsa_user_sgpr_private_segment_buffer 1
		.amdhsa_user_sgpr_dispatch_ptr 0
		.amdhsa_user_sgpr_queue_ptr 0
		.amdhsa_user_sgpr_kernarg_segment_ptr 1
		.amdhsa_user_sgpr_dispatch_id 0
		.amdhsa_user_sgpr_flat_scratch_init 0
		.amdhsa_user_sgpr_private_segment_size 0
		.amdhsa_uses_dynamic_stack 0
		.amdhsa_system_sgpr_private_segment_wavefront_offset 0
		.amdhsa_system_sgpr_workgroup_id_x 1
		.amdhsa_system_sgpr_workgroup_id_y 0
		.amdhsa_system_sgpr_workgroup_id_z 0
		.amdhsa_system_sgpr_workgroup_info 0
		.amdhsa_system_vgpr_workitem_id 0
		.amdhsa_next_free_vgpr 38
		.amdhsa_next_free_sgpr 33
		.amdhsa_reserve_vcc 1
		.amdhsa_reserve_flat_scratch 0
		.amdhsa_float_round_mode_32 0
		.amdhsa_float_round_mode_16_64 0
		.amdhsa_float_denorm_mode_32 3
		.amdhsa_float_denorm_mode_16_64 3
		.amdhsa_dx10_clamp 1
		.amdhsa_ieee_mode 1
		.amdhsa_fp16_overflow 0
		.amdhsa_exception_fp_ieee_invalid_op 0
		.amdhsa_exception_fp_denorm_src 0
		.amdhsa_exception_fp_ieee_div_zero 0
		.amdhsa_exception_fp_ieee_overflow 0
		.amdhsa_exception_fp_ieee_underflow 0
		.amdhsa_exception_fp_ieee_inexact 0
		.amdhsa_exception_int_div_zero 0
	.end_amdhsa_kernel
	.section	.text._ZN2at6native29vectorized_elementwise_kernelILi4EZZZNS0_20trigamma_kernel_cudaERNS_18TensorIteratorBaseEENKUlvE_clEvENKUlvE1_clEvEUlN3c104HalfEE_St5arrayIPcLm2EEEEviT0_T1_,"axG",@progbits,_ZN2at6native29vectorized_elementwise_kernelILi4EZZZNS0_20trigamma_kernel_cudaERNS_18TensorIteratorBaseEENKUlvE_clEvENKUlvE1_clEvEUlN3c104HalfEE_St5arrayIPcLm2EEEEviT0_T1_,comdat
.Lfunc_end62:
	.size	_ZN2at6native29vectorized_elementwise_kernelILi4EZZZNS0_20trigamma_kernel_cudaERNS_18TensorIteratorBaseEENKUlvE_clEvENKUlvE1_clEvEUlN3c104HalfEE_St5arrayIPcLm2EEEEviT0_T1_, .Lfunc_end62-_ZN2at6native29vectorized_elementwise_kernelILi4EZZZNS0_20trigamma_kernel_cudaERNS_18TensorIteratorBaseEENKUlvE_clEvENKUlvE1_clEvEUlN3c104HalfEE_St5arrayIPcLm2EEEEviT0_T1_
                                        ; -- End function
	.set _ZN2at6native29vectorized_elementwise_kernelILi4EZZZNS0_20trigamma_kernel_cudaERNS_18TensorIteratorBaseEENKUlvE_clEvENKUlvE1_clEvEUlN3c104HalfEE_St5arrayIPcLm2EEEEviT0_T1_.num_vgpr, max(38, .L_ZN2at6native25elementwise_kernel_helperILb0EZZZNS0_20trigamma_kernel_cudaERNS_18TensorIteratorBaseEENKUlvE_clEvENKUlvE1_clEvEUlN3c104HalfEE_NS0_6memory8policies11unroll_baseILi256ESt5arrayIPcLm2EE23TrivialOffsetCalculatorILi1EjESG_NS9_15LoadWithoutCastENS9_16StoreWithoutCastELi8ELi1EEEEEvT0_T1_.num_vgpr)
	.set _ZN2at6native29vectorized_elementwise_kernelILi4EZZZNS0_20trigamma_kernel_cudaERNS_18TensorIteratorBaseEENKUlvE_clEvENKUlvE1_clEvEUlN3c104HalfEE_St5arrayIPcLm2EEEEviT0_T1_.num_agpr, max(0, .L_ZN2at6native25elementwise_kernel_helperILb0EZZZNS0_20trigamma_kernel_cudaERNS_18TensorIteratorBaseEENKUlvE_clEvENKUlvE1_clEvEUlN3c104HalfEE_NS0_6memory8policies11unroll_baseILi256ESt5arrayIPcLm2EE23TrivialOffsetCalculatorILi1EjESG_NS9_15LoadWithoutCastENS9_16StoreWithoutCastELi8ELi1EEEEEvT0_T1_.num_agpr)
	.set _ZN2at6native29vectorized_elementwise_kernelILi4EZZZNS0_20trigamma_kernel_cudaERNS_18TensorIteratorBaseEENKUlvE_clEvENKUlvE1_clEvEUlN3c104HalfEE_St5arrayIPcLm2EEEEviT0_T1_.numbered_sgpr, max(33, .L_ZN2at6native25elementwise_kernel_helperILb0EZZZNS0_20trigamma_kernel_cudaERNS_18TensorIteratorBaseEENKUlvE_clEvENKUlvE1_clEvEUlN3c104HalfEE_NS0_6memory8policies11unroll_baseILi256ESt5arrayIPcLm2EE23TrivialOffsetCalculatorILi1EjESG_NS9_15LoadWithoutCastENS9_16StoreWithoutCastELi8ELi1EEEEEvT0_T1_.numbered_sgpr)
	.set _ZN2at6native29vectorized_elementwise_kernelILi4EZZZNS0_20trigamma_kernel_cudaERNS_18TensorIteratorBaseEENKUlvE_clEvENKUlvE1_clEvEUlN3c104HalfEE_St5arrayIPcLm2EEEEviT0_T1_.num_named_barrier, max(0, .L_ZN2at6native25elementwise_kernel_helperILb0EZZZNS0_20trigamma_kernel_cudaERNS_18TensorIteratorBaseEENKUlvE_clEvENKUlvE1_clEvEUlN3c104HalfEE_NS0_6memory8policies11unroll_baseILi256ESt5arrayIPcLm2EE23TrivialOffsetCalculatorILi1EjESG_NS9_15LoadWithoutCastENS9_16StoreWithoutCastELi8ELi1EEEEEvT0_T1_.num_named_barrier)
	.set _ZN2at6native29vectorized_elementwise_kernelILi4EZZZNS0_20trigamma_kernel_cudaERNS_18TensorIteratorBaseEENKUlvE_clEvENKUlvE1_clEvEUlN3c104HalfEE_St5arrayIPcLm2EEEEviT0_T1_.private_seg_size, 0+max(.L_ZN2at6native25elementwise_kernel_helperILb0EZZZNS0_20trigamma_kernel_cudaERNS_18TensorIteratorBaseEENKUlvE_clEvENKUlvE1_clEvEUlN3c104HalfEE_NS0_6memory8policies11unroll_baseILi256ESt5arrayIPcLm2EE23TrivialOffsetCalculatorILi1EjESG_NS9_15LoadWithoutCastENS9_16StoreWithoutCastELi8ELi1EEEEEvT0_T1_.private_seg_size)
	.set _ZN2at6native29vectorized_elementwise_kernelILi4EZZZNS0_20trigamma_kernel_cudaERNS_18TensorIteratorBaseEENKUlvE_clEvENKUlvE1_clEvEUlN3c104HalfEE_St5arrayIPcLm2EEEEviT0_T1_.uses_vcc, or(1, .L_ZN2at6native25elementwise_kernel_helperILb0EZZZNS0_20trigamma_kernel_cudaERNS_18TensorIteratorBaseEENKUlvE_clEvENKUlvE1_clEvEUlN3c104HalfEE_NS0_6memory8policies11unroll_baseILi256ESt5arrayIPcLm2EE23TrivialOffsetCalculatorILi1EjESG_NS9_15LoadWithoutCastENS9_16StoreWithoutCastELi8ELi1EEEEEvT0_T1_.uses_vcc)
	.set _ZN2at6native29vectorized_elementwise_kernelILi4EZZZNS0_20trigamma_kernel_cudaERNS_18TensorIteratorBaseEENKUlvE_clEvENKUlvE1_clEvEUlN3c104HalfEE_St5arrayIPcLm2EEEEviT0_T1_.uses_flat_scratch, or(0, .L_ZN2at6native25elementwise_kernel_helperILb0EZZZNS0_20trigamma_kernel_cudaERNS_18TensorIteratorBaseEENKUlvE_clEvENKUlvE1_clEvEUlN3c104HalfEE_NS0_6memory8policies11unroll_baseILi256ESt5arrayIPcLm2EE23TrivialOffsetCalculatorILi1EjESG_NS9_15LoadWithoutCastENS9_16StoreWithoutCastELi8ELi1EEEEEvT0_T1_.uses_flat_scratch)
	.set _ZN2at6native29vectorized_elementwise_kernelILi4EZZZNS0_20trigamma_kernel_cudaERNS_18TensorIteratorBaseEENKUlvE_clEvENKUlvE1_clEvEUlN3c104HalfEE_St5arrayIPcLm2EEEEviT0_T1_.has_dyn_sized_stack, or(0, .L_ZN2at6native25elementwise_kernel_helperILb0EZZZNS0_20trigamma_kernel_cudaERNS_18TensorIteratorBaseEENKUlvE_clEvENKUlvE1_clEvEUlN3c104HalfEE_NS0_6memory8policies11unroll_baseILi256ESt5arrayIPcLm2EE23TrivialOffsetCalculatorILi1EjESG_NS9_15LoadWithoutCastENS9_16StoreWithoutCastELi8ELi1EEEEEvT0_T1_.has_dyn_sized_stack)
	.set _ZN2at6native29vectorized_elementwise_kernelILi4EZZZNS0_20trigamma_kernel_cudaERNS_18TensorIteratorBaseEENKUlvE_clEvENKUlvE1_clEvEUlN3c104HalfEE_St5arrayIPcLm2EEEEviT0_T1_.has_recursion, or(0, .L_ZN2at6native25elementwise_kernel_helperILb0EZZZNS0_20trigamma_kernel_cudaERNS_18TensorIteratorBaseEENKUlvE_clEvENKUlvE1_clEvEUlN3c104HalfEE_NS0_6memory8policies11unroll_baseILi256ESt5arrayIPcLm2EE23TrivialOffsetCalculatorILi1EjESG_NS9_15LoadWithoutCastENS9_16StoreWithoutCastELi8ELi1EEEEEvT0_T1_.has_recursion)
	.set _ZN2at6native29vectorized_elementwise_kernelILi4EZZZNS0_20trigamma_kernel_cudaERNS_18TensorIteratorBaseEENKUlvE_clEvENKUlvE1_clEvEUlN3c104HalfEE_St5arrayIPcLm2EEEEviT0_T1_.has_indirect_call, or(0, .L_ZN2at6native25elementwise_kernel_helperILb0EZZZNS0_20trigamma_kernel_cudaERNS_18TensorIteratorBaseEENKUlvE_clEvENKUlvE1_clEvEUlN3c104HalfEE_NS0_6memory8policies11unroll_baseILi256ESt5arrayIPcLm2EE23TrivialOffsetCalculatorILi1EjESG_NS9_15LoadWithoutCastENS9_16StoreWithoutCastELi8ELi1EEEEEvT0_T1_.has_indirect_call)
	.section	.AMDGPU.csdata,"",@progbits
; Kernel info:
; codeLenInByte = 14224
; TotalNumSgprs: 37
; NumVgprs: 38
; ScratchSize: 0
; MemoryBound: 0
; FloatMode: 240
; IeeeMode: 1
; LDSByteSize: 0 bytes/workgroup (compile time only)
; SGPRBlocks: 4
; VGPRBlocks: 9
; NumSGPRsForWavesPerEU: 37
; NumVGPRsForWavesPerEU: 38
; Occupancy: 6
; WaveLimiterHint : 1
; COMPUTE_PGM_RSRC2:SCRATCH_EN: 0
; COMPUTE_PGM_RSRC2:USER_SGPR: 6
; COMPUTE_PGM_RSRC2:TRAP_HANDLER: 0
; COMPUTE_PGM_RSRC2:TGID_X_EN: 1
; COMPUTE_PGM_RSRC2:TGID_Y_EN: 0
; COMPUTE_PGM_RSRC2:TGID_Z_EN: 0
; COMPUTE_PGM_RSRC2:TIDIG_COMP_CNT: 0
	.section	.text._ZN2at6native29vectorized_elementwise_kernelILi2EZZZNS0_20trigamma_kernel_cudaERNS_18TensorIteratorBaseEENKUlvE_clEvENKUlvE1_clEvEUlN3c104HalfEE_St5arrayIPcLm2EEEEviT0_T1_,"axG",@progbits,_ZN2at6native29vectorized_elementwise_kernelILi2EZZZNS0_20trigamma_kernel_cudaERNS_18TensorIteratorBaseEENKUlvE_clEvENKUlvE1_clEvEUlN3c104HalfEE_St5arrayIPcLm2EEEEviT0_T1_,comdat
	.globl	_ZN2at6native29vectorized_elementwise_kernelILi2EZZZNS0_20trigamma_kernel_cudaERNS_18TensorIteratorBaseEENKUlvE_clEvENKUlvE1_clEvEUlN3c104HalfEE_St5arrayIPcLm2EEEEviT0_T1_ ; -- Begin function _ZN2at6native29vectorized_elementwise_kernelILi2EZZZNS0_20trigamma_kernel_cudaERNS_18TensorIteratorBaseEENKUlvE_clEvENKUlvE1_clEvEUlN3c104HalfEE_St5arrayIPcLm2EEEEviT0_T1_
	.p2align	8
	.type	_ZN2at6native29vectorized_elementwise_kernelILi2EZZZNS0_20trigamma_kernel_cudaERNS_18TensorIteratorBaseEENKUlvE_clEvENKUlvE1_clEvEUlN3c104HalfEE_St5arrayIPcLm2EEEEviT0_T1_,@function
_ZN2at6native29vectorized_elementwise_kernelILi2EZZZNS0_20trigamma_kernel_cudaERNS_18TensorIteratorBaseEENKUlvE_clEvENKUlvE1_clEvEUlN3c104HalfEE_St5arrayIPcLm2EEEEviT0_T1_: ; @_ZN2at6native29vectorized_elementwise_kernelILi2EZZZNS0_20trigamma_kernel_cudaERNS_18TensorIteratorBaseEENKUlvE_clEvENKUlvE1_clEvEUlN3c104HalfEE_St5arrayIPcLm2EEEEviT0_T1_
; %bb.0:
	s_add_u32 s0, s0, s7
	s_load_dword s7, s[4:5], 0x0
	s_load_dwordx4 s[16:19], s[4:5], 0x8
	s_addc_u32 s1, s1, 0
	s_lshl_b32 s4, s6, 11
	s_mov_b64 s[8:9], -1
	s_waitcnt lgkmcnt(0)
	s_sub_i32 s7, s7, s4
	s_cmpk_gt_i32 s7, 0x7ff
	s_mov_b32 s32, 0
	s_cbranch_scc1 .LBB63_3
; %bb.1:
	s_and_b64 vcc, exec, s[8:9]
	s_cbranch_vccnz .LBB63_52
.LBB63_2:
	s_endpgm
.LBB63_3:
	s_ashr_i32 s5, s4, 31
	s_lshl_b64 s[12:13], s[4:5], 1
	s_add_u32 s4, s18, s12
	s_addc_u32 s5, s19, s13
	v_lshlrev_b32_e32 v1, 2, v0
	global_load_dword v2, v1, s[4:5]
	global_load_dword v6, v1, s[4:5] offset:1024
	global_load_dword v10, v1, s[4:5] offset:2048
	;; [unrolled: 1-line block ×3, first 2 shown]
	v_mov_b32_e32 v5, 0
	v_mov_b32_e32 v4, 1.0
	s_waitcnt vmcnt(3)
	v_cvt_f32_f16_e32 v3, v2
	v_cmp_gt_f16_e32 vcc, 0.5, v2
	s_and_saveexec_b64 s[14:15], vcc
	s_cbranch_execz .LBB63_9
; %bb.4:
	v_mul_f32_e32 v4, 0x40490fdb, v3
	s_brev_b32 s4, 18
	v_and_b32_e32 v5, 0x7fffffff, v4
	v_cmp_nlt_f32_e64 s[4:5], |v4|, s4
                                        ; implicit-def: $vgpr7
                                        ; implicit-def: $vgpr8
	s_and_saveexec_b64 s[8:9], s[4:5]
	s_xor_b64 s[20:21], exec, s[8:9]
	s_cbranch_execz .LBB63_6
; %bb.5:
	v_and_b32_e32 v7, 0x7fffff, v5
	v_or_b32_e32 v19, 0x800000, v7
	s_mov_b32 s4, 0xfe5163ab
	v_mad_u64_u32 v[7:8], s[4:5], v19, s4, 0
	v_mov_b32_e32 v9, 0
	s_mov_b32 s4, 0x3c439041
	v_mad_u64_u32 v[11:12], s[4:5], v19, s4, v[8:9]
	s_mov_b32 s4, 0xdb629599
	v_not_b32_e32 v20, 31
	v_mov_b32_e32 v8, v12
	v_mad_u64_u32 v[12:13], s[4:5], v19, s4, v[8:9]
	s_mov_b32 s4, 0xf534ddc0
	s_mov_b32 s8, 0xa2f9836e
	v_mov_b32_e32 v8, v13
	v_mad_u64_u32 v[15:16], s[4:5], v19, s4, v[8:9]
	v_lshrrev_b32_e32 v8, 23, v5
	v_add_u32_e32 v18, 0xffffff88, v8
	v_mov_b32_e32 v8, v16
	s_mov_b32 s4, 0xfc2757d1
	v_mad_u64_u32 v[16:17], s[4:5], v19, s4, v[8:9]
	v_not_b32_e32 v13, 63
	v_cmp_lt_u32_e32 vcc, 63, v18
	v_cndmask_b32_e32 v8, 0, v13, vcc
	v_add_u32_e32 v13, v8, v18
	v_mov_b32_e32 v8, v17
	s_mov_b32 s4, 0x4e441529
	v_mad_u64_u32 v[17:18], s[4:5], v19, s4, v[8:9]
	v_cmp_lt_u32_e64 s[4:5], 31, v13
	v_cndmask_b32_e64 v8, 0, v20, s[4:5]
	v_add_u32_e32 v13, v8, v13
	v_mov_b32_e32 v8, v18
	v_mad_u64_u32 v[8:9], s[8:9], v19, s8, v[8:9]
	v_cmp_lt_u32_e64 s[8:9], 31, v13
	v_cndmask_b32_e64 v18, 0, v20, s[8:9]
	v_add_u32_e32 v13, v18, v13
	v_cndmask_b32_e32 v18, v17, v15, vcc
	v_cndmask_b32_e32 v8, v8, v16, vcc
	;; [unrolled: 1-line block ×3, first 2 shown]
	v_cndmask_b32_e64 v19, v8, v18, s[4:5]
	v_cndmask_b32_e64 v8, v9, v8, s[4:5]
	v_cndmask_b32_e32 v9, v16, v12, vcc
	v_cndmask_b32_e64 v16, v18, v9, s[4:5]
	v_cndmask_b32_e64 v8, v8, v19, s[8:9]
	;; [unrolled: 1-line block ×3, first 2 shown]
	v_sub_u32_e32 v18, 32, v13
	v_alignbit_b32 v19, v8, v17, v18
	v_cmp_eq_u32_e64 s[10:11], 0, v13
	v_cndmask_b32_e64 v13, v19, v8, s[10:11]
	v_cndmask_b32_e32 v8, v15, v11, vcc
	v_cndmask_b32_e64 v9, v9, v8, s[4:5]
	v_cndmask_b32_e64 v11, v16, v9, s[8:9]
	v_alignbit_b32 v15, v17, v11, v18
	v_cndmask_b32_e32 v7, v12, v7, vcc
	v_cndmask_b32_e64 v15, v15, v17, s[10:11]
	v_bfe_u32 v19, v13, 29, 1
	v_cndmask_b32_e64 v7, v8, v7, s[4:5]
	v_alignbit_b32 v16, v13, v15, 30
	v_sub_u32_e32 v20, 0, v19
	v_cndmask_b32_e64 v7, v9, v7, s[8:9]
	v_xor_b32_e32 v16, v16, v20
	v_alignbit_b32 v8, v11, v7, v18
	v_cndmask_b32_e64 v8, v8, v11, s[10:11]
	v_ffbh_u32_e32 v11, v16
	v_alignbit_b32 v9, v15, v8, 30
	v_min_u32_e32 v11, 32, v11
	v_alignbit_b32 v7, v8, v7, 30
	v_xor_b32_e32 v9, v9, v20
	v_sub_u32_e32 v12, 31, v11
	v_xor_b32_e32 v7, v7, v20
	v_alignbit_b32 v15, v16, v9, v12
	v_alignbit_b32 v7, v9, v7, v12
	;; [unrolled: 1-line block ×3, first 2 shown]
	v_ffbh_u32_e32 v9, v8
	v_min_u32_e32 v9, 32, v9
	v_lshrrev_b32_e32 v17, 29, v13
	v_not_b32_e32 v12, v9
	v_alignbit_b32 v7, v8, v7, v12
	v_lshlrev_b32_e32 v8, 31, v17
	v_or_b32_e32 v12, 0x33000000, v8
	v_add_lshl_u32 v9, v9, v11, 23
	v_lshrrev_b32_e32 v7, 9, v7
	v_sub_u32_e32 v9, v12, v9
	v_or_b32_e32 v8, 0.5, v8
	v_lshlrev_b32_e32 v11, 23, v11
	v_or_b32_e32 v7, v9, v7
	v_lshrrev_b32_e32 v9, 9, v15
	v_sub_u32_e32 v8, v8, v11
	v_or_b32_e32 v8, v9, v8
	s_mov_b32 s4, 0x3fc90fda
	v_mul_f32_e32 v9, 0x3fc90fda, v8
	v_fma_f32 v11, v8, s4, -v9
	v_fmac_f32_e32 v11, 0x33a22168, v8
	v_fmac_f32_e32 v11, 0x3fc90fda, v7
	v_lshrrev_b32_e32 v7, 30, v13
	v_add_f32_e32 v8, v9, v11
	v_add_u32_e32 v7, v19, v7
.LBB63_6:
	s_andn2_saveexec_b64 s[4:5], s[20:21]
	s_cbranch_execz .LBB63_8
; %bb.7:
	s_mov_b32 s8, 0x3f22f983
	v_mul_f32_e64 v7, |v4|, s8
	v_rndne_f32_e32 v9, v7
	s_mov_b32 s8, 0xbfc90fda
	v_cvt_i32_f32_e32 v7, v9
	v_fma_f32 v8, v9, s8, |v4|
	v_fmac_f32_e32 v8, 0xb3a22168, v9
	v_fmac_f32_e32 v8, 0xa7c234c4, v9
.LBB63_8:
	s_or_b64 exec, exec, s[4:5]
	v_mul_f32_e32 v9, v8, v8
	v_mov_b32_e32 v11, 0x3c0881c4
	v_fmac_f32_e32 v11, 0xb94c1982, v9
	v_mov_b32_e32 v12, 0xbe2aaa9d
	v_fmac_f32_e32 v12, v9, v11
	v_mul_f32_e32 v11, v9, v12
	v_fmac_f32_e32 v8, v8, v11
	v_mov_b32_e32 v11, 0xbab64f3b
	v_fmac_f32_e32 v11, 0x37d75334, v9
	v_mov_b32_e32 v12, 0x3d2aabf7
	;; [unrolled: 2-line block ×3, first 2 shown]
	v_fmac_f32_e32 v11, v9, v12
	v_fma_f32 v9, v9, v11, 1.0
	v_and_b32_e32 v11, 1, v7
	v_lshlrev_b32_e32 v7, 30, v7
	v_cmp_eq_u32_e32 vcc, 0, v11
	v_and_b32_e32 v7, 0x80000000, v7
	v_xor_b32_e32 v5, v5, v4
	v_cndmask_b32_e32 v8, v9, v8, vcc
	v_xor_b32_e32 v5, v5, v7
	s_movk_i32 s4, 0x1f8
	v_xor_b32_e32 v5, v5, v8
	v_mov_b32_e32 v7, 0x7fc00000
	v_cmp_class_f32_e64 vcc, v4, s4
	v_cndmask_b32_e32 v4, v7, v5, vcc
	v_mul_f32_e32 v4, v4, v4
	s_mov_b32 s8, 0xc11de9e7
	v_div_scale_f32 v5, s[4:5], v4, v4, s8
	v_div_scale_f32 v7, vcc, s8, v4, s8
	v_sub_f32_e32 v3, 1.0, v3
	v_rcp_f32_e32 v8, v5
	v_fma_f32 v9, -v5, v8, 1.0
	v_fmac_f32_e32 v8, v9, v8
	v_mul_f32_e32 v9, v7, v8
	v_fma_f32 v11, -v5, v9, v7
	v_fmac_f32_e32 v9, v11, v8
	v_fma_f32 v5, -v5, v9, v7
	v_div_fmas_f32 v5, v5, v8, v9
	v_div_fixup_f32 v4, v5, v4, s8
	v_add_f32_e32 v5, 0, v4
	v_mov_b32_e32 v4, -1.0
.LBB63_9:
	s_or_b64 exec, exec, s[14:15]
	v_cvt_f32_f16_sdwa v7, v2 dst_sel:DWORD dst_unused:UNUSED_PAD src0_sel:WORD_1
	v_mov_b32_e32 v8, 0x3800
	v_cmp_lt_f16_sdwa s[4:5], v2, v8 src0_sel:WORD_1 src1_sel:DWORD
	v_mov_b32_e32 v8, 0
	v_mov_b32_e32 v2, 1.0
	s_and_saveexec_b64 s[14:15], s[4:5]
	s_cbranch_execz .LBB63_15
; %bb.10:
	v_mul_f32_e32 v2, 0x40490fdb, v7
	s_brev_b32 s4, 18
	v_and_b32_e32 v8, 0x7fffffff, v2
	v_cmp_nlt_f32_e64 s[4:5], |v2|, s4
                                        ; implicit-def: $vgpr9
                                        ; implicit-def: $vgpr11
	s_and_saveexec_b64 s[8:9], s[4:5]
	s_xor_b64 s[20:21], exec, s[8:9]
	s_cbranch_execz .LBB63_12
; %bb.11:
	v_and_b32_e32 v9, 0x7fffff, v8
	v_or_b32_e32 v9, 0x800000, v9
	s_mov_b32 s4, 0xfe5163ab
	v_mad_u64_u32 v[11:12], s[4:5], v9, s4, 0
	v_mov_b32_e32 v13, 0
	s_mov_b32 s4, 0x3c439041
	v_mad_u64_u32 v[15:16], s[4:5], v9, s4, v[12:13]
	s_mov_b32 s4, 0xdb629599
	v_not_b32_e32 v20, 63
	v_mov_b32_e32 v12, v16
	v_mad_u64_u32 v[16:17], s[4:5], v9, s4, v[12:13]
	s_mov_b32 s4, 0xf534ddc0
	v_not_b32_e32 v22, 31
	v_mov_b32_e32 v12, v17
	v_mad_u64_u32 v[17:18], s[4:5], v9, s4, v[12:13]
	v_lshrrev_b32_e32 v12, 23, v8
	v_add_u32_e32 v21, 0xffffff88, v12
	v_mov_b32_e32 v12, v18
	s_mov_b32 s4, 0xfc2757d1
	v_mad_u64_u32 v[18:19], s[4:5], v9, s4, v[12:13]
	v_cmp_lt_u32_e32 vcc, 63, v21
	v_cndmask_b32_e32 v12, 0, v20, vcc
	v_add_u32_e32 v21, v12, v21
	v_mov_b32_e32 v12, v19
	s_mov_b32 s4, 0x4e441529
	v_mad_u64_u32 v[19:20], s[4:5], v9, s4, v[12:13]
	v_cmp_lt_u32_e64 s[4:5], 31, v21
	v_cndmask_b32_e64 v12, 0, v22, s[4:5]
	v_add_u32_e32 v21, v12, v21
	v_mov_b32_e32 v12, v20
	s_mov_b32 s8, 0xa2f9836e
	v_mad_u64_u32 v[12:13], s[8:9], v9, s8, v[12:13]
	v_cmp_lt_u32_e64 s[8:9], 31, v21
	v_cndmask_b32_e64 v9, 0, v22, s[8:9]
	v_cndmask_b32_e32 v20, v19, v17, vcc
	v_cndmask_b32_e32 v12, v12, v18, vcc
	;; [unrolled: 1-line block ×3, first 2 shown]
	v_add_u32_e32 v9, v9, v21
	v_cndmask_b32_e64 v21, v12, v20, s[4:5]
	v_cndmask_b32_e64 v12, v13, v12, s[4:5]
	v_cndmask_b32_e32 v13, v18, v16, vcc
	v_cndmask_b32_e64 v18, v20, v13, s[4:5]
	v_cndmask_b32_e64 v12, v12, v21, s[8:9]
	;; [unrolled: 1-line block ×3, first 2 shown]
	v_sub_u32_e32 v20, 32, v9
	v_alignbit_b32 v21, v12, v19, v20
	v_cmp_eq_u32_e64 s[10:11], 0, v9
	v_cndmask_b32_e64 v9, v21, v12, s[10:11]
	v_cndmask_b32_e32 v12, v17, v15, vcc
	v_cndmask_b32_e64 v13, v13, v12, s[4:5]
	v_cndmask_b32_e64 v15, v18, v13, s[8:9]
	v_alignbit_b32 v17, v19, v15, v20
	v_cndmask_b32_e32 v11, v16, v11, vcc
	v_cndmask_b32_e64 v17, v17, v19, s[10:11]
	v_bfe_u32 v21, v9, 29, 1
	v_cndmask_b32_e64 v11, v12, v11, s[4:5]
	v_alignbit_b32 v18, v9, v17, 30
	v_sub_u32_e32 v22, 0, v21
	v_cndmask_b32_e64 v11, v13, v11, s[8:9]
	v_xor_b32_e32 v18, v18, v22
	v_alignbit_b32 v12, v15, v11, v20
	v_cndmask_b32_e64 v12, v12, v15, s[10:11]
	v_ffbh_u32_e32 v15, v18
	v_alignbit_b32 v13, v17, v12, 30
	v_min_u32_e32 v15, 32, v15
	v_alignbit_b32 v11, v12, v11, 30
	v_xor_b32_e32 v13, v13, v22
	v_sub_u32_e32 v16, 31, v15
	v_xor_b32_e32 v11, v11, v22
	v_alignbit_b32 v17, v18, v13, v16
	v_alignbit_b32 v11, v13, v11, v16
	;; [unrolled: 1-line block ×3, first 2 shown]
	v_ffbh_u32_e32 v13, v12
	v_min_u32_e32 v13, 32, v13
	v_lshrrev_b32_e32 v19, 29, v9
	v_not_b32_e32 v16, v13
	v_alignbit_b32 v11, v12, v11, v16
	v_lshlrev_b32_e32 v12, 31, v19
	v_or_b32_e32 v16, 0x33000000, v12
	v_add_lshl_u32 v13, v13, v15, 23
	v_lshrrev_b32_e32 v11, 9, v11
	v_sub_u32_e32 v13, v16, v13
	v_or_b32_e32 v12, 0.5, v12
	v_lshlrev_b32_e32 v15, 23, v15
	v_or_b32_e32 v11, v13, v11
	v_lshrrev_b32_e32 v13, 9, v17
	v_sub_u32_e32 v12, v12, v15
	v_or_b32_e32 v12, v13, v12
	s_mov_b32 s4, 0x3fc90fda
	v_mul_f32_e32 v13, 0x3fc90fda, v12
	v_fma_f32 v15, v12, s4, -v13
	v_fmac_f32_e32 v15, 0x33a22168, v12
	v_fmac_f32_e32 v15, 0x3fc90fda, v11
	v_lshrrev_b32_e32 v9, 30, v9
	v_add_f32_e32 v11, v13, v15
	v_add_u32_e32 v9, v21, v9
.LBB63_12:
	s_andn2_saveexec_b64 s[4:5], s[20:21]
	s_cbranch_execz .LBB63_14
; %bb.13:
	s_mov_b32 s8, 0x3f22f983
	v_mul_f32_e64 v9, |v2|, s8
	v_rndne_f32_e32 v12, v9
	s_mov_b32 s8, 0xbfc90fda
	v_cvt_i32_f32_e32 v9, v12
	v_fma_f32 v11, v12, s8, |v2|
	v_fmac_f32_e32 v11, 0xb3a22168, v12
	v_fmac_f32_e32 v11, 0xa7c234c4, v12
.LBB63_14:
	s_or_b64 exec, exec, s[4:5]
	v_mul_f32_e32 v12, v11, v11
	v_mov_b32_e32 v13, 0x3c0881c4
	v_fmac_f32_e32 v13, 0xb94c1982, v12
	v_mov_b32_e32 v15, 0xbe2aaa9d
	v_fmac_f32_e32 v15, v12, v13
	v_mul_f32_e32 v13, v12, v15
	v_fmac_f32_e32 v11, v11, v13
	v_mov_b32_e32 v13, 0xbab64f3b
	v_fmac_f32_e32 v13, 0x37d75334, v12
	v_mov_b32_e32 v15, 0x3d2aabf7
	;; [unrolled: 2-line block ×3, first 2 shown]
	v_fmac_f32_e32 v13, v12, v15
	v_fma_f32 v12, v12, v13, 1.0
	v_and_b32_e32 v13, 1, v9
	v_lshlrev_b32_e32 v9, 30, v9
	v_cmp_eq_u32_e32 vcc, 0, v13
	v_and_b32_e32 v9, 0x80000000, v9
	v_xor_b32_e32 v8, v8, v2
	v_cndmask_b32_e32 v11, v12, v11, vcc
	v_xor_b32_e32 v8, v8, v9
	s_movk_i32 s4, 0x1f8
	v_xor_b32_e32 v8, v8, v11
	v_mov_b32_e32 v9, 0x7fc00000
	v_cmp_class_f32_e64 vcc, v2, s4
	v_cndmask_b32_e32 v2, v9, v8, vcc
	v_mul_f32_e32 v2, v2, v2
	s_mov_b32 s8, 0xc11de9e7
	v_div_scale_f32 v8, s[4:5], v2, v2, s8
	v_div_scale_f32 v9, vcc, s8, v2, s8
	v_sub_f32_e32 v7, 1.0, v7
	v_rcp_f32_e32 v11, v8
	v_fma_f32 v12, -v8, v11, 1.0
	v_fmac_f32_e32 v11, v12, v11
	v_mul_f32_e32 v12, v9, v11
	v_fma_f32 v13, -v8, v12, v9
	v_fmac_f32_e32 v12, v13, v11
	v_fma_f32 v8, -v8, v12, v9
	v_div_fmas_f32 v8, v8, v11, v12
	v_div_fixup_f32 v2, v8, v2, s8
	v_add_f32_e32 v8, 0, v2
	v_mov_b32_e32 v2, -1.0
.LBB63_15:
	s_or_b64 exec, exec, s[14:15]
	s_waitcnt vmcnt(2)
	v_cvt_f32_f16_e32 v9, v6
	v_cmp_gt_f16_e32 vcc, 0.5, v6
	v_mov_b32_e32 v12, 0
	v_mov_b32_e32 v11, 1.0
	s_and_saveexec_b64 s[14:15], vcc
	s_cbranch_execz .LBB63_21
; %bb.16:
	v_mul_f32_e32 v11, 0x40490fdb, v9
	s_brev_b32 s4, 18
	v_and_b32_e32 v12, 0x7fffffff, v11
	v_cmp_nlt_f32_e64 s[4:5], |v11|, s4
                                        ; implicit-def: $vgpr13
                                        ; implicit-def: $vgpr15
	s_and_saveexec_b64 s[8:9], s[4:5]
	s_xor_b64 s[20:21], exec, s[8:9]
	s_cbranch_execz .LBB63_18
; %bb.17:
	v_and_b32_e32 v13, 0x7fffff, v12
	v_or_b32_e32 v13, 0x800000, v13
	s_mov_b32 s4, 0xfe5163ab
	v_mad_u64_u32 v[15:16], s[4:5], v13, s4, 0
	v_mov_b32_e32 v17, 0
	s_mov_b32 s4, 0x3c439041
	v_mad_u64_u32 v[18:19], s[4:5], v13, s4, v[16:17]
	s_mov_b32 s4, 0xdb629599
	v_not_b32_e32 v23, 63
	v_mov_b32_e32 v16, v19
	v_mad_u64_u32 v[19:20], s[4:5], v13, s4, v[16:17]
	s_mov_b32 s4, 0xf534ddc0
	v_not_b32_e32 v25, 31
	v_mov_b32_e32 v16, v20
	v_mad_u64_u32 v[20:21], s[4:5], v13, s4, v[16:17]
	v_lshrrev_b32_e32 v16, 23, v12
	v_add_u32_e32 v24, 0xffffff88, v16
	v_mov_b32_e32 v16, v21
	s_mov_b32 s4, 0xfc2757d1
	v_mad_u64_u32 v[21:22], s[4:5], v13, s4, v[16:17]
	v_cmp_lt_u32_e32 vcc, 63, v24
	v_cndmask_b32_e32 v16, 0, v23, vcc
	v_add_u32_e32 v24, v16, v24
	v_mov_b32_e32 v16, v22
	s_mov_b32 s4, 0x4e441529
	v_mad_u64_u32 v[22:23], s[4:5], v13, s4, v[16:17]
	v_cmp_lt_u32_e64 s[4:5], 31, v24
	v_cndmask_b32_e64 v16, 0, v25, s[4:5]
	v_add_u32_e32 v24, v16, v24
	v_mov_b32_e32 v16, v23
	s_mov_b32 s8, 0xa2f9836e
	v_mad_u64_u32 v[16:17], s[8:9], v13, s8, v[16:17]
	v_cmp_lt_u32_e64 s[8:9], 31, v24
	v_cndmask_b32_e64 v13, 0, v25, s[8:9]
	v_cndmask_b32_e32 v23, v22, v20, vcc
	v_cndmask_b32_e32 v16, v16, v21, vcc
	;; [unrolled: 1-line block ×3, first 2 shown]
	v_add_u32_e32 v13, v13, v24
	v_cndmask_b32_e64 v24, v16, v23, s[4:5]
	v_cndmask_b32_e64 v16, v17, v16, s[4:5]
	v_cndmask_b32_e32 v17, v21, v19, vcc
	v_cndmask_b32_e64 v21, v23, v17, s[4:5]
	v_cndmask_b32_e64 v16, v16, v24, s[8:9]
	;; [unrolled: 1-line block ×3, first 2 shown]
	v_sub_u32_e32 v23, 32, v13
	v_alignbit_b32 v24, v16, v22, v23
	v_cmp_eq_u32_e64 s[10:11], 0, v13
	v_cndmask_b32_e64 v13, v24, v16, s[10:11]
	v_cndmask_b32_e32 v16, v20, v18, vcc
	v_cndmask_b32_e64 v17, v17, v16, s[4:5]
	v_cndmask_b32_e64 v18, v21, v17, s[8:9]
	v_alignbit_b32 v20, v22, v18, v23
	v_cndmask_b32_e32 v15, v19, v15, vcc
	v_cndmask_b32_e64 v20, v20, v22, s[10:11]
	v_bfe_u32 v24, v13, 29, 1
	v_cndmask_b32_e64 v15, v16, v15, s[4:5]
	v_alignbit_b32 v21, v13, v20, 30
	v_sub_u32_e32 v25, 0, v24
	v_cndmask_b32_e64 v15, v17, v15, s[8:9]
	v_xor_b32_e32 v21, v21, v25
	v_alignbit_b32 v16, v18, v15, v23
	v_cndmask_b32_e64 v16, v16, v18, s[10:11]
	v_ffbh_u32_e32 v18, v21
	v_alignbit_b32 v17, v20, v16, 30
	v_min_u32_e32 v18, 32, v18
	v_alignbit_b32 v15, v16, v15, 30
	v_xor_b32_e32 v17, v17, v25
	v_sub_u32_e32 v19, 31, v18
	v_xor_b32_e32 v15, v15, v25
	v_alignbit_b32 v20, v21, v17, v19
	v_alignbit_b32 v15, v17, v15, v19
	;; [unrolled: 1-line block ×3, first 2 shown]
	v_ffbh_u32_e32 v17, v16
	v_min_u32_e32 v17, 32, v17
	v_lshrrev_b32_e32 v22, 29, v13
	v_not_b32_e32 v19, v17
	v_alignbit_b32 v15, v16, v15, v19
	v_lshlrev_b32_e32 v16, 31, v22
	v_or_b32_e32 v19, 0x33000000, v16
	v_add_lshl_u32 v17, v17, v18, 23
	v_lshrrev_b32_e32 v15, 9, v15
	v_sub_u32_e32 v17, v19, v17
	v_or_b32_e32 v16, 0.5, v16
	v_lshlrev_b32_e32 v18, 23, v18
	v_or_b32_e32 v15, v17, v15
	v_lshrrev_b32_e32 v17, 9, v20
	v_sub_u32_e32 v16, v16, v18
	v_or_b32_e32 v16, v17, v16
	s_mov_b32 s4, 0x3fc90fda
	v_mul_f32_e32 v17, 0x3fc90fda, v16
	v_fma_f32 v18, v16, s4, -v17
	v_fmac_f32_e32 v18, 0x33a22168, v16
	v_fmac_f32_e32 v18, 0x3fc90fda, v15
	v_lshrrev_b32_e32 v13, 30, v13
	v_add_f32_e32 v15, v17, v18
	v_add_u32_e32 v13, v24, v13
.LBB63_18:
	s_andn2_saveexec_b64 s[4:5], s[20:21]
	s_cbranch_execz .LBB63_20
; %bb.19:
	s_mov_b32 s8, 0x3f22f983
	v_mul_f32_e64 v13, |v11|, s8
	v_rndne_f32_e32 v16, v13
	s_mov_b32 s8, 0xbfc90fda
	v_cvt_i32_f32_e32 v13, v16
	v_fma_f32 v15, v16, s8, |v11|
	v_fmac_f32_e32 v15, 0xb3a22168, v16
	v_fmac_f32_e32 v15, 0xa7c234c4, v16
.LBB63_20:
	s_or_b64 exec, exec, s[4:5]
	v_mul_f32_e32 v16, v15, v15
	v_mov_b32_e32 v17, 0x3c0881c4
	v_fmac_f32_e32 v17, 0xb94c1982, v16
	v_mov_b32_e32 v18, 0xbe2aaa9d
	v_fmac_f32_e32 v18, v16, v17
	v_mul_f32_e32 v17, v16, v18
	v_fmac_f32_e32 v15, v15, v17
	v_mov_b32_e32 v17, 0xbab64f3b
	v_fmac_f32_e32 v17, 0x37d75334, v16
	v_mov_b32_e32 v18, 0x3d2aabf7
	;; [unrolled: 2-line block ×3, first 2 shown]
	v_fmac_f32_e32 v17, v16, v18
	v_fma_f32 v16, v16, v17, 1.0
	v_and_b32_e32 v17, 1, v13
	v_lshlrev_b32_e32 v13, 30, v13
	v_cmp_eq_u32_e32 vcc, 0, v17
	v_and_b32_e32 v13, 0x80000000, v13
	v_xor_b32_e32 v12, v12, v11
	v_cndmask_b32_e32 v15, v16, v15, vcc
	v_xor_b32_e32 v12, v12, v13
	s_movk_i32 s4, 0x1f8
	v_xor_b32_e32 v12, v12, v15
	v_mov_b32_e32 v13, 0x7fc00000
	v_cmp_class_f32_e64 vcc, v11, s4
	v_cndmask_b32_e32 v11, v13, v12, vcc
	v_mul_f32_e32 v11, v11, v11
	s_mov_b32 s8, 0xc11de9e7
	v_div_scale_f32 v12, s[4:5], v11, v11, s8
	v_div_scale_f32 v13, vcc, s8, v11, s8
	v_sub_f32_e32 v9, 1.0, v9
	v_rcp_f32_e32 v15, v12
	v_fma_f32 v16, -v12, v15, 1.0
	v_fmac_f32_e32 v15, v16, v15
	v_mul_f32_e32 v16, v13, v15
	v_fma_f32 v17, -v12, v16, v13
	v_fmac_f32_e32 v16, v17, v15
	v_fma_f32 v12, -v12, v16, v13
	v_div_fmas_f32 v12, v12, v15, v16
	v_div_fixup_f32 v11, v12, v11, s8
	v_add_f32_e32 v12, 0, v11
	v_mov_b32_e32 v11, -1.0
.LBB63_21:
	s_or_b64 exec, exec, s[14:15]
	v_cvt_f32_f16_sdwa v13, v6 dst_sel:DWORD dst_unused:UNUSED_PAD src0_sel:WORD_1
	v_mov_b32_e32 v15, 0x3800
	v_cmp_lt_f16_sdwa s[4:5], v6, v15 src0_sel:WORD_1 src1_sel:DWORD
	v_mov_b32_e32 v15, 0
	v_mov_b32_e32 v6, 1.0
	s_and_saveexec_b64 s[14:15], s[4:5]
	s_cbranch_execz .LBB63_27
; %bb.22:
	v_mul_f32_e32 v6, 0x40490fdb, v13
	s_brev_b32 s4, 18
	v_and_b32_e32 v15, 0x7fffffff, v6
	v_cmp_nlt_f32_e64 s[4:5], |v6|, s4
                                        ; implicit-def: $vgpr16
                                        ; implicit-def: $vgpr17
	s_and_saveexec_b64 s[8:9], s[4:5]
	s_xor_b64 s[20:21], exec, s[8:9]
	s_cbranch_execz .LBB63_24
; %bb.23:
	v_and_b32_e32 v16, 0x7fffff, v15
	v_or_b32_e32 v25, 0x800000, v16
	s_mov_b32 s4, 0xfe5163ab
	v_mad_u64_u32 v[16:17], s[4:5], v25, s4, 0
	v_mov_b32_e32 v18, 0
	s_mov_b32 s4, 0x3c439041
	v_mad_u64_u32 v[19:20], s[4:5], v25, s4, v[17:18]
	s_mov_b32 s4, 0xdb629599
	v_not_b32_e32 v24, 63
	v_mov_b32_e32 v17, v20
	v_mad_u64_u32 v[20:21], s[4:5], v25, s4, v[17:18]
	s_mov_b32 s4, 0xf534ddc0
	v_not_b32_e32 v27, 31
	v_mov_b32_e32 v17, v21
	v_mad_u64_u32 v[21:22], s[4:5], v25, s4, v[17:18]
	v_lshrrev_b32_e32 v17, 23, v15
	v_add_u32_e32 v26, 0xffffff88, v17
	v_mov_b32_e32 v17, v22
	s_mov_b32 s4, 0xfc2757d1
	v_mad_u64_u32 v[22:23], s[4:5], v25, s4, v[17:18]
	v_cmp_lt_u32_e32 vcc, 63, v26
	v_cndmask_b32_e32 v17, 0, v24, vcc
	v_add_u32_e32 v26, v17, v26
	v_mov_b32_e32 v17, v23
	s_mov_b32 s4, 0x4e441529
	v_mad_u64_u32 v[23:24], s[4:5], v25, s4, v[17:18]
	v_cmp_lt_u32_e64 s[4:5], 31, v26
	v_cndmask_b32_e64 v17, 0, v27, s[4:5]
	v_add_u32_e32 v26, v17, v26
	v_mov_b32_e32 v17, v24
	s_mov_b32 s8, 0xa2f9836e
	v_mad_u64_u32 v[17:18], s[8:9], v25, s8, v[17:18]
	v_cmp_lt_u32_e64 s[8:9], 31, v26
	v_cndmask_b32_e64 v24, 0, v27, s[8:9]
	v_cndmask_b32_e32 v25, v23, v21, vcc
	v_cndmask_b32_e32 v17, v17, v22, vcc
	;; [unrolled: 1-line block ×3, first 2 shown]
	v_add_u32_e32 v24, v24, v26
	v_cndmask_b32_e64 v26, v17, v25, s[4:5]
	v_cndmask_b32_e64 v17, v18, v17, s[4:5]
	v_cndmask_b32_e32 v18, v22, v20, vcc
	v_cndmask_b32_e64 v22, v25, v18, s[4:5]
	v_cndmask_b32_e64 v17, v17, v26, s[8:9]
	;; [unrolled: 1-line block ×3, first 2 shown]
	v_sub_u32_e32 v25, 32, v24
	v_alignbit_b32 v26, v17, v23, v25
	v_cmp_eq_u32_e64 s[10:11], 0, v24
	v_cndmask_b32_e64 v24, v26, v17, s[10:11]
	v_cndmask_b32_e32 v17, v21, v19, vcc
	v_cndmask_b32_e64 v18, v18, v17, s[4:5]
	v_cndmask_b32_e64 v19, v22, v18, s[8:9]
	v_alignbit_b32 v21, v23, v19, v25
	v_cndmask_b32_e32 v16, v20, v16, vcc
	v_cndmask_b32_e64 v21, v21, v23, s[10:11]
	v_bfe_u32 v26, v24, 29, 1
	v_cndmask_b32_e64 v16, v17, v16, s[4:5]
	v_alignbit_b32 v22, v24, v21, 30
	v_sub_u32_e32 v27, 0, v26
	v_cndmask_b32_e64 v16, v18, v16, s[8:9]
	v_xor_b32_e32 v22, v22, v27
	v_alignbit_b32 v17, v19, v16, v25
	v_cndmask_b32_e64 v17, v17, v19, s[10:11]
	v_ffbh_u32_e32 v19, v22
	v_alignbit_b32 v18, v21, v17, 30
	v_min_u32_e32 v19, 32, v19
	v_alignbit_b32 v16, v17, v16, 30
	v_xor_b32_e32 v18, v18, v27
	v_sub_u32_e32 v20, 31, v19
	v_xor_b32_e32 v16, v16, v27
	v_alignbit_b32 v21, v22, v18, v20
	v_alignbit_b32 v16, v18, v16, v20
	;; [unrolled: 1-line block ×3, first 2 shown]
	v_ffbh_u32_e32 v18, v17
	v_min_u32_e32 v18, 32, v18
	v_lshrrev_b32_e32 v23, 29, v24
	v_not_b32_e32 v20, v18
	v_alignbit_b32 v16, v17, v16, v20
	v_lshlrev_b32_e32 v17, 31, v23
	v_or_b32_e32 v20, 0x33000000, v17
	v_add_lshl_u32 v18, v18, v19, 23
	v_lshrrev_b32_e32 v16, 9, v16
	v_sub_u32_e32 v18, v20, v18
	v_or_b32_e32 v17, 0.5, v17
	v_lshlrev_b32_e32 v19, 23, v19
	v_or_b32_e32 v16, v18, v16
	v_lshrrev_b32_e32 v18, 9, v21
	v_sub_u32_e32 v17, v17, v19
	v_or_b32_e32 v17, v18, v17
	s_mov_b32 s4, 0x3fc90fda
	v_mul_f32_e32 v18, 0x3fc90fda, v17
	v_fma_f32 v19, v17, s4, -v18
	v_fmac_f32_e32 v19, 0x33a22168, v17
	v_fmac_f32_e32 v19, 0x3fc90fda, v16
	v_lshrrev_b32_e32 v16, 30, v24
	v_add_f32_e32 v17, v18, v19
	v_add_u32_e32 v16, v26, v16
.LBB63_24:
	s_andn2_saveexec_b64 s[4:5], s[20:21]
	s_cbranch_execz .LBB63_26
; %bb.25:
	s_mov_b32 s8, 0x3f22f983
	v_mul_f32_e64 v16, |v6|, s8
	v_rndne_f32_e32 v18, v16
	s_mov_b32 s8, 0xbfc90fda
	v_cvt_i32_f32_e32 v16, v18
	v_fma_f32 v17, v18, s8, |v6|
	v_fmac_f32_e32 v17, 0xb3a22168, v18
	v_fmac_f32_e32 v17, 0xa7c234c4, v18
.LBB63_26:
	s_or_b64 exec, exec, s[4:5]
	v_mul_f32_e32 v18, v17, v17
	v_mov_b32_e32 v19, 0x3c0881c4
	v_fmac_f32_e32 v19, 0xb94c1982, v18
	v_mov_b32_e32 v20, 0xbe2aaa9d
	v_fmac_f32_e32 v20, v18, v19
	v_mul_f32_e32 v19, v18, v20
	v_fmac_f32_e32 v17, v17, v19
	v_mov_b32_e32 v19, 0xbab64f3b
	v_fmac_f32_e32 v19, 0x37d75334, v18
	v_mov_b32_e32 v20, 0x3d2aabf7
	;; [unrolled: 2-line block ×3, first 2 shown]
	v_fmac_f32_e32 v19, v18, v20
	v_fma_f32 v18, v18, v19, 1.0
	v_and_b32_e32 v19, 1, v16
	v_lshlrev_b32_e32 v16, 30, v16
	v_cmp_eq_u32_e32 vcc, 0, v19
	v_and_b32_e32 v16, 0x80000000, v16
	v_xor_b32_e32 v15, v15, v6
	v_cndmask_b32_e32 v17, v18, v17, vcc
	v_xor_b32_e32 v15, v15, v16
	s_movk_i32 s4, 0x1f8
	v_xor_b32_e32 v15, v15, v17
	v_mov_b32_e32 v16, 0x7fc00000
	v_cmp_class_f32_e64 vcc, v6, s4
	v_cndmask_b32_e32 v6, v16, v15, vcc
	v_mul_f32_e32 v6, v6, v6
	s_mov_b32 s8, 0xc11de9e7
	v_div_scale_f32 v15, s[4:5], v6, v6, s8
	v_div_scale_f32 v16, vcc, s8, v6, s8
	v_sub_f32_e32 v13, 1.0, v13
	v_rcp_f32_e32 v17, v15
	v_fma_f32 v18, -v15, v17, 1.0
	v_fmac_f32_e32 v17, v18, v17
	v_mul_f32_e32 v18, v16, v17
	v_fma_f32 v19, -v15, v18, v16
	v_fmac_f32_e32 v18, v19, v17
	v_fma_f32 v15, -v15, v18, v16
	v_div_fmas_f32 v15, v15, v17, v18
	v_div_fixup_f32 v6, v15, v6, s8
	v_add_f32_e32 v15, 0, v6
	v_mov_b32_e32 v6, -1.0
.LBB63_27:
	s_or_b64 exec, exec, s[14:15]
	s_waitcnt vmcnt(1)
	v_cvt_f32_f16_e32 v18, v10
	v_cmp_gt_f16_e32 vcc, 0.5, v10
	v_mov_b32_e32 v23, 0
	v_mov_b32_e32 v20, 1.0
	s_and_saveexec_b64 s[14:15], vcc
	s_cbranch_execz .LBB63_33
; %bb.28:
	v_mul_f32_e32 v16, 0x40490fdb, v18
	s_brev_b32 s4, 18
	v_and_b32_e32 v17, 0x7fffffff, v16
	v_cmp_nlt_f32_e64 s[4:5], |v16|, s4
                                        ; implicit-def: $vgpr19
                                        ; implicit-def: $vgpr20
	s_and_saveexec_b64 s[8:9], s[4:5]
	s_xor_b64 s[20:21], exec, s[8:9]
	s_cbranch_execz .LBB63_30
; %bb.29:
	v_and_b32_e32 v19, 0x7fffff, v17
	v_or_b32_e32 v28, 0x800000, v19
	s_mov_b32 s4, 0xfe5163ab
	v_mad_u64_u32 v[19:20], s[4:5], v28, s4, 0
	v_mov_b32_e32 v21, 0
	s_mov_b32 s4, 0x3c439041
	v_mad_u64_u32 v[22:23], s[4:5], v28, s4, v[20:21]
	s_mov_b32 s4, 0xdb629599
	v_not_b32_e32 v27, 63
	v_mov_b32_e32 v20, v23
	v_mad_u64_u32 v[23:24], s[4:5], v28, s4, v[20:21]
	s_mov_b32 s4, 0xf534ddc0
	v_not_b32_e32 v30, 31
	v_mov_b32_e32 v20, v24
	v_mad_u64_u32 v[24:25], s[4:5], v28, s4, v[20:21]
	v_lshrrev_b32_e32 v20, 23, v17
	v_add_u32_e32 v29, 0xffffff88, v20
	v_mov_b32_e32 v20, v25
	s_mov_b32 s4, 0xfc2757d1
	v_mad_u64_u32 v[25:26], s[4:5], v28, s4, v[20:21]
	v_cmp_lt_u32_e32 vcc, 63, v29
	v_cndmask_b32_e32 v20, 0, v27, vcc
	v_add_u32_e32 v29, v20, v29
	v_mov_b32_e32 v20, v26
	s_mov_b32 s4, 0x4e441529
	v_mad_u64_u32 v[26:27], s[4:5], v28, s4, v[20:21]
	v_cmp_lt_u32_e64 s[4:5], 31, v29
	v_cndmask_b32_e64 v20, 0, v30, s[4:5]
	v_add_u32_e32 v29, v20, v29
	v_mov_b32_e32 v20, v27
	s_mov_b32 s8, 0xa2f9836e
	v_mad_u64_u32 v[20:21], s[8:9], v28, s8, v[20:21]
	v_cmp_lt_u32_e64 s[8:9], 31, v29
	v_cndmask_b32_e64 v27, 0, v30, s[8:9]
	v_cndmask_b32_e32 v28, v26, v24, vcc
	v_cndmask_b32_e32 v20, v20, v25, vcc
	;; [unrolled: 1-line block ×3, first 2 shown]
	v_add_u32_e32 v27, v27, v29
	v_cndmask_b32_e64 v29, v20, v28, s[4:5]
	v_cndmask_b32_e64 v20, v21, v20, s[4:5]
	v_cndmask_b32_e32 v21, v25, v23, vcc
	v_cndmask_b32_e64 v25, v28, v21, s[4:5]
	v_cndmask_b32_e64 v20, v20, v29, s[8:9]
	;; [unrolled: 1-line block ×3, first 2 shown]
	v_sub_u32_e32 v28, 32, v27
	v_alignbit_b32 v29, v20, v26, v28
	v_cmp_eq_u32_e64 s[10:11], 0, v27
	v_cndmask_b32_e64 v27, v29, v20, s[10:11]
	v_cndmask_b32_e32 v20, v24, v22, vcc
	v_cndmask_b32_e64 v21, v21, v20, s[4:5]
	v_cndmask_b32_e64 v22, v25, v21, s[8:9]
	v_alignbit_b32 v24, v26, v22, v28
	v_cndmask_b32_e32 v19, v23, v19, vcc
	v_cndmask_b32_e64 v24, v24, v26, s[10:11]
	v_bfe_u32 v29, v27, 29, 1
	v_cndmask_b32_e64 v19, v20, v19, s[4:5]
	v_alignbit_b32 v25, v27, v24, 30
	v_sub_u32_e32 v30, 0, v29
	v_cndmask_b32_e64 v19, v21, v19, s[8:9]
	v_xor_b32_e32 v25, v25, v30
	v_alignbit_b32 v20, v22, v19, v28
	v_cndmask_b32_e64 v20, v20, v22, s[10:11]
	v_ffbh_u32_e32 v22, v25
	v_alignbit_b32 v21, v24, v20, 30
	v_min_u32_e32 v22, 32, v22
	v_alignbit_b32 v19, v20, v19, 30
	v_xor_b32_e32 v21, v21, v30
	v_sub_u32_e32 v23, 31, v22
	v_xor_b32_e32 v19, v19, v30
	v_alignbit_b32 v24, v25, v21, v23
	v_alignbit_b32 v19, v21, v19, v23
	;; [unrolled: 1-line block ×3, first 2 shown]
	v_ffbh_u32_e32 v21, v20
	v_min_u32_e32 v21, 32, v21
	v_lshrrev_b32_e32 v26, 29, v27
	v_not_b32_e32 v23, v21
	v_alignbit_b32 v19, v20, v19, v23
	v_lshlrev_b32_e32 v20, 31, v26
	v_or_b32_e32 v23, 0x33000000, v20
	v_add_lshl_u32 v21, v21, v22, 23
	v_lshrrev_b32_e32 v19, 9, v19
	v_sub_u32_e32 v21, v23, v21
	v_or_b32_e32 v20, 0.5, v20
	v_lshlrev_b32_e32 v22, 23, v22
	v_or_b32_e32 v19, v21, v19
	v_lshrrev_b32_e32 v21, 9, v24
	v_sub_u32_e32 v20, v20, v22
	v_or_b32_e32 v20, v21, v20
	s_mov_b32 s4, 0x3fc90fda
	v_mul_f32_e32 v21, 0x3fc90fda, v20
	v_fma_f32 v22, v20, s4, -v21
	v_fmac_f32_e32 v22, 0x33a22168, v20
	v_fmac_f32_e32 v22, 0x3fc90fda, v19
	v_lshrrev_b32_e32 v19, 30, v27
	v_add_f32_e32 v20, v21, v22
	v_add_u32_e32 v19, v29, v19
.LBB63_30:
	s_andn2_saveexec_b64 s[4:5], s[20:21]
	s_cbranch_execz .LBB63_32
; %bb.31:
	s_mov_b32 s8, 0x3f22f983
	v_mul_f32_e64 v19, |v16|, s8
	v_rndne_f32_e32 v21, v19
	s_mov_b32 s8, 0xbfc90fda
	v_cvt_i32_f32_e32 v19, v21
	v_fma_f32 v20, v21, s8, |v16|
	v_fmac_f32_e32 v20, 0xb3a22168, v21
	v_fmac_f32_e32 v20, 0xa7c234c4, v21
.LBB63_32:
	s_or_b64 exec, exec, s[4:5]
	v_mul_f32_e32 v21, v20, v20
	v_mov_b32_e32 v22, 0x3c0881c4
	v_fmac_f32_e32 v22, 0xb94c1982, v21
	v_mov_b32_e32 v23, 0xbe2aaa9d
	v_fmac_f32_e32 v23, v21, v22
	v_mul_f32_e32 v22, v21, v23
	v_fmac_f32_e32 v20, v20, v22
	v_mov_b32_e32 v22, 0xbab64f3b
	v_fmac_f32_e32 v22, 0x37d75334, v21
	v_mov_b32_e32 v23, 0x3d2aabf7
	;; [unrolled: 2-line block ×3, first 2 shown]
	v_fmac_f32_e32 v22, v21, v23
	v_fma_f32 v21, v21, v22, 1.0
	v_and_b32_e32 v22, 1, v19
	v_lshlrev_b32_e32 v19, 30, v19
	v_cmp_eq_u32_e32 vcc, 0, v22
	v_and_b32_e32 v19, 0x80000000, v19
	v_xor_b32_e32 v17, v17, v16
	v_cndmask_b32_e32 v20, v21, v20, vcc
	v_xor_b32_e32 v17, v17, v19
	s_movk_i32 s4, 0x1f8
	v_xor_b32_e32 v17, v17, v20
	v_mov_b32_e32 v19, 0x7fc00000
	v_cmp_class_f32_e64 vcc, v16, s4
	v_cndmask_b32_e32 v16, v19, v17, vcc
	v_mul_f32_e32 v16, v16, v16
	s_mov_b32 s8, 0xc11de9e7
	v_div_scale_f32 v17, s[4:5], v16, v16, s8
	v_div_scale_f32 v19, vcc, s8, v16, s8
	v_sub_f32_e32 v18, 1.0, v18
	v_rcp_f32_e32 v20, v17
	v_fma_f32 v21, -v17, v20, 1.0
	v_fmac_f32_e32 v20, v21, v20
	v_mul_f32_e32 v21, v19, v20
	v_fma_f32 v22, -v17, v21, v19
	v_fmac_f32_e32 v21, v22, v20
	v_fma_f32 v17, -v17, v21, v19
	v_div_fmas_f32 v17, v17, v20, v21
	v_mov_b32_e32 v20, -1.0
	v_div_fixup_f32 v16, v17, v16, s8
	v_add_f32_e32 v23, 0, v16
.LBB63_33:
	s_or_b64 exec, exec, s[14:15]
	v_cvt_f32_f16_sdwa v21, v10 dst_sel:DWORD dst_unused:UNUSED_PAD src0_sel:WORD_1
	v_mov_b32_e32 v16, 0x3800
	v_cmp_lt_f16_sdwa s[4:5], v10, v16 src0_sel:WORD_1 src1_sel:DWORD
	v_mov_b32_e32 v24, 0
	v_mov_b32_e32 v10, 1.0
	s_and_saveexec_b64 s[14:15], s[4:5]
	s_cbranch_execz .LBB63_39
; %bb.34:
	v_mul_f32_e32 v10, 0x40490fdb, v21
	s_brev_b32 s4, 18
	v_and_b32_e32 v16, 0x7fffffff, v10
	v_cmp_nlt_f32_e64 s[4:5], |v10|, s4
                                        ; implicit-def: $vgpr17
                                        ; implicit-def: $vgpr19
	s_and_saveexec_b64 s[8:9], s[4:5]
	s_xor_b64 s[20:21], exec, s[8:9]
	s_cbranch_execz .LBB63_36
; %bb.35:
	v_and_b32_e32 v17, 0x7fffff, v16
	v_or_b32_e32 v17, 0x800000, v17
	s_mov_b32 s4, 0xfe5163ab
	v_mad_u64_u32 v[24:25], s[4:5], v17, s4, 0
	v_mov_b32_e32 v26, 0
	s_mov_b32 s4, 0x3c439041
	v_mad_u64_u32 v[27:28], s[4:5], v17, s4, v[25:26]
	s_mov_b32 s4, 0xdb629599
	v_lshrrev_b32_e32 v19, 23, v16
	v_mov_b32_e32 v25, v28
	v_mad_u64_u32 v[28:29], s[4:5], v17, s4, v[25:26]
	s_mov_b32 s4, 0xf534ddc0
	v_add_u32_e32 v19, 0xffffff88, v19
	v_mov_b32_e32 v25, v29
	v_mad_u64_u32 v[29:30], s[4:5], v17, s4, v[25:26]
	s_mov_b32 s4, 0xfc2757d1
	v_not_b32_e32 v22, 63
	v_mov_b32_e32 v25, v30
	v_mad_u64_u32 v[30:31], s[4:5], v17, s4, v[25:26]
	v_cmp_lt_u32_e32 vcc, 63, v19
	s_mov_b32 s4, 0x4e441529
	v_mov_b32_e32 v25, v31
	v_cndmask_b32_e32 v22, 0, v22, vcc
	v_mad_u64_u32 v[31:32], s[4:5], v17, s4, v[25:26]
	v_add_u32_e32 v19, v22, v19
	v_not_b32_e32 v22, 31
	v_cmp_lt_u32_e64 s[4:5], 31, v19
	v_cndmask_b32_e64 v25, 0, v22, s[4:5]
	v_add_u32_e32 v19, v25, v19
	v_mov_b32_e32 v25, v32
	s_mov_b32 s8, 0xa2f9836e
	v_mad_u64_u32 v[25:26], s[8:9], v17, s8, v[25:26]
	v_cmp_lt_u32_e64 s[8:9], 31, v19
	v_cndmask_b32_e64 v17, 0, v22, s[8:9]
	v_add_u32_e32 v17, v17, v19
	v_cndmask_b32_e32 v19, v31, v29, vcc
	v_cndmask_b32_e32 v22, v25, v30, vcc
	;; [unrolled: 1-line block ×3, first 2 shown]
	v_cndmask_b32_e64 v25, v22, v19, s[4:5]
	v_cndmask_b32_e64 v22, v26, v22, s[4:5]
	v_cndmask_b32_e32 v26, v30, v28, vcc
	v_cndmask_b32_e64 v19, v19, v26, s[4:5]
	v_cndmask_b32_e64 v22, v22, v25, s[8:9]
	;; [unrolled: 1-line block ×3, first 2 shown]
	v_sub_u32_e32 v30, 32, v17
	v_alignbit_b32 v31, v22, v25, v30
	v_cmp_eq_u32_e64 s[10:11], 0, v17
	v_cndmask_b32_e64 v17, v31, v22, s[10:11]
	v_cndmask_b32_e32 v22, v29, v27, vcc
	v_cndmask_b32_e64 v26, v26, v22, s[4:5]
	v_cndmask_b32_e64 v19, v19, v26, s[8:9]
	v_cndmask_b32_e32 v24, v28, v24, vcc
	v_alignbit_b32 v27, v25, v19, v30
	v_cndmask_b32_e64 v22, v22, v24, s[4:5]
	v_cndmask_b32_e64 v25, v27, v25, s[10:11]
	v_bfe_u32 v31, v17, 29, 1
	v_cndmask_b32_e64 v22, v26, v22, s[8:9]
	v_alignbit_b32 v27, v17, v25, 30
	v_sub_u32_e32 v32, 0, v31
	v_alignbit_b32 v24, v19, v22, v30
	v_xor_b32_e32 v27, v27, v32
	v_cndmask_b32_e64 v19, v24, v19, s[10:11]
	v_alignbit_b32 v24, v25, v19, 30
	v_ffbh_u32_e32 v25, v27
	v_min_u32_e32 v25, 32, v25
	v_alignbit_b32 v19, v19, v22, 30
	v_xor_b32_e32 v24, v24, v32
	v_sub_u32_e32 v26, 31, v25
	v_xor_b32_e32 v19, v19, v32
	v_alignbit_b32 v27, v27, v24, v26
	v_alignbit_b32 v19, v24, v19, v26
	;; [unrolled: 1-line block ×3, first 2 shown]
	v_ffbh_u32_e32 v24, v22
	v_min_u32_e32 v24, 32, v24
	v_lshrrev_b32_e32 v29, 29, v17
	v_not_b32_e32 v26, v24
	v_alignbit_b32 v19, v22, v19, v26
	v_lshlrev_b32_e32 v22, 31, v29
	v_or_b32_e32 v26, 0x33000000, v22
	v_add_lshl_u32 v24, v24, v25, 23
	v_lshrrev_b32_e32 v19, 9, v19
	v_sub_u32_e32 v24, v26, v24
	v_or_b32_e32 v22, 0.5, v22
	v_lshlrev_b32_e32 v25, 23, v25
	v_or_b32_e32 v19, v24, v19
	v_lshrrev_b32_e32 v24, 9, v27
	v_sub_u32_e32 v22, v22, v25
	v_or_b32_e32 v22, v24, v22
	s_mov_b32 s4, 0x3fc90fda
	v_mul_f32_e32 v24, 0x3fc90fda, v22
	v_fma_f32 v25, v22, s4, -v24
	v_fmac_f32_e32 v25, 0x33a22168, v22
	v_fmac_f32_e32 v25, 0x3fc90fda, v19
	v_lshrrev_b32_e32 v17, 30, v17
	v_add_f32_e32 v19, v24, v25
	v_add_u32_e32 v17, v31, v17
.LBB63_36:
	s_andn2_saveexec_b64 s[4:5], s[20:21]
	s_cbranch_execz .LBB63_38
; %bb.37:
	s_mov_b32 s8, 0x3f22f983
	v_mul_f32_e64 v17, |v10|, s8
	v_rndne_f32_e32 v22, v17
	s_mov_b32 s8, 0xbfc90fda
	v_cvt_i32_f32_e32 v17, v22
	v_fma_f32 v19, v22, s8, |v10|
	v_fmac_f32_e32 v19, 0xb3a22168, v22
	v_fmac_f32_e32 v19, 0xa7c234c4, v22
.LBB63_38:
	s_or_b64 exec, exec, s[4:5]
	v_mul_f32_e32 v22, v19, v19
	v_mov_b32_e32 v24, 0x3c0881c4
	v_fmac_f32_e32 v24, 0xb94c1982, v22
	v_mov_b32_e32 v25, 0xbe2aaa9d
	v_fmac_f32_e32 v25, v22, v24
	v_mul_f32_e32 v24, v22, v25
	v_fmac_f32_e32 v19, v19, v24
	v_mov_b32_e32 v24, 0xbab64f3b
	v_fmac_f32_e32 v24, 0x37d75334, v22
	v_mov_b32_e32 v25, 0x3d2aabf7
	;; [unrolled: 2-line block ×3, first 2 shown]
	v_fmac_f32_e32 v24, v22, v25
	v_fma_f32 v22, v22, v24, 1.0
	v_and_b32_e32 v24, 1, v17
	v_lshlrev_b32_e32 v17, 30, v17
	v_cmp_eq_u32_e32 vcc, 0, v24
	v_and_b32_e32 v17, 0x80000000, v17
	v_xor_b32_e32 v16, v16, v10
	v_cndmask_b32_e32 v19, v22, v19, vcc
	v_xor_b32_e32 v16, v16, v17
	s_movk_i32 s4, 0x1f8
	v_xor_b32_e32 v16, v16, v19
	v_mov_b32_e32 v17, 0x7fc00000
	v_cmp_class_f32_e64 vcc, v10, s4
	v_cndmask_b32_e32 v10, v17, v16, vcc
	v_mul_f32_e32 v10, v10, v10
	s_mov_b32 s8, 0xc11de9e7
	v_div_scale_f32 v16, s[4:5], v10, v10, s8
	v_div_scale_f32 v17, vcc, s8, v10, s8
	v_sub_f32_e32 v21, 1.0, v21
	v_rcp_f32_e32 v19, v16
	v_fma_f32 v22, -v16, v19, 1.0
	v_fmac_f32_e32 v19, v22, v19
	v_mul_f32_e32 v22, v17, v19
	v_fma_f32 v24, -v16, v22, v17
	v_fmac_f32_e32 v22, v24, v19
	v_fma_f32 v16, -v16, v22, v17
	v_div_fmas_f32 v16, v16, v19, v22
	v_div_fixup_f32 v10, v16, v10, s8
	v_add_f32_e32 v24, 0, v10
	v_mov_b32_e32 v10, -1.0
.LBB63_39:
	s_or_b64 exec, exec, s[14:15]
	s_waitcnt vmcnt(0)
	v_cvt_f32_f16_e32 v22, v14
	v_cmp_gt_f16_e32 vcc, 0.5, v14
	v_mov_b32_e32 v25, 0
	v_mov_b32_e32 v17, 1.0
	s_and_saveexec_b64 s[14:15], vcc
	s_cbranch_execz .LBB63_45
; %bb.40:
	v_mul_f32_e32 v16, 0x40490fdb, v22
	s_brev_b32 s4, 18
	v_and_b32_e32 v17, 0x7fffffff, v16
	v_cmp_nlt_f32_e64 s[4:5], |v16|, s4
                                        ; implicit-def: $vgpr19
                                        ; implicit-def: $vgpr25
	s_and_saveexec_b64 s[8:9], s[4:5]
	s_xor_b64 s[20:21], exec, s[8:9]
	s_cbranch_execz .LBB63_42
; %bb.41:
	v_and_b32_e32 v19, 0x7fffff, v17
	v_or_b32_e32 v19, 0x800000, v19
	s_mov_b32 s4, 0xfe5163ab
	v_mad_u64_u32 v[25:26], s[4:5], v19, s4, 0
	v_mov_b32_e32 v27, 0
	s_mov_b32 s4, 0x3c439041
	v_mad_u64_u32 v[28:29], s[4:5], v19, s4, v[26:27]
	s_mov_b32 s4, 0xdb629599
	v_not_b32_e32 v33, 63
	v_mov_b32_e32 v26, v29
	v_mad_u64_u32 v[29:30], s[4:5], v19, s4, v[26:27]
	s_mov_b32 s4, 0xf534ddc0
	v_not_b32_e32 v35, 31
	v_mov_b32_e32 v26, v30
	v_mad_u64_u32 v[30:31], s[4:5], v19, s4, v[26:27]
	v_lshrrev_b32_e32 v26, 23, v17
	v_add_u32_e32 v34, 0xffffff88, v26
	v_mov_b32_e32 v26, v31
	s_mov_b32 s4, 0xfc2757d1
	v_mad_u64_u32 v[31:32], s[4:5], v19, s4, v[26:27]
	v_cmp_lt_u32_e32 vcc, 63, v34
	v_cndmask_b32_e32 v26, 0, v33, vcc
	v_add_u32_e32 v34, v26, v34
	v_mov_b32_e32 v26, v32
	s_mov_b32 s4, 0x4e441529
	v_mad_u64_u32 v[32:33], s[4:5], v19, s4, v[26:27]
	v_cmp_lt_u32_e64 s[4:5], 31, v34
	v_cndmask_b32_e64 v26, 0, v35, s[4:5]
	v_add_u32_e32 v34, v26, v34
	v_mov_b32_e32 v26, v33
	s_mov_b32 s8, 0xa2f9836e
	v_mad_u64_u32 v[26:27], s[8:9], v19, s8, v[26:27]
	v_cmp_lt_u32_e64 s[8:9], 31, v34
	v_cndmask_b32_e64 v19, 0, v35, s[8:9]
	v_cndmask_b32_e32 v33, v32, v30, vcc
	v_cndmask_b32_e32 v26, v26, v31, vcc
	;; [unrolled: 1-line block ×3, first 2 shown]
	v_add_u32_e32 v19, v19, v34
	v_cndmask_b32_e64 v34, v26, v33, s[4:5]
	v_cndmask_b32_e64 v26, v27, v26, s[4:5]
	v_cndmask_b32_e32 v27, v31, v29, vcc
	v_cndmask_b32_e64 v31, v33, v27, s[4:5]
	v_cndmask_b32_e64 v26, v26, v34, s[8:9]
	;; [unrolled: 1-line block ×3, first 2 shown]
	v_sub_u32_e32 v33, 32, v19
	v_alignbit_b32 v34, v26, v32, v33
	v_cmp_eq_u32_e64 s[10:11], 0, v19
	v_cndmask_b32_e64 v19, v34, v26, s[10:11]
	v_cndmask_b32_e32 v26, v30, v28, vcc
	v_cndmask_b32_e64 v27, v27, v26, s[4:5]
	v_cndmask_b32_e64 v28, v31, v27, s[8:9]
	v_alignbit_b32 v30, v32, v28, v33
	v_cndmask_b32_e32 v25, v29, v25, vcc
	v_cndmask_b32_e64 v30, v30, v32, s[10:11]
	v_bfe_u32 v34, v19, 29, 1
	v_cndmask_b32_e64 v25, v26, v25, s[4:5]
	v_alignbit_b32 v31, v19, v30, 30
	v_sub_u32_e32 v35, 0, v34
	v_cndmask_b32_e64 v25, v27, v25, s[8:9]
	v_xor_b32_e32 v31, v31, v35
	v_alignbit_b32 v26, v28, v25, v33
	v_cndmask_b32_e64 v26, v26, v28, s[10:11]
	v_ffbh_u32_e32 v28, v31
	v_alignbit_b32 v27, v30, v26, 30
	v_min_u32_e32 v28, 32, v28
	v_alignbit_b32 v25, v26, v25, 30
	v_xor_b32_e32 v27, v27, v35
	v_sub_u32_e32 v29, 31, v28
	v_xor_b32_e32 v25, v25, v35
	v_alignbit_b32 v30, v31, v27, v29
	v_alignbit_b32 v25, v27, v25, v29
	;; [unrolled: 1-line block ×3, first 2 shown]
	v_ffbh_u32_e32 v27, v26
	v_min_u32_e32 v27, 32, v27
	v_lshrrev_b32_e32 v32, 29, v19
	v_not_b32_e32 v29, v27
	v_alignbit_b32 v25, v26, v25, v29
	v_lshlrev_b32_e32 v26, 31, v32
	v_or_b32_e32 v29, 0x33000000, v26
	v_add_lshl_u32 v27, v27, v28, 23
	v_lshrrev_b32_e32 v25, 9, v25
	v_sub_u32_e32 v27, v29, v27
	v_or_b32_e32 v26, 0.5, v26
	v_lshlrev_b32_e32 v28, 23, v28
	v_or_b32_e32 v25, v27, v25
	v_lshrrev_b32_e32 v27, 9, v30
	v_sub_u32_e32 v26, v26, v28
	v_or_b32_e32 v26, v27, v26
	s_mov_b32 s4, 0x3fc90fda
	v_mul_f32_e32 v27, 0x3fc90fda, v26
	v_fma_f32 v28, v26, s4, -v27
	v_fmac_f32_e32 v28, 0x33a22168, v26
	v_fmac_f32_e32 v28, 0x3fc90fda, v25
	v_lshrrev_b32_e32 v19, 30, v19
	v_add_f32_e32 v25, v27, v28
	v_add_u32_e32 v19, v34, v19
.LBB63_42:
	s_andn2_saveexec_b64 s[4:5], s[20:21]
	s_cbranch_execz .LBB63_44
; %bb.43:
	s_mov_b32 s8, 0x3f22f983
	v_mul_f32_e64 v19, |v16|, s8
	v_rndne_f32_e32 v26, v19
	s_mov_b32 s8, 0xbfc90fda
	v_cvt_i32_f32_e32 v19, v26
	v_fma_f32 v25, v26, s8, |v16|
	v_fmac_f32_e32 v25, 0xb3a22168, v26
	v_fmac_f32_e32 v25, 0xa7c234c4, v26
.LBB63_44:
	s_or_b64 exec, exec, s[4:5]
	v_mul_f32_e32 v26, v25, v25
	v_mov_b32_e32 v27, 0x3c0881c4
	v_fmac_f32_e32 v27, 0xb94c1982, v26
	v_mov_b32_e32 v28, 0xbe2aaa9d
	v_fmac_f32_e32 v28, v26, v27
	v_mul_f32_e32 v27, v26, v28
	v_fmac_f32_e32 v25, v25, v27
	v_mov_b32_e32 v27, 0xbab64f3b
	v_fmac_f32_e32 v27, 0x37d75334, v26
	v_mov_b32_e32 v28, 0x3d2aabf7
	;; [unrolled: 2-line block ×3, first 2 shown]
	v_fmac_f32_e32 v27, v26, v28
	v_fma_f32 v26, v26, v27, 1.0
	v_and_b32_e32 v27, 1, v19
	v_lshlrev_b32_e32 v19, 30, v19
	v_cmp_eq_u32_e32 vcc, 0, v27
	v_and_b32_e32 v19, 0x80000000, v19
	v_xor_b32_e32 v17, v17, v16
	v_cndmask_b32_e32 v25, v26, v25, vcc
	v_xor_b32_e32 v17, v17, v19
	s_movk_i32 s4, 0x1f8
	v_xor_b32_e32 v17, v17, v25
	v_mov_b32_e32 v19, 0x7fc00000
	v_cmp_class_f32_e64 vcc, v16, s4
	v_cndmask_b32_e32 v16, v19, v17, vcc
	v_mul_f32_e32 v16, v16, v16
	s_mov_b32 s8, 0xc11de9e7
	v_div_scale_f32 v17, s[4:5], v16, v16, s8
	v_div_scale_f32 v19, vcc, s8, v16, s8
	v_sub_f32_e32 v22, 1.0, v22
	v_rcp_f32_e32 v25, v17
	v_fma_f32 v26, -v17, v25, 1.0
	v_fmac_f32_e32 v25, v26, v25
	v_mul_f32_e32 v26, v19, v25
	v_fma_f32 v27, -v17, v26, v19
	v_fmac_f32_e32 v26, v27, v25
	v_fma_f32 v17, -v17, v26, v19
	v_div_fmas_f32 v17, v17, v25, v26
	v_div_fixup_f32 v16, v17, v16, s8
	v_add_f32_e32 v25, 0, v16
	v_mov_b32_e32 v17, -1.0
.LBB63_45:
	s_or_b64 exec, exec, s[14:15]
	v_cvt_f32_f16_sdwa v16, v14 dst_sel:DWORD dst_unused:UNUSED_PAD src0_sel:WORD_1
	v_mov_b32_e32 v19, 0x3800
	v_cmp_lt_f16_sdwa s[4:5], v14, v19 src0_sel:WORD_1 src1_sel:DWORD
	v_mov_b32_e32 v19, 0
	v_mov_b32_e32 v14, 1.0
	s_and_saveexec_b64 s[14:15], s[4:5]
	s_cbranch_execz .LBB63_51
; %bb.46:
	v_mul_f32_e32 v14, 0x40490fdb, v16
	s_brev_b32 s4, 18
	v_and_b32_e32 v19, 0x7fffffff, v14
	v_cmp_nlt_f32_e64 s[4:5], |v14|, s4
                                        ; implicit-def: $vgpr26
                                        ; implicit-def: $vgpr27
	s_and_saveexec_b64 s[8:9], s[4:5]
	s_xor_b64 s[20:21], exec, s[8:9]
	s_cbranch_execz .LBB63_48
; %bb.47:
	v_and_b32_e32 v26, 0x7fffff, v19
	v_or_b32_e32 v35, 0x800000, v26
	s_mov_b32 s4, 0xfe5163ab
	v_mad_u64_u32 v[26:27], s[4:5], v35, s4, 0
	v_mov_b32_e32 v28, 0
	s_mov_b32 s4, 0x3c439041
	v_mad_u64_u32 v[29:30], s[4:5], v35, s4, v[27:28]
	s_mov_b32 s4, 0xdb629599
	v_not_b32_e32 v34, 63
	v_mov_b32_e32 v27, v30
	v_mad_u64_u32 v[30:31], s[4:5], v35, s4, v[27:28]
	s_mov_b32 s4, 0xf534ddc0
	v_not_b32_e32 v37, 31
	v_mov_b32_e32 v27, v31
	v_mad_u64_u32 v[31:32], s[4:5], v35, s4, v[27:28]
	v_lshrrev_b32_e32 v27, 23, v19
	v_add_u32_e32 v36, 0xffffff88, v27
	v_mov_b32_e32 v27, v32
	s_mov_b32 s4, 0xfc2757d1
	v_mad_u64_u32 v[32:33], s[4:5], v35, s4, v[27:28]
	v_cmp_lt_u32_e32 vcc, 63, v36
	v_cndmask_b32_e32 v27, 0, v34, vcc
	v_add_u32_e32 v36, v27, v36
	v_mov_b32_e32 v27, v33
	s_mov_b32 s4, 0x4e441529
	v_mad_u64_u32 v[33:34], s[4:5], v35, s4, v[27:28]
	v_cmp_lt_u32_e64 s[4:5], 31, v36
	v_cndmask_b32_e64 v27, 0, v37, s[4:5]
	v_add_u32_e32 v36, v27, v36
	v_mov_b32_e32 v27, v34
	s_mov_b32 s8, 0xa2f9836e
	v_mad_u64_u32 v[27:28], s[8:9], v35, s8, v[27:28]
	v_cmp_lt_u32_e64 s[8:9], 31, v36
	v_cndmask_b32_e64 v34, 0, v37, s[8:9]
	v_cndmask_b32_e32 v35, v33, v31, vcc
	v_cndmask_b32_e32 v27, v27, v32, vcc
	;; [unrolled: 1-line block ×3, first 2 shown]
	v_add_u32_e32 v34, v34, v36
	v_cndmask_b32_e64 v36, v27, v35, s[4:5]
	v_cndmask_b32_e64 v27, v28, v27, s[4:5]
	v_cndmask_b32_e32 v28, v32, v30, vcc
	v_cndmask_b32_e64 v32, v35, v28, s[4:5]
	v_cndmask_b32_e64 v27, v27, v36, s[8:9]
	;; [unrolled: 1-line block ×3, first 2 shown]
	v_sub_u32_e32 v35, 32, v34
	v_alignbit_b32 v36, v27, v33, v35
	v_cmp_eq_u32_e64 s[10:11], 0, v34
	v_cndmask_b32_e64 v34, v36, v27, s[10:11]
	v_cndmask_b32_e32 v27, v31, v29, vcc
	v_cndmask_b32_e64 v28, v28, v27, s[4:5]
	v_cndmask_b32_e64 v29, v32, v28, s[8:9]
	v_alignbit_b32 v31, v33, v29, v35
	v_cndmask_b32_e32 v26, v30, v26, vcc
	v_cndmask_b32_e64 v31, v31, v33, s[10:11]
	v_bfe_u32 v36, v34, 29, 1
	v_cndmask_b32_e64 v26, v27, v26, s[4:5]
	v_alignbit_b32 v32, v34, v31, 30
	v_sub_u32_e32 v37, 0, v36
	v_cndmask_b32_e64 v26, v28, v26, s[8:9]
	v_xor_b32_e32 v32, v32, v37
	v_alignbit_b32 v27, v29, v26, v35
	v_cndmask_b32_e64 v27, v27, v29, s[10:11]
	v_ffbh_u32_e32 v29, v32
	v_alignbit_b32 v28, v31, v27, 30
	v_min_u32_e32 v29, 32, v29
	v_alignbit_b32 v26, v27, v26, 30
	v_xor_b32_e32 v28, v28, v37
	v_sub_u32_e32 v30, 31, v29
	v_xor_b32_e32 v26, v26, v37
	v_alignbit_b32 v31, v32, v28, v30
	v_alignbit_b32 v26, v28, v26, v30
	;; [unrolled: 1-line block ×3, first 2 shown]
	v_ffbh_u32_e32 v28, v27
	v_min_u32_e32 v28, 32, v28
	v_lshrrev_b32_e32 v33, 29, v34
	v_not_b32_e32 v30, v28
	v_alignbit_b32 v26, v27, v26, v30
	v_lshlrev_b32_e32 v27, 31, v33
	v_or_b32_e32 v30, 0x33000000, v27
	v_add_lshl_u32 v28, v28, v29, 23
	v_lshrrev_b32_e32 v26, 9, v26
	v_sub_u32_e32 v28, v30, v28
	v_or_b32_e32 v27, 0.5, v27
	v_lshlrev_b32_e32 v29, 23, v29
	v_or_b32_e32 v26, v28, v26
	v_lshrrev_b32_e32 v28, 9, v31
	v_sub_u32_e32 v27, v27, v29
	v_or_b32_e32 v27, v28, v27
	s_mov_b32 s4, 0x3fc90fda
	v_mul_f32_e32 v28, 0x3fc90fda, v27
	v_fma_f32 v29, v27, s4, -v28
	v_fmac_f32_e32 v29, 0x33a22168, v27
	v_fmac_f32_e32 v29, 0x3fc90fda, v26
	v_lshrrev_b32_e32 v26, 30, v34
	v_add_f32_e32 v27, v28, v29
	v_add_u32_e32 v26, v36, v26
.LBB63_48:
	s_andn2_saveexec_b64 s[4:5], s[20:21]
	s_cbranch_execz .LBB63_50
; %bb.49:
	s_mov_b32 s8, 0x3f22f983
	v_mul_f32_e64 v26, |v14|, s8
	v_rndne_f32_e32 v28, v26
	s_mov_b32 s8, 0xbfc90fda
	v_cvt_i32_f32_e32 v26, v28
	v_fma_f32 v27, v28, s8, |v14|
	v_fmac_f32_e32 v27, 0xb3a22168, v28
	v_fmac_f32_e32 v27, 0xa7c234c4, v28
.LBB63_50:
	s_or_b64 exec, exec, s[4:5]
	v_mul_f32_e32 v28, v27, v27
	v_mov_b32_e32 v29, 0x3c0881c4
	v_fmac_f32_e32 v29, 0xb94c1982, v28
	v_mov_b32_e32 v30, 0xbe2aaa9d
	v_fmac_f32_e32 v30, v28, v29
	v_mul_f32_e32 v29, v28, v30
	v_fmac_f32_e32 v27, v27, v29
	v_mov_b32_e32 v29, 0xbab64f3b
	v_fmac_f32_e32 v29, 0x37d75334, v28
	v_mov_b32_e32 v30, 0x3d2aabf7
	;; [unrolled: 2-line block ×3, first 2 shown]
	v_fmac_f32_e32 v29, v28, v30
	v_fma_f32 v28, v28, v29, 1.0
	v_and_b32_e32 v29, 1, v26
	v_lshlrev_b32_e32 v26, 30, v26
	v_cmp_eq_u32_e32 vcc, 0, v29
	v_and_b32_e32 v26, 0x80000000, v26
	v_xor_b32_e32 v19, v19, v14
	v_cndmask_b32_e32 v27, v28, v27, vcc
	v_xor_b32_e32 v19, v19, v26
	s_movk_i32 s4, 0x1f8
	v_xor_b32_e32 v19, v19, v27
	v_mov_b32_e32 v26, 0x7fc00000
	v_cmp_class_f32_e64 vcc, v14, s4
	v_cndmask_b32_e32 v14, v26, v19, vcc
	v_mul_f32_e32 v14, v14, v14
	s_mov_b32 s8, 0xc11de9e7
	v_div_scale_f32 v19, s[4:5], v14, v14, s8
	v_div_scale_f32 v26, vcc, s8, v14, s8
	v_sub_f32_e32 v16, 1.0, v16
	v_rcp_f32_e32 v27, v19
	v_fma_f32 v28, -v19, v27, 1.0
	v_fmac_f32_e32 v27, v28, v27
	v_mul_f32_e32 v28, v26, v27
	v_fma_f32 v29, -v19, v28, v26
	v_fmac_f32_e32 v28, v29, v27
	v_fma_f32 v19, -v19, v28, v26
	v_div_fmas_f32 v19, v19, v27, v28
	v_div_fixup_f32 v14, v19, v14, s8
	v_add_f32_e32 v19, 0, v14
	v_mov_b32_e32 v14, -1.0
.LBB63_51:
	s_or_b64 exec, exec, s[14:15]
	v_mul_f32_e32 v26, v22, v22
	v_div_scale_f32 v27, s[4:5], v26, v26, 1.0
	v_add_f32_e32 v22, 1.0, v22
	v_rcp_f32_e32 v28, v27
	v_fma_f32 v29, -v27, v28, 1.0
	v_fmac_f32_e32 v28, v29, v28
	v_div_scale_f32 v29, vcc, 1.0, v26, 1.0
	v_mul_f32_e32 v30, v29, v28
	v_fma_f32 v31, -v27, v30, v29
	v_fmac_f32_e32 v30, v31, v28
	v_fma_f32 v27, -v27, v30, v29
	v_div_fmas_f32 v27, v27, v28, v30
	v_div_fixup_f32 v26, v27, v26, 1.0
	v_add_f32_e32 v25, v25, v26
	v_mul_f32_e32 v26, v22, v22
	v_div_scale_f32 v27, s[4:5], v26, v26, 1.0
	v_add_f32_e32 v22, 1.0, v22
	v_rcp_f32_e32 v28, v27
	v_fma_f32 v29, -v27, v28, 1.0
	v_fmac_f32_e32 v28, v29, v28
	v_div_scale_f32 v29, vcc, 1.0, v26, 1.0
	v_mul_f32_e32 v30, v29, v28
	v_fma_f32 v31, -v27, v30, v29
	v_fmac_f32_e32 v30, v31, v28
	v_fma_f32 v27, -v27, v30, v29
	v_div_fmas_f32 v27, v27, v28, v30
	v_div_fixup_f32 v26, v27, v26, 1.0
	v_add_f32_e32 v25, v25, v26
	v_mul_f32_e32 v26, v22, v22
	v_div_scale_f32 v27, s[4:5], v26, v26, 1.0
	v_add_f32_e32 v22, 1.0, v22
	v_rcp_f32_e32 v28, v27
	v_fma_f32 v29, -v27, v28, 1.0
	v_fmac_f32_e32 v28, v29, v28
	v_div_scale_f32 v29, vcc, 1.0, v26, 1.0
	v_mul_f32_e32 v30, v29, v28
	v_fma_f32 v31, -v27, v30, v29
	v_fmac_f32_e32 v30, v31, v28
	v_fma_f32 v27, -v27, v30, v29
	v_div_fmas_f32 v27, v27, v28, v30
	v_div_fixup_f32 v26, v27, v26, 1.0
	v_add_f32_e32 v25, v25, v26
	v_mul_f32_e32 v26, v22, v22
	v_div_scale_f32 v27, s[4:5], v26, v26, 1.0
	v_add_f32_e32 v22, 1.0, v22
	v_rcp_f32_e32 v28, v27
	v_fma_f32 v29, -v27, v28, 1.0
	v_fmac_f32_e32 v28, v29, v28
	v_div_scale_f32 v29, vcc, 1.0, v26, 1.0
	v_mul_f32_e32 v30, v29, v28
	v_fma_f32 v31, -v27, v30, v29
	v_fmac_f32_e32 v30, v31, v28
	v_fma_f32 v27, -v27, v30, v29
	v_div_fmas_f32 v27, v27, v28, v30
	v_div_fixup_f32 v26, v27, v26, 1.0
	v_add_f32_e32 v25, v25, v26
	v_mul_f32_e32 v26, v22, v22
	v_div_scale_f32 v27, s[4:5], v26, v26, 1.0
	v_add_f32_e32 v22, 1.0, v22
	v_rcp_f32_e32 v28, v27
	v_fma_f32 v29, -v27, v28, 1.0
	v_fmac_f32_e32 v28, v29, v28
	v_div_scale_f32 v29, vcc, 1.0, v26, 1.0
	v_mul_f32_e32 v30, v29, v28
	v_fma_f32 v31, -v27, v30, v29
	v_fmac_f32_e32 v30, v31, v28
	v_fma_f32 v27, -v27, v30, v29
	v_div_fmas_f32 v27, v27, v28, v30
	v_div_fixup_f32 v26, v27, v26, 1.0
	v_add_f32_e32 v25, v25, v26
	v_mul_f32_e32 v26, v22, v22
	v_div_scale_f32 v27, s[4:5], v26, v26, 1.0
	v_rcp_f32_e32 v28, v27
	v_fma_f32 v29, -v27, v28, 1.0
	v_fmac_f32_e32 v28, v29, v28
	v_div_scale_f32 v29, vcc, 1.0, v26, 1.0
	v_mul_f32_e32 v30, v29, v28
	v_fma_f32 v31, -v27, v30, v29
	v_fmac_f32_e32 v30, v31, v28
	v_fma_f32 v27, -v27, v30, v29
	v_div_fmas_f32 v27, v27, v28, v30
	v_div_fixup_f32 v26, v27, v26, 1.0
	v_add_f32_e32 v25, v25, v26
	v_add_f32_e32 v26, 1.0, v22
	v_add_f32_e32 v22, v26, v26
	v_div_scale_f32 v27, s[4:5], v22, v22, 1.0
	v_rcp_f32_e32 v28, v27
	v_fma_f32 v29, -v27, v28, 1.0
	v_fmac_f32_e32 v28, v29, v28
	v_div_scale_f32 v29, vcc, 1.0, v22, 1.0
	v_mul_f32_e32 v30, v29, v28
	v_fma_f32 v31, -v27, v30, v29
	v_fmac_f32_e32 v30, v31, v28
	v_fma_f32 v27, -v27, v30, v29
	v_div_fmas_f32 v27, v27, v28, v30
	v_div_fixup_f32 v22, v27, v22, 1.0
	v_add_f32_e32 v27, 1.0, v22
	v_mul_f32_e32 v22, v26, v26
	v_div_scale_f32 v28, s[4:5], v22, v22, 1.0
	s_mov_b32 s4, 0x3e2aaaab
	v_rcp_f32_e32 v29, v28
	v_fma_f32 v30, -v28, v29, 1.0
	v_fmac_f32_e32 v29, v30, v29
	v_div_scale_f32 v30, vcc, 1.0, v22, 1.0
	v_mul_f32_e32 v31, v30, v29
	v_fma_f32 v32, -v28, v31, v30
	v_fmac_f32_e32 v31, v32, v29
	v_fma_f32 v28, -v28, v31, v30
	v_div_fmas_f32 v28, v28, v29, v31
	v_mov_b32_e32 v29, 0x3d088889
	v_div_fixup_f32 v28, v28, v22, 1.0
	v_fmac_f32_e32 v29, 0xbcc30c31, v28
	v_fma_f32 v29, -v28, v29, s4
	v_fmac_f32_e32 v27, v28, v29
	v_div_scale_f32 v28, s[8:9], v26, v26, v27
	v_mov_b32_e32 v22, 0x3d088889
	v_rcp_f32_e32 v29, v28
	v_fma_f32 v30, -v28, v29, 1.0
	v_fmac_f32_e32 v29, v30, v29
	v_div_scale_f32 v30, vcc, v27, v26, v27
	v_mul_f32_e32 v31, v30, v29
	v_fma_f32 v32, -v28, v31, v30
	v_fmac_f32_e32 v31, v32, v29
	v_fma_f32 v28, -v28, v31, v30
	v_div_fmas_f32 v28, v28, v29, v31
	v_div_fixup_f32 v26, v28, v26, v27
	v_add_f32_e32 v25, v25, v26
	v_fma_mixlo_f16 v17, v17, v25, 0
	v_mul_f32_e32 v25, v21, v21
	v_div_scale_f32 v26, s[8:9], v25, v25, 1.0
	v_add_f32_e32 v21, 1.0, v21
	v_rcp_f32_e32 v27, v26
	v_fma_f32 v28, -v26, v27, 1.0
	v_fmac_f32_e32 v27, v28, v27
	v_div_scale_f32 v28, vcc, 1.0, v25, 1.0
	v_mul_f32_e32 v29, v28, v27
	v_fma_f32 v30, -v26, v29, v28
	v_fmac_f32_e32 v29, v30, v27
	v_fma_f32 v26, -v26, v29, v28
	v_div_fmas_f32 v26, v26, v27, v29
	v_div_fixup_f32 v25, v26, v25, 1.0
	v_add_f32_e32 v24, v24, v25
	v_mul_f32_e32 v25, v21, v21
	v_div_scale_f32 v26, s[8:9], v25, v25, 1.0
	v_add_f32_e32 v21, 1.0, v21
	v_rcp_f32_e32 v27, v26
	v_fma_f32 v28, -v26, v27, 1.0
	v_fmac_f32_e32 v27, v28, v27
	v_div_scale_f32 v28, vcc, 1.0, v25, 1.0
	v_mul_f32_e32 v29, v28, v27
	v_fma_f32 v30, -v26, v29, v28
	v_fmac_f32_e32 v29, v30, v27
	v_fma_f32 v26, -v26, v29, v28
	v_div_fmas_f32 v26, v26, v27, v29
	v_div_fixup_f32 v25, v26, v25, 1.0
	v_add_f32_e32 v24, v24, v25
	;; [unrolled: 14-line block ×6, first 2 shown]
	v_add_f32_e32 v25, v21, v21
	v_div_scale_f32 v26, s[8:9], v25, v25, 1.0
	v_rcp_f32_e32 v27, v26
	v_fma_f32 v28, -v26, v27, 1.0
	v_fmac_f32_e32 v27, v28, v27
	v_div_scale_f32 v28, vcc, 1.0, v25, 1.0
	v_mul_f32_e32 v29, v28, v27
	v_fma_f32 v30, -v26, v29, v28
	v_fmac_f32_e32 v29, v30, v27
	v_fma_f32 v26, -v26, v29, v28
	v_div_fmas_f32 v26, v26, v27, v29
	v_div_fixup_f32 v25, v26, v25, 1.0
	v_mul_f32_e32 v26, v21, v21
	v_div_scale_f32 v27, s[8:9], v26, v26, 1.0
	v_add_f32_e32 v25, 1.0, v25
	v_rcp_f32_e32 v28, v27
	v_fma_f32 v29, -v27, v28, 1.0
	v_fmac_f32_e32 v28, v29, v28
	v_div_scale_f32 v29, vcc, 1.0, v26, 1.0
	v_mul_f32_e32 v30, v29, v28
	v_fma_f32 v31, -v27, v30, v29
	v_fmac_f32_e32 v30, v31, v28
	v_fma_f32 v27, -v27, v30, v29
	v_div_fmas_f32 v27, v27, v28, v30
	v_div_fixup_f32 v26, v27, v26, 1.0
	v_mov_b32_e32 v27, 0x3d088889
	v_fmac_f32_e32 v27, 0xbcc30c31, v26
	v_fma_f32 v27, -v26, v27, s4
	v_fmac_f32_e32 v25, v26, v27
	v_div_scale_f32 v26, s[8:9], v21, v21, v25
	v_rcp_f32_e32 v27, v26
	v_fma_f32 v28, -v26, v27, 1.0
	v_fmac_f32_e32 v27, v28, v27
	v_div_scale_f32 v28, vcc, v25, v21, v25
	v_mul_f32_e32 v29, v28, v27
	v_fma_f32 v30, -v26, v29, v28
	v_fmac_f32_e32 v29, v30, v27
	v_fma_f32 v26, -v26, v29, v28
	v_div_fmas_f32 v26, v26, v27, v29
	v_div_fixup_f32 v21, v26, v21, v25
	v_add_f32_e32 v21, v24, v21
	v_mul_f32_e32 v24, v18, v18
	v_div_scale_f32 v25, s[8:9], v24, v24, 1.0
	v_add_f32_e32 v18, 1.0, v18
	v_rcp_f32_e32 v26, v25
	v_fma_f32 v27, -v25, v26, 1.0
	v_fmac_f32_e32 v26, v27, v26
	v_div_scale_f32 v27, vcc, 1.0, v24, 1.0
	v_mul_f32_e32 v28, v27, v26
	v_fma_f32 v29, -v25, v28, v27
	v_fmac_f32_e32 v28, v29, v26
	v_fma_f32 v25, -v25, v28, v27
	v_div_fmas_f32 v25, v25, v26, v28
	v_div_fixup_f32 v24, v25, v24, 1.0
	v_add_f32_e32 v23, v23, v24
	v_mul_f32_e32 v24, v18, v18
	v_div_scale_f32 v25, s[8:9], v24, v24, 1.0
	v_add_f32_e32 v18, 1.0, v18
	v_rcp_f32_e32 v26, v25
	v_fma_f32 v27, -v25, v26, 1.0
	v_fmac_f32_e32 v26, v27, v26
	v_div_scale_f32 v27, vcc, 1.0, v24, 1.0
	v_mul_f32_e32 v28, v27, v26
	v_fma_f32 v29, -v25, v28, v27
	v_fmac_f32_e32 v28, v29, v26
	v_fma_f32 v25, -v25, v28, v27
	v_div_fmas_f32 v25, v25, v26, v28
	v_div_fixup_f32 v24, v25, v24, 1.0
	;; [unrolled: 14-line block ×6, first 2 shown]
	v_add_f32_e32 v23, v23, v24
	v_add_f32_e32 v24, v18, v18
	v_div_scale_f32 v25, s[8:9], v24, v24, 1.0
	v_rcp_f32_e32 v26, v25
	v_fma_f32 v27, -v25, v26, 1.0
	v_fmac_f32_e32 v26, v27, v26
	v_div_scale_f32 v27, vcc, 1.0, v24, 1.0
	v_mul_f32_e32 v28, v27, v26
	v_fma_f32 v29, -v25, v28, v27
	v_fmac_f32_e32 v28, v29, v26
	v_fma_f32 v25, -v25, v28, v27
	v_div_fmas_f32 v25, v25, v26, v28
	v_div_fixup_f32 v24, v25, v24, 1.0
	v_mul_f32_e32 v25, v18, v18
	v_div_scale_f32 v26, s[8:9], v25, v25, 1.0
	v_add_f32_e32 v24, 1.0, v24
	v_rcp_f32_e32 v27, v26
	v_fma_f32 v28, -v26, v27, 1.0
	v_fmac_f32_e32 v27, v28, v27
	v_div_scale_f32 v28, vcc, 1.0, v25, 1.0
	v_mul_f32_e32 v29, v28, v27
	v_fma_f32 v30, -v26, v29, v28
	v_fmac_f32_e32 v29, v30, v27
	v_fma_f32 v26, -v26, v29, v28
	v_div_fmas_f32 v26, v26, v27, v29
	v_div_fixup_f32 v25, v26, v25, 1.0
	v_mov_b32_e32 v26, 0x3d088889
	v_fmac_f32_e32 v26, 0xbcc30c31, v25
	v_fma_f32 v26, -v25, v26, s4
	v_fmac_f32_e32 v24, v25, v26
	v_div_scale_f32 v25, s[8:9], v18, v18, v24
	v_rcp_f32_e32 v26, v25
	v_fma_f32 v27, -v25, v26, 1.0
	v_fmac_f32_e32 v26, v27, v26
	v_div_scale_f32 v27, vcc, v24, v18, v24
	v_mul_f32_e32 v28, v27, v26
	v_fma_f32 v29, -v25, v28, v27
	v_fmac_f32_e32 v28, v29, v26
	v_fma_f32 v25, -v25, v28, v27
	v_div_fmas_f32 v25, v25, v26, v28
	v_div_fixup_f32 v18, v25, v18, v24
	v_add_f32_e32 v18, v23, v18
	v_fma_mixlo_f16 v18, v20, v18, 0
	v_mul_f32_e32 v20, v13, v13
	v_div_scale_f32 v23, s[8:9], v20, v20, 1.0
	v_add_f32_e32 v13, 1.0, v13
	v_fma_mixhi_f16 v18, v10, v21, 0
	v_rcp_f32_e32 v24, v23
	v_fma_f32 v25, -v23, v24, 1.0
	v_fmac_f32_e32 v24, v25, v24
	v_div_scale_f32 v25, vcc, 1.0, v20, 1.0
	v_mul_f32_e32 v26, v25, v24
	v_fma_f32 v27, -v23, v26, v25
	v_fmac_f32_e32 v26, v27, v24
	v_fma_f32 v23, -v23, v26, v25
	v_div_fmas_f32 v23, v23, v24, v26
	v_div_fixup_f32 v20, v23, v20, 1.0
	v_add_f32_e32 v15, v15, v20
	v_mul_f32_e32 v20, v13, v13
	v_div_scale_f32 v23, s[8:9], v20, v20, 1.0
	v_add_f32_e32 v13, 1.0, v13
	v_rcp_f32_e32 v24, v23
	v_fma_f32 v25, -v23, v24, 1.0
	v_fmac_f32_e32 v24, v25, v24
	v_div_scale_f32 v25, vcc, 1.0, v20, 1.0
	v_mul_f32_e32 v26, v25, v24
	v_fma_f32 v27, -v23, v26, v25
	v_fmac_f32_e32 v26, v27, v24
	v_fma_f32 v23, -v23, v26, v25
	v_div_fmas_f32 v23, v23, v24, v26
	v_div_fixup_f32 v20, v23, v20, 1.0
	v_add_f32_e32 v15, v15, v20
	v_mul_f32_e32 v20, v13, v13
	v_div_scale_f32 v23, s[8:9], v20, v20, 1.0
	v_add_f32_e32 v13, 1.0, v13
	;; [unrolled: 14-line block ×5, first 2 shown]
	v_rcp_f32_e32 v24, v23
	v_fma_f32 v25, -v23, v24, 1.0
	v_fmac_f32_e32 v24, v25, v24
	v_div_scale_f32 v25, vcc, 1.0, v20, 1.0
	v_mul_f32_e32 v26, v25, v24
	v_fma_f32 v27, -v23, v26, v25
	v_fmac_f32_e32 v26, v27, v24
	v_fma_f32 v23, -v23, v26, v25
	v_div_fmas_f32 v23, v23, v24, v26
	v_div_fixup_f32 v20, v23, v20, 1.0
	v_add_f32_e32 v15, v15, v20
	v_add_f32_e32 v20, v13, v13
	v_div_scale_f32 v23, s[8:9], v20, v20, 1.0
	v_rcp_f32_e32 v24, v23
	v_fma_f32 v25, -v23, v24, 1.0
	v_fmac_f32_e32 v24, v25, v24
	v_div_scale_f32 v25, vcc, 1.0, v20, 1.0
	v_mul_f32_e32 v26, v25, v24
	v_fma_f32 v27, -v23, v26, v25
	v_fmac_f32_e32 v26, v27, v24
	v_fma_f32 v23, -v23, v26, v25
	v_div_fmas_f32 v23, v23, v24, v26
	v_div_fixup_f32 v20, v23, v20, 1.0
	v_mul_f32_e32 v23, v13, v13
	v_div_scale_f32 v24, s[8:9], v23, v23, 1.0
	v_add_f32_e32 v20, 1.0, v20
	v_rcp_f32_e32 v25, v24
	v_fma_f32 v26, -v24, v25, 1.0
	v_fmac_f32_e32 v25, v26, v25
	v_div_scale_f32 v26, vcc, 1.0, v23, 1.0
	v_mul_f32_e32 v27, v26, v25
	v_fma_f32 v28, -v24, v27, v26
	v_fmac_f32_e32 v27, v28, v25
	v_fma_f32 v24, -v24, v27, v26
	v_div_fmas_f32 v24, v24, v25, v27
	v_div_fixup_f32 v23, v24, v23, 1.0
	v_mov_b32_e32 v24, 0x3d088889
	v_fmac_f32_e32 v24, 0xbcc30c31, v23
	v_fma_f32 v24, -v23, v24, s4
	v_fmac_f32_e32 v20, v23, v24
	v_div_scale_f32 v23, s[8:9], v13, v13, v20
	v_rcp_f32_e32 v24, v23
	v_fma_f32 v25, -v23, v24, 1.0
	v_fmac_f32_e32 v24, v25, v24
	v_div_scale_f32 v25, vcc, v20, v13, v20
	v_mul_f32_e32 v26, v25, v24
	v_fma_f32 v27, -v23, v26, v25
	v_fmac_f32_e32 v26, v27, v24
	v_fma_f32 v23, -v23, v26, v25
	v_div_fmas_f32 v23, v23, v24, v26
	v_div_fixup_f32 v13, v23, v13, v20
	v_add_f32_e32 v13, v15, v13
	v_mul_f32_e32 v15, v9, v9
	v_div_scale_f32 v20, s[8:9], v15, v15, 1.0
	v_add_f32_e32 v9, 1.0, v9
	v_rcp_f32_e32 v23, v20
	v_fma_f32 v24, -v20, v23, 1.0
	v_fmac_f32_e32 v23, v24, v23
	v_div_scale_f32 v24, vcc, 1.0, v15, 1.0
	v_mul_f32_e32 v25, v24, v23
	v_fma_f32 v26, -v20, v25, v24
	v_fmac_f32_e32 v25, v26, v23
	v_fma_f32 v20, -v20, v25, v24
	v_div_fmas_f32 v20, v20, v23, v25
	v_div_fixup_f32 v15, v20, v15, 1.0
	v_add_f32_e32 v12, v12, v15
	v_mul_f32_e32 v15, v9, v9
	v_div_scale_f32 v20, s[8:9], v15, v15, 1.0
	v_add_f32_e32 v9, 1.0, v9
	v_rcp_f32_e32 v23, v20
	v_fma_f32 v24, -v20, v23, 1.0
	v_fmac_f32_e32 v23, v24, v23
	v_div_scale_f32 v24, vcc, 1.0, v15, 1.0
	v_mul_f32_e32 v25, v24, v23
	v_fma_f32 v26, -v20, v25, v24
	v_fmac_f32_e32 v25, v26, v23
	v_fma_f32 v20, -v20, v25, v24
	v_div_fmas_f32 v20, v20, v23, v25
	v_div_fixup_f32 v15, v20, v15, 1.0
	;; [unrolled: 14-line block ×6, first 2 shown]
	v_add_f32_e32 v12, v12, v15
	v_add_f32_e32 v15, v9, v9
	v_div_scale_f32 v20, s[8:9], v15, v15, 1.0
	v_rcp_f32_e32 v23, v20
	v_fma_f32 v24, -v20, v23, 1.0
	v_fmac_f32_e32 v23, v24, v23
	v_div_scale_f32 v24, vcc, 1.0, v15, 1.0
	v_mul_f32_e32 v25, v24, v23
	v_fma_f32 v26, -v20, v25, v24
	v_fmac_f32_e32 v25, v26, v23
	v_fma_f32 v20, -v20, v25, v24
	v_div_fmas_f32 v20, v20, v23, v25
	v_div_fixup_f32 v15, v20, v15, 1.0
	v_mul_f32_e32 v20, v9, v9
	v_div_scale_f32 v23, s[8:9], v20, v20, 1.0
	v_add_f32_e32 v15, 1.0, v15
	v_rcp_f32_e32 v24, v23
	v_fma_f32 v25, -v23, v24, 1.0
	v_fmac_f32_e32 v24, v25, v24
	v_div_scale_f32 v25, vcc, 1.0, v20, 1.0
	v_mul_f32_e32 v26, v25, v24
	v_fma_f32 v27, -v23, v26, v25
	v_fmac_f32_e32 v26, v27, v24
	v_fma_f32 v23, -v23, v26, v25
	v_div_fmas_f32 v23, v23, v24, v26
	v_div_fixup_f32 v20, v23, v20, 1.0
	v_mov_b32_e32 v23, 0x3d088889
	v_fmac_f32_e32 v23, 0xbcc30c31, v20
	v_fma_f32 v23, -v20, v23, s4
	v_fmac_f32_e32 v15, v20, v23
	v_div_scale_f32 v20, s[8:9], v9, v9, v15
	v_rcp_f32_e32 v23, v20
	v_fma_f32 v24, -v20, v23, 1.0
	v_fmac_f32_e32 v23, v24, v23
	v_div_scale_f32 v24, vcc, v15, v9, v15
	v_mul_f32_e32 v25, v24, v23
	v_fma_f32 v26, -v20, v25, v24
	v_fmac_f32_e32 v25, v26, v23
	v_fma_f32 v20, -v20, v25, v24
	v_div_fmas_f32 v20, v20, v23, v25
	v_div_fixup_f32 v9, v20, v9, v15
	v_add_f32_e32 v9, v12, v9
	v_fma_mixlo_f16 v9, v11, v9, 0
	v_mul_f32_e32 v11, v7, v7
	v_div_scale_f32 v12, s[8:9], v11, v11, 1.0
	v_add_f32_e32 v7, 1.0, v7
	v_fma_mixhi_f16 v9, v6, v13, 0
	v_rcp_f32_e32 v15, v12
	v_fma_f32 v20, -v12, v15, 1.0
	v_fmac_f32_e32 v15, v20, v15
	v_div_scale_f32 v20, vcc, 1.0, v11, 1.0
	v_mul_f32_e32 v23, v20, v15
	v_fma_f32 v24, -v12, v23, v20
	v_fmac_f32_e32 v23, v24, v15
	v_fma_f32 v12, -v12, v23, v20
	v_div_fmas_f32 v12, v12, v15, v23
	v_div_fixup_f32 v11, v12, v11, 1.0
	v_add_f32_e32 v8, v8, v11
	v_mul_f32_e32 v11, v7, v7
	v_div_scale_f32 v12, s[8:9], v11, v11, 1.0
	v_add_f32_e32 v7, 1.0, v7
	v_rcp_f32_e32 v15, v12
	v_fma_f32 v20, -v12, v15, 1.0
	v_fmac_f32_e32 v15, v20, v15
	v_div_scale_f32 v20, vcc, 1.0, v11, 1.0
	v_mul_f32_e32 v23, v20, v15
	v_fma_f32 v24, -v12, v23, v20
	v_fmac_f32_e32 v23, v24, v15
	v_fma_f32 v12, -v12, v23, v20
	v_div_fmas_f32 v12, v12, v15, v23
	v_div_fixup_f32 v11, v12, v11, 1.0
	v_add_f32_e32 v8, v8, v11
	v_mul_f32_e32 v11, v7, v7
	v_div_scale_f32 v12, s[8:9], v11, v11, 1.0
	v_add_f32_e32 v7, 1.0, v7
	;; [unrolled: 14-line block ×5, first 2 shown]
	v_rcp_f32_e32 v15, v12
	v_fma_f32 v20, -v12, v15, 1.0
	v_fmac_f32_e32 v15, v20, v15
	v_div_scale_f32 v20, vcc, 1.0, v11, 1.0
	v_mul_f32_e32 v23, v20, v15
	v_fma_f32 v24, -v12, v23, v20
	v_fmac_f32_e32 v23, v24, v15
	v_fma_f32 v12, -v12, v23, v20
	v_div_fmas_f32 v12, v12, v15, v23
	v_div_fixup_f32 v11, v12, v11, 1.0
	v_add_f32_e32 v8, v8, v11
	v_add_f32_e32 v11, v7, v7
	v_div_scale_f32 v12, s[8:9], v11, v11, 1.0
	v_rcp_f32_e32 v15, v12
	v_fma_f32 v20, -v12, v15, 1.0
	v_fmac_f32_e32 v15, v20, v15
	v_div_scale_f32 v20, vcc, 1.0, v11, 1.0
	v_mul_f32_e32 v23, v20, v15
	v_fma_f32 v24, -v12, v23, v20
	v_fmac_f32_e32 v23, v24, v15
	v_fma_f32 v12, -v12, v23, v20
	v_div_fmas_f32 v12, v12, v15, v23
	v_div_fixup_f32 v11, v12, v11, 1.0
	v_mul_f32_e32 v12, v7, v7
	v_div_scale_f32 v15, s[8:9], v12, v12, 1.0
	v_add_f32_e32 v11, 1.0, v11
	v_rcp_f32_e32 v20, v15
	v_fma_f32 v23, -v15, v20, 1.0
	v_fmac_f32_e32 v20, v23, v20
	v_div_scale_f32 v23, vcc, 1.0, v12, 1.0
	v_mul_f32_e32 v24, v23, v20
	v_fma_f32 v25, -v15, v24, v23
	v_fmac_f32_e32 v24, v25, v20
	v_fma_f32 v15, -v15, v24, v23
	v_div_fmas_f32 v15, v15, v20, v24
	v_div_fixup_f32 v12, v15, v12, 1.0
	v_mov_b32_e32 v15, 0x3d088889
	v_fmac_f32_e32 v15, 0xbcc30c31, v12
	v_fma_f32 v15, -v12, v15, s4
	v_fmac_f32_e32 v11, v12, v15
	v_div_scale_f32 v12, s[8:9], v7, v7, v11
	v_rcp_f32_e32 v15, v12
	v_fma_f32 v20, -v12, v15, 1.0
	v_fmac_f32_e32 v15, v20, v15
	v_div_scale_f32 v20, vcc, v11, v7, v11
	v_mul_f32_e32 v23, v20, v15
	v_fma_f32 v24, -v12, v23, v20
	v_fmac_f32_e32 v23, v24, v15
	v_fma_f32 v12, -v12, v23, v20
	v_div_fmas_f32 v12, v12, v15, v23
	v_div_fixup_f32 v7, v12, v7, v11
	v_add_f32_e32 v7, v8, v7
	v_mul_f32_e32 v8, v3, v3
	v_div_scale_f32 v11, s[8:9], v8, v8, 1.0
	v_add_f32_e32 v3, 1.0, v3
	v_rcp_f32_e32 v12, v11
	v_fma_f32 v15, -v11, v12, 1.0
	v_fmac_f32_e32 v12, v15, v12
	v_div_scale_f32 v15, vcc, 1.0, v8, 1.0
	v_mul_f32_e32 v20, v15, v12
	v_fma_f32 v23, -v11, v20, v15
	v_fmac_f32_e32 v20, v23, v12
	v_fma_f32 v11, -v11, v20, v15
	v_div_fmas_f32 v11, v11, v12, v20
	v_div_fixup_f32 v8, v11, v8, 1.0
	v_add_f32_e32 v5, v5, v8
	v_mul_f32_e32 v8, v3, v3
	v_div_scale_f32 v11, s[8:9], v8, v8, 1.0
	v_add_f32_e32 v3, 1.0, v3
	v_rcp_f32_e32 v12, v11
	v_fma_f32 v15, -v11, v12, 1.0
	v_fmac_f32_e32 v12, v15, v12
	v_div_scale_f32 v15, vcc, 1.0, v8, 1.0
	v_mul_f32_e32 v20, v15, v12
	v_fma_f32 v23, -v11, v20, v15
	v_fmac_f32_e32 v20, v23, v12
	v_fma_f32 v11, -v11, v20, v15
	v_div_fmas_f32 v11, v11, v12, v20
	v_div_fixup_f32 v8, v11, v8, 1.0
	;; [unrolled: 14-line block ×6, first 2 shown]
	v_add_f32_e32 v5, v5, v8
	v_add_f32_e32 v8, v3, v3
	v_div_scale_f32 v11, s[8:9], v8, v8, 1.0
	v_rcp_f32_e32 v12, v11
	v_fma_f32 v15, -v11, v12, 1.0
	v_fmac_f32_e32 v12, v15, v12
	v_div_scale_f32 v15, vcc, 1.0, v8, 1.0
	v_mul_f32_e32 v20, v15, v12
	v_fma_f32 v23, -v11, v20, v15
	v_fmac_f32_e32 v20, v23, v12
	v_fma_f32 v11, -v11, v20, v15
	v_div_fmas_f32 v11, v11, v12, v20
	v_div_fixup_f32 v8, v11, v8, 1.0
	v_mul_f32_e32 v11, v3, v3
	v_div_scale_f32 v12, s[8:9], v11, v11, 1.0
	v_add_f32_e32 v8, 1.0, v8
	v_rcp_f32_e32 v15, v12
	v_fma_f32 v20, -v12, v15, 1.0
	v_fmac_f32_e32 v15, v20, v15
	v_div_scale_f32 v20, vcc, 1.0, v11, 1.0
	v_mul_f32_e32 v23, v20, v15
	v_fma_f32 v24, -v12, v23, v20
	v_fmac_f32_e32 v23, v24, v15
	v_fma_f32 v12, -v12, v23, v20
	v_div_fmas_f32 v12, v12, v15, v23
	v_div_fixup_f32 v11, v12, v11, 1.0
	v_mov_b32_e32 v12, 0x3d088889
	v_fmac_f32_e32 v12, 0xbcc30c31, v11
	v_fma_f32 v12, -v11, v12, s4
	v_fmac_f32_e32 v8, v11, v12
	v_div_scale_f32 v11, s[8:9], v3, v3, v8
	v_rcp_f32_e32 v12, v11
	v_fma_f32 v15, -v11, v12, 1.0
	v_fmac_f32_e32 v12, v15, v12
	v_div_scale_f32 v15, vcc, v8, v3, v8
	v_mul_f32_e32 v20, v15, v12
	v_fma_f32 v23, -v11, v20, v15
	v_fmac_f32_e32 v20, v23, v12
	v_fma_f32 v11, -v11, v20, v15
	v_div_fmas_f32 v11, v11, v12, v20
	v_div_fixup_f32 v3, v11, v3, v8
	v_add_f32_e32 v3, v5, v3
	v_fma_mixlo_f16 v3, v4, v3, 0
	v_mul_f32_e32 v4, v16, v16
	v_div_scale_f32 v5, s[8:9], v4, v4, 1.0
	v_fma_mixhi_f16 v3, v2, v7, 0
	v_rcp_f32_e32 v8, v5
	v_fma_f32 v11, -v5, v8, 1.0
	v_fmac_f32_e32 v8, v11, v8
	v_div_scale_f32 v11, vcc, 1.0, v4, 1.0
	v_mul_f32_e32 v12, v11, v8
	v_fma_f32 v15, -v5, v12, v11
	v_fmac_f32_e32 v12, v15, v8
	v_fma_f32 v5, -v5, v12, v11
	v_div_fmas_f32 v5, v5, v8, v12
	v_div_fixup_f32 v4, v5, v4, 1.0
	v_add_f32_e32 v5, 1.0, v16
	v_mul_f32_e32 v8, v5, v5
	v_div_scale_f32 v11, s[8:9], v8, v8, 1.0
	v_add_f32_e32 v4, v19, v4
	v_add_f32_e32 v5, 1.0, v5
	v_rcp_f32_e32 v12, v11
	v_fma_f32 v15, -v11, v12, 1.0
	v_fmac_f32_e32 v12, v15, v12
	v_div_scale_f32 v15, vcc, 1.0, v8, 1.0
	v_mul_f32_e32 v16, v15, v12
	v_fma_f32 v19, -v11, v16, v15
	v_fmac_f32_e32 v16, v19, v12
	v_fma_f32 v11, -v11, v16, v15
	v_div_fmas_f32 v11, v11, v12, v16
	v_div_fixup_f32 v8, v11, v8, 1.0
	v_add_f32_e32 v4, v4, v8
	v_mul_f32_e32 v8, v5, v5
	v_div_scale_f32 v11, s[8:9], v8, v8, 1.0
	v_add_f32_e32 v5, 1.0, v5
	v_rcp_f32_e32 v12, v11
	v_fma_f32 v15, -v11, v12, 1.0
	v_fmac_f32_e32 v12, v15, v12
	v_div_scale_f32 v15, vcc, 1.0, v8, 1.0
	v_mul_f32_e32 v16, v15, v12
	v_fma_f32 v19, -v11, v16, v15
	v_fmac_f32_e32 v16, v19, v12
	v_fma_f32 v11, -v11, v16, v15
	v_div_fmas_f32 v11, v11, v12, v16
	v_div_fixup_f32 v8, v11, v8, 1.0
	v_add_f32_e32 v4, v4, v8
	v_mul_f32_e32 v8, v5, v5
	v_div_scale_f32 v11, s[8:9], v8, v8, 1.0
	v_add_f32_e32 v5, 1.0, v5
	v_rcp_f32_e32 v12, v11
	v_fma_f32 v15, -v11, v12, 1.0
	v_fmac_f32_e32 v12, v15, v12
	v_div_scale_f32 v15, vcc, 1.0, v8, 1.0
	v_mul_f32_e32 v16, v15, v12
	v_fma_f32 v19, -v11, v16, v15
	v_fmac_f32_e32 v16, v19, v12
	v_fma_f32 v11, -v11, v16, v15
	v_div_fmas_f32 v11, v11, v12, v16
	v_div_fixup_f32 v8, v11, v8, 1.0
	v_add_f32_e32 v4, v4, v8
	v_mul_f32_e32 v8, v5, v5
	v_div_scale_f32 v11, s[8:9], v8, v8, 1.0
	v_add_f32_e32 v5, 1.0, v5
	v_rcp_f32_e32 v12, v11
	v_fma_f32 v15, -v11, v12, 1.0
	v_fmac_f32_e32 v12, v15, v12
	v_div_scale_f32 v15, vcc, 1.0, v8, 1.0
	v_mul_f32_e32 v16, v15, v12
	v_fma_f32 v19, -v11, v16, v15
	v_fmac_f32_e32 v16, v19, v12
	v_fma_f32 v11, -v11, v16, v15
	v_div_fmas_f32 v11, v11, v12, v16
	v_div_fixup_f32 v8, v11, v8, 1.0
	v_add_f32_e32 v4, v4, v8
	v_mul_f32_e32 v8, v5, v5
	v_div_scale_f32 v11, s[8:9], v8, v8, 1.0
	v_add_f32_e32 v5, 1.0, v5
	v_rcp_f32_e32 v12, v11
	v_fma_f32 v15, -v11, v12, 1.0
	v_fmac_f32_e32 v12, v15, v12
	v_div_scale_f32 v15, vcc, 1.0, v8, 1.0
	v_mul_f32_e32 v16, v15, v12
	v_fma_f32 v19, -v11, v16, v15
	v_fmac_f32_e32 v16, v19, v12
	v_fma_f32 v11, -v11, v16, v15
	v_div_fmas_f32 v11, v11, v12, v16
	v_div_fixup_f32 v8, v11, v8, 1.0
	v_add_f32_e32 v4, v4, v8
	v_mul_f32_e32 v8, v5, v5
	v_div_scale_f32 v11, s[8:9], v8, v8, 1.0
	v_rcp_f32_e32 v12, v11
	v_fma_f32 v15, -v11, v12, 1.0
	v_fmac_f32_e32 v12, v15, v12
	v_div_scale_f32 v15, vcc, 1.0, v8, 1.0
	v_mul_f32_e32 v16, v15, v12
	v_fma_f32 v19, -v11, v16, v15
	v_fmac_f32_e32 v16, v19, v12
	v_fma_f32 v11, -v11, v16, v15
	v_div_fmas_f32 v11, v11, v12, v16
	v_div_fixup_f32 v8, v11, v8, 1.0
	v_add_f32_e32 v11, v5, v5
	v_div_scale_f32 v12, s[8:9], v11, v11, 1.0
	v_fmac_f32_e32 v22, 0xbcc30c31, v8
	v_rcp_f32_e32 v15, v12
	v_fma_f32 v16, -v12, v15, 1.0
	v_fmac_f32_e32 v15, v16, v15
	v_div_scale_f32 v16, vcc, 1.0, v11, 1.0
	v_mul_f32_e32 v19, v16, v15
	v_fma_f32 v20, -v12, v19, v16
	v_fmac_f32_e32 v19, v20, v15
	v_fma_f32 v12, -v12, v19, v16
	v_div_fmas_f32 v12, v12, v15, v19
	v_div_fixup_f32 v11, v12, v11, 1.0
	v_add_f32_e32 v11, 1.0, v11
	v_fma_f32 v12, -v8, v22, s4
	v_fmac_f32_e32 v11, v8, v12
	v_div_scale_f32 v8, s[4:5], v5, v5, v11
	s_add_u32 s4, s16, s12
	s_addc_u32 s5, s17, s13
	v_rcp_f32_e32 v12, v8
	s_nop 1
	global_store_dword v1, v3, s[4:5]
	global_store_dword v1, v9, s[4:5] offset:1024
	global_store_dword v1, v18, s[4:5] offset:2048
	v_fma_f32 v15, -v8, v12, 1.0
	v_fmac_f32_e32 v12, v15, v12
	v_div_scale_f32 v15, vcc, v11, v5, v11
	v_mul_f32_e32 v16, v15, v12
	v_fma_f32 v19, -v8, v16, v15
	v_fmac_f32_e32 v16, v19, v12
	v_fma_f32 v8, -v8, v16, v15
	v_div_fmas_f32 v8, v8, v12, v16
	v_div_fixup_f32 v5, v8, v5, v11
	v_add_f32_e32 v4, v4, v5
	v_fma_mixhi_f16 v17, v14, v4, 0
	global_store_dword v1, v17, s[4:5] offset:3072
	s_branch .LBB63_2
.LBB63_52:
	s_getpc_b64 s[4:5]
	s_add_u32 s4, s4, _ZN2at6native25elementwise_kernel_helperILb0EZZZNS0_20trigamma_kernel_cudaERNS_18TensorIteratorBaseEENKUlvE_clEvENKUlvE1_clEvEUlN3c104HalfEE_NS0_6memory8policies11unroll_baseILi256ESt5arrayIPcLm2EE23TrivialOffsetCalculatorILi1EjESG_NS9_15LoadWithoutCastENS9_16StoreWithoutCastELi8ELi1EEEEEvT0_T1_@rel32@lo+4
	s_addc_u32 s5, s5, _ZN2at6native25elementwise_kernel_helperILb0EZZZNS0_20trigamma_kernel_cudaERNS_18TensorIteratorBaseEENKUlvE_clEvENKUlvE1_clEvEUlN3c104HalfEE_NS0_6memory8policies11unroll_baseILi256ESt5arrayIPcLm2EE23TrivialOffsetCalculatorILi1EjESG_NS9_15LoadWithoutCastENS9_16StoreWithoutCastELi8ELi1EEEEEvT0_T1_@rel32@hi+12
	s_mov_b32 s12, s6
	v_mov_b32_e32 v31, v0
	v_mov_b32_e32 v0, s16
	;; [unrolled: 1-line block ×6, first 2 shown]
	s_swappc_b64 s[30:31], s[4:5]
	s_endpgm
	.section	.rodata,"a",@progbits
	.p2align	6, 0x0
	.amdhsa_kernel _ZN2at6native29vectorized_elementwise_kernelILi2EZZZNS0_20trigamma_kernel_cudaERNS_18TensorIteratorBaseEENKUlvE_clEvENKUlvE1_clEvEUlN3c104HalfEE_St5arrayIPcLm2EEEEviT0_T1_
		.amdhsa_group_segment_fixed_size 0
		.amdhsa_private_segment_fixed_size 0
		.amdhsa_kernarg_size 24
		.amdhsa_user_sgpr_count 6
		.amdhsa_user_sgpr_private_segment_buffer 1
		.amdhsa_user_sgpr_dispatch_ptr 0
		.amdhsa_user_sgpr_queue_ptr 0
		.amdhsa_user_sgpr_kernarg_segment_ptr 1
		.amdhsa_user_sgpr_dispatch_id 0
		.amdhsa_user_sgpr_flat_scratch_init 0
		.amdhsa_user_sgpr_private_segment_size 0
		.amdhsa_uses_dynamic_stack 0
		.amdhsa_system_sgpr_private_segment_wavefront_offset 0
		.amdhsa_system_sgpr_workgroup_id_x 1
		.amdhsa_system_sgpr_workgroup_id_y 0
		.amdhsa_system_sgpr_workgroup_id_z 0
		.amdhsa_system_sgpr_workgroup_info 0
		.amdhsa_system_vgpr_workitem_id 0
		.amdhsa_next_free_vgpr 38
		.amdhsa_next_free_sgpr 33
		.amdhsa_reserve_vcc 1
		.amdhsa_reserve_flat_scratch 0
		.amdhsa_float_round_mode_32 0
		.amdhsa_float_round_mode_16_64 0
		.amdhsa_float_denorm_mode_32 3
		.amdhsa_float_denorm_mode_16_64 3
		.amdhsa_dx10_clamp 1
		.amdhsa_ieee_mode 1
		.amdhsa_fp16_overflow 0
		.amdhsa_exception_fp_ieee_invalid_op 0
		.amdhsa_exception_fp_denorm_src 0
		.amdhsa_exception_fp_ieee_div_zero 0
		.amdhsa_exception_fp_ieee_overflow 0
		.amdhsa_exception_fp_ieee_underflow 0
		.amdhsa_exception_fp_ieee_inexact 0
		.amdhsa_exception_int_div_zero 0
	.end_amdhsa_kernel
	.section	.text._ZN2at6native29vectorized_elementwise_kernelILi2EZZZNS0_20trigamma_kernel_cudaERNS_18TensorIteratorBaseEENKUlvE_clEvENKUlvE1_clEvEUlN3c104HalfEE_St5arrayIPcLm2EEEEviT0_T1_,"axG",@progbits,_ZN2at6native29vectorized_elementwise_kernelILi2EZZZNS0_20trigamma_kernel_cudaERNS_18TensorIteratorBaseEENKUlvE_clEvENKUlvE1_clEvEUlN3c104HalfEE_St5arrayIPcLm2EEEEviT0_T1_,comdat
.Lfunc_end63:
	.size	_ZN2at6native29vectorized_elementwise_kernelILi2EZZZNS0_20trigamma_kernel_cudaERNS_18TensorIteratorBaseEENKUlvE_clEvENKUlvE1_clEvEUlN3c104HalfEE_St5arrayIPcLm2EEEEviT0_T1_, .Lfunc_end63-_ZN2at6native29vectorized_elementwise_kernelILi2EZZZNS0_20trigamma_kernel_cudaERNS_18TensorIteratorBaseEENKUlvE_clEvENKUlvE1_clEvEUlN3c104HalfEE_St5arrayIPcLm2EEEEviT0_T1_
                                        ; -- End function
	.set _ZN2at6native29vectorized_elementwise_kernelILi2EZZZNS0_20trigamma_kernel_cudaERNS_18TensorIteratorBaseEENKUlvE_clEvENKUlvE1_clEvEUlN3c104HalfEE_St5arrayIPcLm2EEEEviT0_T1_.num_vgpr, max(38, .L_ZN2at6native25elementwise_kernel_helperILb0EZZZNS0_20trigamma_kernel_cudaERNS_18TensorIteratorBaseEENKUlvE_clEvENKUlvE1_clEvEUlN3c104HalfEE_NS0_6memory8policies11unroll_baseILi256ESt5arrayIPcLm2EE23TrivialOffsetCalculatorILi1EjESG_NS9_15LoadWithoutCastENS9_16StoreWithoutCastELi8ELi1EEEEEvT0_T1_.num_vgpr)
	.set _ZN2at6native29vectorized_elementwise_kernelILi2EZZZNS0_20trigamma_kernel_cudaERNS_18TensorIteratorBaseEENKUlvE_clEvENKUlvE1_clEvEUlN3c104HalfEE_St5arrayIPcLm2EEEEviT0_T1_.num_agpr, max(0, .L_ZN2at6native25elementwise_kernel_helperILb0EZZZNS0_20trigamma_kernel_cudaERNS_18TensorIteratorBaseEENKUlvE_clEvENKUlvE1_clEvEUlN3c104HalfEE_NS0_6memory8policies11unroll_baseILi256ESt5arrayIPcLm2EE23TrivialOffsetCalculatorILi1EjESG_NS9_15LoadWithoutCastENS9_16StoreWithoutCastELi8ELi1EEEEEvT0_T1_.num_agpr)
	.set _ZN2at6native29vectorized_elementwise_kernelILi2EZZZNS0_20trigamma_kernel_cudaERNS_18TensorIteratorBaseEENKUlvE_clEvENKUlvE1_clEvEUlN3c104HalfEE_St5arrayIPcLm2EEEEviT0_T1_.numbered_sgpr, max(33, .L_ZN2at6native25elementwise_kernel_helperILb0EZZZNS0_20trigamma_kernel_cudaERNS_18TensorIteratorBaseEENKUlvE_clEvENKUlvE1_clEvEUlN3c104HalfEE_NS0_6memory8policies11unroll_baseILi256ESt5arrayIPcLm2EE23TrivialOffsetCalculatorILi1EjESG_NS9_15LoadWithoutCastENS9_16StoreWithoutCastELi8ELi1EEEEEvT0_T1_.numbered_sgpr)
	.set _ZN2at6native29vectorized_elementwise_kernelILi2EZZZNS0_20trigamma_kernel_cudaERNS_18TensorIteratorBaseEENKUlvE_clEvENKUlvE1_clEvEUlN3c104HalfEE_St5arrayIPcLm2EEEEviT0_T1_.num_named_barrier, max(0, .L_ZN2at6native25elementwise_kernel_helperILb0EZZZNS0_20trigamma_kernel_cudaERNS_18TensorIteratorBaseEENKUlvE_clEvENKUlvE1_clEvEUlN3c104HalfEE_NS0_6memory8policies11unroll_baseILi256ESt5arrayIPcLm2EE23TrivialOffsetCalculatorILi1EjESG_NS9_15LoadWithoutCastENS9_16StoreWithoutCastELi8ELi1EEEEEvT0_T1_.num_named_barrier)
	.set _ZN2at6native29vectorized_elementwise_kernelILi2EZZZNS0_20trigamma_kernel_cudaERNS_18TensorIteratorBaseEENKUlvE_clEvENKUlvE1_clEvEUlN3c104HalfEE_St5arrayIPcLm2EEEEviT0_T1_.private_seg_size, 0+max(.L_ZN2at6native25elementwise_kernel_helperILb0EZZZNS0_20trigamma_kernel_cudaERNS_18TensorIteratorBaseEENKUlvE_clEvENKUlvE1_clEvEUlN3c104HalfEE_NS0_6memory8policies11unroll_baseILi256ESt5arrayIPcLm2EE23TrivialOffsetCalculatorILi1EjESG_NS9_15LoadWithoutCastENS9_16StoreWithoutCastELi8ELi1EEEEEvT0_T1_.private_seg_size)
	.set _ZN2at6native29vectorized_elementwise_kernelILi2EZZZNS0_20trigamma_kernel_cudaERNS_18TensorIteratorBaseEENKUlvE_clEvENKUlvE1_clEvEUlN3c104HalfEE_St5arrayIPcLm2EEEEviT0_T1_.uses_vcc, or(1, .L_ZN2at6native25elementwise_kernel_helperILb0EZZZNS0_20trigamma_kernel_cudaERNS_18TensorIteratorBaseEENKUlvE_clEvENKUlvE1_clEvEUlN3c104HalfEE_NS0_6memory8policies11unroll_baseILi256ESt5arrayIPcLm2EE23TrivialOffsetCalculatorILi1EjESG_NS9_15LoadWithoutCastENS9_16StoreWithoutCastELi8ELi1EEEEEvT0_T1_.uses_vcc)
	.set _ZN2at6native29vectorized_elementwise_kernelILi2EZZZNS0_20trigamma_kernel_cudaERNS_18TensorIteratorBaseEENKUlvE_clEvENKUlvE1_clEvEUlN3c104HalfEE_St5arrayIPcLm2EEEEviT0_T1_.uses_flat_scratch, or(0, .L_ZN2at6native25elementwise_kernel_helperILb0EZZZNS0_20trigamma_kernel_cudaERNS_18TensorIteratorBaseEENKUlvE_clEvENKUlvE1_clEvEUlN3c104HalfEE_NS0_6memory8policies11unroll_baseILi256ESt5arrayIPcLm2EE23TrivialOffsetCalculatorILi1EjESG_NS9_15LoadWithoutCastENS9_16StoreWithoutCastELi8ELi1EEEEEvT0_T1_.uses_flat_scratch)
	.set _ZN2at6native29vectorized_elementwise_kernelILi2EZZZNS0_20trigamma_kernel_cudaERNS_18TensorIteratorBaseEENKUlvE_clEvENKUlvE1_clEvEUlN3c104HalfEE_St5arrayIPcLm2EEEEviT0_T1_.has_dyn_sized_stack, or(0, .L_ZN2at6native25elementwise_kernel_helperILb0EZZZNS0_20trigamma_kernel_cudaERNS_18TensorIteratorBaseEENKUlvE_clEvENKUlvE1_clEvEUlN3c104HalfEE_NS0_6memory8policies11unroll_baseILi256ESt5arrayIPcLm2EE23TrivialOffsetCalculatorILi1EjESG_NS9_15LoadWithoutCastENS9_16StoreWithoutCastELi8ELi1EEEEEvT0_T1_.has_dyn_sized_stack)
	.set _ZN2at6native29vectorized_elementwise_kernelILi2EZZZNS0_20trigamma_kernel_cudaERNS_18TensorIteratorBaseEENKUlvE_clEvENKUlvE1_clEvEUlN3c104HalfEE_St5arrayIPcLm2EEEEviT0_T1_.has_recursion, or(0, .L_ZN2at6native25elementwise_kernel_helperILb0EZZZNS0_20trigamma_kernel_cudaERNS_18TensorIteratorBaseEENKUlvE_clEvENKUlvE1_clEvEUlN3c104HalfEE_NS0_6memory8policies11unroll_baseILi256ESt5arrayIPcLm2EE23TrivialOffsetCalculatorILi1EjESG_NS9_15LoadWithoutCastENS9_16StoreWithoutCastELi8ELi1EEEEEvT0_T1_.has_recursion)
	.set _ZN2at6native29vectorized_elementwise_kernelILi2EZZZNS0_20trigamma_kernel_cudaERNS_18TensorIteratorBaseEENKUlvE_clEvENKUlvE1_clEvEUlN3c104HalfEE_St5arrayIPcLm2EEEEviT0_T1_.has_indirect_call, or(0, .L_ZN2at6native25elementwise_kernel_helperILb0EZZZNS0_20trigamma_kernel_cudaERNS_18TensorIteratorBaseEENKUlvE_clEvENKUlvE1_clEvEUlN3c104HalfEE_NS0_6memory8policies11unroll_baseILi256ESt5arrayIPcLm2EE23TrivialOffsetCalculatorILi1EjESG_NS9_15LoadWithoutCastENS9_16StoreWithoutCastELi8ELi1EEEEEvT0_T1_.has_indirect_call)
	.section	.AMDGPU.csdata,"",@progbits
; Kernel info:
; codeLenInByte = 14260
; TotalNumSgprs: 37
; NumVgprs: 38
; ScratchSize: 0
; MemoryBound: 0
; FloatMode: 240
; IeeeMode: 1
; LDSByteSize: 0 bytes/workgroup (compile time only)
; SGPRBlocks: 4
; VGPRBlocks: 9
; NumSGPRsForWavesPerEU: 37
; NumVGPRsForWavesPerEU: 38
; Occupancy: 6
; WaveLimiterHint : 1
; COMPUTE_PGM_RSRC2:SCRATCH_EN: 0
; COMPUTE_PGM_RSRC2:USER_SGPR: 6
; COMPUTE_PGM_RSRC2:TRAP_HANDLER: 0
; COMPUTE_PGM_RSRC2:TGID_X_EN: 1
; COMPUTE_PGM_RSRC2:TGID_Y_EN: 0
; COMPUTE_PGM_RSRC2:TGID_Z_EN: 0
; COMPUTE_PGM_RSRC2:TIDIG_COMP_CNT: 0
	.section	.text._ZN2at6native27unrolled_elementwise_kernelIZZZNS0_20trigamma_kernel_cudaERNS_18TensorIteratorBaseEENKUlvE_clEvENKUlvE1_clEvEUlN3c104HalfEE_St5arrayIPcLm2EELi4E23TrivialOffsetCalculatorILi1EjESD_NS0_6memory15LoadWithoutCastENSE_16StoreWithoutCastEEEviT_T0_T2_T3_T4_T5_,"axG",@progbits,_ZN2at6native27unrolled_elementwise_kernelIZZZNS0_20trigamma_kernel_cudaERNS_18TensorIteratorBaseEENKUlvE_clEvENKUlvE1_clEvEUlN3c104HalfEE_St5arrayIPcLm2EELi4E23TrivialOffsetCalculatorILi1EjESD_NS0_6memory15LoadWithoutCastENSE_16StoreWithoutCastEEEviT_T0_T2_T3_T4_T5_,comdat
	.globl	_ZN2at6native27unrolled_elementwise_kernelIZZZNS0_20trigamma_kernel_cudaERNS_18TensorIteratorBaseEENKUlvE_clEvENKUlvE1_clEvEUlN3c104HalfEE_St5arrayIPcLm2EELi4E23TrivialOffsetCalculatorILi1EjESD_NS0_6memory15LoadWithoutCastENSE_16StoreWithoutCastEEEviT_T0_T2_T3_T4_T5_ ; -- Begin function _ZN2at6native27unrolled_elementwise_kernelIZZZNS0_20trigamma_kernel_cudaERNS_18TensorIteratorBaseEENKUlvE_clEvENKUlvE1_clEvEUlN3c104HalfEE_St5arrayIPcLm2EELi4E23TrivialOffsetCalculatorILi1EjESD_NS0_6memory15LoadWithoutCastENSE_16StoreWithoutCastEEEviT_T0_T2_T3_T4_T5_
	.p2align	8
	.type	_ZN2at6native27unrolled_elementwise_kernelIZZZNS0_20trigamma_kernel_cudaERNS_18TensorIteratorBaseEENKUlvE_clEvENKUlvE1_clEvEUlN3c104HalfEE_St5arrayIPcLm2EELi4E23TrivialOffsetCalculatorILi1EjESD_NS0_6memory15LoadWithoutCastENSE_16StoreWithoutCastEEEviT_T0_T2_T3_T4_T5_,@function
_ZN2at6native27unrolled_elementwise_kernelIZZZNS0_20trigamma_kernel_cudaERNS_18TensorIteratorBaseEENKUlvE_clEvENKUlvE1_clEvEUlN3c104HalfEE_St5arrayIPcLm2EELi4E23TrivialOffsetCalculatorILi1EjESD_NS0_6memory15LoadWithoutCastENSE_16StoreWithoutCastEEEviT_T0_T2_T3_T4_T5_: ; @_ZN2at6native27unrolled_elementwise_kernelIZZZNS0_20trigamma_kernel_cudaERNS_18TensorIteratorBaseEENKUlvE_clEvENKUlvE1_clEvEUlN3c104HalfEE_St5arrayIPcLm2EELi4E23TrivialOffsetCalculatorILi1EjESD_NS0_6memory15LoadWithoutCastENSE_16StoreWithoutCastEEEviT_T0_T2_T3_T4_T5_
; %bb.0:
	s_load_dword s0, s[4:5], 0x0
	s_load_dwordx4 s[8:11], s[4:5], 0x8
	s_lshl_b32 s16, s6, 10
	v_mov_b32_e32 v7, 0
	v_or_b32_e32 v1, s16, v0
	s_waitcnt lgkmcnt(0)
	s_sub_i32 s17, s0, s16
	v_cmp_gt_i32_e64 s[0:1], s17, v0
	v_mov_b32_e32 v5, 0
	v_mov_b32_e32 v3, v0
	s_and_saveexec_b64 s[2:3], s[0:1]
	s_cbranch_execz .LBB64_2
; %bb.1:
	v_mov_b32_e32 v2, 0
	v_lshlrev_b64 v[2:3], 1, v[1:2]
	v_mov_b32_e32 v4, s11
	v_add_co_u32_e32 v2, vcc, s10, v2
	v_addc_co_u32_e32 v3, vcc, v4, v3, vcc
	global_load_ushort v5, v[2:3], off
	v_or_b32_e32 v3, 0x100, v0
.LBB64_2:
	s_or_b64 exec, exec, s[2:3]
	v_cmp_gt_i32_e32 vcc, s17, v3
	s_and_saveexec_b64 s[2:3], vcc
	s_cbranch_execz .LBB64_4
; %bb.3:
	v_add_u32_e32 v6, s16, v3
	v_mov_b32_e32 v7, 0
	v_lshlrev_b64 v[6:7], 1, v[6:7]
	v_mov_b32_e32 v2, s11
	v_add_co_u32_e32 v6, vcc, s10, v6
	v_addc_co_u32_e32 v7, vcc, v2, v7, vcc
	global_load_ushort v7, v[6:7], off
	v_add_u32_e32 v3, 0x100, v3
.LBB64_4:
	s_or_b64 exec, exec, s[2:3]
	v_cmp_gt_i32_e32 vcc, s17, v3
	v_mov_b32_e32 v2, 0
	v_mov_b32_e32 v6, 0
	s_and_saveexec_b64 s[2:3], vcc
	s_cbranch_execnz .LBB64_7
; %bb.5:
	s_or_b64 exec, exec, s[2:3]
	v_cmp_gt_i32_e32 vcc, s17, v3
	s_and_saveexec_b64 s[2:3], vcc
	s_cbranch_execnz .LBB64_8
.LBB64_6:
	s_or_b64 exec, exec, s[2:3]
                                        ; implicit-def: $vgpr3
	s_and_saveexec_b64 s[10:11], s[0:1]
	s_cbranch_execnz .LBB64_9
	s_branch .LBB64_16
.LBB64_7:
	v_add_u32_e32 v8, s16, v3
	v_mov_b32_e32 v9, 0
	v_lshlrev_b64 v[8:9], 1, v[8:9]
	v_mov_b32_e32 v4, s11
	v_add_co_u32_e32 v8, vcc, s10, v8
	v_addc_co_u32_e32 v9, vcc, v4, v9, vcc
	global_load_ushort v6, v[8:9], off
	v_add_u32_e32 v3, 0x100, v3
	s_or_b64 exec, exec, s[2:3]
	v_cmp_gt_i32_e32 vcc, s17, v3
	s_and_saveexec_b64 s[2:3], vcc
	s_cbranch_execz .LBB64_6
.LBB64_8:
	v_add_u32_e32 v2, s16, v3
	v_mov_b32_e32 v3, 0
	v_lshlrev_b64 v[2:3], 1, v[2:3]
	v_mov_b32_e32 v4, s11
	v_add_co_u32_e32 v2, vcc, s10, v2
	v_addc_co_u32_e32 v3, vcc, v4, v3, vcc
	global_load_ushort v2, v[2:3], off
	s_or_b64 exec, exec, s[2:3]
                                        ; implicit-def: $vgpr3
	s_and_saveexec_b64 s[10:11], s[0:1]
	s_cbranch_execz .LBB64_16
.LBB64_9:
	s_waitcnt vmcnt(0)
	v_cvt_f32_f16_e32 v4, v5
	v_cmp_gt_f16_e32 vcc, 0.5, v5
	v_mov_b32_e32 v5, 0
	v_mov_b32_e32 v3, 1.0
	s_and_saveexec_b64 s[12:13], vcc
	s_cbranch_execz .LBB64_15
; %bb.10:
	v_mul_f32_e32 v3, 0x40490fdb, v4
	s_brev_b32 s2, 18
	v_and_b32_e32 v5, 0x7fffffff, v3
	v_cmp_nlt_f32_e64 s[2:3], |v3|, s2
                                        ; implicit-def: $vgpr8
                                        ; implicit-def: $vgpr9
	s_and_saveexec_b64 s[4:5], s[2:3]
	s_xor_b64 s[14:15], exec, s[4:5]
	s_cbranch_execz .LBB64_12
; %bb.11:
	v_and_b32_e32 v8, 0x7fffff, v5
	v_or_b32_e32 v17, 0x800000, v8
	s_mov_b32 s2, 0xfe5163ab
	v_mad_u64_u32 v[8:9], s[2:3], v17, s2, 0
	v_mov_b32_e32 v10, 0
	s_mov_b32 s2, 0x3c439041
	v_mad_u64_u32 v[11:12], s[2:3], v17, s2, v[9:10]
	s_mov_b32 s2, 0xdb629599
	v_not_b32_e32 v16, 63
	v_mov_b32_e32 v9, v12
	v_mad_u64_u32 v[12:13], s[2:3], v17, s2, v[9:10]
	s_mov_b32 s2, 0xf534ddc0
	v_not_b32_e32 v19, 31
	v_mov_b32_e32 v9, v13
	v_mad_u64_u32 v[13:14], s[2:3], v17, s2, v[9:10]
	v_lshrrev_b32_e32 v9, 23, v5
	v_add_u32_e32 v18, 0xffffff88, v9
	v_mov_b32_e32 v9, v14
	s_mov_b32 s2, 0xfc2757d1
	v_mad_u64_u32 v[14:15], s[2:3], v17, s2, v[9:10]
	v_cmp_lt_u32_e32 vcc, 63, v18
	v_cndmask_b32_e32 v9, 0, v16, vcc
	v_add_u32_e32 v18, v9, v18
	v_mov_b32_e32 v9, v15
	s_mov_b32 s2, 0x4e441529
	v_mad_u64_u32 v[15:16], s[2:3], v17, s2, v[9:10]
	v_cmp_lt_u32_e64 s[2:3], 31, v18
	v_cndmask_b32_e64 v9, 0, v19, s[2:3]
	v_add_u32_e32 v18, v9, v18
	v_mov_b32_e32 v9, v16
	s_mov_b32 s4, 0xa2f9836e
	v_mad_u64_u32 v[9:10], s[4:5], v17, s4, v[9:10]
	v_cmp_lt_u32_e64 s[4:5], 31, v18
	v_cndmask_b32_e64 v16, 0, v19, s[4:5]
	v_cndmask_b32_e32 v17, v15, v13, vcc
	v_cndmask_b32_e32 v9, v9, v14, vcc
	;; [unrolled: 1-line block ×3, first 2 shown]
	v_add_u32_e32 v16, v16, v18
	v_cndmask_b32_e64 v18, v9, v17, s[2:3]
	v_cndmask_b32_e64 v9, v10, v9, s[2:3]
	v_cndmask_b32_e32 v10, v14, v12, vcc
	v_cndmask_b32_e64 v14, v17, v10, s[2:3]
	v_cndmask_b32_e64 v9, v9, v18, s[4:5]
	;; [unrolled: 1-line block ×3, first 2 shown]
	v_sub_u32_e32 v17, 32, v16
	v_alignbit_b32 v18, v9, v15, v17
	v_cmp_eq_u32_e64 s[6:7], 0, v16
	v_cndmask_b32_e64 v16, v18, v9, s[6:7]
	v_cndmask_b32_e32 v9, v13, v11, vcc
	v_cndmask_b32_e64 v10, v10, v9, s[2:3]
	v_cndmask_b32_e64 v11, v14, v10, s[4:5]
	v_alignbit_b32 v13, v15, v11, v17
	v_cndmask_b32_e32 v8, v12, v8, vcc
	v_cndmask_b32_e64 v13, v13, v15, s[6:7]
	v_bfe_u32 v18, v16, 29, 1
	v_cndmask_b32_e64 v8, v9, v8, s[2:3]
	v_alignbit_b32 v14, v16, v13, 30
	v_sub_u32_e32 v19, 0, v18
	v_cndmask_b32_e64 v8, v10, v8, s[4:5]
	v_xor_b32_e32 v14, v14, v19
	v_alignbit_b32 v9, v11, v8, v17
	v_cndmask_b32_e64 v9, v9, v11, s[6:7]
	v_ffbh_u32_e32 v11, v14
	v_alignbit_b32 v10, v13, v9, 30
	v_min_u32_e32 v11, 32, v11
	v_alignbit_b32 v8, v9, v8, 30
	v_xor_b32_e32 v10, v10, v19
	v_sub_u32_e32 v12, 31, v11
	v_xor_b32_e32 v8, v8, v19
	v_alignbit_b32 v13, v14, v10, v12
	v_alignbit_b32 v8, v10, v8, v12
	;; [unrolled: 1-line block ×3, first 2 shown]
	v_ffbh_u32_e32 v10, v9
	v_min_u32_e32 v10, 32, v10
	v_lshrrev_b32_e32 v15, 29, v16
	v_not_b32_e32 v12, v10
	v_alignbit_b32 v8, v9, v8, v12
	v_lshlrev_b32_e32 v9, 31, v15
	v_or_b32_e32 v12, 0x33000000, v9
	v_add_lshl_u32 v10, v10, v11, 23
	v_lshrrev_b32_e32 v8, 9, v8
	v_sub_u32_e32 v10, v12, v10
	v_or_b32_e32 v9, 0.5, v9
	v_lshlrev_b32_e32 v11, 23, v11
	v_or_b32_e32 v8, v10, v8
	v_lshrrev_b32_e32 v10, 9, v13
	v_sub_u32_e32 v9, v9, v11
	v_or_b32_e32 v9, v10, v9
	s_mov_b32 s2, 0x3fc90fda
	v_mul_f32_e32 v10, 0x3fc90fda, v9
	v_fma_f32 v11, v9, s2, -v10
	v_fmac_f32_e32 v11, 0x33a22168, v9
	v_fmac_f32_e32 v11, 0x3fc90fda, v8
	v_lshrrev_b32_e32 v8, 30, v16
	v_add_f32_e32 v9, v10, v11
	v_add_u32_e32 v8, v18, v8
.LBB64_12:
	s_andn2_saveexec_b64 s[2:3], s[14:15]
	s_cbranch_execz .LBB64_14
; %bb.13:
	s_mov_b32 s4, 0x3f22f983
	v_mul_f32_e64 v8, |v3|, s4
	v_rndne_f32_e32 v10, v8
	s_mov_b32 s4, 0xbfc90fda
	v_cvt_i32_f32_e32 v8, v10
	v_fma_f32 v9, v10, s4, |v3|
	v_fmac_f32_e32 v9, 0xb3a22168, v10
	v_fmac_f32_e32 v9, 0xa7c234c4, v10
.LBB64_14:
	s_or_b64 exec, exec, s[2:3]
	v_mul_f32_e32 v10, v9, v9
	v_mov_b32_e32 v11, 0x3c0881c4
	v_fmac_f32_e32 v11, 0xb94c1982, v10
	v_mov_b32_e32 v12, 0xbe2aaa9d
	v_fmac_f32_e32 v12, v10, v11
	v_mul_f32_e32 v11, v10, v12
	v_fmac_f32_e32 v9, v9, v11
	v_mov_b32_e32 v11, 0xbab64f3b
	v_fmac_f32_e32 v11, 0x37d75334, v10
	v_mov_b32_e32 v12, 0x3d2aabf7
	;; [unrolled: 2-line block ×3, first 2 shown]
	v_fmac_f32_e32 v11, v10, v12
	v_fma_f32 v10, v10, v11, 1.0
	v_and_b32_e32 v11, 1, v8
	v_lshlrev_b32_e32 v8, 30, v8
	v_cmp_eq_u32_e32 vcc, 0, v11
	v_and_b32_e32 v8, 0x80000000, v8
	v_xor_b32_e32 v5, v5, v3
	v_cndmask_b32_e32 v9, v10, v9, vcc
	v_xor_b32_e32 v5, v5, v8
	s_movk_i32 s2, 0x1f8
	v_xor_b32_e32 v5, v5, v9
	v_mov_b32_e32 v8, 0x7fc00000
	v_cmp_class_f32_e64 vcc, v3, s2
	v_cndmask_b32_e32 v3, v8, v5, vcc
	v_mul_f32_e32 v3, v3, v3
	s_mov_b32 s4, 0xc11de9e7
	v_div_scale_f32 v5, s[2:3], v3, v3, s4
	v_div_scale_f32 v8, vcc, s4, v3, s4
	v_sub_f32_e32 v4, 1.0, v4
	v_rcp_f32_e32 v9, v5
	v_fma_f32 v10, -v5, v9, 1.0
	v_fmac_f32_e32 v9, v10, v9
	v_mul_f32_e32 v10, v8, v9
	v_fma_f32 v11, -v5, v10, v8
	v_fmac_f32_e32 v10, v11, v9
	v_fma_f32 v5, -v5, v10, v8
	v_div_fmas_f32 v5, v5, v9, v10
	v_div_fixup_f32 v3, v5, v3, s4
	v_add_f32_e32 v5, 0, v3
	v_mov_b32_e32 v3, -1.0
.LBB64_15:
	s_or_b64 exec, exec, s[12:13]
	v_mul_f32_e32 v8, v4, v4
	v_div_scale_f32 v9, s[2:3], v8, v8, 1.0
	v_add_f32_e32 v4, 1.0, v4
	v_rcp_f32_e32 v10, v9
	v_fma_f32 v11, -v9, v10, 1.0
	v_fmac_f32_e32 v10, v11, v10
	v_div_scale_f32 v11, vcc, 1.0, v8, 1.0
	v_mul_f32_e32 v12, v11, v10
	v_fma_f32 v13, -v9, v12, v11
	v_fmac_f32_e32 v12, v13, v10
	v_fma_f32 v9, -v9, v12, v11
	v_div_fmas_f32 v9, v9, v10, v12
	v_div_fixup_f32 v8, v9, v8, 1.0
	v_add_f32_e32 v5, v5, v8
	v_mul_f32_e32 v8, v4, v4
	v_div_scale_f32 v9, s[2:3], v8, v8, 1.0
	v_add_f32_e32 v4, 1.0, v4
	v_rcp_f32_e32 v10, v9
	v_fma_f32 v11, -v9, v10, 1.0
	v_fmac_f32_e32 v10, v11, v10
	v_div_scale_f32 v11, vcc, 1.0, v8, 1.0
	v_mul_f32_e32 v12, v11, v10
	v_fma_f32 v13, -v9, v12, v11
	v_fmac_f32_e32 v12, v13, v10
	v_fma_f32 v9, -v9, v12, v11
	v_div_fmas_f32 v9, v9, v10, v12
	v_div_fixup_f32 v8, v9, v8, 1.0
	v_add_f32_e32 v5, v5, v8
	;; [unrolled: 14-line block ×6, first 2 shown]
	v_mul_f32_e32 v8, v4, v4
	v_div_scale_f32 v9, s[2:3], v8, v8, 1.0
	v_rcp_f32_e32 v10, v9
	v_fma_f32 v11, -v9, v10, 1.0
	v_fmac_f32_e32 v10, v11, v10
	v_div_scale_f32 v11, vcc, 1.0, v8, 1.0
	v_mul_f32_e32 v12, v11, v10
	v_fma_f32 v13, -v9, v12, v11
	v_fmac_f32_e32 v12, v13, v10
	v_fma_f32 v9, -v9, v12, v11
	v_div_fmas_f32 v9, v9, v10, v12
	v_div_fixup_f32 v8, v9, v8, 1.0
	v_add_f32_e32 v9, v4, v4
	v_div_scale_f32 v10, s[2:3], v9, v9, 1.0
	s_mov_b32 s2, 0x3e2aaaab
	v_rcp_f32_e32 v11, v10
	v_fma_f32 v12, -v10, v11, 1.0
	v_fmac_f32_e32 v11, v12, v11
	v_div_scale_f32 v12, vcc, 1.0, v9, 1.0
	v_mul_f32_e32 v13, v12, v11
	v_fma_f32 v14, -v10, v13, v12
	v_fmac_f32_e32 v13, v14, v11
	v_fma_f32 v10, -v10, v13, v12
	v_div_fmas_f32 v10, v10, v11, v13
	v_div_fixup_f32 v9, v10, v9, 1.0
	v_mov_b32_e32 v10, 0x3d088889
	v_fmac_f32_e32 v10, 0xbcc30c31, v8
	v_add_f32_e32 v9, 1.0, v9
	v_fma_f32 v10, -v8, v10, s2
	v_fmac_f32_e32 v9, v8, v10
	v_div_scale_f32 v8, s[2:3], v4, v4, v9
	v_rcp_f32_e32 v10, v8
	v_fma_f32 v11, -v8, v10, 1.0
	v_fmac_f32_e32 v10, v11, v10
	v_div_scale_f32 v11, vcc, v9, v4, v9
	v_mul_f32_e32 v12, v11, v10
	v_fma_f32 v13, -v8, v12, v11
	v_fmac_f32_e32 v12, v13, v10
	v_fma_f32 v8, -v8, v12, v11
	v_div_fmas_f32 v8, v8, v10, v12
	v_div_fixup_f32 v4, v8, v4, v9
	v_add_f32_e32 v4, v5, v4
	v_fma_mixlo_f16 v3, v3, v4, 0
.LBB64_16:
	s_or_b64 exec, exec, s[10:11]
	v_or_b32_e32 v4, 0x100, v0
	v_cmp_gt_i32_e32 vcc, s17, v4
                                        ; implicit-def: $vgpr5
	s_and_saveexec_b64 s[10:11], vcc
	s_cbranch_execz .LBB64_24
; %bb.17:
	s_waitcnt vmcnt(0)
	v_cvt_f32_f16_e32 v8, v7
	v_cmp_gt_f16_e32 vcc, 0.5, v7
	v_mov_b32_e32 v7, 0
	v_mov_b32_e32 v5, 1.0
	s_and_saveexec_b64 s[12:13], vcc
	s_cbranch_execz .LBB64_23
; %bb.18:
	v_mul_f32_e32 v5, 0x40490fdb, v8
	s_brev_b32 s2, 18
	v_and_b32_e32 v7, 0x7fffffff, v5
	v_cmp_nlt_f32_e64 s[2:3], |v5|, s2
                                        ; implicit-def: $vgpr9
                                        ; implicit-def: $vgpr10
	s_and_saveexec_b64 s[4:5], s[2:3]
	s_xor_b64 s[14:15], exec, s[4:5]
	s_cbranch_execz .LBB64_20
; %bb.19:
	v_and_b32_e32 v9, 0x7fffff, v7
	v_or_b32_e32 v18, 0x800000, v9
	s_mov_b32 s2, 0xfe5163ab
	v_mad_u64_u32 v[9:10], s[2:3], v18, s2, 0
	v_mov_b32_e32 v11, 0
	s_mov_b32 s2, 0x3c439041
	v_mad_u64_u32 v[12:13], s[2:3], v18, s2, v[10:11]
	s_mov_b32 s2, 0xdb629599
	v_not_b32_e32 v17, 63
	v_mov_b32_e32 v10, v13
	v_mad_u64_u32 v[13:14], s[2:3], v18, s2, v[10:11]
	s_mov_b32 s2, 0xf534ddc0
	v_not_b32_e32 v20, 31
	v_mov_b32_e32 v10, v14
	v_mad_u64_u32 v[14:15], s[2:3], v18, s2, v[10:11]
	v_lshrrev_b32_e32 v10, 23, v7
	v_add_u32_e32 v19, 0xffffff88, v10
	v_mov_b32_e32 v10, v15
	s_mov_b32 s2, 0xfc2757d1
	v_mad_u64_u32 v[15:16], s[2:3], v18, s2, v[10:11]
	v_cmp_lt_u32_e32 vcc, 63, v19
	v_cndmask_b32_e32 v10, 0, v17, vcc
	v_add_u32_e32 v19, v10, v19
	v_mov_b32_e32 v10, v16
	s_mov_b32 s2, 0x4e441529
	v_mad_u64_u32 v[16:17], s[2:3], v18, s2, v[10:11]
	v_cmp_lt_u32_e64 s[2:3], 31, v19
	v_cndmask_b32_e64 v10, 0, v20, s[2:3]
	v_add_u32_e32 v19, v10, v19
	v_mov_b32_e32 v10, v17
	s_mov_b32 s4, 0xa2f9836e
	v_mad_u64_u32 v[10:11], s[4:5], v18, s4, v[10:11]
	v_cmp_lt_u32_e64 s[4:5], 31, v19
	v_cndmask_b32_e64 v17, 0, v20, s[4:5]
	v_cndmask_b32_e32 v18, v16, v14, vcc
	v_cndmask_b32_e32 v10, v10, v15, vcc
	;; [unrolled: 1-line block ×3, first 2 shown]
	v_add_u32_e32 v17, v17, v19
	v_cndmask_b32_e64 v19, v10, v18, s[2:3]
	v_cndmask_b32_e64 v10, v11, v10, s[2:3]
	v_cndmask_b32_e32 v11, v15, v13, vcc
	v_cndmask_b32_e64 v15, v18, v11, s[2:3]
	v_cndmask_b32_e64 v10, v10, v19, s[4:5]
	;; [unrolled: 1-line block ×3, first 2 shown]
	v_sub_u32_e32 v18, 32, v17
	v_alignbit_b32 v19, v10, v16, v18
	v_cmp_eq_u32_e64 s[6:7], 0, v17
	v_cndmask_b32_e64 v17, v19, v10, s[6:7]
	v_cndmask_b32_e32 v10, v14, v12, vcc
	v_cndmask_b32_e64 v11, v11, v10, s[2:3]
	v_cndmask_b32_e64 v12, v15, v11, s[4:5]
	v_alignbit_b32 v14, v16, v12, v18
	v_cndmask_b32_e32 v9, v13, v9, vcc
	v_cndmask_b32_e64 v14, v14, v16, s[6:7]
	v_bfe_u32 v19, v17, 29, 1
	v_cndmask_b32_e64 v9, v10, v9, s[2:3]
	v_alignbit_b32 v15, v17, v14, 30
	v_sub_u32_e32 v20, 0, v19
	v_cndmask_b32_e64 v9, v11, v9, s[4:5]
	v_xor_b32_e32 v15, v15, v20
	v_alignbit_b32 v10, v12, v9, v18
	v_cndmask_b32_e64 v10, v10, v12, s[6:7]
	v_ffbh_u32_e32 v12, v15
	v_alignbit_b32 v11, v14, v10, 30
	v_min_u32_e32 v12, 32, v12
	v_alignbit_b32 v9, v10, v9, 30
	v_xor_b32_e32 v11, v11, v20
	v_sub_u32_e32 v13, 31, v12
	v_xor_b32_e32 v9, v9, v20
	v_alignbit_b32 v14, v15, v11, v13
	v_alignbit_b32 v9, v11, v9, v13
	;; [unrolled: 1-line block ×3, first 2 shown]
	v_ffbh_u32_e32 v11, v10
	v_min_u32_e32 v11, 32, v11
	v_lshrrev_b32_e32 v16, 29, v17
	v_not_b32_e32 v13, v11
	v_alignbit_b32 v9, v10, v9, v13
	v_lshlrev_b32_e32 v10, 31, v16
	v_or_b32_e32 v13, 0x33000000, v10
	v_add_lshl_u32 v11, v11, v12, 23
	v_lshrrev_b32_e32 v9, 9, v9
	v_sub_u32_e32 v11, v13, v11
	v_or_b32_e32 v10, 0.5, v10
	v_lshlrev_b32_e32 v12, 23, v12
	v_or_b32_e32 v9, v11, v9
	v_lshrrev_b32_e32 v11, 9, v14
	v_sub_u32_e32 v10, v10, v12
	v_or_b32_e32 v10, v11, v10
	s_mov_b32 s2, 0x3fc90fda
	v_mul_f32_e32 v11, 0x3fc90fda, v10
	v_fma_f32 v12, v10, s2, -v11
	v_fmac_f32_e32 v12, 0x33a22168, v10
	v_fmac_f32_e32 v12, 0x3fc90fda, v9
	v_lshrrev_b32_e32 v9, 30, v17
	v_add_f32_e32 v10, v11, v12
	v_add_u32_e32 v9, v19, v9
.LBB64_20:
	s_andn2_saveexec_b64 s[2:3], s[14:15]
	s_cbranch_execz .LBB64_22
; %bb.21:
	s_mov_b32 s4, 0x3f22f983
	v_mul_f32_e64 v9, |v5|, s4
	v_rndne_f32_e32 v11, v9
	s_mov_b32 s4, 0xbfc90fda
	v_cvt_i32_f32_e32 v9, v11
	v_fma_f32 v10, v11, s4, |v5|
	v_fmac_f32_e32 v10, 0xb3a22168, v11
	v_fmac_f32_e32 v10, 0xa7c234c4, v11
.LBB64_22:
	s_or_b64 exec, exec, s[2:3]
	v_mul_f32_e32 v11, v10, v10
	v_mov_b32_e32 v12, 0x3c0881c4
	v_fmac_f32_e32 v12, 0xb94c1982, v11
	v_mov_b32_e32 v13, 0xbe2aaa9d
	v_fmac_f32_e32 v13, v11, v12
	v_mul_f32_e32 v12, v11, v13
	v_fmac_f32_e32 v10, v10, v12
	v_mov_b32_e32 v12, 0xbab64f3b
	v_fmac_f32_e32 v12, 0x37d75334, v11
	v_mov_b32_e32 v13, 0x3d2aabf7
	;; [unrolled: 2-line block ×3, first 2 shown]
	v_fmac_f32_e32 v12, v11, v13
	v_fma_f32 v11, v11, v12, 1.0
	v_and_b32_e32 v12, 1, v9
	v_lshlrev_b32_e32 v9, 30, v9
	v_cmp_eq_u32_e32 vcc, 0, v12
	v_and_b32_e32 v9, 0x80000000, v9
	v_xor_b32_e32 v7, v7, v5
	v_cndmask_b32_e32 v10, v11, v10, vcc
	v_xor_b32_e32 v7, v7, v9
	s_movk_i32 s2, 0x1f8
	v_xor_b32_e32 v7, v7, v10
	v_mov_b32_e32 v9, 0x7fc00000
	v_cmp_class_f32_e64 vcc, v5, s2
	v_cndmask_b32_e32 v5, v9, v7, vcc
	v_mul_f32_e32 v5, v5, v5
	s_mov_b32 s4, 0xc11de9e7
	v_div_scale_f32 v7, s[2:3], v5, v5, s4
	v_div_scale_f32 v9, vcc, s4, v5, s4
	v_sub_f32_e32 v8, 1.0, v8
	v_rcp_f32_e32 v10, v7
	v_fma_f32 v11, -v7, v10, 1.0
	v_fmac_f32_e32 v10, v11, v10
	v_mul_f32_e32 v11, v9, v10
	v_fma_f32 v12, -v7, v11, v9
	v_fmac_f32_e32 v11, v12, v10
	v_fma_f32 v7, -v7, v11, v9
	v_div_fmas_f32 v7, v7, v10, v11
	v_div_fixup_f32 v5, v7, v5, s4
	v_add_f32_e32 v7, 0, v5
	v_mov_b32_e32 v5, -1.0
.LBB64_23:
	s_or_b64 exec, exec, s[12:13]
	v_mul_f32_e32 v9, v8, v8
	v_div_scale_f32 v10, s[2:3], v9, v9, 1.0
	v_add_f32_e32 v8, 1.0, v8
	v_rcp_f32_e32 v11, v10
	v_fma_f32 v12, -v10, v11, 1.0
	v_fmac_f32_e32 v11, v12, v11
	v_div_scale_f32 v12, vcc, 1.0, v9, 1.0
	v_mul_f32_e32 v13, v12, v11
	v_fma_f32 v14, -v10, v13, v12
	v_fmac_f32_e32 v13, v14, v11
	v_fma_f32 v10, -v10, v13, v12
	v_div_fmas_f32 v10, v10, v11, v13
	v_div_fixup_f32 v9, v10, v9, 1.0
	v_add_f32_e32 v7, v7, v9
	v_mul_f32_e32 v9, v8, v8
	v_div_scale_f32 v10, s[2:3], v9, v9, 1.0
	v_add_f32_e32 v8, 1.0, v8
	v_rcp_f32_e32 v11, v10
	v_fma_f32 v12, -v10, v11, 1.0
	v_fmac_f32_e32 v11, v12, v11
	v_div_scale_f32 v12, vcc, 1.0, v9, 1.0
	v_mul_f32_e32 v13, v12, v11
	v_fma_f32 v14, -v10, v13, v12
	v_fmac_f32_e32 v13, v14, v11
	v_fma_f32 v10, -v10, v13, v12
	v_div_fmas_f32 v10, v10, v11, v13
	v_div_fixup_f32 v9, v10, v9, 1.0
	v_add_f32_e32 v7, v7, v9
	;; [unrolled: 14-line block ×6, first 2 shown]
	v_mul_f32_e32 v9, v8, v8
	v_div_scale_f32 v10, s[2:3], v9, v9, 1.0
	v_rcp_f32_e32 v11, v10
	v_fma_f32 v12, -v10, v11, 1.0
	v_fmac_f32_e32 v11, v12, v11
	v_div_scale_f32 v12, vcc, 1.0, v9, 1.0
	v_mul_f32_e32 v13, v12, v11
	v_fma_f32 v14, -v10, v13, v12
	v_fmac_f32_e32 v13, v14, v11
	v_fma_f32 v10, -v10, v13, v12
	v_div_fmas_f32 v10, v10, v11, v13
	v_div_fixup_f32 v9, v10, v9, 1.0
	v_add_f32_e32 v10, v8, v8
	v_div_scale_f32 v11, s[2:3], v10, v10, 1.0
	s_mov_b32 s2, 0x3e2aaaab
	v_rcp_f32_e32 v12, v11
	v_fma_f32 v13, -v11, v12, 1.0
	v_fmac_f32_e32 v12, v13, v12
	v_div_scale_f32 v13, vcc, 1.0, v10, 1.0
	v_mul_f32_e32 v14, v13, v12
	v_fma_f32 v15, -v11, v14, v13
	v_fmac_f32_e32 v14, v15, v12
	v_fma_f32 v11, -v11, v14, v13
	v_div_fmas_f32 v11, v11, v12, v14
	v_div_fixup_f32 v10, v11, v10, 1.0
	v_mov_b32_e32 v11, 0x3d088889
	v_fmac_f32_e32 v11, 0xbcc30c31, v9
	v_add_f32_e32 v10, 1.0, v10
	v_fma_f32 v11, -v9, v11, s2
	v_fmac_f32_e32 v10, v9, v11
	v_div_scale_f32 v9, s[2:3], v8, v8, v10
	v_rcp_f32_e32 v11, v9
	v_fma_f32 v12, -v9, v11, 1.0
	v_fmac_f32_e32 v11, v12, v11
	v_div_scale_f32 v12, vcc, v10, v8, v10
	v_mul_f32_e32 v13, v12, v11
	v_fma_f32 v14, -v9, v13, v12
	v_fmac_f32_e32 v13, v14, v11
	v_fma_f32 v9, -v9, v13, v12
	v_div_fmas_f32 v9, v9, v11, v13
	v_div_fixup_f32 v8, v9, v8, v10
	v_add_f32_e32 v7, v7, v8
	v_fma_mixlo_f16 v5, v5, v7, 0
.LBB64_24:
	s_or_b64 exec, exec, s[10:11]
	s_waitcnt vmcnt(0)
	v_or_b32_e32 v7, 0x200, v0
	v_cmp_gt_i32_e32 vcc, s17, v7
                                        ; implicit-def: $vgpr7
	s_and_saveexec_b64 s[10:11], vcc
	s_cbranch_execz .LBB64_32
; %bb.25:
	v_cvt_f32_f16_e32 v7, v6
	v_cmp_gt_f16_e32 vcc, 0.5, v6
	v_mov_b32_e32 v8, 0
	v_mov_b32_e32 v6, 1.0
	s_and_saveexec_b64 s[12:13], vcc
	s_cbranch_execz .LBB64_31
; %bb.26:
	v_mul_f32_e32 v6, 0x40490fdb, v7
	s_brev_b32 s2, 18
	v_and_b32_e32 v8, 0x7fffffff, v6
	v_cmp_nlt_f32_e64 s[2:3], |v6|, s2
                                        ; implicit-def: $vgpr9
                                        ; implicit-def: $vgpr10
	s_and_saveexec_b64 s[4:5], s[2:3]
	s_xor_b64 s[14:15], exec, s[4:5]
	s_cbranch_execz .LBB64_28
; %bb.27:
	v_and_b32_e32 v9, 0x7fffff, v8
	v_or_b32_e32 v18, 0x800000, v9
	s_mov_b32 s2, 0xfe5163ab
	v_mad_u64_u32 v[9:10], s[2:3], v18, s2, 0
	v_mov_b32_e32 v11, 0
	s_mov_b32 s2, 0x3c439041
	v_mad_u64_u32 v[12:13], s[2:3], v18, s2, v[10:11]
	s_mov_b32 s2, 0xdb629599
	v_not_b32_e32 v17, 63
	v_mov_b32_e32 v10, v13
	v_mad_u64_u32 v[13:14], s[2:3], v18, s2, v[10:11]
	s_mov_b32 s2, 0xf534ddc0
	v_not_b32_e32 v20, 31
	v_mov_b32_e32 v10, v14
	v_mad_u64_u32 v[14:15], s[2:3], v18, s2, v[10:11]
	v_lshrrev_b32_e32 v10, 23, v8
	v_add_u32_e32 v19, 0xffffff88, v10
	v_mov_b32_e32 v10, v15
	s_mov_b32 s2, 0xfc2757d1
	v_mad_u64_u32 v[15:16], s[2:3], v18, s2, v[10:11]
	v_cmp_lt_u32_e32 vcc, 63, v19
	v_cndmask_b32_e32 v10, 0, v17, vcc
	v_add_u32_e32 v19, v10, v19
	v_mov_b32_e32 v10, v16
	s_mov_b32 s2, 0x4e441529
	v_mad_u64_u32 v[16:17], s[2:3], v18, s2, v[10:11]
	v_cmp_lt_u32_e64 s[2:3], 31, v19
	v_cndmask_b32_e64 v10, 0, v20, s[2:3]
	v_add_u32_e32 v19, v10, v19
	v_mov_b32_e32 v10, v17
	s_mov_b32 s4, 0xa2f9836e
	v_mad_u64_u32 v[10:11], s[4:5], v18, s4, v[10:11]
	v_cmp_lt_u32_e64 s[4:5], 31, v19
	v_cndmask_b32_e64 v17, 0, v20, s[4:5]
	v_cndmask_b32_e32 v18, v16, v14, vcc
	v_cndmask_b32_e32 v10, v10, v15, vcc
	v_cndmask_b32_e32 v11, v11, v16, vcc
	v_add_u32_e32 v17, v17, v19
	v_cndmask_b32_e64 v19, v10, v18, s[2:3]
	v_cndmask_b32_e64 v10, v11, v10, s[2:3]
	v_cndmask_b32_e32 v11, v15, v13, vcc
	v_cndmask_b32_e64 v15, v18, v11, s[2:3]
	v_cndmask_b32_e64 v10, v10, v19, s[4:5]
	;; [unrolled: 1-line block ×3, first 2 shown]
	v_sub_u32_e32 v18, 32, v17
	v_alignbit_b32 v19, v10, v16, v18
	v_cmp_eq_u32_e64 s[6:7], 0, v17
	v_cndmask_b32_e64 v17, v19, v10, s[6:7]
	v_cndmask_b32_e32 v10, v14, v12, vcc
	v_cndmask_b32_e64 v11, v11, v10, s[2:3]
	v_cndmask_b32_e64 v12, v15, v11, s[4:5]
	v_alignbit_b32 v14, v16, v12, v18
	v_cndmask_b32_e32 v9, v13, v9, vcc
	v_cndmask_b32_e64 v14, v14, v16, s[6:7]
	v_bfe_u32 v19, v17, 29, 1
	v_cndmask_b32_e64 v9, v10, v9, s[2:3]
	v_alignbit_b32 v15, v17, v14, 30
	v_sub_u32_e32 v20, 0, v19
	v_cndmask_b32_e64 v9, v11, v9, s[4:5]
	v_xor_b32_e32 v15, v15, v20
	v_alignbit_b32 v10, v12, v9, v18
	v_cndmask_b32_e64 v10, v10, v12, s[6:7]
	v_ffbh_u32_e32 v12, v15
	v_alignbit_b32 v11, v14, v10, 30
	v_min_u32_e32 v12, 32, v12
	v_alignbit_b32 v9, v10, v9, 30
	v_xor_b32_e32 v11, v11, v20
	v_sub_u32_e32 v13, 31, v12
	v_xor_b32_e32 v9, v9, v20
	v_alignbit_b32 v14, v15, v11, v13
	v_alignbit_b32 v9, v11, v9, v13
	;; [unrolled: 1-line block ×3, first 2 shown]
	v_ffbh_u32_e32 v11, v10
	v_min_u32_e32 v11, 32, v11
	v_lshrrev_b32_e32 v16, 29, v17
	v_not_b32_e32 v13, v11
	v_alignbit_b32 v9, v10, v9, v13
	v_lshlrev_b32_e32 v10, 31, v16
	v_or_b32_e32 v13, 0x33000000, v10
	v_add_lshl_u32 v11, v11, v12, 23
	v_lshrrev_b32_e32 v9, 9, v9
	v_sub_u32_e32 v11, v13, v11
	v_or_b32_e32 v10, 0.5, v10
	v_lshlrev_b32_e32 v12, 23, v12
	v_or_b32_e32 v9, v11, v9
	v_lshrrev_b32_e32 v11, 9, v14
	v_sub_u32_e32 v10, v10, v12
	v_or_b32_e32 v10, v11, v10
	s_mov_b32 s2, 0x3fc90fda
	v_mul_f32_e32 v11, 0x3fc90fda, v10
	v_fma_f32 v12, v10, s2, -v11
	v_fmac_f32_e32 v12, 0x33a22168, v10
	v_fmac_f32_e32 v12, 0x3fc90fda, v9
	v_lshrrev_b32_e32 v9, 30, v17
	v_add_f32_e32 v10, v11, v12
	v_add_u32_e32 v9, v19, v9
.LBB64_28:
	s_andn2_saveexec_b64 s[2:3], s[14:15]
	s_cbranch_execz .LBB64_30
; %bb.29:
	s_mov_b32 s4, 0x3f22f983
	v_mul_f32_e64 v9, |v6|, s4
	v_rndne_f32_e32 v11, v9
	s_mov_b32 s4, 0xbfc90fda
	v_cvt_i32_f32_e32 v9, v11
	v_fma_f32 v10, v11, s4, |v6|
	v_fmac_f32_e32 v10, 0xb3a22168, v11
	v_fmac_f32_e32 v10, 0xa7c234c4, v11
.LBB64_30:
	s_or_b64 exec, exec, s[2:3]
	v_mul_f32_e32 v11, v10, v10
	v_mov_b32_e32 v12, 0x3c0881c4
	v_fmac_f32_e32 v12, 0xb94c1982, v11
	v_mov_b32_e32 v13, 0xbe2aaa9d
	v_fmac_f32_e32 v13, v11, v12
	v_mul_f32_e32 v12, v11, v13
	v_fmac_f32_e32 v10, v10, v12
	v_mov_b32_e32 v12, 0xbab64f3b
	v_fmac_f32_e32 v12, 0x37d75334, v11
	v_mov_b32_e32 v13, 0x3d2aabf7
	;; [unrolled: 2-line block ×3, first 2 shown]
	v_fmac_f32_e32 v12, v11, v13
	v_fma_f32 v11, v11, v12, 1.0
	v_and_b32_e32 v12, 1, v9
	v_lshlrev_b32_e32 v9, 30, v9
	v_cmp_eq_u32_e32 vcc, 0, v12
	v_and_b32_e32 v9, 0x80000000, v9
	v_xor_b32_e32 v8, v8, v6
	v_cndmask_b32_e32 v10, v11, v10, vcc
	v_xor_b32_e32 v8, v8, v9
	s_movk_i32 s2, 0x1f8
	v_xor_b32_e32 v8, v8, v10
	v_mov_b32_e32 v9, 0x7fc00000
	v_cmp_class_f32_e64 vcc, v6, s2
	v_cndmask_b32_e32 v6, v9, v8, vcc
	v_mul_f32_e32 v6, v6, v6
	s_mov_b32 s4, 0xc11de9e7
	v_div_scale_f32 v8, s[2:3], v6, v6, s4
	v_div_scale_f32 v9, vcc, s4, v6, s4
	v_sub_f32_e32 v7, 1.0, v7
	v_rcp_f32_e32 v10, v8
	v_fma_f32 v11, -v8, v10, 1.0
	v_fmac_f32_e32 v10, v11, v10
	v_mul_f32_e32 v11, v9, v10
	v_fma_f32 v12, -v8, v11, v9
	v_fmac_f32_e32 v11, v12, v10
	v_fma_f32 v8, -v8, v11, v9
	v_div_fmas_f32 v8, v8, v10, v11
	v_div_fixup_f32 v6, v8, v6, s4
	v_add_f32_e32 v8, 0, v6
	v_mov_b32_e32 v6, -1.0
.LBB64_31:
	s_or_b64 exec, exec, s[12:13]
	v_mul_f32_e32 v9, v7, v7
	v_div_scale_f32 v10, s[2:3], v9, v9, 1.0
	v_add_f32_e32 v7, 1.0, v7
	v_rcp_f32_e32 v11, v10
	v_fma_f32 v12, -v10, v11, 1.0
	v_fmac_f32_e32 v11, v12, v11
	v_div_scale_f32 v12, vcc, 1.0, v9, 1.0
	v_mul_f32_e32 v13, v12, v11
	v_fma_f32 v14, -v10, v13, v12
	v_fmac_f32_e32 v13, v14, v11
	v_fma_f32 v10, -v10, v13, v12
	v_div_fmas_f32 v10, v10, v11, v13
	v_div_fixup_f32 v9, v10, v9, 1.0
	v_add_f32_e32 v8, v8, v9
	v_mul_f32_e32 v9, v7, v7
	v_div_scale_f32 v10, s[2:3], v9, v9, 1.0
	v_add_f32_e32 v7, 1.0, v7
	v_rcp_f32_e32 v11, v10
	v_fma_f32 v12, -v10, v11, 1.0
	v_fmac_f32_e32 v11, v12, v11
	v_div_scale_f32 v12, vcc, 1.0, v9, 1.0
	v_mul_f32_e32 v13, v12, v11
	v_fma_f32 v14, -v10, v13, v12
	v_fmac_f32_e32 v13, v14, v11
	v_fma_f32 v10, -v10, v13, v12
	v_div_fmas_f32 v10, v10, v11, v13
	v_div_fixup_f32 v9, v10, v9, 1.0
	v_add_f32_e32 v8, v8, v9
	;; [unrolled: 14-line block ×6, first 2 shown]
	v_mul_f32_e32 v9, v7, v7
	v_div_scale_f32 v10, s[2:3], v9, v9, 1.0
	v_rcp_f32_e32 v11, v10
	v_fma_f32 v12, -v10, v11, 1.0
	v_fmac_f32_e32 v11, v12, v11
	v_div_scale_f32 v12, vcc, 1.0, v9, 1.0
	v_mul_f32_e32 v13, v12, v11
	v_fma_f32 v14, -v10, v13, v12
	v_fmac_f32_e32 v13, v14, v11
	v_fma_f32 v10, -v10, v13, v12
	v_div_fmas_f32 v10, v10, v11, v13
	v_div_fixup_f32 v9, v10, v9, 1.0
	v_add_f32_e32 v10, v7, v7
	v_div_scale_f32 v11, s[2:3], v10, v10, 1.0
	s_mov_b32 s2, 0x3e2aaaab
	v_rcp_f32_e32 v12, v11
	v_fma_f32 v13, -v11, v12, 1.0
	v_fmac_f32_e32 v12, v13, v12
	v_div_scale_f32 v13, vcc, 1.0, v10, 1.0
	v_mul_f32_e32 v14, v13, v12
	v_fma_f32 v15, -v11, v14, v13
	v_fmac_f32_e32 v14, v15, v12
	v_fma_f32 v11, -v11, v14, v13
	v_div_fmas_f32 v11, v11, v12, v14
	v_div_fixup_f32 v10, v11, v10, 1.0
	v_mov_b32_e32 v11, 0x3d088889
	v_fmac_f32_e32 v11, 0xbcc30c31, v9
	v_add_f32_e32 v10, 1.0, v10
	v_fma_f32 v11, -v9, v11, s2
	v_fmac_f32_e32 v10, v9, v11
	v_div_scale_f32 v9, s[2:3], v7, v7, v10
	v_rcp_f32_e32 v11, v9
	v_fma_f32 v12, -v9, v11, 1.0
	v_fmac_f32_e32 v11, v12, v11
	v_div_scale_f32 v12, vcc, v10, v7, v10
	v_mul_f32_e32 v13, v12, v11
	v_fma_f32 v14, -v9, v13, v12
	v_fmac_f32_e32 v13, v14, v11
	v_fma_f32 v9, -v9, v13, v12
	v_div_fmas_f32 v9, v9, v11, v13
	v_div_fixup_f32 v7, v9, v7, v10
	v_add_f32_e32 v7, v8, v7
	v_fma_mixlo_f16 v7, v6, v7, 0
.LBB64_32:
	s_or_b64 exec, exec, s[10:11]
	v_or_b32_e32 v6, 0x300, v0
	v_cmp_gt_i32_e32 vcc, s17, v6
                                        ; implicit-def: $vgpr6
	s_and_saveexec_b64 s[10:11], vcc
	s_cbranch_execnz .LBB64_38
; %bb.33:
	s_or_b64 exec, exec, s[10:11]
	s_and_saveexec_b64 s[2:3], s[0:1]
	s_xor_b64 s[0:1], exec, s[2:3]
	s_cbranch_execnz .LBB64_45
.LBB64_34:
	s_or_b64 exec, exec, s[0:1]
	v_cmp_gt_i32_e32 vcc, s17, v0
	s_and_saveexec_b64 s[0:1], vcc
	s_cbranch_execnz .LBB64_46
.LBB64_35:
	s_or_b64 exec, exec, s[0:1]
	v_cmp_gt_i32_e32 vcc, s17, v0
	s_and_saveexec_b64 s[0:1], vcc
	s_cbranch_execnz .LBB64_47
.LBB64_36:
	s_or_b64 exec, exec, s[0:1]
	v_cmp_gt_i32_e32 vcc, s17, v0
	s_and_saveexec_b64 s[0:1], vcc
	s_cbranch_execnz .LBB64_48
.LBB64_37:
	s_endpgm
.LBB64_38:
	v_cvt_f32_f16_e32 v6, v2
	v_cmp_gt_f16_e32 vcc, 0.5, v2
	v_mov_b32_e32 v8, 0
	v_mov_b32_e32 v2, 1.0
	s_and_saveexec_b64 s[12:13], vcc
	s_cbranch_execz .LBB64_44
; %bb.39:
	v_mul_f32_e32 v2, 0x40490fdb, v6
	s_brev_b32 s2, 18
	v_and_b32_e32 v8, 0x7fffffff, v2
	v_cmp_nlt_f32_e64 s[2:3], |v2|, s2
                                        ; implicit-def: $vgpr9
                                        ; implicit-def: $vgpr10
	s_and_saveexec_b64 s[4:5], s[2:3]
	s_xor_b64 s[14:15], exec, s[4:5]
	s_cbranch_execz .LBB64_41
; %bb.40:
	v_and_b32_e32 v9, 0x7fffff, v8
	v_or_b32_e32 v18, 0x800000, v9
	s_mov_b32 s2, 0xfe5163ab
	v_mad_u64_u32 v[9:10], s[2:3], v18, s2, 0
	v_mov_b32_e32 v11, 0
	s_mov_b32 s2, 0x3c439041
	v_mad_u64_u32 v[12:13], s[2:3], v18, s2, v[10:11]
	s_mov_b32 s2, 0xdb629599
	v_not_b32_e32 v17, 63
	v_mov_b32_e32 v10, v13
	v_mad_u64_u32 v[13:14], s[2:3], v18, s2, v[10:11]
	s_mov_b32 s2, 0xf534ddc0
	v_not_b32_e32 v20, 31
	v_mov_b32_e32 v10, v14
	v_mad_u64_u32 v[14:15], s[2:3], v18, s2, v[10:11]
	v_lshrrev_b32_e32 v10, 23, v8
	v_add_u32_e32 v19, 0xffffff88, v10
	v_mov_b32_e32 v10, v15
	s_mov_b32 s2, 0xfc2757d1
	v_mad_u64_u32 v[15:16], s[2:3], v18, s2, v[10:11]
	v_cmp_lt_u32_e32 vcc, 63, v19
	v_cndmask_b32_e32 v10, 0, v17, vcc
	v_add_u32_e32 v19, v10, v19
	v_mov_b32_e32 v10, v16
	s_mov_b32 s2, 0x4e441529
	v_mad_u64_u32 v[16:17], s[2:3], v18, s2, v[10:11]
	v_cmp_lt_u32_e64 s[2:3], 31, v19
	v_cndmask_b32_e64 v10, 0, v20, s[2:3]
	v_add_u32_e32 v19, v10, v19
	v_mov_b32_e32 v10, v17
	s_mov_b32 s4, 0xa2f9836e
	v_mad_u64_u32 v[10:11], s[4:5], v18, s4, v[10:11]
	v_cmp_lt_u32_e64 s[4:5], 31, v19
	v_cndmask_b32_e64 v17, 0, v20, s[4:5]
	v_cndmask_b32_e32 v18, v16, v14, vcc
	v_cndmask_b32_e32 v10, v10, v15, vcc
	;; [unrolled: 1-line block ×3, first 2 shown]
	v_add_u32_e32 v17, v17, v19
	v_cndmask_b32_e64 v19, v10, v18, s[2:3]
	v_cndmask_b32_e64 v10, v11, v10, s[2:3]
	v_cndmask_b32_e32 v11, v15, v13, vcc
	v_cndmask_b32_e64 v15, v18, v11, s[2:3]
	v_cndmask_b32_e64 v10, v10, v19, s[4:5]
	;; [unrolled: 1-line block ×3, first 2 shown]
	v_sub_u32_e32 v18, 32, v17
	v_alignbit_b32 v19, v10, v16, v18
	v_cmp_eq_u32_e64 s[6:7], 0, v17
	v_cndmask_b32_e64 v17, v19, v10, s[6:7]
	v_cndmask_b32_e32 v10, v14, v12, vcc
	v_cndmask_b32_e64 v11, v11, v10, s[2:3]
	v_cndmask_b32_e64 v12, v15, v11, s[4:5]
	v_alignbit_b32 v14, v16, v12, v18
	v_cndmask_b32_e32 v9, v13, v9, vcc
	v_cndmask_b32_e64 v14, v14, v16, s[6:7]
	v_bfe_u32 v19, v17, 29, 1
	v_cndmask_b32_e64 v9, v10, v9, s[2:3]
	v_alignbit_b32 v15, v17, v14, 30
	v_sub_u32_e32 v20, 0, v19
	v_cndmask_b32_e64 v9, v11, v9, s[4:5]
	v_xor_b32_e32 v15, v15, v20
	v_alignbit_b32 v10, v12, v9, v18
	v_cndmask_b32_e64 v10, v10, v12, s[6:7]
	v_ffbh_u32_e32 v12, v15
	v_alignbit_b32 v11, v14, v10, 30
	v_min_u32_e32 v12, 32, v12
	v_alignbit_b32 v9, v10, v9, 30
	v_xor_b32_e32 v11, v11, v20
	v_sub_u32_e32 v13, 31, v12
	v_xor_b32_e32 v9, v9, v20
	v_alignbit_b32 v14, v15, v11, v13
	v_alignbit_b32 v9, v11, v9, v13
	;; [unrolled: 1-line block ×3, first 2 shown]
	v_ffbh_u32_e32 v11, v10
	v_min_u32_e32 v11, 32, v11
	v_lshrrev_b32_e32 v16, 29, v17
	v_not_b32_e32 v13, v11
	v_alignbit_b32 v9, v10, v9, v13
	v_lshlrev_b32_e32 v10, 31, v16
	v_or_b32_e32 v13, 0x33000000, v10
	v_add_lshl_u32 v11, v11, v12, 23
	v_lshrrev_b32_e32 v9, 9, v9
	v_sub_u32_e32 v11, v13, v11
	v_or_b32_e32 v10, 0.5, v10
	v_lshlrev_b32_e32 v12, 23, v12
	v_or_b32_e32 v9, v11, v9
	v_lshrrev_b32_e32 v11, 9, v14
	v_sub_u32_e32 v10, v10, v12
	v_or_b32_e32 v10, v11, v10
	s_mov_b32 s2, 0x3fc90fda
	v_mul_f32_e32 v11, 0x3fc90fda, v10
	v_fma_f32 v12, v10, s2, -v11
	v_fmac_f32_e32 v12, 0x33a22168, v10
	v_fmac_f32_e32 v12, 0x3fc90fda, v9
	v_lshrrev_b32_e32 v9, 30, v17
	v_add_f32_e32 v10, v11, v12
	v_add_u32_e32 v9, v19, v9
.LBB64_41:
	s_andn2_saveexec_b64 s[2:3], s[14:15]
	s_cbranch_execz .LBB64_43
; %bb.42:
	s_mov_b32 s4, 0x3f22f983
	v_mul_f32_e64 v9, |v2|, s4
	v_rndne_f32_e32 v11, v9
	s_mov_b32 s4, 0xbfc90fda
	v_cvt_i32_f32_e32 v9, v11
	v_fma_f32 v10, v11, s4, |v2|
	v_fmac_f32_e32 v10, 0xb3a22168, v11
	v_fmac_f32_e32 v10, 0xa7c234c4, v11
.LBB64_43:
	s_or_b64 exec, exec, s[2:3]
	v_mul_f32_e32 v11, v10, v10
	v_mov_b32_e32 v12, 0x3c0881c4
	v_fmac_f32_e32 v12, 0xb94c1982, v11
	v_mov_b32_e32 v13, 0xbe2aaa9d
	v_fmac_f32_e32 v13, v11, v12
	v_mul_f32_e32 v12, v11, v13
	v_fmac_f32_e32 v10, v10, v12
	v_mov_b32_e32 v12, 0xbab64f3b
	v_fmac_f32_e32 v12, 0x37d75334, v11
	v_mov_b32_e32 v13, 0x3d2aabf7
	;; [unrolled: 2-line block ×3, first 2 shown]
	v_fmac_f32_e32 v12, v11, v13
	v_fma_f32 v11, v11, v12, 1.0
	v_and_b32_e32 v12, 1, v9
	v_lshlrev_b32_e32 v9, 30, v9
	v_cmp_eq_u32_e32 vcc, 0, v12
	v_and_b32_e32 v9, 0x80000000, v9
	v_xor_b32_e32 v8, v8, v2
	v_cndmask_b32_e32 v10, v11, v10, vcc
	v_xor_b32_e32 v8, v8, v9
	s_movk_i32 s2, 0x1f8
	v_xor_b32_e32 v8, v8, v10
	v_mov_b32_e32 v9, 0x7fc00000
	v_cmp_class_f32_e64 vcc, v2, s2
	v_cndmask_b32_e32 v2, v9, v8, vcc
	v_mul_f32_e32 v2, v2, v2
	s_mov_b32 s4, 0xc11de9e7
	v_div_scale_f32 v8, s[2:3], v2, v2, s4
	v_div_scale_f32 v9, vcc, s4, v2, s4
	v_sub_f32_e32 v6, 1.0, v6
	v_rcp_f32_e32 v10, v8
	v_fma_f32 v11, -v8, v10, 1.0
	v_fmac_f32_e32 v10, v11, v10
	v_mul_f32_e32 v11, v9, v10
	v_fma_f32 v12, -v8, v11, v9
	v_fmac_f32_e32 v11, v12, v10
	v_fma_f32 v8, -v8, v11, v9
	v_div_fmas_f32 v8, v8, v10, v11
	v_div_fixup_f32 v2, v8, v2, s4
	v_add_f32_e32 v8, 0, v2
	v_mov_b32_e32 v2, -1.0
.LBB64_44:
	s_or_b64 exec, exec, s[12:13]
	v_mul_f32_e32 v9, v6, v6
	v_div_scale_f32 v10, s[2:3], v9, v9, 1.0
	v_add_f32_e32 v6, 1.0, v6
	v_rcp_f32_e32 v11, v10
	v_fma_f32 v12, -v10, v11, 1.0
	v_fmac_f32_e32 v11, v12, v11
	v_div_scale_f32 v12, vcc, 1.0, v9, 1.0
	v_mul_f32_e32 v13, v12, v11
	v_fma_f32 v14, -v10, v13, v12
	v_fmac_f32_e32 v13, v14, v11
	v_fma_f32 v10, -v10, v13, v12
	v_div_fmas_f32 v10, v10, v11, v13
	v_div_fixup_f32 v9, v10, v9, 1.0
	v_add_f32_e32 v8, v8, v9
	v_mul_f32_e32 v9, v6, v6
	v_div_scale_f32 v10, s[2:3], v9, v9, 1.0
	v_add_f32_e32 v6, 1.0, v6
	v_rcp_f32_e32 v11, v10
	v_fma_f32 v12, -v10, v11, 1.0
	v_fmac_f32_e32 v11, v12, v11
	v_div_scale_f32 v12, vcc, 1.0, v9, 1.0
	v_mul_f32_e32 v13, v12, v11
	v_fma_f32 v14, -v10, v13, v12
	v_fmac_f32_e32 v13, v14, v11
	v_fma_f32 v10, -v10, v13, v12
	v_div_fmas_f32 v10, v10, v11, v13
	v_div_fixup_f32 v9, v10, v9, 1.0
	v_add_f32_e32 v8, v8, v9
	;; [unrolled: 14-line block ×6, first 2 shown]
	v_mul_f32_e32 v9, v6, v6
	v_div_scale_f32 v10, s[2:3], v9, v9, 1.0
	v_rcp_f32_e32 v11, v10
	v_fma_f32 v12, -v10, v11, 1.0
	v_fmac_f32_e32 v11, v12, v11
	v_div_scale_f32 v12, vcc, 1.0, v9, 1.0
	v_mul_f32_e32 v13, v12, v11
	v_fma_f32 v14, -v10, v13, v12
	v_fmac_f32_e32 v13, v14, v11
	v_fma_f32 v10, -v10, v13, v12
	v_div_fmas_f32 v10, v10, v11, v13
	v_div_fixup_f32 v9, v10, v9, 1.0
	v_add_f32_e32 v10, v6, v6
	v_div_scale_f32 v11, s[2:3], v10, v10, 1.0
	s_mov_b32 s2, 0x3e2aaaab
	v_rcp_f32_e32 v12, v11
	v_fma_f32 v13, -v11, v12, 1.0
	v_fmac_f32_e32 v12, v13, v12
	v_div_scale_f32 v13, vcc, 1.0, v10, 1.0
	v_mul_f32_e32 v14, v13, v12
	v_fma_f32 v15, -v11, v14, v13
	v_fmac_f32_e32 v14, v15, v12
	v_fma_f32 v11, -v11, v14, v13
	v_div_fmas_f32 v11, v11, v12, v14
	v_div_fixup_f32 v10, v11, v10, 1.0
	v_mov_b32_e32 v11, 0x3d088889
	v_fmac_f32_e32 v11, 0xbcc30c31, v9
	v_add_f32_e32 v10, 1.0, v10
	v_fma_f32 v11, -v9, v11, s2
	v_fmac_f32_e32 v10, v9, v11
	v_div_scale_f32 v9, s[2:3], v6, v6, v10
	v_rcp_f32_e32 v11, v9
	v_fma_f32 v12, -v9, v11, 1.0
	v_fmac_f32_e32 v11, v12, v11
	v_div_scale_f32 v12, vcc, v10, v6, v10
	v_mul_f32_e32 v13, v12, v11
	v_fma_f32 v14, -v9, v13, v12
	v_fmac_f32_e32 v13, v14, v11
	v_fma_f32 v9, -v9, v13, v12
	v_div_fmas_f32 v9, v9, v11, v13
	v_div_fixup_f32 v6, v9, v6, v10
	v_add_f32_e32 v6, v8, v6
	v_fma_mixlo_f16 v6, v2, v6, 0
	s_or_b64 exec, exec, s[10:11]
	s_and_saveexec_b64 s[2:3], s[0:1]
	s_xor_b64 s[0:1], exec, s[2:3]
	s_cbranch_execz .LBB64_34
.LBB64_45:
	v_mov_b32_e32 v2, 0
	v_lshlrev_b64 v[0:1], 1, v[1:2]
	v_mov_b32_e32 v2, s9
	v_add_co_u32_e32 v0, vcc, s8, v0
	v_addc_co_u32_e32 v1, vcc, v2, v1, vcc
	global_store_short v[0:1], v3, off
	v_mov_b32_e32 v0, v4
	s_or_b64 exec, exec, s[0:1]
	v_cmp_gt_i32_e32 vcc, s17, v0
	s_and_saveexec_b64 s[0:1], vcc
	s_cbranch_execz .LBB64_35
.LBB64_46:
	v_add_u32_e32 v2, 0x100, v0
	v_add_u32_e32 v0, s16, v0
	v_mov_b32_e32 v1, 0
	v_lshlrev_b64 v[0:1], 1, v[0:1]
	v_mov_b32_e32 v3, s9
	v_add_co_u32_e32 v0, vcc, s8, v0
	v_addc_co_u32_e32 v1, vcc, v3, v1, vcc
	global_store_short v[0:1], v5, off
	v_mov_b32_e32 v0, v2
	s_or_b64 exec, exec, s[0:1]
	v_cmp_gt_i32_e32 vcc, s17, v0
	s_and_saveexec_b64 s[0:1], vcc
	s_cbranch_execz .LBB64_36
.LBB64_47:
	v_add_u32_e32 v2, 0x100, v0
	v_add_u32_e32 v0, s16, v0
	v_mov_b32_e32 v1, 0
	v_lshlrev_b64 v[0:1], 1, v[0:1]
	v_mov_b32_e32 v3, s9
	v_add_co_u32_e32 v0, vcc, s8, v0
	v_addc_co_u32_e32 v1, vcc, v3, v1, vcc
	global_store_short v[0:1], v7, off
	v_mov_b32_e32 v0, v2
	s_or_b64 exec, exec, s[0:1]
	v_cmp_gt_i32_e32 vcc, s17, v0
	s_and_saveexec_b64 s[0:1], vcc
	s_cbranch_execz .LBB64_37
.LBB64_48:
	v_add_u32_e32 v0, s16, v0
	v_mov_b32_e32 v1, 0
	v_lshlrev_b64 v[0:1], 1, v[0:1]
	v_mov_b32_e32 v2, s9
	v_add_co_u32_e32 v0, vcc, s8, v0
	v_addc_co_u32_e32 v1, vcc, v2, v1, vcc
	global_store_short v[0:1], v6, off
	s_endpgm
	.section	.rodata,"a",@progbits
	.p2align	6, 0x0
	.amdhsa_kernel _ZN2at6native27unrolled_elementwise_kernelIZZZNS0_20trigamma_kernel_cudaERNS_18TensorIteratorBaseEENKUlvE_clEvENKUlvE1_clEvEUlN3c104HalfEE_St5arrayIPcLm2EELi4E23TrivialOffsetCalculatorILi1EjESD_NS0_6memory15LoadWithoutCastENSE_16StoreWithoutCastEEEviT_T0_T2_T3_T4_T5_
		.amdhsa_group_segment_fixed_size 0
		.amdhsa_private_segment_fixed_size 0
		.amdhsa_kernarg_size 28
		.amdhsa_user_sgpr_count 6
		.amdhsa_user_sgpr_private_segment_buffer 1
		.amdhsa_user_sgpr_dispatch_ptr 0
		.amdhsa_user_sgpr_queue_ptr 0
		.amdhsa_user_sgpr_kernarg_segment_ptr 1
		.amdhsa_user_sgpr_dispatch_id 0
		.amdhsa_user_sgpr_flat_scratch_init 0
		.amdhsa_user_sgpr_private_segment_size 0
		.amdhsa_uses_dynamic_stack 0
		.amdhsa_system_sgpr_private_segment_wavefront_offset 0
		.amdhsa_system_sgpr_workgroup_id_x 1
		.amdhsa_system_sgpr_workgroup_id_y 0
		.amdhsa_system_sgpr_workgroup_id_z 0
		.amdhsa_system_sgpr_workgroup_info 0
		.amdhsa_system_vgpr_workitem_id 0
		.amdhsa_next_free_vgpr 21
		.amdhsa_next_free_sgpr 18
		.amdhsa_reserve_vcc 1
		.amdhsa_reserve_flat_scratch 0
		.amdhsa_float_round_mode_32 0
		.amdhsa_float_round_mode_16_64 0
		.amdhsa_float_denorm_mode_32 3
		.amdhsa_float_denorm_mode_16_64 3
		.amdhsa_dx10_clamp 1
		.amdhsa_ieee_mode 1
		.amdhsa_fp16_overflow 0
		.amdhsa_exception_fp_ieee_invalid_op 0
		.amdhsa_exception_fp_denorm_src 0
		.amdhsa_exception_fp_ieee_div_zero 0
		.amdhsa_exception_fp_ieee_overflow 0
		.amdhsa_exception_fp_ieee_underflow 0
		.amdhsa_exception_fp_ieee_inexact 0
		.amdhsa_exception_int_div_zero 0
	.end_amdhsa_kernel
	.section	.text._ZN2at6native27unrolled_elementwise_kernelIZZZNS0_20trigamma_kernel_cudaERNS_18TensorIteratorBaseEENKUlvE_clEvENKUlvE1_clEvEUlN3c104HalfEE_St5arrayIPcLm2EELi4E23TrivialOffsetCalculatorILi1EjESD_NS0_6memory15LoadWithoutCastENSE_16StoreWithoutCastEEEviT_T0_T2_T3_T4_T5_,"axG",@progbits,_ZN2at6native27unrolled_elementwise_kernelIZZZNS0_20trigamma_kernel_cudaERNS_18TensorIteratorBaseEENKUlvE_clEvENKUlvE1_clEvEUlN3c104HalfEE_St5arrayIPcLm2EELi4E23TrivialOffsetCalculatorILi1EjESD_NS0_6memory15LoadWithoutCastENSE_16StoreWithoutCastEEEviT_T0_T2_T3_T4_T5_,comdat
.Lfunc_end64:
	.size	_ZN2at6native27unrolled_elementwise_kernelIZZZNS0_20trigamma_kernel_cudaERNS_18TensorIteratorBaseEENKUlvE_clEvENKUlvE1_clEvEUlN3c104HalfEE_St5arrayIPcLm2EELi4E23TrivialOffsetCalculatorILi1EjESD_NS0_6memory15LoadWithoutCastENSE_16StoreWithoutCastEEEviT_T0_T2_T3_T4_T5_, .Lfunc_end64-_ZN2at6native27unrolled_elementwise_kernelIZZZNS0_20trigamma_kernel_cudaERNS_18TensorIteratorBaseEENKUlvE_clEvENKUlvE1_clEvEUlN3c104HalfEE_St5arrayIPcLm2EELi4E23TrivialOffsetCalculatorILi1EjESD_NS0_6memory15LoadWithoutCastENSE_16StoreWithoutCastEEEviT_T0_T2_T3_T4_T5_
                                        ; -- End function
	.set _ZN2at6native27unrolled_elementwise_kernelIZZZNS0_20trigamma_kernel_cudaERNS_18TensorIteratorBaseEENKUlvE_clEvENKUlvE1_clEvEUlN3c104HalfEE_St5arrayIPcLm2EELi4E23TrivialOffsetCalculatorILi1EjESD_NS0_6memory15LoadWithoutCastENSE_16StoreWithoutCastEEEviT_T0_T2_T3_T4_T5_.num_vgpr, 21
	.set _ZN2at6native27unrolled_elementwise_kernelIZZZNS0_20trigamma_kernel_cudaERNS_18TensorIteratorBaseEENKUlvE_clEvENKUlvE1_clEvEUlN3c104HalfEE_St5arrayIPcLm2EELi4E23TrivialOffsetCalculatorILi1EjESD_NS0_6memory15LoadWithoutCastENSE_16StoreWithoutCastEEEviT_T0_T2_T3_T4_T5_.num_agpr, 0
	.set _ZN2at6native27unrolled_elementwise_kernelIZZZNS0_20trigamma_kernel_cudaERNS_18TensorIteratorBaseEENKUlvE_clEvENKUlvE1_clEvEUlN3c104HalfEE_St5arrayIPcLm2EELi4E23TrivialOffsetCalculatorILi1EjESD_NS0_6memory15LoadWithoutCastENSE_16StoreWithoutCastEEEviT_T0_T2_T3_T4_T5_.numbered_sgpr, 18
	.set _ZN2at6native27unrolled_elementwise_kernelIZZZNS0_20trigamma_kernel_cudaERNS_18TensorIteratorBaseEENKUlvE_clEvENKUlvE1_clEvEUlN3c104HalfEE_St5arrayIPcLm2EELi4E23TrivialOffsetCalculatorILi1EjESD_NS0_6memory15LoadWithoutCastENSE_16StoreWithoutCastEEEviT_T0_T2_T3_T4_T5_.num_named_barrier, 0
	.set _ZN2at6native27unrolled_elementwise_kernelIZZZNS0_20trigamma_kernel_cudaERNS_18TensorIteratorBaseEENKUlvE_clEvENKUlvE1_clEvEUlN3c104HalfEE_St5arrayIPcLm2EELi4E23TrivialOffsetCalculatorILi1EjESD_NS0_6memory15LoadWithoutCastENSE_16StoreWithoutCastEEEviT_T0_T2_T3_T4_T5_.private_seg_size, 0
	.set _ZN2at6native27unrolled_elementwise_kernelIZZZNS0_20trigamma_kernel_cudaERNS_18TensorIteratorBaseEENKUlvE_clEvENKUlvE1_clEvEUlN3c104HalfEE_St5arrayIPcLm2EELi4E23TrivialOffsetCalculatorILi1EjESD_NS0_6memory15LoadWithoutCastENSE_16StoreWithoutCastEEEviT_T0_T2_T3_T4_T5_.uses_vcc, 1
	.set _ZN2at6native27unrolled_elementwise_kernelIZZZNS0_20trigamma_kernel_cudaERNS_18TensorIteratorBaseEENKUlvE_clEvENKUlvE1_clEvEUlN3c104HalfEE_St5arrayIPcLm2EELi4E23TrivialOffsetCalculatorILi1EjESD_NS0_6memory15LoadWithoutCastENSE_16StoreWithoutCastEEEviT_T0_T2_T3_T4_T5_.uses_flat_scratch, 0
	.set _ZN2at6native27unrolled_elementwise_kernelIZZZNS0_20trigamma_kernel_cudaERNS_18TensorIteratorBaseEENKUlvE_clEvENKUlvE1_clEvEUlN3c104HalfEE_St5arrayIPcLm2EELi4E23TrivialOffsetCalculatorILi1EjESD_NS0_6memory15LoadWithoutCastENSE_16StoreWithoutCastEEEviT_T0_T2_T3_T4_T5_.has_dyn_sized_stack, 0
	.set _ZN2at6native27unrolled_elementwise_kernelIZZZNS0_20trigamma_kernel_cudaERNS_18TensorIteratorBaseEENKUlvE_clEvENKUlvE1_clEvEUlN3c104HalfEE_St5arrayIPcLm2EELi4E23TrivialOffsetCalculatorILi1EjESD_NS0_6memory15LoadWithoutCastENSE_16StoreWithoutCastEEEviT_T0_T2_T3_T4_T5_.has_recursion, 0
	.set _ZN2at6native27unrolled_elementwise_kernelIZZZNS0_20trigamma_kernel_cudaERNS_18TensorIteratorBaseEENKUlvE_clEvENKUlvE1_clEvEUlN3c104HalfEE_St5arrayIPcLm2EELi4E23TrivialOffsetCalculatorILi1EjESD_NS0_6memory15LoadWithoutCastENSE_16StoreWithoutCastEEEviT_T0_T2_T3_T4_T5_.has_indirect_call, 0
	.section	.AMDGPU.csdata,"",@progbits
; Kernel info:
; codeLenInByte = 7720
; TotalNumSgprs: 22
; NumVgprs: 21
; ScratchSize: 0
; MemoryBound: 0
; FloatMode: 240
; IeeeMode: 1
; LDSByteSize: 0 bytes/workgroup (compile time only)
; SGPRBlocks: 2
; VGPRBlocks: 5
; NumSGPRsForWavesPerEU: 22
; NumVGPRsForWavesPerEU: 21
; Occupancy: 10
; WaveLimiterHint : 0
; COMPUTE_PGM_RSRC2:SCRATCH_EN: 0
; COMPUTE_PGM_RSRC2:USER_SGPR: 6
; COMPUTE_PGM_RSRC2:TRAP_HANDLER: 0
; COMPUTE_PGM_RSRC2:TGID_X_EN: 1
; COMPUTE_PGM_RSRC2:TGID_Y_EN: 0
; COMPUTE_PGM_RSRC2:TGID_Z_EN: 0
; COMPUTE_PGM_RSRC2:TIDIG_COMP_CNT: 0
	.section	.text._ZN2at6native32elementwise_kernel_manual_unrollILi128ELi8EZNS0_22gpu_kernel_impl_nocastIZZZNS0_20trigamma_kernel_cudaERNS_18TensorIteratorBaseEENKUlvE_clEvENKUlvE1_clEvEUlN3c104HalfEE_EEvS4_RKT_EUlibE_EEviT1_,"axG",@progbits,_ZN2at6native32elementwise_kernel_manual_unrollILi128ELi8EZNS0_22gpu_kernel_impl_nocastIZZZNS0_20trigamma_kernel_cudaERNS_18TensorIteratorBaseEENKUlvE_clEvENKUlvE1_clEvEUlN3c104HalfEE_EEvS4_RKT_EUlibE_EEviT1_,comdat
	.globl	_ZN2at6native32elementwise_kernel_manual_unrollILi128ELi8EZNS0_22gpu_kernel_impl_nocastIZZZNS0_20trigamma_kernel_cudaERNS_18TensorIteratorBaseEENKUlvE_clEvENKUlvE1_clEvEUlN3c104HalfEE_EEvS4_RKT_EUlibE_EEviT1_ ; -- Begin function _ZN2at6native32elementwise_kernel_manual_unrollILi128ELi8EZNS0_22gpu_kernel_impl_nocastIZZZNS0_20trigamma_kernel_cudaERNS_18TensorIteratorBaseEENKUlvE_clEvENKUlvE1_clEvEUlN3c104HalfEE_EEvS4_RKT_EUlibE_EEviT1_
	.p2align	8
	.type	_ZN2at6native32elementwise_kernel_manual_unrollILi128ELi8EZNS0_22gpu_kernel_impl_nocastIZZZNS0_20trigamma_kernel_cudaERNS_18TensorIteratorBaseEENKUlvE_clEvENKUlvE1_clEvEUlN3c104HalfEE_EEvS4_RKT_EUlibE_EEviT1_,@function
_ZN2at6native32elementwise_kernel_manual_unrollILi128ELi8EZNS0_22gpu_kernel_impl_nocastIZZZNS0_20trigamma_kernel_cudaERNS_18TensorIteratorBaseEENKUlvE_clEvENKUlvE1_clEvEUlN3c104HalfEE_EEvS4_RKT_EUlibE_EEviT1_: ; @_ZN2at6native32elementwise_kernel_manual_unrollILi128ELi8EZNS0_22gpu_kernel_impl_nocastIZZZNS0_20trigamma_kernel_cudaERNS_18TensorIteratorBaseEENKUlvE_clEvENKUlvE1_clEvEUlN3c104HalfEE_EEvS4_RKT_EUlibE_EEviT1_
; %bb.0:
	s_load_dword s55, s[4:5], 0x0
	s_load_dword s33, s[4:5], 0x8
	s_add_u32 s34, s4, 8
	s_addc_u32 s35, s5, 0
	v_lshl_or_b32 v7, s6, 10, v0
	v_or_b32_e32 v18, 0x380, v7
	s_waitcnt lgkmcnt(0)
	s_add_i32 s54, s33, -1
	s_cmp_gt_u32 s54, 1
	v_cmp_le_i32_e32 vcc, s55, v18
	s_cselect_b64 s[36:37], -1, 0
	s_and_saveexec_b64 s[0:1], vcc
	s_xor_b64 s[38:39], exec, s[0:1]
	s_cbranch_execz .LBB65_7
; %bb.1:
	s_load_dwordx4 s[24:27], s[34:35], 0x4
	s_load_dwordx2 s[40:41], s[34:35], 0x14
	s_load_dwordx4 s[20:23], s[34:35], 0xc4
	s_load_dwordx4 s[16:19], s[34:35], 0x148
	s_cmp_lg_u32 s33, 0
	s_cselect_b64 s[46:47], -1, 0
	s_add_u32 s44, s34, 0xc4
	s_addc_u32 s45, s35, 0
	s_min_u32 s56, s54, 15
	s_cmp_gt_u32 s33, 1
	s_cselect_b64 s[42:43], -1, 0
	v_cmp_gt_i32_e32 vcc, s55, v7
	s_and_saveexec_b64 s[48:49], vcc
	s_cbranch_execz .LBB65_14
; %bb.2:
	s_andn2_b64 vcc, exec, s[36:37]
	s_cbranch_vccnz .LBB65_21
; %bb.3:
	s_andn2_b64 vcc, exec, s[46:47]
	s_cbranch_vccnz .LBB65_177
; %bb.4:
	s_add_i32 s58, s56, 1
	s_cmp_eq_u32 s54, 2
	s_cbranch_scc1 .LBB65_179
; %bb.5:
	s_and_b32 s57, s58, 28
	v_mov_b32_e32 v2, 0
	s_mov_b32 s59, 0
	s_mov_b64 s[50:51], s[34:35]
	s_mov_b64 s[52:53], s[44:45]
	v_mov_b32_e32 v0, 0
	v_mov_b32_e32 v1, v7
.LBB65_6:                               ; =>This Inner Loop Header: Depth=1
	s_load_dwordx8 s[8:15], s[50:51], 0x4
	s_load_dwordx4 s[28:31], s[50:51], 0x24
	s_load_dwordx8 s[0:7], s[52:53], 0x0
	s_add_u32 s50, s50, 48
	s_addc_u32 s51, s51, 0
	s_waitcnt lgkmcnt(0)
	v_mul_hi_u32 v3, s9, v1
	s_add_i32 s59, s59, 4
	s_add_u32 s52, s52, 32
	s_addc_u32 s53, s53, 0
	v_add_u32_e32 v3, v1, v3
	v_lshrrev_b32_e32 v3, s10, v3
	v_mul_lo_u32 v4, v3, s8
	v_mul_hi_u32 v5, s12, v3
	s_cmp_lg_u32 s57, s59
	v_sub_u32_e32 v1, v1, v4
	v_add_u32_e32 v4, v3, v5
	v_mul_lo_u32 v5, v1, s0
	v_mul_lo_u32 v6, v1, s1
	v_lshrrev_b32_e32 v1, s13, v4
	v_mul_lo_u32 v4, v1, s11
	v_mul_hi_u32 v8, s15, v1
	v_sub_u32_e32 v3, v3, v4
	v_add_u32_e32 v4, v1, v8
	v_lshrrev_b32_e32 v4, s28, v4
	v_mul_hi_u32 v9, s30, v4
	v_mul_lo_u32 v10, v4, s14
	v_mul_lo_u32 v8, v3, s2
	v_mul_lo_u32 v3, v3, s3
	v_sub_u32_e32 v10, v1, v10
	v_add_u32_e32 v1, v4, v9
	v_lshrrev_b32_e32 v1, s31, v1
	v_mul_lo_u32 v9, v1, s29
	v_mul_lo_u32 v11, v10, s4
	;; [unrolled: 1-line block ×3, first 2 shown]
	v_add3_u32 v0, v5, v0, v8
	v_sub_u32_e32 v4, v4, v9
	v_mul_lo_u32 v9, v4, s6
	v_mul_lo_u32 v4, v4, s7
	v_add3_u32 v2, v6, v2, v3
	v_add3_u32 v0, v11, v0, v9
	;; [unrolled: 1-line block ×3, first 2 shown]
	s_cbranch_scc1 .LBB65_6
	s_branch .LBB65_180
.LBB65_7:
	s_andn2_saveexec_b64 s[0:1], s[38:39]
	s_cbranch_execz .LBB65_305
.LBB65_8:
	v_cndmask_b32_e64 v0, 0, 1, s[36:37]
	v_cmp_ne_u32_e64 s[0:1], 1, v0
	s_andn2_b64 vcc, exec, s[36:37]
	s_cbranch_vccnz .LBB65_20
; %bb.9:
	s_cmp_lg_u32 s33, 0
	s_waitcnt lgkmcnt(0)
	s_mov_b32 s26, 0
	s_cbranch_scc0 .LBB65_23
; %bb.10:
	s_min_u32 s27, s54, 15
	s_add_i32 s27, s27, 1
	s_cmp_eq_u32 s54, 2
	s_cbranch_scc1 .LBB65_24
; %bb.11:
	s_and_b32 s26, s27, 28
	s_add_u32 s2, s34, 0xc4
	s_addc_u32 s3, s35, 0
	v_mov_b32_e32 v9, 0
	s_mov_b32 s28, 0
	s_mov_b64 s[24:25], s[34:35]
	v_mov_b32_e32 v0, 0
	v_mov_b32_e32 v1, v7
.LBB65_12:                              ; =>This Inner Loop Header: Depth=1
	s_load_dwordx8 s[12:19], s[24:25], 0x4
	s_load_dwordx4 s[20:23], s[24:25], 0x24
	s_load_dwordx8 s[4:11], s[2:3], 0x0
	s_add_u32 s24, s24, 48
	s_addc_u32 s25, s25, 0
	s_waitcnt lgkmcnt(0)
	v_mul_hi_u32 v2, s13, v1
	s_add_i32 s28, s28, 4
	s_add_u32 s2, s2, 32
	s_addc_u32 s3, s3, 0
	v_add_u32_e32 v2, v1, v2
	v_lshrrev_b32_e32 v2, s14, v2
	v_mul_lo_u32 v3, v2, s12
	v_mul_hi_u32 v4, s16, v2
	s_cmp_lg_u32 s26, s28
	v_sub_u32_e32 v1, v1, v3
	v_add_u32_e32 v3, v2, v4
	v_mul_lo_u32 v4, v1, s4
	v_mul_lo_u32 v5, v1, s5
	v_lshrrev_b32_e32 v1, s17, v3
	v_mul_lo_u32 v3, v1, s15
	v_mul_hi_u32 v6, s19, v1
	v_sub_u32_e32 v2, v2, v3
	v_add_u32_e32 v3, v1, v6
	v_lshrrev_b32_e32 v3, s20, v3
	v_mul_hi_u32 v8, s22, v3
	v_mul_lo_u32 v10, v3, s18
	v_mul_lo_u32 v6, v2, s6
	;; [unrolled: 1-line block ×3, first 2 shown]
	v_sub_u32_e32 v10, v1, v10
	v_add_u32_e32 v1, v3, v8
	v_lshrrev_b32_e32 v1, s23, v1
	v_mul_lo_u32 v8, v1, s21
	v_mul_lo_u32 v11, v10, s8
	;; [unrolled: 1-line block ×3, first 2 shown]
	v_add3_u32 v0, v4, v0, v6
	v_sub_u32_e32 v3, v3, v8
	v_mul_lo_u32 v8, v3, s10
	v_mul_lo_u32 v3, v3, s11
	v_add3_u32 v2, v5, v9, v2
	v_add3_u32 v0, v11, v0, v8
	;; [unrolled: 1-line block ×3, first 2 shown]
	s_cbranch_scc1 .LBB65_12
; %bb.13:
	s_and_b32 s6, s27, 3
	s_cmp_eq_u32 s6, 0
	s_cbranch_scc0 .LBB65_25
	s_branch .LBB65_27
.LBB65_14:
	s_or_b64 exec, exec, s[48:49]
	v_cmp_gt_i32_e32 vcc, s55, v7
	s_and_saveexec_b64 s[48:49], vcc
	s_cbranch_execz .LBB65_193
.LBB65_15:
	s_andn2_b64 vcc, exec, s[36:37]
	s_cbranch_vccnz .LBB65_22
; %bb.16:
	s_andn2_b64 vcc, exec, s[46:47]
	s_cbranch_vccnz .LBB65_178
; %bb.17:
	s_add_i32 s58, s56, 1
	s_cmp_eq_u32 s54, 2
	s_cbranch_scc1 .LBB65_201
; %bb.18:
	s_and_b32 s57, s58, 28
	v_mov_b32_e32 v2, 0
	s_mov_b32 s59, 0
	s_mov_b64 s[50:51], s[34:35]
	s_mov_b64 s[52:53], s[44:45]
	v_mov_b32_e32 v0, 0
	v_mov_b32_e32 v1, v7
.LBB65_19:                              ; =>This Inner Loop Header: Depth=1
	s_load_dwordx8 s[8:15], s[50:51], 0x4
	s_load_dwordx4 s[28:31], s[50:51], 0x24
	s_load_dwordx8 s[0:7], s[52:53], 0x0
	s_add_u32 s50, s50, 48
	s_addc_u32 s51, s51, 0
	s_waitcnt lgkmcnt(0)
	v_mul_hi_u32 v3, s9, v1
	s_add_i32 s59, s59, 4
	s_add_u32 s52, s52, 32
	s_addc_u32 s53, s53, 0
	v_add_u32_e32 v3, v1, v3
	v_lshrrev_b32_e32 v3, s10, v3
	v_mul_lo_u32 v4, v3, s8
	v_mul_hi_u32 v5, s12, v3
	s_cmp_eq_u32 s57, s59
	v_sub_u32_e32 v1, v1, v4
	v_add_u32_e32 v4, v3, v5
	v_mul_lo_u32 v5, v1, s0
	v_mul_lo_u32 v6, v1, s1
	v_lshrrev_b32_e32 v1, s13, v4
	v_mul_lo_u32 v4, v1, s11
	v_mul_hi_u32 v8, s15, v1
	v_sub_u32_e32 v3, v3, v4
	v_add_u32_e32 v4, v1, v8
	v_lshrrev_b32_e32 v4, s28, v4
	v_mul_hi_u32 v9, s30, v4
	v_mul_lo_u32 v10, v4, s14
	v_mul_lo_u32 v8, v3, s2
	;; [unrolled: 1-line block ×3, first 2 shown]
	v_sub_u32_e32 v10, v1, v10
	v_add_u32_e32 v1, v4, v9
	v_lshrrev_b32_e32 v1, s31, v1
	v_mul_lo_u32 v9, v1, s29
	v_mul_lo_u32 v11, v10, s4
	;; [unrolled: 1-line block ×3, first 2 shown]
	v_add3_u32 v0, v5, v0, v8
	v_sub_u32_e32 v4, v4, v9
	v_mul_lo_u32 v9, v4, s6
	v_mul_lo_u32 v4, v4, s7
	v_add3_u32 v2, v6, v2, v3
	v_add3_u32 v0, v11, v0, v9
	;; [unrolled: 1-line block ×3, first 2 shown]
	s_cbranch_scc0 .LBB65_19
	s_branch .LBB65_202
.LBB65_20:
                                        ; implicit-def: $vgpr0
                                        ; implicit-def: $vgpr9
	s_branch .LBB65_28
.LBB65_21:
                                        ; implicit-def: $vgpr0
                                        ; implicit-def: $vgpr2
	s_branch .LBB65_184
.LBB65_22:
                                        ; implicit-def: $vgpr0
                                        ; implicit-def: $vgpr2
	s_branch .LBB65_206
.LBB65_23:
	v_mov_b32_e32 v0, 0
	v_mov_b32_e32 v9, 0
	s_branch .LBB65_27
.LBB65_24:
	v_mov_b32_e32 v0, 0
	v_mov_b32_e32 v9, 0
	;; [unrolled: 1-line block ×3, first 2 shown]
	s_and_b32 s6, s27, 3
	s_cmp_eq_u32 s6, 0
	s_cbranch_scc1 .LBB65_27
.LBB65_25:
	s_lshl_b32 s2, s26, 3
	s_add_u32 s2, s34, s2
	s_addc_u32 s3, s35, 0
	s_add_u32 s2, s2, 0xc4
	s_addc_u32 s3, s3, 0
	s_mul_i32 s4, s26, 12
	s_add_u32 s4, s34, s4
	s_addc_u32 s5, s35, 0
.LBB65_26:                              ; =>This Inner Loop Header: Depth=1
	s_load_dwordx2 s[8:9], s[4:5], 0x4
	s_load_dword s7, s[4:5], 0xc
	s_load_dwordx2 s[10:11], s[2:3], 0x0
	s_add_u32 s4, s4, 12
	s_addc_u32 s5, s5, 0
	s_waitcnt lgkmcnt(0)
	v_mul_hi_u32 v2, s9, v1
	s_add_u32 s2, s2, 8
	s_addc_u32 s3, s3, 0
	s_add_i32 s6, s6, -1
	v_add_u32_e32 v2, v1, v2
	v_lshrrev_b32_e32 v2, s7, v2
	v_mul_lo_u32 v3, v2, s8
	s_cmp_lg_u32 s6, 0
	v_sub_u32_e32 v3, v1, v3
	v_mad_u64_u32 v[0:1], s[8:9], v3, s10, v[0:1]
	v_mad_u64_u32 v[9:10], s[8:9], v3, s11, v[9:10]
	v_mov_b32_e32 v1, v2
	s_cbranch_scc1 .LBB65_26
.LBB65_27:
	s_cbranch_execnz .LBB65_30
.LBB65_28:
	s_load_dwordx4 s[4:7], s[34:35], 0x4
	s_load_dwordx2 s[2:3], s[34:35], 0xc4
	s_cmp_lt_u32 s33, 2
	s_waitcnt lgkmcnt(0)
	v_mul_hi_u32 v0, s5, v7
	v_add_u32_e32 v0, v7, v0
	v_lshrrev_b32_e32 v1, s6, v0
	v_mul_lo_u32 v0, v1, s4
	v_sub_u32_e32 v2, v7, v0
	v_mul_lo_u32 v0, v2, s2
	v_mul_lo_u32 v9, v2, s3
	s_cbranch_scc1 .LBB65_30
; %bb.29:
	s_load_dwordx4 s[4:7], s[34:35], 0x10
	s_load_dwordx2 s[2:3], s[34:35], 0xcc
	s_waitcnt lgkmcnt(0)
	v_mul_hi_u32 v2, s5, v1
	v_add_u32_e32 v2, v1, v2
	v_lshrrev_b32_e32 v2, s6, v2
	v_mul_lo_u32 v2, v2, s4
	v_sub_u32_e32 v2, v1, v2
	v_mad_u64_u32 v[0:1], s[4:5], v2, s2, v[0:1]
	v_mad_u64_u32 v[9:10], s[2:3], v2, s3, v[9:10]
.LBB65_30:
	s_and_b64 vcc, exec, s[0:1]
	v_add_u32_e32 v3, 0x80, v7
	s_cbranch_vccnz .LBB65_36
; %bb.31:
	s_cmp_lg_u32 s33, 0
	s_waitcnt lgkmcnt(0)
	s_mov_b32 s26, 0
	s_cbranch_scc0 .LBB65_37
; %bb.32:
	s_min_u32 s27, s54, 15
	s_add_i32 s27, s27, 1
	s_cmp_eq_u32 s54, 2
	s_cbranch_scc1 .LBB65_38
; %bb.33:
	s_and_b32 s26, s27, 28
	s_add_u32 s2, s34, 0xc4
	s_addc_u32 s3, s35, 0
	v_mov_b32_e32 v10, 0
	s_mov_b32 s28, 0
	s_mov_b64 s[24:25], s[34:35]
	v_mov_b32_e32 v1, 0
	v_mov_b32_e32 v2, v3
.LBB65_34:                              ; =>This Inner Loop Header: Depth=1
	s_load_dwordx8 s[12:19], s[24:25], 0x4
	s_load_dwordx4 s[20:23], s[24:25], 0x24
	s_load_dwordx8 s[4:11], s[2:3], 0x0
	s_add_u32 s24, s24, 48
	s_addc_u32 s25, s25, 0
	s_waitcnt lgkmcnt(0)
	v_mul_hi_u32 v4, s13, v2
	s_add_i32 s28, s28, 4
	s_add_u32 s2, s2, 32
	s_addc_u32 s3, s3, 0
	v_add_u32_e32 v4, v2, v4
	v_lshrrev_b32_e32 v4, s14, v4
	v_mul_lo_u32 v5, v4, s12
	v_mul_hi_u32 v6, s16, v4
	s_cmp_lg_u32 s26, s28
	v_sub_u32_e32 v2, v2, v5
	v_add_u32_e32 v5, v4, v6
	v_mul_lo_u32 v6, v2, s4
	v_mul_lo_u32 v8, v2, s5
	v_lshrrev_b32_e32 v2, s17, v5
	v_mul_lo_u32 v5, v2, s15
	v_mul_hi_u32 v11, s19, v2
	v_sub_u32_e32 v4, v4, v5
	v_add_u32_e32 v5, v2, v11
	v_lshrrev_b32_e32 v5, s20, v5
	v_mul_hi_u32 v12, s22, v5
	v_mul_lo_u32 v13, v5, s18
	v_mul_lo_u32 v11, v4, s6
	;; [unrolled: 1-line block ×3, first 2 shown]
	v_sub_u32_e32 v13, v2, v13
	v_add_u32_e32 v2, v5, v12
	v_lshrrev_b32_e32 v2, s23, v2
	v_mul_lo_u32 v12, v2, s21
	v_mul_lo_u32 v14, v13, s8
	v_mul_lo_u32 v13, v13, s9
	v_add3_u32 v1, v6, v1, v11
	v_sub_u32_e32 v5, v5, v12
	v_mul_lo_u32 v12, v5, s10
	v_mul_lo_u32 v5, v5, s11
	v_add3_u32 v4, v8, v10, v4
	v_add3_u32 v1, v14, v1, v12
	v_add3_u32 v10, v13, v4, v5
	s_cbranch_scc1 .LBB65_34
; %bb.35:
	s_and_b32 s6, s27, 3
	s_cmp_eq_u32 s6, 0
	s_cbranch_scc0 .LBB65_39
	s_branch .LBB65_41
.LBB65_36:
                                        ; implicit-def: $vgpr1
                                        ; implicit-def: $vgpr10
	s_branch .LBB65_42
.LBB65_37:
	v_mov_b32_e32 v1, 0
	v_mov_b32_e32 v10, 0
	s_branch .LBB65_41
.LBB65_38:
	v_mov_b32_e32 v1, 0
	v_mov_b32_e32 v10, 0
	;; [unrolled: 1-line block ×3, first 2 shown]
	s_and_b32 s6, s27, 3
	s_cmp_eq_u32 s6, 0
	s_cbranch_scc1 .LBB65_41
.LBB65_39:
	s_lshl_b32 s2, s26, 3
	s_add_u32 s2, s34, s2
	s_addc_u32 s3, s35, 0
	s_add_u32 s2, s2, 0xc4
	s_addc_u32 s3, s3, 0
	s_mul_i32 s4, s26, 12
	s_add_u32 s4, s34, s4
	s_addc_u32 s5, s35, 0
.LBB65_40:                              ; =>This Inner Loop Header: Depth=1
	s_load_dwordx2 s[8:9], s[4:5], 0x4
	s_load_dword s7, s[4:5], 0xc
	s_load_dwordx2 s[10:11], s[2:3], 0x0
	s_add_u32 s4, s4, 12
	s_addc_u32 s5, s5, 0
	s_waitcnt lgkmcnt(0)
	v_mul_hi_u32 v4, s9, v2
	s_add_u32 s2, s2, 8
	s_addc_u32 s3, s3, 0
	s_add_i32 s6, s6, -1
	v_add_u32_e32 v4, v2, v4
	v_lshrrev_b32_e32 v4, s7, v4
	v_mul_lo_u32 v5, v4, s8
	s_cmp_lg_u32 s6, 0
	v_sub_u32_e32 v5, v2, v5
	v_mad_u64_u32 v[1:2], s[8:9], v5, s10, v[1:2]
	v_mad_u64_u32 v[10:11], s[8:9], v5, s11, v[10:11]
	v_mov_b32_e32 v2, v4
	s_cbranch_scc1 .LBB65_40
.LBB65_41:
	s_cbranch_execnz .LBB65_44
.LBB65_42:
	s_load_dwordx4 s[4:7], s[34:35], 0x4
	s_load_dwordx2 s[2:3], s[34:35], 0xc4
	s_cmp_lt_u32 s33, 2
	s_waitcnt lgkmcnt(0)
	v_mul_hi_u32 v1, s5, v3
	v_add_u32_e32 v1, v3, v1
	v_lshrrev_b32_e32 v2, s6, v1
	v_mul_lo_u32 v1, v2, s4
	v_sub_u32_e32 v3, v3, v1
	v_mul_lo_u32 v1, v3, s2
	v_mul_lo_u32 v10, v3, s3
	s_cbranch_scc1 .LBB65_44
; %bb.43:
	s_load_dwordx4 s[4:7], s[34:35], 0x10
	s_load_dwordx2 s[2:3], s[34:35], 0xcc
	s_waitcnt lgkmcnt(0)
	v_mul_hi_u32 v3, s5, v2
	v_add_u32_e32 v3, v2, v3
	v_lshrrev_b32_e32 v3, s6, v3
	v_mul_lo_u32 v3, v3, s4
	v_sub_u32_e32 v3, v2, v3
	v_mad_u64_u32 v[1:2], s[4:5], v3, s2, v[1:2]
	v_mad_u64_u32 v[10:11], s[2:3], v3, s3, v[10:11]
.LBB65_44:
	s_and_b64 vcc, exec, s[0:1]
	v_add_u32_e32 v4, 0x100, v7
	s_cbranch_vccnz .LBB65_50
; %bb.45:
	s_cmp_lg_u32 s33, 0
	s_waitcnt lgkmcnt(0)
	s_mov_b32 s26, 0
	s_cbranch_scc0 .LBB65_51
; %bb.46:
	s_min_u32 s27, s54, 15
	s_add_i32 s27, s27, 1
	s_cmp_eq_u32 s54, 2
	s_cbranch_scc1 .LBB65_52
; %bb.47:
	s_and_b32 s26, s27, 28
	s_add_u32 s2, s34, 0xc4
	s_addc_u32 s3, s35, 0
	v_mov_b32_e32 v11, 0
	s_mov_b32 s28, 0
	s_mov_b64 s[24:25], s[34:35]
	v_mov_b32_e32 v2, 0
	v_mov_b32_e32 v3, v4
.LBB65_48:                              ; =>This Inner Loop Header: Depth=1
	s_load_dwordx8 s[12:19], s[24:25], 0x4
	s_load_dwordx4 s[20:23], s[24:25], 0x24
	s_load_dwordx8 s[4:11], s[2:3], 0x0
	s_add_u32 s24, s24, 48
	s_addc_u32 s25, s25, 0
	s_waitcnt lgkmcnt(0)
	v_mul_hi_u32 v5, s13, v3
	s_add_i32 s28, s28, 4
	s_add_u32 s2, s2, 32
	s_addc_u32 s3, s3, 0
	v_add_u32_e32 v5, v3, v5
	v_lshrrev_b32_e32 v5, s14, v5
	v_mul_lo_u32 v6, v5, s12
	v_mul_hi_u32 v8, s16, v5
	s_cmp_lg_u32 s26, s28
	v_sub_u32_e32 v3, v3, v6
	v_add_u32_e32 v6, v5, v8
	v_mul_lo_u32 v8, v3, s4
	v_mul_lo_u32 v12, v3, s5
	v_lshrrev_b32_e32 v3, s17, v6
	v_mul_lo_u32 v6, v3, s15
	v_mul_hi_u32 v13, s19, v3
	v_sub_u32_e32 v5, v5, v6
	v_add_u32_e32 v6, v3, v13
	v_lshrrev_b32_e32 v6, s20, v6
	v_mul_hi_u32 v14, s22, v6
	v_mul_lo_u32 v15, v6, s18
	v_mul_lo_u32 v13, v5, s6
	;; [unrolled: 1-line block ×3, first 2 shown]
	v_sub_u32_e32 v15, v3, v15
	v_add_u32_e32 v3, v6, v14
	v_lshrrev_b32_e32 v3, s23, v3
	v_mul_lo_u32 v14, v3, s21
	v_mul_lo_u32 v16, v15, s8
	;; [unrolled: 1-line block ×3, first 2 shown]
	v_add3_u32 v2, v8, v2, v13
	v_sub_u32_e32 v6, v6, v14
	v_mul_lo_u32 v14, v6, s10
	v_mul_lo_u32 v6, v6, s11
	v_add3_u32 v5, v12, v11, v5
	v_add3_u32 v2, v16, v2, v14
	;; [unrolled: 1-line block ×3, first 2 shown]
	s_cbranch_scc1 .LBB65_48
; %bb.49:
	s_and_b32 s6, s27, 3
	s_cmp_eq_u32 s6, 0
	s_cbranch_scc0 .LBB65_53
	s_branch .LBB65_55
.LBB65_50:
                                        ; implicit-def: $vgpr2
                                        ; implicit-def: $vgpr11
	s_branch .LBB65_56
.LBB65_51:
	v_mov_b32_e32 v2, 0
	v_mov_b32_e32 v11, 0
	s_branch .LBB65_55
.LBB65_52:
	v_mov_b32_e32 v2, 0
	v_mov_b32_e32 v11, 0
	;; [unrolled: 1-line block ×3, first 2 shown]
	s_and_b32 s6, s27, 3
	s_cmp_eq_u32 s6, 0
	s_cbranch_scc1 .LBB65_55
.LBB65_53:
	s_lshl_b32 s2, s26, 3
	s_add_u32 s2, s34, s2
	s_addc_u32 s3, s35, 0
	s_add_u32 s2, s2, 0xc4
	s_addc_u32 s3, s3, 0
	s_mul_i32 s4, s26, 12
	s_add_u32 s4, s34, s4
	s_addc_u32 s5, s35, 0
.LBB65_54:                              ; =>This Inner Loop Header: Depth=1
	s_load_dwordx2 s[8:9], s[4:5], 0x4
	s_load_dword s7, s[4:5], 0xc
	s_load_dwordx2 s[10:11], s[2:3], 0x0
	s_add_u32 s4, s4, 12
	s_addc_u32 s5, s5, 0
	s_waitcnt lgkmcnt(0)
	v_mul_hi_u32 v5, s9, v3
	s_add_u32 s2, s2, 8
	s_addc_u32 s3, s3, 0
	s_add_i32 s6, s6, -1
	v_add_u32_e32 v5, v3, v5
	v_lshrrev_b32_e32 v5, s7, v5
	v_mul_lo_u32 v6, v5, s8
	s_cmp_lg_u32 s6, 0
	v_sub_u32_e32 v6, v3, v6
	v_mad_u64_u32 v[2:3], s[8:9], v6, s10, v[2:3]
	v_mad_u64_u32 v[11:12], s[8:9], v6, s11, v[11:12]
	v_mov_b32_e32 v3, v5
	s_cbranch_scc1 .LBB65_54
.LBB65_55:
	s_cbranch_execnz .LBB65_58
.LBB65_56:
	s_load_dwordx4 s[4:7], s[34:35], 0x4
	s_load_dwordx2 s[2:3], s[34:35], 0xc4
	s_cmp_lt_u32 s33, 2
	s_waitcnt lgkmcnt(0)
	v_mul_hi_u32 v2, s5, v4
	v_add_u32_e32 v2, v4, v2
	v_lshrrev_b32_e32 v3, s6, v2
	v_mul_lo_u32 v2, v3, s4
	v_sub_u32_e32 v4, v4, v2
	v_mul_lo_u32 v2, v4, s2
	v_mul_lo_u32 v11, v4, s3
	s_cbranch_scc1 .LBB65_58
; %bb.57:
	s_load_dwordx4 s[4:7], s[34:35], 0x10
	s_load_dwordx2 s[2:3], s[34:35], 0xcc
	s_waitcnt lgkmcnt(0)
	v_mul_hi_u32 v4, s5, v3
	v_add_u32_e32 v4, v3, v4
	v_lshrrev_b32_e32 v4, s6, v4
	v_mul_lo_u32 v4, v4, s4
	v_sub_u32_e32 v4, v3, v4
	v_mad_u64_u32 v[2:3], s[4:5], v4, s2, v[2:3]
	v_mad_u64_u32 v[11:12], s[2:3], v4, s3, v[11:12]
.LBB65_58:
	s_and_b64 vcc, exec, s[0:1]
	v_add_u32_e32 v5, 0x180, v7
	s_cbranch_vccnz .LBB65_64
; %bb.59:
	s_cmp_lg_u32 s33, 0
	s_waitcnt lgkmcnt(0)
	s_mov_b32 s26, 0
	s_cbranch_scc0 .LBB65_65
; %bb.60:
	s_min_u32 s27, s54, 15
	s_add_i32 s27, s27, 1
	s_cmp_eq_u32 s54, 2
	s_cbranch_scc1 .LBB65_66
; %bb.61:
	s_and_b32 s26, s27, 28
	s_add_u32 s2, s34, 0xc4
	s_addc_u32 s3, s35, 0
	v_mov_b32_e32 v12, 0
	s_mov_b32 s28, 0
	s_mov_b64 s[24:25], s[34:35]
	v_mov_b32_e32 v3, 0
	v_mov_b32_e32 v4, v5
.LBB65_62:                              ; =>This Inner Loop Header: Depth=1
	s_load_dwordx8 s[12:19], s[24:25], 0x4
	s_load_dwordx4 s[20:23], s[24:25], 0x24
	s_load_dwordx8 s[4:11], s[2:3], 0x0
	s_add_u32 s24, s24, 48
	s_addc_u32 s25, s25, 0
	s_waitcnt lgkmcnt(0)
	v_mul_hi_u32 v6, s13, v4
	s_add_i32 s28, s28, 4
	s_add_u32 s2, s2, 32
	s_addc_u32 s3, s3, 0
	v_add_u32_e32 v6, v4, v6
	v_lshrrev_b32_e32 v6, s14, v6
	v_mul_lo_u32 v8, v6, s12
	v_mul_hi_u32 v13, s16, v6
	s_cmp_lg_u32 s26, s28
	v_sub_u32_e32 v4, v4, v8
	v_add_u32_e32 v8, v6, v13
	v_mul_lo_u32 v13, v4, s4
	v_mul_lo_u32 v14, v4, s5
	v_lshrrev_b32_e32 v4, s17, v8
	v_mul_lo_u32 v8, v4, s15
	v_mul_hi_u32 v15, s19, v4
	v_sub_u32_e32 v6, v6, v8
	v_add_u32_e32 v8, v4, v15
	v_lshrrev_b32_e32 v8, s20, v8
	v_mul_hi_u32 v16, s22, v8
	v_mul_lo_u32 v17, v8, s18
	v_mul_lo_u32 v15, v6, s6
	;; [unrolled: 1-line block ×3, first 2 shown]
	v_sub_u32_e32 v17, v4, v17
	v_add_u32_e32 v4, v8, v16
	v_lshrrev_b32_e32 v4, s23, v4
	v_mul_lo_u32 v16, v4, s21
	v_mul_lo_u32 v19, v17, s8
	v_mul_lo_u32 v17, v17, s9
	v_add3_u32 v3, v13, v3, v15
	v_sub_u32_e32 v8, v8, v16
	v_mul_lo_u32 v16, v8, s10
	v_mul_lo_u32 v8, v8, s11
	v_add3_u32 v6, v14, v12, v6
	v_add3_u32 v3, v19, v3, v16
	;; [unrolled: 1-line block ×3, first 2 shown]
	s_cbranch_scc1 .LBB65_62
; %bb.63:
	s_and_b32 s6, s27, 3
	s_cmp_eq_u32 s6, 0
	s_cbranch_scc0 .LBB65_67
	s_branch .LBB65_69
.LBB65_64:
                                        ; implicit-def: $vgpr3
                                        ; implicit-def: $vgpr12
	s_branch .LBB65_70
.LBB65_65:
	v_mov_b32_e32 v3, 0
	v_mov_b32_e32 v12, 0
	s_branch .LBB65_69
.LBB65_66:
	v_mov_b32_e32 v3, 0
	v_mov_b32_e32 v12, 0
	;; [unrolled: 1-line block ×3, first 2 shown]
	s_and_b32 s6, s27, 3
	s_cmp_eq_u32 s6, 0
	s_cbranch_scc1 .LBB65_69
.LBB65_67:
	s_lshl_b32 s2, s26, 3
	s_add_u32 s2, s34, s2
	s_addc_u32 s3, s35, 0
	s_add_u32 s2, s2, 0xc4
	s_addc_u32 s3, s3, 0
	s_mul_i32 s4, s26, 12
	s_add_u32 s4, s34, s4
	s_addc_u32 s5, s35, 0
.LBB65_68:                              ; =>This Inner Loop Header: Depth=1
	s_load_dwordx2 s[8:9], s[4:5], 0x4
	s_load_dword s7, s[4:5], 0xc
	s_load_dwordx2 s[10:11], s[2:3], 0x0
	s_add_u32 s4, s4, 12
	s_addc_u32 s5, s5, 0
	s_waitcnt lgkmcnt(0)
	v_mul_hi_u32 v6, s9, v4
	s_add_u32 s2, s2, 8
	s_addc_u32 s3, s3, 0
	s_add_i32 s6, s6, -1
	v_add_u32_e32 v6, v4, v6
	v_lshrrev_b32_e32 v6, s7, v6
	v_mul_lo_u32 v8, v6, s8
	s_cmp_lg_u32 s6, 0
	v_sub_u32_e32 v8, v4, v8
	v_mad_u64_u32 v[3:4], s[8:9], v8, s10, v[3:4]
	v_mad_u64_u32 v[12:13], s[8:9], v8, s11, v[12:13]
	v_mov_b32_e32 v4, v6
	s_cbranch_scc1 .LBB65_68
.LBB65_69:
	s_cbranch_execnz .LBB65_72
.LBB65_70:
	s_load_dwordx4 s[4:7], s[34:35], 0x4
	s_load_dwordx2 s[2:3], s[34:35], 0xc4
	s_cmp_lt_u32 s33, 2
	s_waitcnt lgkmcnt(0)
	v_mul_hi_u32 v3, s5, v5
	v_add_u32_e32 v3, v5, v3
	v_lshrrev_b32_e32 v4, s6, v3
	v_mul_lo_u32 v3, v4, s4
	v_sub_u32_e32 v5, v5, v3
	v_mul_lo_u32 v3, v5, s2
	v_mul_lo_u32 v12, v5, s3
	s_cbranch_scc1 .LBB65_72
; %bb.71:
	s_load_dwordx4 s[4:7], s[34:35], 0x10
	s_load_dwordx2 s[2:3], s[34:35], 0xcc
	s_waitcnt lgkmcnt(0)
	v_mul_hi_u32 v5, s5, v4
	v_add_u32_e32 v5, v4, v5
	v_lshrrev_b32_e32 v5, s6, v5
	v_mul_lo_u32 v5, v5, s4
	v_sub_u32_e32 v5, v4, v5
	v_mad_u64_u32 v[3:4], s[4:5], v5, s2, v[3:4]
	v_mad_u64_u32 v[12:13], s[2:3], v5, s3, v[12:13]
.LBB65_72:
	s_and_b64 vcc, exec, s[0:1]
	v_add_u32_e32 v6, 0x200, v7
	s_cbranch_vccnz .LBB65_78
; %bb.73:
	s_cmp_lg_u32 s33, 0
	s_waitcnt lgkmcnt(0)
	s_mov_b32 s26, 0
	s_cbranch_scc0 .LBB65_79
; %bb.74:
	s_min_u32 s27, s54, 15
	s_add_i32 s27, s27, 1
	s_cmp_eq_u32 s54, 2
	s_cbranch_scc1 .LBB65_80
; %bb.75:
	s_and_b32 s26, s27, 28
	s_add_u32 s2, s34, 0xc4
	s_addc_u32 s3, s35, 0
	v_mov_b32_e32 v13, 0
	s_mov_b32 s28, 0
	s_mov_b64 s[24:25], s[34:35]
	v_mov_b32_e32 v4, 0
	v_mov_b32_e32 v5, v6
.LBB65_76:                              ; =>This Inner Loop Header: Depth=1
	s_load_dwordx8 s[12:19], s[24:25], 0x4
	s_load_dwordx4 s[20:23], s[24:25], 0x24
	s_load_dwordx8 s[4:11], s[2:3], 0x0
	s_add_u32 s24, s24, 48
	s_addc_u32 s25, s25, 0
	s_waitcnt lgkmcnt(0)
	v_mul_hi_u32 v8, s13, v5
	s_add_i32 s28, s28, 4
	s_add_u32 s2, s2, 32
	s_addc_u32 s3, s3, 0
	v_add_u32_e32 v8, v5, v8
	v_lshrrev_b32_e32 v8, s14, v8
	v_mul_lo_u32 v14, v8, s12
	v_mul_hi_u32 v15, s16, v8
	s_cmp_lg_u32 s26, s28
	v_sub_u32_e32 v5, v5, v14
	v_add_u32_e32 v14, v8, v15
	v_mul_lo_u32 v15, v5, s4
	v_mul_lo_u32 v16, v5, s5
	v_lshrrev_b32_e32 v5, s17, v14
	v_mul_lo_u32 v14, v5, s15
	v_mul_hi_u32 v17, s19, v5
	v_sub_u32_e32 v8, v8, v14
	v_add_u32_e32 v14, v5, v17
	v_lshrrev_b32_e32 v14, s20, v14
	v_mul_hi_u32 v19, s22, v14
	v_mul_lo_u32 v20, v14, s18
	v_mul_lo_u32 v17, v8, s6
	;; [unrolled: 1-line block ×3, first 2 shown]
	v_sub_u32_e32 v20, v5, v20
	v_add_u32_e32 v5, v14, v19
	v_lshrrev_b32_e32 v5, s23, v5
	v_mul_lo_u32 v19, v5, s21
	v_mul_lo_u32 v21, v20, s8
	v_mul_lo_u32 v20, v20, s9
	v_add3_u32 v4, v15, v4, v17
	v_sub_u32_e32 v14, v14, v19
	v_mul_lo_u32 v19, v14, s10
	v_mul_lo_u32 v14, v14, s11
	v_add3_u32 v8, v16, v13, v8
	v_add3_u32 v4, v21, v4, v19
	;; [unrolled: 1-line block ×3, first 2 shown]
	s_cbranch_scc1 .LBB65_76
; %bb.77:
	s_and_b32 s6, s27, 3
	s_cmp_eq_u32 s6, 0
	s_cbranch_scc0 .LBB65_81
	s_branch .LBB65_83
.LBB65_78:
                                        ; implicit-def: $vgpr4
                                        ; implicit-def: $vgpr13
	s_branch .LBB65_84
.LBB65_79:
	v_mov_b32_e32 v4, 0
	v_mov_b32_e32 v13, 0
	s_branch .LBB65_83
.LBB65_80:
	v_mov_b32_e32 v4, 0
	v_mov_b32_e32 v13, 0
	;; [unrolled: 1-line block ×3, first 2 shown]
	s_and_b32 s6, s27, 3
	s_cmp_eq_u32 s6, 0
	s_cbranch_scc1 .LBB65_83
.LBB65_81:
	s_lshl_b32 s2, s26, 3
	s_add_u32 s2, s34, s2
	s_addc_u32 s3, s35, 0
	s_add_u32 s2, s2, 0xc4
	s_addc_u32 s3, s3, 0
	s_mul_i32 s4, s26, 12
	s_add_u32 s4, s34, s4
	s_addc_u32 s5, s35, 0
.LBB65_82:                              ; =>This Inner Loop Header: Depth=1
	s_load_dwordx2 s[8:9], s[4:5], 0x4
	s_load_dword s7, s[4:5], 0xc
	s_load_dwordx2 s[10:11], s[2:3], 0x0
	s_add_u32 s4, s4, 12
	s_addc_u32 s5, s5, 0
	s_waitcnt lgkmcnt(0)
	v_mul_hi_u32 v8, s9, v5
	s_add_u32 s2, s2, 8
	s_addc_u32 s3, s3, 0
	s_add_i32 s6, s6, -1
	v_add_u32_e32 v8, v5, v8
	v_lshrrev_b32_e32 v8, s7, v8
	v_mul_lo_u32 v14, v8, s8
	s_cmp_lg_u32 s6, 0
	v_sub_u32_e32 v14, v5, v14
	v_mad_u64_u32 v[4:5], s[8:9], v14, s10, v[4:5]
	v_mad_u64_u32 v[13:14], s[8:9], v14, s11, v[13:14]
	v_mov_b32_e32 v5, v8
	s_cbranch_scc1 .LBB65_82
.LBB65_83:
	s_cbranch_execnz .LBB65_86
.LBB65_84:
	s_load_dwordx4 s[4:7], s[34:35], 0x4
	s_load_dwordx2 s[2:3], s[34:35], 0xc4
	s_cmp_lt_u32 s33, 2
	s_waitcnt lgkmcnt(0)
	v_mul_hi_u32 v4, s5, v6
	v_add_u32_e32 v4, v6, v4
	v_lshrrev_b32_e32 v5, s6, v4
	v_mul_lo_u32 v4, v5, s4
	v_sub_u32_e32 v6, v6, v4
	v_mul_lo_u32 v4, v6, s2
	v_mul_lo_u32 v13, v6, s3
	s_cbranch_scc1 .LBB65_86
; %bb.85:
	s_load_dwordx4 s[4:7], s[34:35], 0x10
	s_load_dwordx2 s[2:3], s[34:35], 0xcc
	s_waitcnt lgkmcnt(0)
	v_mul_hi_u32 v6, s5, v5
	v_add_u32_e32 v6, v5, v6
	v_lshrrev_b32_e32 v6, s6, v6
	v_mul_lo_u32 v6, v6, s4
	v_sub_u32_e32 v6, v5, v6
	v_mad_u64_u32 v[4:5], s[4:5], v6, s2, v[4:5]
	v_mad_u64_u32 v[13:14], s[2:3], v6, s3, v[13:14]
.LBB65_86:
	s_and_b64 vcc, exec, s[0:1]
	v_add_u32_e32 v8, 0x280, v7
	s_cbranch_vccnz .LBB65_92
; %bb.87:
	s_cmp_lg_u32 s33, 0
	s_waitcnt lgkmcnt(0)
	s_mov_b32 s26, 0
	s_cbranch_scc0 .LBB65_93
; %bb.88:
	s_min_u32 s27, s54, 15
	s_add_i32 s27, s27, 1
	s_cmp_eq_u32 s54, 2
	s_cbranch_scc1 .LBB65_94
; %bb.89:
	s_and_b32 s26, s27, 28
	s_add_u32 s2, s34, 0xc4
	s_addc_u32 s3, s35, 0
	v_mov_b32_e32 v14, 0
	s_mov_b32 s28, 0
	s_mov_b64 s[24:25], s[34:35]
	v_mov_b32_e32 v5, 0
	v_mov_b32_e32 v6, v8
.LBB65_90:                              ; =>This Inner Loop Header: Depth=1
	s_load_dwordx8 s[12:19], s[24:25], 0x4
	s_load_dwordx4 s[20:23], s[24:25], 0x24
	s_load_dwordx8 s[4:11], s[2:3], 0x0
	s_add_u32 s24, s24, 48
	s_addc_u32 s25, s25, 0
	s_waitcnt lgkmcnt(0)
	v_mul_hi_u32 v15, s13, v6
	s_add_i32 s28, s28, 4
	s_add_u32 s2, s2, 32
	s_addc_u32 s3, s3, 0
	v_add_u32_e32 v15, v6, v15
	v_lshrrev_b32_e32 v15, s14, v15
	v_mul_lo_u32 v16, v15, s12
	v_mul_hi_u32 v17, s16, v15
	s_cmp_lg_u32 s26, s28
	v_sub_u32_e32 v6, v6, v16
	v_add_u32_e32 v16, v15, v17
	v_mul_lo_u32 v17, v6, s4
	v_mul_lo_u32 v19, v6, s5
	v_lshrrev_b32_e32 v6, s17, v16
	v_mul_lo_u32 v16, v6, s15
	v_mul_hi_u32 v20, s19, v6
	v_sub_u32_e32 v15, v15, v16
	v_add_u32_e32 v16, v6, v20
	v_lshrrev_b32_e32 v16, s20, v16
	v_mul_hi_u32 v21, s22, v16
	v_mul_lo_u32 v22, v16, s18
	v_mul_lo_u32 v20, v15, s6
	;; [unrolled: 1-line block ×3, first 2 shown]
	v_sub_u32_e32 v22, v6, v22
	v_add_u32_e32 v6, v16, v21
	v_lshrrev_b32_e32 v6, s23, v6
	v_mul_lo_u32 v21, v6, s21
	v_mul_lo_u32 v23, v22, s8
	;; [unrolled: 1-line block ×3, first 2 shown]
	v_add3_u32 v5, v17, v5, v20
	v_sub_u32_e32 v16, v16, v21
	v_mul_lo_u32 v21, v16, s10
	v_mul_lo_u32 v16, v16, s11
	v_add3_u32 v14, v19, v14, v15
	v_add3_u32 v5, v23, v5, v21
	;; [unrolled: 1-line block ×3, first 2 shown]
	s_cbranch_scc1 .LBB65_90
; %bb.91:
	s_and_b32 s6, s27, 3
	s_cmp_eq_u32 s6, 0
	s_cbranch_scc0 .LBB65_95
	s_branch .LBB65_97
.LBB65_92:
                                        ; implicit-def: $vgpr5
                                        ; implicit-def: $vgpr14
	s_branch .LBB65_98
.LBB65_93:
	v_mov_b32_e32 v5, 0
	v_mov_b32_e32 v14, 0
	s_branch .LBB65_97
.LBB65_94:
	v_mov_b32_e32 v5, 0
	v_mov_b32_e32 v14, 0
	;; [unrolled: 1-line block ×3, first 2 shown]
	s_and_b32 s6, s27, 3
	s_cmp_eq_u32 s6, 0
	s_cbranch_scc1 .LBB65_97
.LBB65_95:
	s_lshl_b32 s2, s26, 3
	s_add_u32 s2, s34, s2
	s_addc_u32 s3, s35, 0
	s_add_u32 s2, s2, 0xc4
	s_addc_u32 s3, s3, 0
	s_mul_i32 s4, s26, 12
	s_add_u32 s4, s34, s4
	s_addc_u32 s5, s35, 0
.LBB65_96:                              ; =>This Inner Loop Header: Depth=1
	s_load_dwordx2 s[8:9], s[4:5], 0x4
	s_load_dword s7, s[4:5], 0xc
	s_load_dwordx2 s[10:11], s[2:3], 0x0
	s_add_u32 s4, s4, 12
	s_addc_u32 s5, s5, 0
	s_waitcnt lgkmcnt(0)
	v_mul_hi_u32 v15, s9, v6
	s_add_u32 s2, s2, 8
	s_addc_u32 s3, s3, 0
	s_add_i32 s6, s6, -1
	v_add_u32_e32 v15, v6, v15
	v_lshrrev_b32_e32 v16, s7, v15
	v_mul_lo_u32 v15, v16, s8
	s_cmp_lg_u32 s6, 0
	v_sub_u32_e32 v15, v6, v15
	v_mad_u64_u32 v[5:6], s[8:9], v15, s10, v[5:6]
	v_mad_u64_u32 v[14:15], s[8:9], v15, s11, v[14:15]
	v_mov_b32_e32 v6, v16
	s_cbranch_scc1 .LBB65_96
.LBB65_97:
	s_cbranch_execnz .LBB65_100
.LBB65_98:
	s_load_dwordx4 s[4:7], s[34:35], 0x4
	s_load_dwordx2 s[2:3], s[34:35], 0xc4
	s_cmp_lt_u32 s33, 2
	s_waitcnt lgkmcnt(0)
	v_mul_hi_u32 v5, s5, v8
	v_add_u32_e32 v5, v8, v5
	v_lshrrev_b32_e32 v6, s6, v5
	v_mul_lo_u32 v5, v6, s4
	v_sub_u32_e32 v8, v8, v5
	v_mul_lo_u32 v5, v8, s2
	v_mul_lo_u32 v14, v8, s3
	s_cbranch_scc1 .LBB65_100
; %bb.99:
	s_load_dwordx4 s[4:7], s[34:35], 0x10
	s_load_dwordx2 s[2:3], s[34:35], 0xcc
	s_waitcnt lgkmcnt(0)
	v_mul_hi_u32 v8, s5, v6
	v_add_u32_e32 v8, v6, v8
	v_lshrrev_b32_e32 v8, s6, v8
	v_mul_lo_u32 v8, v8, s4
	v_sub_u32_e32 v8, v6, v8
	v_mad_u64_u32 v[5:6], s[4:5], v8, s2, v[5:6]
	v_mad_u64_u32 v[14:15], s[2:3], v8, s3, v[14:15]
.LBB65_100:
	s_and_b64 vcc, exec, s[0:1]
	v_add_u32_e32 v8, 0x300, v7
	s_cbranch_vccnz .LBB65_106
; %bb.101:
	s_cmp_lg_u32 s33, 0
	s_waitcnt lgkmcnt(0)
	s_mov_b32 s26, 0
	s_cbranch_scc0 .LBB65_107
; %bb.102:
	s_min_u32 s27, s54, 15
	s_add_i32 s27, s27, 1
	s_cmp_eq_u32 s54, 2
	s_cbranch_scc1 .LBB65_108
; %bb.103:
	s_and_b32 s26, s27, 28
	s_add_u32 s2, s34, 0xc4
	s_addc_u32 s3, s35, 0
	v_mov_b32_e32 v15, 0
	s_mov_b32 s28, 0
	s_mov_b64 s[24:25], s[34:35]
	v_mov_b32_e32 v6, 0
	v_mov_b32_e32 v7, v8
.LBB65_104:                             ; =>This Inner Loop Header: Depth=1
	s_load_dwordx8 s[12:19], s[24:25], 0x4
	s_load_dwordx4 s[20:23], s[24:25], 0x24
	s_load_dwordx8 s[4:11], s[2:3], 0x0
	s_add_u32 s24, s24, 48
	s_addc_u32 s25, s25, 0
	s_waitcnt lgkmcnt(0)
	v_mul_hi_u32 v16, s13, v7
	s_add_i32 s28, s28, 4
	s_add_u32 s2, s2, 32
	s_addc_u32 s3, s3, 0
	v_add_u32_e32 v16, v7, v16
	v_lshrrev_b32_e32 v16, s14, v16
	v_mul_lo_u32 v17, v16, s12
	v_mul_hi_u32 v19, s16, v16
	s_cmp_lg_u32 s26, s28
	v_sub_u32_e32 v7, v7, v17
	v_add_u32_e32 v17, v16, v19
	v_mul_lo_u32 v19, v7, s4
	v_mul_lo_u32 v20, v7, s5
	v_lshrrev_b32_e32 v7, s17, v17
	v_mul_lo_u32 v17, v7, s15
	v_mul_hi_u32 v21, s19, v7
	v_sub_u32_e32 v16, v16, v17
	v_add_u32_e32 v17, v7, v21
	v_lshrrev_b32_e32 v17, s20, v17
	v_mul_hi_u32 v22, s22, v17
	v_mul_lo_u32 v23, v17, s18
	v_mul_lo_u32 v21, v16, s6
	;; [unrolled: 1-line block ×3, first 2 shown]
	v_sub_u32_e32 v23, v7, v23
	v_add_u32_e32 v7, v17, v22
	v_lshrrev_b32_e32 v7, s23, v7
	v_mul_lo_u32 v22, v7, s21
	v_mul_lo_u32 v24, v23, s8
	;; [unrolled: 1-line block ×3, first 2 shown]
	v_add3_u32 v6, v19, v6, v21
	v_sub_u32_e32 v17, v17, v22
	v_mul_lo_u32 v22, v17, s10
	v_mul_lo_u32 v17, v17, s11
	v_add3_u32 v15, v20, v15, v16
	v_add3_u32 v6, v24, v6, v22
	v_add3_u32 v15, v23, v15, v17
	s_cbranch_scc1 .LBB65_104
; %bb.105:
	s_and_b32 s6, s27, 3
	s_cmp_eq_u32 s6, 0
	s_cbranch_scc0 .LBB65_109
	s_branch .LBB65_111
.LBB65_106:
                                        ; implicit-def: $vgpr6
                                        ; implicit-def: $vgpr15
	s_branch .LBB65_112
.LBB65_107:
	v_mov_b32_e32 v6, 0
	v_mov_b32_e32 v15, 0
	s_branch .LBB65_111
.LBB65_108:
	v_mov_b32_e32 v6, 0
	v_mov_b32_e32 v15, 0
	;; [unrolled: 1-line block ×3, first 2 shown]
	s_and_b32 s6, s27, 3
	s_cmp_eq_u32 s6, 0
	s_cbranch_scc1 .LBB65_111
.LBB65_109:
	s_lshl_b32 s2, s26, 3
	s_add_u32 s2, s34, s2
	s_addc_u32 s3, s35, 0
	s_add_u32 s2, s2, 0xc4
	s_addc_u32 s3, s3, 0
	s_mul_i32 s4, s26, 12
	s_add_u32 s4, s34, s4
	s_addc_u32 s5, s35, 0
.LBB65_110:                             ; =>This Inner Loop Header: Depth=1
	s_load_dwordx2 s[8:9], s[4:5], 0x4
	s_load_dword s7, s[4:5], 0xc
	s_load_dwordx2 s[10:11], s[2:3], 0x0
	s_add_u32 s4, s4, 12
	s_addc_u32 s5, s5, 0
	s_waitcnt lgkmcnt(0)
	v_mul_hi_u32 v16, s9, v7
	s_add_u32 s2, s2, 8
	s_addc_u32 s3, s3, 0
	s_add_i32 s6, s6, -1
	v_add_u32_e32 v16, v7, v16
	v_lshrrev_b32_e32 v17, s7, v16
	v_mul_lo_u32 v16, v17, s8
	s_cmp_lg_u32 s6, 0
	v_sub_u32_e32 v16, v7, v16
	v_mad_u64_u32 v[6:7], s[8:9], v16, s10, v[6:7]
	v_mad_u64_u32 v[15:16], s[8:9], v16, s11, v[15:16]
	v_mov_b32_e32 v7, v17
	s_cbranch_scc1 .LBB65_110
.LBB65_111:
	s_cbranch_execnz .LBB65_114
.LBB65_112:
	s_load_dwordx4 s[4:7], s[34:35], 0x4
	s_load_dwordx2 s[2:3], s[34:35], 0xc4
	s_cmp_lt_u32 s33, 2
	s_waitcnt lgkmcnt(0)
	v_mul_hi_u32 v6, s5, v8
	v_add_u32_e32 v6, v8, v6
	v_lshrrev_b32_e32 v7, s6, v6
	v_mul_lo_u32 v6, v7, s4
	v_sub_u32_e32 v8, v8, v6
	v_mul_lo_u32 v6, v8, s2
	v_mul_lo_u32 v15, v8, s3
	s_cbranch_scc1 .LBB65_114
; %bb.113:
	s_load_dwordx4 s[4:7], s[34:35], 0x10
	s_load_dwordx2 s[2:3], s[34:35], 0xcc
	s_waitcnt lgkmcnt(0)
	v_mul_hi_u32 v8, s5, v7
	v_add_u32_e32 v8, v7, v8
	v_lshrrev_b32_e32 v8, s6, v8
	v_mul_lo_u32 v8, v8, s4
	v_sub_u32_e32 v8, v7, v8
	v_mad_u64_u32 v[6:7], s[4:5], v8, s2, v[6:7]
	v_mad_u64_u32 v[15:16], s[2:3], v8, s3, v[15:16]
.LBB65_114:
	s_and_b64 vcc, exec, s[0:1]
	s_cbranch_vccnz .LBB65_120
; %bb.115:
	s_cmp_lg_u32 s33, 0
	s_waitcnt lgkmcnt(0)
	s_mov_b32 s24, 0
	s_cbranch_scc0 .LBB65_121
; %bb.116:
	s_min_u32 s25, s54, 15
	s_add_i32 s25, s25, 1
	s_cmp_eq_u32 s54, 2
	s_cbranch_scc1 .LBB65_122
; %bb.117:
	s_and_b32 s24, s25, 28
	s_add_u32 s20, s34, 0xc4
	s_addc_u32 s21, s35, 0
	v_mov_b32_e32 v16, 0
	s_mov_b32 s26, 0
	s_mov_b64 s[22:23], s[34:35]
	v_mov_b32_e32 v7, 0
	v_mov_b32_e32 v8, v18
.LBB65_118:                             ; =>This Inner Loop Header: Depth=1
	s_load_dwordx8 s[8:15], s[22:23], 0x4
	s_load_dwordx4 s[16:19], s[22:23], 0x24
	s_load_dwordx8 s[0:7], s[20:21], 0x0
	s_add_u32 s22, s22, 48
	s_addc_u32 s23, s23, 0
	s_waitcnt lgkmcnt(0)
	v_mul_hi_u32 v17, s9, v8
	s_add_i32 s26, s26, 4
	s_add_u32 s20, s20, 32
	s_addc_u32 s21, s21, 0
	v_add_u32_e32 v17, v8, v17
	v_lshrrev_b32_e32 v17, s10, v17
	v_mul_lo_u32 v19, v17, s8
	v_mul_hi_u32 v20, s12, v17
	s_cmp_lg_u32 s24, s26
	v_sub_u32_e32 v8, v8, v19
	v_add_u32_e32 v19, v17, v20
	v_mul_lo_u32 v20, v8, s0
	v_mul_lo_u32 v21, v8, s1
	v_lshrrev_b32_e32 v8, s13, v19
	v_mul_lo_u32 v19, v8, s11
	v_mul_hi_u32 v22, s15, v8
	v_sub_u32_e32 v17, v17, v19
	v_add_u32_e32 v19, v8, v22
	v_lshrrev_b32_e32 v19, s16, v19
	v_mul_hi_u32 v23, s18, v19
	v_mul_lo_u32 v24, v19, s14
	v_mul_lo_u32 v22, v17, s2
	;; [unrolled: 1-line block ×3, first 2 shown]
	v_sub_u32_e32 v24, v8, v24
	v_add_u32_e32 v8, v19, v23
	v_lshrrev_b32_e32 v8, s19, v8
	v_mul_lo_u32 v23, v8, s17
	v_mul_lo_u32 v25, v24, s4
	;; [unrolled: 1-line block ×3, first 2 shown]
	v_add3_u32 v7, v20, v7, v22
	v_sub_u32_e32 v19, v19, v23
	v_mul_lo_u32 v23, v19, s6
	v_mul_lo_u32 v19, v19, s7
	v_add3_u32 v16, v21, v16, v17
	v_add3_u32 v7, v25, v7, v23
	;; [unrolled: 1-line block ×3, first 2 shown]
	s_cbranch_scc1 .LBB65_118
; %bb.119:
	s_and_b32 s4, s25, 3
	s_cmp_eq_u32 s4, 0
	s_cbranch_scc0 .LBB65_123
	s_branch .LBB65_125
.LBB65_120:
                                        ; implicit-def: $vgpr7
                                        ; implicit-def: $vgpr16
	s_branch .LBB65_126
.LBB65_121:
	v_mov_b32_e32 v7, 0
	v_mov_b32_e32 v16, 0
	s_branch .LBB65_125
.LBB65_122:
	v_mov_b32_e32 v7, 0
	v_mov_b32_e32 v16, 0
	;; [unrolled: 1-line block ×3, first 2 shown]
	s_and_b32 s4, s25, 3
	s_cmp_eq_u32 s4, 0
	s_cbranch_scc1 .LBB65_125
.LBB65_123:
	s_lshl_b32 s0, s24, 3
	s_add_u32 s0, s34, s0
	s_addc_u32 s1, s35, 0
	s_add_u32 s0, s0, 0xc4
	s_addc_u32 s1, s1, 0
	s_mul_i32 s2, s24, 12
	s_add_u32 s2, s34, s2
	s_addc_u32 s3, s35, 0
.LBB65_124:                             ; =>This Inner Loop Header: Depth=1
	s_load_dwordx2 s[6:7], s[2:3], 0x4
	s_load_dword s5, s[2:3], 0xc
	s_load_dwordx2 s[8:9], s[0:1], 0x0
	s_add_u32 s2, s2, 12
	s_addc_u32 s3, s3, 0
	s_waitcnt lgkmcnt(0)
	v_mul_hi_u32 v17, s7, v8
	s_add_u32 s0, s0, 8
	s_addc_u32 s1, s1, 0
	s_add_i32 s4, s4, -1
	v_add_u32_e32 v17, v8, v17
	v_lshrrev_b32_e32 v19, s5, v17
	v_mul_lo_u32 v17, v19, s6
	s_cmp_lg_u32 s4, 0
	v_sub_u32_e32 v17, v8, v17
	v_mad_u64_u32 v[7:8], s[6:7], v17, s8, v[7:8]
	v_mad_u64_u32 v[16:17], s[6:7], v17, s9, v[16:17]
	v_mov_b32_e32 v8, v19
	s_cbranch_scc1 .LBB65_124
.LBB65_125:
	s_cbranch_execnz .LBB65_128
.LBB65_126:
	s_load_dwordx4 s[0:3], s[34:35], 0x4
	s_load_dwordx2 s[4:5], s[34:35], 0xc4
	s_cmp_lt_u32 s33, 2
	s_waitcnt lgkmcnt(0)
	v_mul_hi_u32 v7, s1, v18
	v_add_u32_e32 v7, v18, v7
	v_lshrrev_b32_e32 v8, s2, v7
	v_mul_lo_u32 v7, v8, s0
	v_sub_u32_e32 v16, v18, v7
	v_mul_lo_u32 v7, v16, s4
	v_mul_lo_u32 v16, v16, s5
	s_cbranch_scc1 .LBB65_128
; %bb.127:
	s_load_dwordx4 s[0:3], s[34:35], 0x10
	s_load_dwordx2 s[4:5], s[34:35], 0xcc
	s_waitcnt lgkmcnt(0)
	v_mul_hi_u32 v17, s1, v8
	v_add_u32_e32 v17, v8, v17
	v_lshrrev_b32_e32 v17, s2, v17
	v_mul_lo_u32 v17, v17, s0
	v_sub_u32_e32 v17, v8, v17
	v_mad_u64_u32 v[7:8], s[0:1], v17, s4, v[7:8]
	v_mad_u64_u32 v[16:17], s[0:1], v17, s5, v[16:17]
.LBB65_128:
	s_load_dwordx4 s[8:11], s[34:35], 0x148
	v_mov_b32_e32 v17, 0
	s_waitcnt lgkmcnt(0)
	global_load_ushort v9, v9, s[10:11]
	s_waitcnt vmcnt(0)
	v_cvt_f32_f16_e32 v8, v9
	v_cmp_gt_f16_e32 vcc, 0.5, v9
	v_mov_b32_e32 v9, 1.0
	s_and_saveexec_b64 s[6:7], vcc
	s_cbranch_execz .LBB65_134
; %bb.129:
	v_mul_f32_e32 v9, 0x40490fdb, v8
	s_brev_b32 s0, 18
	v_and_b32_e32 v17, 0x7fffffff, v9
	v_cmp_nlt_f32_e64 s[0:1], |v9|, s0
                                        ; implicit-def: $vgpr18
                                        ; implicit-def: $vgpr19
	s_and_saveexec_b64 s[2:3], s[0:1]
	s_xor_b64 s[12:13], exec, s[2:3]
	s_cbranch_execz .LBB65_131
; %bb.130:
	v_and_b32_e32 v18, 0x7fffff, v17
	v_or_b32_e32 v27, 0x800000, v18
	s_mov_b32 s0, 0xfe5163ab
	v_mad_u64_u32 v[18:19], s[0:1], v27, s0, 0
	v_mov_b32_e32 v20, 0
	s_mov_b32 s0, 0x3c439041
	v_mad_u64_u32 v[21:22], s[0:1], v27, s0, v[19:20]
	s_mov_b32 s0, 0xdb629599
	v_not_b32_e32 v26, 63
	v_mov_b32_e32 v19, v22
	v_mad_u64_u32 v[22:23], s[0:1], v27, s0, v[19:20]
	s_mov_b32 s0, 0xf534ddc0
	v_not_b32_e32 v29, 31
	v_mov_b32_e32 v19, v23
	v_mad_u64_u32 v[23:24], s[0:1], v27, s0, v[19:20]
	v_lshrrev_b32_e32 v19, 23, v17
	v_add_u32_e32 v28, 0xffffff88, v19
	v_mov_b32_e32 v19, v24
	s_mov_b32 s0, 0xfc2757d1
	v_mad_u64_u32 v[24:25], s[0:1], v27, s0, v[19:20]
	v_cmp_lt_u32_e32 vcc, 63, v28
	v_cndmask_b32_e32 v19, 0, v26, vcc
	v_add_u32_e32 v28, v19, v28
	v_mov_b32_e32 v19, v25
	s_mov_b32 s0, 0x4e441529
	v_mad_u64_u32 v[25:26], s[0:1], v27, s0, v[19:20]
	v_cmp_lt_u32_e64 s[0:1], 31, v28
	v_cndmask_b32_e64 v19, 0, v29, s[0:1]
	v_add_u32_e32 v28, v19, v28
	v_mov_b32_e32 v19, v26
	s_mov_b32 s2, 0xa2f9836e
	v_mad_u64_u32 v[19:20], s[2:3], v27, s2, v[19:20]
	v_cmp_lt_u32_e64 s[2:3], 31, v28
	v_cndmask_b32_e64 v26, 0, v29, s[2:3]
	v_cndmask_b32_e32 v27, v25, v23, vcc
	v_cndmask_b32_e32 v19, v19, v24, vcc
	;; [unrolled: 1-line block ×3, first 2 shown]
	v_add_u32_e32 v26, v26, v28
	v_cndmask_b32_e64 v28, v19, v27, s[0:1]
	v_cndmask_b32_e64 v19, v20, v19, s[0:1]
	v_cndmask_b32_e32 v20, v24, v22, vcc
	v_cndmask_b32_e64 v24, v27, v20, s[0:1]
	v_cndmask_b32_e64 v19, v19, v28, s[2:3]
	;; [unrolled: 1-line block ×3, first 2 shown]
	v_sub_u32_e32 v27, 32, v26
	v_alignbit_b32 v28, v19, v25, v27
	v_cmp_eq_u32_e64 s[4:5], 0, v26
	v_cndmask_b32_e64 v26, v28, v19, s[4:5]
	v_cndmask_b32_e32 v19, v23, v21, vcc
	v_cndmask_b32_e64 v20, v20, v19, s[0:1]
	v_cndmask_b32_e64 v21, v24, v20, s[2:3]
	v_alignbit_b32 v23, v25, v21, v27
	v_cndmask_b32_e32 v18, v22, v18, vcc
	v_cndmask_b32_e64 v23, v23, v25, s[4:5]
	v_bfe_u32 v28, v26, 29, 1
	v_cndmask_b32_e64 v18, v19, v18, s[0:1]
	v_alignbit_b32 v24, v26, v23, 30
	v_sub_u32_e32 v29, 0, v28
	v_cndmask_b32_e64 v18, v20, v18, s[2:3]
	v_xor_b32_e32 v24, v24, v29
	v_alignbit_b32 v19, v21, v18, v27
	v_cndmask_b32_e64 v19, v19, v21, s[4:5]
	v_ffbh_u32_e32 v21, v24
	v_alignbit_b32 v20, v23, v19, 30
	v_min_u32_e32 v21, 32, v21
	v_alignbit_b32 v18, v19, v18, 30
	v_xor_b32_e32 v20, v20, v29
	v_sub_u32_e32 v22, 31, v21
	v_xor_b32_e32 v18, v18, v29
	v_alignbit_b32 v23, v24, v20, v22
	v_alignbit_b32 v18, v20, v18, v22
	;; [unrolled: 1-line block ×3, first 2 shown]
	v_ffbh_u32_e32 v20, v19
	v_min_u32_e32 v20, 32, v20
	v_lshrrev_b32_e32 v25, 29, v26
	v_not_b32_e32 v22, v20
	v_alignbit_b32 v18, v19, v18, v22
	v_lshlrev_b32_e32 v19, 31, v25
	v_or_b32_e32 v22, 0x33000000, v19
	v_add_lshl_u32 v20, v20, v21, 23
	v_lshrrev_b32_e32 v18, 9, v18
	v_sub_u32_e32 v20, v22, v20
	v_or_b32_e32 v19, 0.5, v19
	v_lshlrev_b32_e32 v21, 23, v21
	v_or_b32_e32 v18, v20, v18
	v_lshrrev_b32_e32 v20, 9, v23
	v_sub_u32_e32 v19, v19, v21
	v_or_b32_e32 v19, v20, v19
	s_mov_b32 s0, 0x3fc90fda
	v_mul_f32_e32 v20, 0x3fc90fda, v19
	v_fma_f32 v21, v19, s0, -v20
	v_fmac_f32_e32 v21, 0x33a22168, v19
	v_fmac_f32_e32 v21, 0x3fc90fda, v18
	v_lshrrev_b32_e32 v18, 30, v26
	v_add_f32_e32 v19, v20, v21
	v_add_u32_e32 v18, v28, v18
.LBB65_131:
	s_andn2_saveexec_b64 s[0:1], s[12:13]
	s_cbranch_execz .LBB65_133
; %bb.132:
	s_mov_b32 s2, 0x3f22f983
	v_mul_f32_e64 v18, |v9|, s2
	v_rndne_f32_e32 v20, v18
	s_mov_b32 s2, 0xbfc90fda
	v_cvt_i32_f32_e32 v18, v20
	v_fma_f32 v19, v20, s2, |v9|
	v_fmac_f32_e32 v19, 0xb3a22168, v20
	v_fmac_f32_e32 v19, 0xa7c234c4, v20
.LBB65_133:
	s_or_b64 exec, exec, s[0:1]
	v_mul_f32_e32 v20, v19, v19
	v_mov_b32_e32 v21, 0x3c0881c4
	v_fmac_f32_e32 v21, 0xb94c1982, v20
	v_mov_b32_e32 v22, 0xbe2aaa9d
	v_fmac_f32_e32 v22, v20, v21
	v_mul_f32_e32 v21, v20, v22
	v_fmac_f32_e32 v19, v19, v21
	v_mov_b32_e32 v21, 0xbab64f3b
	v_fmac_f32_e32 v21, 0x37d75334, v20
	v_mov_b32_e32 v22, 0x3d2aabf7
	;; [unrolled: 2-line block ×3, first 2 shown]
	v_fmac_f32_e32 v21, v20, v22
	v_fma_f32 v20, v20, v21, 1.0
	v_and_b32_e32 v21, 1, v18
	v_lshlrev_b32_e32 v18, 30, v18
	v_cmp_eq_u32_e32 vcc, 0, v21
	v_and_b32_e32 v18, 0x80000000, v18
	v_xor_b32_e32 v17, v17, v9
	v_cndmask_b32_e32 v19, v20, v19, vcc
	v_xor_b32_e32 v17, v17, v18
	s_movk_i32 s0, 0x1f8
	v_xor_b32_e32 v17, v17, v19
	v_mov_b32_e32 v18, 0x7fc00000
	v_cmp_class_f32_e64 vcc, v9, s0
	v_cndmask_b32_e32 v9, v18, v17, vcc
	v_mul_f32_e32 v9, v9, v9
	s_mov_b32 s2, 0xc11de9e7
	v_div_scale_f32 v17, s[0:1], v9, v9, s2
	v_div_scale_f32 v18, vcc, s2, v9, s2
	v_sub_f32_e32 v8, 1.0, v8
	v_rcp_f32_e32 v19, v17
	v_fma_f32 v20, -v17, v19, 1.0
	v_fmac_f32_e32 v19, v20, v19
	v_mul_f32_e32 v20, v18, v19
	v_fma_f32 v21, -v17, v20, v18
	v_fmac_f32_e32 v20, v21, v19
	v_fma_f32 v17, -v17, v20, v18
	v_div_fmas_f32 v17, v17, v19, v20
	v_div_fixup_f32 v9, v17, v9, s2
	v_add_f32_e32 v17, 0, v9
	v_mov_b32_e32 v9, -1.0
.LBB65_134:
	s_or_b64 exec, exec, s[6:7]
	global_load_ushort v18, v10, s[10:11]
	v_mov_b32_e32 v19, 0
	s_waitcnt vmcnt(0)
	v_cvt_f32_f16_e32 v10, v18
	v_cmp_gt_f16_e32 vcc, 0.5, v18
	v_mov_b32_e32 v18, 1.0
	s_and_saveexec_b64 s[6:7], vcc
	s_cbranch_execz .LBB65_140
; %bb.135:
	v_mul_f32_e32 v18, 0x40490fdb, v10
	s_brev_b32 s0, 18
	v_and_b32_e32 v19, 0x7fffffff, v18
	v_cmp_nlt_f32_e64 s[0:1], |v18|, s0
                                        ; implicit-def: $vgpr20
                                        ; implicit-def: $vgpr21
	s_and_saveexec_b64 s[2:3], s[0:1]
	s_xor_b64 s[12:13], exec, s[2:3]
	s_cbranch_execz .LBB65_137
; %bb.136:
	v_and_b32_e32 v20, 0x7fffff, v19
	v_or_b32_e32 v29, 0x800000, v20
	s_mov_b32 s0, 0xfe5163ab
	v_mad_u64_u32 v[20:21], s[0:1], v29, s0, 0
	v_mov_b32_e32 v22, 0
	s_mov_b32 s0, 0x3c439041
	v_mad_u64_u32 v[23:24], s[0:1], v29, s0, v[21:22]
	s_mov_b32 s0, 0xdb629599
	v_not_b32_e32 v28, 63
	v_mov_b32_e32 v21, v24
	v_mad_u64_u32 v[24:25], s[0:1], v29, s0, v[21:22]
	s_mov_b32 s0, 0xf534ddc0
	v_not_b32_e32 v31, 31
	v_mov_b32_e32 v21, v25
	v_mad_u64_u32 v[25:26], s[0:1], v29, s0, v[21:22]
	v_lshrrev_b32_e32 v21, 23, v19
	v_add_u32_e32 v30, 0xffffff88, v21
	v_mov_b32_e32 v21, v26
	s_mov_b32 s0, 0xfc2757d1
	v_mad_u64_u32 v[26:27], s[0:1], v29, s0, v[21:22]
	v_cmp_lt_u32_e32 vcc, 63, v30
	v_cndmask_b32_e32 v21, 0, v28, vcc
	v_add_u32_e32 v30, v21, v30
	v_mov_b32_e32 v21, v27
	s_mov_b32 s0, 0x4e441529
	v_mad_u64_u32 v[27:28], s[0:1], v29, s0, v[21:22]
	v_cmp_lt_u32_e64 s[0:1], 31, v30
	v_cndmask_b32_e64 v21, 0, v31, s[0:1]
	v_add_u32_e32 v30, v21, v30
	v_mov_b32_e32 v21, v28
	s_mov_b32 s2, 0xa2f9836e
	v_mad_u64_u32 v[21:22], s[2:3], v29, s2, v[21:22]
	v_cmp_lt_u32_e64 s[2:3], 31, v30
	v_cndmask_b32_e64 v28, 0, v31, s[2:3]
	v_cndmask_b32_e32 v29, v27, v25, vcc
	v_cndmask_b32_e32 v21, v21, v26, vcc
	;; [unrolled: 1-line block ×3, first 2 shown]
	v_add_u32_e32 v28, v28, v30
	v_cndmask_b32_e64 v30, v21, v29, s[0:1]
	v_cndmask_b32_e64 v21, v22, v21, s[0:1]
	v_cndmask_b32_e32 v22, v26, v24, vcc
	v_cndmask_b32_e64 v26, v29, v22, s[0:1]
	v_cndmask_b32_e64 v21, v21, v30, s[2:3]
	;; [unrolled: 1-line block ×3, first 2 shown]
	v_sub_u32_e32 v29, 32, v28
	v_alignbit_b32 v30, v21, v27, v29
	v_cmp_eq_u32_e64 s[4:5], 0, v28
	v_cndmask_b32_e64 v28, v30, v21, s[4:5]
	v_cndmask_b32_e32 v21, v25, v23, vcc
	v_cndmask_b32_e64 v22, v22, v21, s[0:1]
	v_cndmask_b32_e64 v23, v26, v22, s[2:3]
	v_alignbit_b32 v25, v27, v23, v29
	v_cndmask_b32_e32 v20, v24, v20, vcc
	v_cndmask_b32_e64 v25, v25, v27, s[4:5]
	v_bfe_u32 v30, v28, 29, 1
	v_cndmask_b32_e64 v20, v21, v20, s[0:1]
	v_alignbit_b32 v26, v28, v25, 30
	v_sub_u32_e32 v31, 0, v30
	v_cndmask_b32_e64 v20, v22, v20, s[2:3]
	v_xor_b32_e32 v26, v26, v31
	v_alignbit_b32 v21, v23, v20, v29
	v_cndmask_b32_e64 v21, v21, v23, s[4:5]
	v_ffbh_u32_e32 v23, v26
	v_alignbit_b32 v22, v25, v21, 30
	v_min_u32_e32 v23, 32, v23
	v_alignbit_b32 v20, v21, v20, 30
	v_xor_b32_e32 v22, v22, v31
	v_sub_u32_e32 v24, 31, v23
	v_xor_b32_e32 v20, v20, v31
	v_alignbit_b32 v25, v26, v22, v24
	v_alignbit_b32 v20, v22, v20, v24
	;; [unrolled: 1-line block ×3, first 2 shown]
	v_ffbh_u32_e32 v22, v21
	v_min_u32_e32 v22, 32, v22
	v_lshrrev_b32_e32 v27, 29, v28
	v_not_b32_e32 v24, v22
	v_alignbit_b32 v20, v21, v20, v24
	v_lshlrev_b32_e32 v21, 31, v27
	v_or_b32_e32 v24, 0x33000000, v21
	v_add_lshl_u32 v22, v22, v23, 23
	v_lshrrev_b32_e32 v20, 9, v20
	v_sub_u32_e32 v22, v24, v22
	v_or_b32_e32 v21, 0.5, v21
	v_lshlrev_b32_e32 v23, 23, v23
	v_or_b32_e32 v20, v22, v20
	v_lshrrev_b32_e32 v22, 9, v25
	v_sub_u32_e32 v21, v21, v23
	v_or_b32_e32 v21, v22, v21
	s_mov_b32 s0, 0x3fc90fda
	v_mul_f32_e32 v22, 0x3fc90fda, v21
	v_fma_f32 v23, v21, s0, -v22
	v_fmac_f32_e32 v23, 0x33a22168, v21
	v_fmac_f32_e32 v23, 0x3fc90fda, v20
	v_lshrrev_b32_e32 v20, 30, v28
	v_add_f32_e32 v21, v22, v23
	v_add_u32_e32 v20, v30, v20
.LBB65_137:
	s_andn2_saveexec_b64 s[0:1], s[12:13]
	s_cbranch_execz .LBB65_139
; %bb.138:
	s_mov_b32 s2, 0x3f22f983
	v_mul_f32_e64 v20, |v18|, s2
	v_rndne_f32_e32 v22, v20
	s_mov_b32 s2, 0xbfc90fda
	v_cvt_i32_f32_e32 v20, v22
	v_fma_f32 v21, v22, s2, |v18|
	v_fmac_f32_e32 v21, 0xb3a22168, v22
	v_fmac_f32_e32 v21, 0xa7c234c4, v22
.LBB65_139:
	s_or_b64 exec, exec, s[0:1]
	v_mul_f32_e32 v22, v21, v21
	v_mov_b32_e32 v23, 0x3c0881c4
	v_fmac_f32_e32 v23, 0xb94c1982, v22
	v_mov_b32_e32 v24, 0xbe2aaa9d
	v_fmac_f32_e32 v24, v22, v23
	v_mul_f32_e32 v23, v22, v24
	v_fmac_f32_e32 v21, v21, v23
	v_mov_b32_e32 v23, 0xbab64f3b
	v_fmac_f32_e32 v23, 0x37d75334, v22
	v_mov_b32_e32 v24, 0x3d2aabf7
	;; [unrolled: 2-line block ×3, first 2 shown]
	v_fmac_f32_e32 v23, v22, v24
	v_fma_f32 v22, v22, v23, 1.0
	v_and_b32_e32 v23, 1, v20
	v_lshlrev_b32_e32 v20, 30, v20
	v_cmp_eq_u32_e32 vcc, 0, v23
	v_and_b32_e32 v20, 0x80000000, v20
	v_xor_b32_e32 v19, v19, v18
	v_cndmask_b32_e32 v21, v22, v21, vcc
	v_xor_b32_e32 v19, v19, v20
	s_movk_i32 s0, 0x1f8
	v_xor_b32_e32 v19, v19, v21
	v_mov_b32_e32 v20, 0x7fc00000
	v_cmp_class_f32_e64 vcc, v18, s0
	v_cndmask_b32_e32 v18, v20, v19, vcc
	v_mul_f32_e32 v18, v18, v18
	s_mov_b32 s2, 0xc11de9e7
	v_div_scale_f32 v19, s[0:1], v18, v18, s2
	v_div_scale_f32 v20, vcc, s2, v18, s2
	v_sub_f32_e32 v10, 1.0, v10
	v_rcp_f32_e32 v21, v19
	v_fma_f32 v22, -v19, v21, 1.0
	v_fmac_f32_e32 v21, v22, v21
	v_mul_f32_e32 v22, v20, v21
	v_fma_f32 v23, -v19, v22, v20
	v_fmac_f32_e32 v22, v23, v21
	v_fma_f32 v19, -v19, v22, v20
	v_div_fmas_f32 v19, v19, v21, v22
	v_div_fixup_f32 v18, v19, v18, s2
	v_add_f32_e32 v19, 0, v18
	v_mov_b32_e32 v18, -1.0
.LBB65_140:
	s_or_b64 exec, exec, s[6:7]
	global_load_ushort v20, v11, s[10:11]
	v_mov_b32_e32 v21, 0
	s_waitcnt vmcnt(0)
	v_cvt_f32_f16_e32 v11, v20
	v_cmp_gt_f16_e32 vcc, 0.5, v20
	v_mov_b32_e32 v20, 1.0
	s_and_saveexec_b64 s[6:7], vcc
	s_cbranch_execz .LBB65_146
; %bb.141:
	v_mul_f32_e32 v20, 0x40490fdb, v11
	s_brev_b32 s0, 18
	v_and_b32_e32 v21, 0x7fffffff, v20
	v_cmp_nlt_f32_e64 s[0:1], |v20|, s0
                                        ; implicit-def: $vgpr22
                                        ; implicit-def: $vgpr23
	s_and_saveexec_b64 s[2:3], s[0:1]
	s_xor_b64 s[12:13], exec, s[2:3]
	s_cbranch_execz .LBB65_143
; %bb.142:
	v_and_b32_e32 v22, 0x7fffff, v21
	v_or_b32_e32 v31, 0x800000, v22
	s_mov_b32 s0, 0xfe5163ab
	v_mad_u64_u32 v[22:23], s[0:1], v31, s0, 0
	v_mov_b32_e32 v24, 0
	s_mov_b32 s0, 0x3c439041
	v_mad_u64_u32 v[25:26], s[0:1], v31, s0, v[23:24]
	s_mov_b32 s0, 0xdb629599
	v_not_b32_e32 v30, 63
	v_mov_b32_e32 v23, v26
	v_mad_u64_u32 v[26:27], s[0:1], v31, s0, v[23:24]
	s_mov_b32 s0, 0xf534ddc0
	v_not_b32_e32 v33, 31
	v_mov_b32_e32 v23, v27
	v_mad_u64_u32 v[27:28], s[0:1], v31, s0, v[23:24]
	v_lshrrev_b32_e32 v23, 23, v21
	v_add_u32_e32 v32, 0xffffff88, v23
	v_mov_b32_e32 v23, v28
	s_mov_b32 s0, 0xfc2757d1
	v_mad_u64_u32 v[28:29], s[0:1], v31, s0, v[23:24]
	v_cmp_lt_u32_e32 vcc, 63, v32
	v_cndmask_b32_e32 v23, 0, v30, vcc
	v_add_u32_e32 v32, v23, v32
	v_mov_b32_e32 v23, v29
	s_mov_b32 s0, 0x4e441529
	v_mad_u64_u32 v[29:30], s[0:1], v31, s0, v[23:24]
	v_cmp_lt_u32_e64 s[0:1], 31, v32
	v_cndmask_b32_e64 v23, 0, v33, s[0:1]
	v_add_u32_e32 v32, v23, v32
	v_mov_b32_e32 v23, v30
	s_mov_b32 s2, 0xa2f9836e
	v_mad_u64_u32 v[23:24], s[2:3], v31, s2, v[23:24]
	v_cmp_lt_u32_e64 s[2:3], 31, v32
	v_cndmask_b32_e64 v30, 0, v33, s[2:3]
	v_cndmask_b32_e32 v31, v29, v27, vcc
	v_cndmask_b32_e32 v23, v23, v28, vcc
	;; [unrolled: 1-line block ×3, first 2 shown]
	v_add_u32_e32 v30, v30, v32
	v_cndmask_b32_e64 v32, v23, v31, s[0:1]
	v_cndmask_b32_e64 v23, v24, v23, s[0:1]
	v_cndmask_b32_e32 v24, v28, v26, vcc
	v_cndmask_b32_e64 v28, v31, v24, s[0:1]
	v_cndmask_b32_e64 v23, v23, v32, s[2:3]
	;; [unrolled: 1-line block ×3, first 2 shown]
	v_sub_u32_e32 v31, 32, v30
	v_alignbit_b32 v32, v23, v29, v31
	v_cmp_eq_u32_e64 s[4:5], 0, v30
	v_cndmask_b32_e64 v30, v32, v23, s[4:5]
	v_cndmask_b32_e32 v23, v27, v25, vcc
	v_cndmask_b32_e64 v24, v24, v23, s[0:1]
	v_cndmask_b32_e64 v25, v28, v24, s[2:3]
	v_alignbit_b32 v27, v29, v25, v31
	v_cndmask_b32_e32 v22, v26, v22, vcc
	v_cndmask_b32_e64 v27, v27, v29, s[4:5]
	v_bfe_u32 v32, v30, 29, 1
	v_cndmask_b32_e64 v22, v23, v22, s[0:1]
	v_alignbit_b32 v28, v30, v27, 30
	v_sub_u32_e32 v33, 0, v32
	v_cndmask_b32_e64 v22, v24, v22, s[2:3]
	v_xor_b32_e32 v28, v28, v33
	v_alignbit_b32 v23, v25, v22, v31
	v_cndmask_b32_e64 v23, v23, v25, s[4:5]
	v_ffbh_u32_e32 v25, v28
	v_alignbit_b32 v24, v27, v23, 30
	v_min_u32_e32 v25, 32, v25
	v_alignbit_b32 v22, v23, v22, 30
	v_xor_b32_e32 v24, v24, v33
	v_sub_u32_e32 v26, 31, v25
	v_xor_b32_e32 v22, v22, v33
	v_alignbit_b32 v27, v28, v24, v26
	v_alignbit_b32 v22, v24, v22, v26
	;; [unrolled: 1-line block ×3, first 2 shown]
	v_ffbh_u32_e32 v24, v23
	v_min_u32_e32 v24, 32, v24
	v_lshrrev_b32_e32 v29, 29, v30
	v_not_b32_e32 v26, v24
	v_alignbit_b32 v22, v23, v22, v26
	v_lshlrev_b32_e32 v23, 31, v29
	v_or_b32_e32 v26, 0x33000000, v23
	v_add_lshl_u32 v24, v24, v25, 23
	v_lshrrev_b32_e32 v22, 9, v22
	v_sub_u32_e32 v24, v26, v24
	v_or_b32_e32 v23, 0.5, v23
	v_lshlrev_b32_e32 v25, 23, v25
	v_or_b32_e32 v22, v24, v22
	v_lshrrev_b32_e32 v24, 9, v27
	v_sub_u32_e32 v23, v23, v25
	v_or_b32_e32 v23, v24, v23
	s_mov_b32 s0, 0x3fc90fda
	v_mul_f32_e32 v24, 0x3fc90fda, v23
	v_fma_f32 v25, v23, s0, -v24
	v_fmac_f32_e32 v25, 0x33a22168, v23
	v_fmac_f32_e32 v25, 0x3fc90fda, v22
	v_lshrrev_b32_e32 v22, 30, v30
	v_add_f32_e32 v23, v24, v25
	v_add_u32_e32 v22, v32, v22
.LBB65_143:
	s_andn2_saveexec_b64 s[0:1], s[12:13]
	s_cbranch_execz .LBB65_145
; %bb.144:
	s_mov_b32 s2, 0x3f22f983
	v_mul_f32_e64 v22, |v20|, s2
	v_rndne_f32_e32 v24, v22
	s_mov_b32 s2, 0xbfc90fda
	v_cvt_i32_f32_e32 v22, v24
	v_fma_f32 v23, v24, s2, |v20|
	v_fmac_f32_e32 v23, 0xb3a22168, v24
	v_fmac_f32_e32 v23, 0xa7c234c4, v24
.LBB65_145:
	s_or_b64 exec, exec, s[0:1]
	v_mul_f32_e32 v24, v23, v23
	v_mov_b32_e32 v25, 0x3c0881c4
	v_fmac_f32_e32 v25, 0xb94c1982, v24
	v_mov_b32_e32 v26, 0xbe2aaa9d
	v_fmac_f32_e32 v26, v24, v25
	v_mul_f32_e32 v25, v24, v26
	v_fmac_f32_e32 v23, v23, v25
	v_mov_b32_e32 v25, 0xbab64f3b
	v_fmac_f32_e32 v25, 0x37d75334, v24
	v_mov_b32_e32 v26, 0x3d2aabf7
	;; [unrolled: 2-line block ×3, first 2 shown]
	v_fmac_f32_e32 v25, v24, v26
	v_fma_f32 v24, v24, v25, 1.0
	v_and_b32_e32 v25, 1, v22
	v_lshlrev_b32_e32 v22, 30, v22
	v_cmp_eq_u32_e32 vcc, 0, v25
	v_and_b32_e32 v22, 0x80000000, v22
	v_xor_b32_e32 v21, v21, v20
	v_cndmask_b32_e32 v23, v24, v23, vcc
	v_xor_b32_e32 v21, v21, v22
	s_movk_i32 s0, 0x1f8
	v_xor_b32_e32 v21, v21, v23
	v_mov_b32_e32 v22, 0x7fc00000
	v_cmp_class_f32_e64 vcc, v20, s0
	v_cndmask_b32_e32 v20, v22, v21, vcc
	v_mul_f32_e32 v20, v20, v20
	s_mov_b32 s2, 0xc11de9e7
	v_div_scale_f32 v21, s[0:1], v20, v20, s2
	v_div_scale_f32 v22, vcc, s2, v20, s2
	v_sub_f32_e32 v11, 1.0, v11
	v_rcp_f32_e32 v23, v21
	v_fma_f32 v24, -v21, v23, 1.0
	v_fmac_f32_e32 v23, v24, v23
	v_mul_f32_e32 v24, v22, v23
	v_fma_f32 v25, -v21, v24, v22
	v_fmac_f32_e32 v24, v25, v23
	v_fma_f32 v21, -v21, v24, v22
	v_div_fmas_f32 v21, v21, v23, v24
	v_div_fixup_f32 v20, v21, v20, s2
	v_add_f32_e32 v21, 0, v20
	v_mov_b32_e32 v20, -1.0
.LBB65_146:
	s_or_b64 exec, exec, s[6:7]
	global_load_ushort v12, v12, s[10:11]
	v_mov_b32_e32 v24, 0
	v_mov_b32_e32 v23, 1.0
	s_waitcnt vmcnt(0)
	v_cvt_f32_f16_e32 v22, v12
	v_cmp_gt_f16_e32 vcc, 0.5, v12
	s_and_saveexec_b64 s[6:7], vcc
	s_cbranch_execz .LBB65_152
; %bb.147:
	v_mul_f32_e32 v12, 0x40490fdb, v22
	s_brev_b32 s0, 18
	v_and_b32_e32 v23, 0x7fffffff, v12
	v_cmp_nlt_f32_e64 s[0:1], |v12|, s0
                                        ; implicit-def: $vgpr24
                                        ; implicit-def: $vgpr25
	s_and_saveexec_b64 s[2:3], s[0:1]
	s_xor_b64 s[12:13], exec, s[2:3]
	s_cbranch_execz .LBB65_149
; %bb.148:
	v_and_b32_e32 v24, 0x7fffff, v23
	v_or_b32_e32 v33, 0x800000, v24
	s_mov_b32 s0, 0xfe5163ab
	v_mad_u64_u32 v[24:25], s[0:1], v33, s0, 0
	v_mov_b32_e32 v26, 0
	s_mov_b32 s0, 0x3c439041
	v_mad_u64_u32 v[27:28], s[0:1], v33, s0, v[25:26]
	s_mov_b32 s0, 0xdb629599
	v_not_b32_e32 v32, 63
	v_mov_b32_e32 v25, v28
	v_mad_u64_u32 v[28:29], s[0:1], v33, s0, v[25:26]
	s_mov_b32 s0, 0xf534ddc0
	v_not_b32_e32 v35, 31
	v_mov_b32_e32 v25, v29
	v_mad_u64_u32 v[29:30], s[0:1], v33, s0, v[25:26]
	v_lshrrev_b32_e32 v25, 23, v23
	v_add_u32_e32 v34, 0xffffff88, v25
	v_mov_b32_e32 v25, v30
	s_mov_b32 s0, 0xfc2757d1
	v_mad_u64_u32 v[30:31], s[0:1], v33, s0, v[25:26]
	v_cmp_lt_u32_e32 vcc, 63, v34
	v_cndmask_b32_e32 v25, 0, v32, vcc
	v_add_u32_e32 v34, v25, v34
	v_mov_b32_e32 v25, v31
	s_mov_b32 s0, 0x4e441529
	v_mad_u64_u32 v[31:32], s[0:1], v33, s0, v[25:26]
	v_cmp_lt_u32_e64 s[0:1], 31, v34
	v_cndmask_b32_e64 v25, 0, v35, s[0:1]
	v_add_u32_e32 v34, v25, v34
	v_mov_b32_e32 v25, v32
	s_mov_b32 s2, 0xa2f9836e
	v_mad_u64_u32 v[25:26], s[2:3], v33, s2, v[25:26]
	v_cmp_lt_u32_e64 s[2:3], 31, v34
	v_cndmask_b32_e64 v32, 0, v35, s[2:3]
	v_cndmask_b32_e32 v33, v31, v29, vcc
	v_cndmask_b32_e32 v25, v25, v30, vcc
	;; [unrolled: 1-line block ×3, first 2 shown]
	v_add_u32_e32 v32, v32, v34
	v_cndmask_b32_e64 v34, v25, v33, s[0:1]
	v_cndmask_b32_e64 v25, v26, v25, s[0:1]
	v_cndmask_b32_e32 v26, v30, v28, vcc
	v_cndmask_b32_e64 v30, v33, v26, s[0:1]
	v_cndmask_b32_e64 v25, v25, v34, s[2:3]
	;; [unrolled: 1-line block ×3, first 2 shown]
	v_sub_u32_e32 v33, 32, v32
	v_alignbit_b32 v34, v25, v31, v33
	v_cmp_eq_u32_e64 s[4:5], 0, v32
	v_cndmask_b32_e64 v32, v34, v25, s[4:5]
	v_cndmask_b32_e32 v25, v29, v27, vcc
	v_cndmask_b32_e64 v26, v26, v25, s[0:1]
	v_cndmask_b32_e64 v27, v30, v26, s[2:3]
	v_alignbit_b32 v29, v31, v27, v33
	v_cndmask_b32_e32 v24, v28, v24, vcc
	v_cndmask_b32_e64 v29, v29, v31, s[4:5]
	v_bfe_u32 v34, v32, 29, 1
	v_cndmask_b32_e64 v24, v25, v24, s[0:1]
	v_alignbit_b32 v30, v32, v29, 30
	v_sub_u32_e32 v35, 0, v34
	v_cndmask_b32_e64 v24, v26, v24, s[2:3]
	v_xor_b32_e32 v30, v30, v35
	v_alignbit_b32 v25, v27, v24, v33
	v_cndmask_b32_e64 v25, v25, v27, s[4:5]
	v_ffbh_u32_e32 v27, v30
	v_alignbit_b32 v26, v29, v25, 30
	v_min_u32_e32 v27, 32, v27
	v_alignbit_b32 v24, v25, v24, 30
	v_xor_b32_e32 v26, v26, v35
	v_sub_u32_e32 v28, 31, v27
	v_xor_b32_e32 v24, v24, v35
	v_alignbit_b32 v29, v30, v26, v28
	v_alignbit_b32 v24, v26, v24, v28
	;; [unrolled: 1-line block ×3, first 2 shown]
	v_ffbh_u32_e32 v26, v25
	v_min_u32_e32 v26, 32, v26
	v_lshrrev_b32_e32 v31, 29, v32
	v_not_b32_e32 v28, v26
	v_alignbit_b32 v24, v25, v24, v28
	v_lshlrev_b32_e32 v25, 31, v31
	v_or_b32_e32 v28, 0x33000000, v25
	v_add_lshl_u32 v26, v26, v27, 23
	v_lshrrev_b32_e32 v24, 9, v24
	v_sub_u32_e32 v26, v28, v26
	v_or_b32_e32 v25, 0.5, v25
	v_lshlrev_b32_e32 v27, 23, v27
	v_or_b32_e32 v24, v26, v24
	v_lshrrev_b32_e32 v26, 9, v29
	v_sub_u32_e32 v25, v25, v27
	v_or_b32_e32 v25, v26, v25
	s_mov_b32 s0, 0x3fc90fda
	v_mul_f32_e32 v26, 0x3fc90fda, v25
	v_fma_f32 v27, v25, s0, -v26
	v_fmac_f32_e32 v27, 0x33a22168, v25
	v_fmac_f32_e32 v27, 0x3fc90fda, v24
	v_lshrrev_b32_e32 v24, 30, v32
	v_add_f32_e32 v25, v26, v27
	v_add_u32_e32 v24, v34, v24
.LBB65_149:
	s_andn2_saveexec_b64 s[0:1], s[12:13]
	s_cbranch_execz .LBB65_151
; %bb.150:
	s_mov_b32 s2, 0x3f22f983
	v_mul_f32_e64 v24, |v12|, s2
	v_rndne_f32_e32 v26, v24
	s_mov_b32 s2, 0xbfc90fda
	v_cvt_i32_f32_e32 v24, v26
	v_fma_f32 v25, v26, s2, |v12|
	v_fmac_f32_e32 v25, 0xb3a22168, v26
	v_fmac_f32_e32 v25, 0xa7c234c4, v26
.LBB65_151:
	s_or_b64 exec, exec, s[0:1]
	v_mul_f32_e32 v26, v25, v25
	v_mov_b32_e32 v27, 0x3c0881c4
	v_fmac_f32_e32 v27, 0xb94c1982, v26
	v_mov_b32_e32 v28, 0xbe2aaa9d
	v_fmac_f32_e32 v28, v26, v27
	v_mul_f32_e32 v27, v26, v28
	v_fmac_f32_e32 v25, v25, v27
	v_mov_b32_e32 v27, 0xbab64f3b
	v_fmac_f32_e32 v27, 0x37d75334, v26
	v_mov_b32_e32 v28, 0x3d2aabf7
	;; [unrolled: 2-line block ×3, first 2 shown]
	v_fmac_f32_e32 v27, v26, v28
	v_fma_f32 v26, v26, v27, 1.0
	v_and_b32_e32 v27, 1, v24
	v_lshlrev_b32_e32 v24, 30, v24
	v_cmp_eq_u32_e32 vcc, 0, v27
	v_and_b32_e32 v24, 0x80000000, v24
	v_xor_b32_e32 v23, v23, v12
	v_cndmask_b32_e32 v25, v26, v25, vcc
	v_xor_b32_e32 v23, v23, v24
	s_movk_i32 s0, 0x1f8
	v_xor_b32_e32 v23, v23, v25
	v_mov_b32_e32 v24, 0x7fc00000
	v_cmp_class_f32_e64 vcc, v12, s0
	v_cndmask_b32_e32 v12, v24, v23, vcc
	v_mul_f32_e32 v12, v12, v12
	s_mov_b32 s2, 0xc11de9e7
	v_div_scale_f32 v23, s[0:1], v12, v12, s2
	v_div_scale_f32 v24, vcc, s2, v12, s2
	v_sub_f32_e32 v22, 1.0, v22
	v_rcp_f32_e32 v25, v23
	v_fma_f32 v26, -v23, v25, 1.0
	v_fmac_f32_e32 v25, v26, v25
	v_mul_f32_e32 v26, v24, v25
	v_fma_f32 v27, -v23, v26, v24
	v_fmac_f32_e32 v26, v27, v25
	v_fma_f32 v23, -v23, v26, v24
	v_div_fmas_f32 v23, v23, v25, v26
	v_div_fixup_f32 v12, v23, v12, s2
	v_add_f32_e32 v24, 0, v12
	v_mov_b32_e32 v23, -1.0
.LBB65_152:
	s_or_b64 exec, exec, s[6:7]
	global_load_ushort v12, v13, s[10:11]
	v_mov_b32_e32 v28, 0
	v_mov_b32_e32 v27, 1.0
	s_waitcnt vmcnt(0)
	v_cvt_f32_f16_e32 v25, v12
	v_cmp_gt_f16_e32 vcc, 0.5, v12
	s_and_saveexec_b64 s[6:7], vcc
	s_cbranch_execz .LBB65_158
; %bb.153:
	v_mul_f32_e32 v12, 0x40490fdb, v25
	s_brev_b32 s0, 18
	v_and_b32_e32 v13, 0x7fffffff, v12
	v_cmp_nlt_f32_e64 s[0:1], |v12|, s0
                                        ; implicit-def: $vgpr26
                                        ; implicit-def: $vgpr27
	s_and_saveexec_b64 s[2:3], s[0:1]
	s_xor_b64 s[12:13], exec, s[2:3]
	s_cbranch_execz .LBB65_155
; %bb.154:
	v_and_b32_e32 v26, 0x7fffff, v13
	v_or_b32_e32 v35, 0x800000, v26
	s_mov_b32 s0, 0xfe5163ab
	v_mad_u64_u32 v[26:27], s[0:1], v35, s0, 0
	v_mov_b32_e32 v28, 0
	s_mov_b32 s0, 0x3c439041
	v_mad_u64_u32 v[29:30], s[0:1], v35, s0, v[27:28]
	s_mov_b32 s0, 0xdb629599
	v_not_b32_e32 v34, 63
	v_mov_b32_e32 v27, v30
	v_mad_u64_u32 v[30:31], s[0:1], v35, s0, v[27:28]
	s_mov_b32 s0, 0xf534ddc0
	v_not_b32_e32 v37, 31
	v_mov_b32_e32 v27, v31
	v_mad_u64_u32 v[31:32], s[0:1], v35, s0, v[27:28]
	v_lshrrev_b32_e32 v27, 23, v13
	v_add_u32_e32 v36, 0xffffff88, v27
	v_mov_b32_e32 v27, v32
	s_mov_b32 s0, 0xfc2757d1
	v_mad_u64_u32 v[32:33], s[0:1], v35, s0, v[27:28]
	v_cmp_lt_u32_e32 vcc, 63, v36
	v_cndmask_b32_e32 v27, 0, v34, vcc
	v_add_u32_e32 v36, v27, v36
	v_mov_b32_e32 v27, v33
	s_mov_b32 s0, 0x4e441529
	v_mad_u64_u32 v[33:34], s[0:1], v35, s0, v[27:28]
	v_cmp_lt_u32_e64 s[0:1], 31, v36
	v_cndmask_b32_e64 v27, 0, v37, s[0:1]
	v_add_u32_e32 v36, v27, v36
	v_mov_b32_e32 v27, v34
	s_mov_b32 s2, 0xa2f9836e
	v_mad_u64_u32 v[27:28], s[2:3], v35, s2, v[27:28]
	v_cmp_lt_u32_e64 s[2:3], 31, v36
	v_cndmask_b32_e64 v34, 0, v37, s[2:3]
	v_cndmask_b32_e32 v35, v33, v31, vcc
	v_cndmask_b32_e32 v27, v27, v32, vcc
	;; [unrolled: 1-line block ×3, first 2 shown]
	v_add_u32_e32 v34, v34, v36
	v_cndmask_b32_e64 v36, v27, v35, s[0:1]
	v_cndmask_b32_e64 v27, v28, v27, s[0:1]
	v_cndmask_b32_e32 v28, v32, v30, vcc
	v_cndmask_b32_e64 v32, v35, v28, s[0:1]
	v_cndmask_b32_e64 v27, v27, v36, s[2:3]
	;; [unrolled: 1-line block ×3, first 2 shown]
	v_sub_u32_e32 v35, 32, v34
	v_alignbit_b32 v36, v27, v33, v35
	v_cmp_eq_u32_e64 s[4:5], 0, v34
	v_cndmask_b32_e64 v34, v36, v27, s[4:5]
	v_cndmask_b32_e32 v27, v31, v29, vcc
	v_cndmask_b32_e64 v28, v28, v27, s[0:1]
	v_cndmask_b32_e64 v29, v32, v28, s[2:3]
	v_alignbit_b32 v31, v33, v29, v35
	v_cndmask_b32_e32 v26, v30, v26, vcc
	v_cndmask_b32_e64 v31, v31, v33, s[4:5]
	v_bfe_u32 v36, v34, 29, 1
	v_cndmask_b32_e64 v26, v27, v26, s[0:1]
	v_alignbit_b32 v32, v34, v31, 30
	v_sub_u32_e32 v37, 0, v36
	v_cndmask_b32_e64 v26, v28, v26, s[2:3]
	v_xor_b32_e32 v32, v32, v37
	v_alignbit_b32 v27, v29, v26, v35
	v_cndmask_b32_e64 v27, v27, v29, s[4:5]
	v_ffbh_u32_e32 v29, v32
	v_alignbit_b32 v28, v31, v27, 30
	v_min_u32_e32 v29, 32, v29
	v_alignbit_b32 v26, v27, v26, 30
	v_xor_b32_e32 v28, v28, v37
	v_sub_u32_e32 v30, 31, v29
	v_xor_b32_e32 v26, v26, v37
	v_alignbit_b32 v31, v32, v28, v30
	v_alignbit_b32 v26, v28, v26, v30
	;; [unrolled: 1-line block ×3, first 2 shown]
	v_ffbh_u32_e32 v28, v27
	v_min_u32_e32 v28, 32, v28
	v_lshrrev_b32_e32 v33, 29, v34
	v_not_b32_e32 v30, v28
	v_alignbit_b32 v26, v27, v26, v30
	v_lshlrev_b32_e32 v27, 31, v33
	v_or_b32_e32 v30, 0x33000000, v27
	v_add_lshl_u32 v28, v28, v29, 23
	v_lshrrev_b32_e32 v26, 9, v26
	v_sub_u32_e32 v28, v30, v28
	v_or_b32_e32 v27, 0.5, v27
	v_lshlrev_b32_e32 v29, 23, v29
	v_or_b32_e32 v26, v28, v26
	v_lshrrev_b32_e32 v28, 9, v31
	v_sub_u32_e32 v27, v27, v29
	v_or_b32_e32 v27, v28, v27
	s_mov_b32 s0, 0x3fc90fda
	v_mul_f32_e32 v28, 0x3fc90fda, v27
	v_fma_f32 v29, v27, s0, -v28
	v_fmac_f32_e32 v29, 0x33a22168, v27
	v_fmac_f32_e32 v29, 0x3fc90fda, v26
	v_lshrrev_b32_e32 v26, 30, v34
	v_add_f32_e32 v27, v28, v29
	v_add_u32_e32 v26, v36, v26
.LBB65_155:
	s_andn2_saveexec_b64 s[0:1], s[12:13]
	s_cbranch_execz .LBB65_157
; %bb.156:
	s_mov_b32 s2, 0x3f22f983
	v_mul_f32_e64 v26, |v12|, s2
	v_rndne_f32_e32 v28, v26
	s_mov_b32 s2, 0xbfc90fda
	v_cvt_i32_f32_e32 v26, v28
	v_fma_f32 v27, v28, s2, |v12|
	v_fmac_f32_e32 v27, 0xb3a22168, v28
	v_fmac_f32_e32 v27, 0xa7c234c4, v28
.LBB65_157:
	s_or_b64 exec, exec, s[0:1]
	v_mul_f32_e32 v28, v27, v27
	v_mov_b32_e32 v29, 0x3c0881c4
	v_fmac_f32_e32 v29, 0xb94c1982, v28
	v_mov_b32_e32 v30, 0xbe2aaa9d
	v_fmac_f32_e32 v30, v28, v29
	v_mul_f32_e32 v29, v28, v30
	v_fmac_f32_e32 v27, v27, v29
	v_mov_b32_e32 v29, 0xbab64f3b
	v_fmac_f32_e32 v29, 0x37d75334, v28
	v_mov_b32_e32 v30, 0x3d2aabf7
	;; [unrolled: 2-line block ×3, first 2 shown]
	v_fmac_f32_e32 v29, v28, v30
	v_fma_f32 v28, v28, v29, 1.0
	v_and_b32_e32 v29, 1, v26
	v_lshlrev_b32_e32 v26, 30, v26
	v_cmp_eq_u32_e32 vcc, 0, v29
	v_and_b32_e32 v26, 0x80000000, v26
	v_xor_b32_e32 v13, v13, v12
	v_cndmask_b32_e32 v27, v28, v27, vcc
	v_xor_b32_e32 v13, v13, v26
	s_movk_i32 s0, 0x1f8
	v_xor_b32_e32 v13, v13, v27
	v_mov_b32_e32 v26, 0x7fc00000
	v_cmp_class_f32_e64 vcc, v12, s0
	v_cndmask_b32_e32 v12, v26, v13, vcc
	v_mul_f32_e32 v12, v12, v12
	s_mov_b32 s2, 0xc11de9e7
	v_div_scale_f32 v13, s[0:1], v12, v12, s2
	v_div_scale_f32 v26, vcc, s2, v12, s2
	v_sub_f32_e32 v25, 1.0, v25
	v_rcp_f32_e32 v27, v13
	v_fma_f32 v28, -v13, v27, 1.0
	v_fmac_f32_e32 v27, v28, v27
	v_mul_f32_e32 v28, v26, v27
	v_fma_f32 v29, -v13, v28, v26
	v_fmac_f32_e32 v28, v29, v27
	v_fma_f32 v13, -v13, v28, v26
	v_div_fmas_f32 v13, v13, v27, v28
	v_mov_b32_e32 v27, -1.0
	v_div_fixup_f32 v12, v13, v12, s2
	v_add_f32_e32 v28, 0, v12
.LBB65_158:
	s_or_b64 exec, exec, s[6:7]
	global_load_ushort v12, v14, s[10:11]
	v_mov_b32_e32 v31, 0
	v_mov_b32_e32 v30, 1.0
	s_waitcnt vmcnt(0)
	v_cvt_f32_f16_e32 v29, v12
	v_cmp_gt_f16_e32 vcc, 0.5, v12
	s_and_saveexec_b64 s[6:7], vcc
	s_cbranch_execz .LBB65_164
; %bb.159:
	v_mul_f32_e32 v12, 0x40490fdb, v29
	s_brev_b32 s0, 18
	v_and_b32_e32 v13, 0x7fffffff, v12
	v_cmp_nlt_f32_e64 s[0:1], |v12|, s0
                                        ; implicit-def: $vgpr14
                                        ; implicit-def: $vgpr26
	s_and_saveexec_b64 s[2:3], s[0:1]
	s_xor_b64 s[12:13], exec, s[2:3]
	s_cbranch_execz .LBB65_161
; %bb.160:
	v_and_b32_e32 v14, 0x7fffff, v13
	v_or_b32_e32 v14, 0x800000, v14
	s_mov_b32 s0, 0xfe5163ab
	v_mad_u64_u32 v[30:31], s[0:1], v14, s0, 0
	v_mov_b32_e32 v32, 0
	s_mov_b32 s0, 0x3c439041
	v_mad_u64_u32 v[33:34], s[0:1], v14, s0, v[31:32]
	s_mov_b32 s0, 0xdb629599
	v_lshrrev_b32_e32 v26, 23, v13
	v_mov_b32_e32 v31, v34
	v_mad_u64_u32 v[34:35], s[0:1], v14, s0, v[31:32]
	s_mov_b32 s0, 0xf534ddc0
	v_add_u32_e32 v26, 0xffffff88, v26
	v_mov_b32_e32 v31, v35
	v_mad_u64_u32 v[35:36], s[0:1], v14, s0, v[31:32]
	s_mov_b32 s0, 0xfc2757d1
	v_not_b32_e32 v38, 63
	v_mov_b32_e32 v31, v36
	v_mad_u64_u32 v[36:37], s[0:1], v14, s0, v[31:32]
	v_cmp_lt_u32_e32 vcc, 63, v26
	v_cndmask_b32_e32 v31, 0, v38, vcc
	v_add_u32_e32 v26, v31, v26
	v_mov_b32_e32 v31, v37
	s_mov_b32 s0, 0x4e441529
	v_mad_u64_u32 v[37:38], s[0:1], v14, s0, v[31:32]
	v_not_b32_e32 v39, 31
	v_cmp_lt_u32_e64 s[0:1], 31, v26
	v_cndmask_b32_e64 v31, 0, v39, s[0:1]
	v_add_u32_e32 v26, v31, v26
	v_mov_b32_e32 v31, v38
	s_mov_b32 s2, 0xa2f9836e
	v_mad_u64_u32 v[31:32], s[2:3], v14, s2, v[31:32]
	v_cmp_lt_u32_e64 s[2:3], 31, v26
	v_cndmask_b32_e64 v14, 0, v39, s[2:3]
	v_add_u32_e32 v14, v14, v26
	v_cndmask_b32_e32 v26, v37, v35, vcc
	v_cndmask_b32_e32 v31, v31, v36, vcc
	;; [unrolled: 1-line block ×3, first 2 shown]
	v_cndmask_b32_e64 v38, v31, v26, s[0:1]
	v_cndmask_b32_e64 v31, v32, v31, s[0:1]
	v_cndmask_b32_e32 v32, v36, v34, vcc
	v_cndmask_b32_e64 v26, v26, v32, s[0:1]
	v_cndmask_b32_e64 v31, v31, v38, s[2:3]
	v_cndmask_b32_e64 v36, v38, v26, s[2:3]
	v_sub_u32_e32 v37, 32, v14
	v_alignbit_b32 v38, v31, v36, v37
	v_cmp_eq_u32_e64 s[4:5], 0, v14
	v_cndmask_b32_e64 v14, v38, v31, s[4:5]
	v_cndmask_b32_e32 v31, v35, v33, vcc
	v_cndmask_b32_e64 v32, v32, v31, s[0:1]
	v_cndmask_b32_e64 v26, v26, v32, s[2:3]
	v_alignbit_b32 v33, v36, v26, v37
	v_cndmask_b32_e32 v30, v34, v30, vcc
	v_cndmask_b32_e64 v33, v33, v36, s[4:5]
	v_bfe_u32 v38, v14, 29, 1
	v_cndmask_b32_e64 v30, v31, v30, s[0:1]
	v_alignbit_b32 v35, v14, v33, 30
	v_sub_u32_e32 v39, 0, v38
	v_cndmask_b32_e64 v30, v32, v30, s[2:3]
	v_xor_b32_e32 v35, v35, v39
	v_alignbit_b32 v31, v26, v30, v37
	v_cndmask_b32_e64 v26, v31, v26, s[4:5]
	v_ffbh_u32_e32 v32, v35
	v_alignbit_b32 v31, v33, v26, 30
	v_min_u32_e32 v32, 32, v32
	v_alignbit_b32 v26, v26, v30, 30
	v_xor_b32_e32 v31, v31, v39
	v_sub_u32_e32 v33, 31, v32
	v_xor_b32_e32 v26, v26, v39
	v_alignbit_b32 v34, v35, v31, v33
	v_alignbit_b32 v26, v31, v26, v33
	;; [unrolled: 1-line block ×3, first 2 shown]
	v_ffbh_u32_e32 v31, v30
	v_min_u32_e32 v31, 32, v31
	v_lshrrev_b32_e32 v36, 29, v14
	v_not_b32_e32 v33, v31
	v_alignbit_b32 v26, v30, v26, v33
	v_lshlrev_b32_e32 v30, 31, v36
	v_or_b32_e32 v33, 0x33000000, v30
	v_add_lshl_u32 v31, v31, v32, 23
	v_lshrrev_b32_e32 v26, 9, v26
	v_sub_u32_e32 v31, v33, v31
	v_or_b32_e32 v30, 0.5, v30
	v_lshlrev_b32_e32 v32, 23, v32
	v_or_b32_e32 v26, v31, v26
	v_lshrrev_b32_e32 v31, 9, v34
	v_sub_u32_e32 v30, v30, v32
	v_or_b32_e32 v30, v31, v30
	s_mov_b32 s0, 0x3fc90fda
	v_mul_f32_e32 v31, 0x3fc90fda, v30
	v_fma_f32 v32, v30, s0, -v31
	v_fmac_f32_e32 v32, 0x33a22168, v30
	v_fmac_f32_e32 v32, 0x3fc90fda, v26
	v_lshrrev_b32_e32 v14, 30, v14
	v_add_f32_e32 v26, v31, v32
	v_add_u32_e32 v14, v38, v14
.LBB65_161:
	s_andn2_saveexec_b64 s[0:1], s[12:13]
	s_cbranch_execz .LBB65_163
; %bb.162:
	s_mov_b32 s2, 0x3f22f983
	v_mul_f32_e64 v14, |v12|, s2
	v_rndne_f32_e32 v30, v14
	s_mov_b32 s2, 0xbfc90fda
	v_cvt_i32_f32_e32 v14, v30
	v_fma_f32 v26, v30, s2, |v12|
	v_fmac_f32_e32 v26, 0xb3a22168, v30
	v_fmac_f32_e32 v26, 0xa7c234c4, v30
.LBB65_163:
	s_or_b64 exec, exec, s[0:1]
	v_mul_f32_e32 v30, v26, v26
	v_mov_b32_e32 v31, 0x3c0881c4
	v_fmac_f32_e32 v31, 0xb94c1982, v30
	v_mov_b32_e32 v32, 0xbe2aaa9d
	v_fmac_f32_e32 v32, v30, v31
	v_mul_f32_e32 v31, v30, v32
	v_fmac_f32_e32 v26, v26, v31
	v_mov_b32_e32 v31, 0xbab64f3b
	v_fmac_f32_e32 v31, 0x37d75334, v30
	v_mov_b32_e32 v32, 0x3d2aabf7
	;; [unrolled: 2-line block ×3, first 2 shown]
	v_fmac_f32_e32 v31, v30, v32
	v_fma_f32 v30, v30, v31, 1.0
	v_and_b32_e32 v31, 1, v14
	v_lshlrev_b32_e32 v14, 30, v14
	v_cmp_eq_u32_e32 vcc, 0, v31
	v_and_b32_e32 v14, 0x80000000, v14
	v_xor_b32_e32 v13, v13, v12
	v_cndmask_b32_e32 v26, v30, v26, vcc
	v_xor_b32_e32 v13, v13, v14
	s_movk_i32 s0, 0x1f8
	v_xor_b32_e32 v13, v13, v26
	v_mov_b32_e32 v14, 0x7fc00000
	v_cmp_class_f32_e64 vcc, v12, s0
	v_cndmask_b32_e32 v12, v14, v13, vcc
	v_mul_f32_e32 v12, v12, v12
	s_mov_b32 s2, 0xc11de9e7
	v_div_scale_f32 v13, s[0:1], v12, v12, s2
	v_div_scale_f32 v14, vcc, s2, v12, s2
	v_sub_f32_e32 v29, 1.0, v29
	v_rcp_f32_e32 v26, v13
	v_fma_f32 v30, -v13, v26, 1.0
	v_fmac_f32_e32 v26, v30, v26
	v_mul_f32_e32 v30, v14, v26
	v_fma_f32 v31, -v13, v30, v14
	v_fmac_f32_e32 v30, v31, v26
	v_fma_f32 v13, -v13, v30, v14
	v_div_fmas_f32 v13, v13, v26, v30
	v_mov_b32_e32 v30, -1.0
	v_div_fixup_f32 v12, v13, v12, s2
	v_add_f32_e32 v31, 0, v12
.LBB65_164:
	s_or_b64 exec, exec, s[6:7]
	global_load_ushort v12, v15, s[10:11]
	v_mov_b32_e32 v26, 0
	v_mov_b32_e32 v15, 1.0
	s_waitcnt vmcnt(0)
	v_cvt_f32_f16_e32 v13, v12
	v_cmp_gt_f16_e32 vcc, 0.5, v12
	s_and_saveexec_b64 s[6:7], vcc
	s_cbranch_execz .LBB65_170
; %bb.165:
	v_mul_f32_e32 v12, 0x40490fdb, v13
	s_brev_b32 s0, 18
	v_and_b32_e32 v14, 0x7fffffff, v12
	v_cmp_nlt_f32_e64 s[0:1], |v12|, s0
                                        ; implicit-def: $vgpr15
                                        ; implicit-def: $vgpr26
	s_and_saveexec_b64 s[2:3], s[0:1]
	s_xor_b64 s[12:13], exec, s[2:3]
	s_cbranch_execz .LBB65_167
; %bb.166:
	v_and_b32_e32 v15, 0x7fffff, v14
	v_or_b32_e32 v15, 0x800000, v15
	s_mov_b32 s0, 0xfe5163ab
	v_mad_u64_u32 v[32:33], s[0:1], v15, s0, 0
	v_mov_b32_e32 v34, 0
	s_mov_b32 s0, 0x3c439041
	v_mad_u64_u32 v[35:36], s[0:1], v15, s0, v[33:34]
	s_mov_b32 s0, 0xdb629599
	v_lshrrev_b32_e32 v26, 23, v14
	v_mov_b32_e32 v33, v36
	v_mad_u64_u32 v[36:37], s[0:1], v15, s0, v[33:34]
	s_mov_b32 s0, 0xf534ddc0
	v_add_u32_e32 v26, 0xffffff88, v26
	v_mov_b32_e32 v33, v37
	v_mad_u64_u32 v[37:38], s[0:1], v15, s0, v[33:34]
	s_mov_b32 s0, 0xfc2757d1
	v_not_b32_e32 v40, 63
	v_mov_b32_e32 v33, v38
	v_mad_u64_u32 v[38:39], s[0:1], v15, s0, v[33:34]
	v_cmp_lt_u32_e32 vcc, 63, v26
	v_cndmask_b32_e32 v33, 0, v40, vcc
	v_add_u32_e32 v26, v33, v26
	v_mov_b32_e32 v33, v39
	s_mov_b32 s0, 0x4e441529
	v_mad_u64_u32 v[39:40], s[0:1], v15, s0, v[33:34]
	v_not_b32_e32 v41, 31
	v_cmp_lt_u32_e64 s[0:1], 31, v26
	v_cndmask_b32_e64 v33, 0, v41, s[0:1]
	v_add_u32_e32 v26, v33, v26
	v_mov_b32_e32 v33, v40
	s_mov_b32 s2, 0xa2f9836e
	v_mad_u64_u32 v[33:34], s[2:3], v15, s2, v[33:34]
	v_cmp_lt_u32_e64 s[2:3], 31, v26
	v_cndmask_b32_e64 v15, 0, v41, s[2:3]
	v_add_u32_e32 v15, v15, v26
	v_cndmask_b32_e32 v26, v39, v37, vcc
	v_cndmask_b32_e32 v33, v33, v38, vcc
	;; [unrolled: 1-line block ×3, first 2 shown]
	v_cndmask_b32_e64 v40, v33, v26, s[0:1]
	v_cndmask_b32_e64 v33, v34, v33, s[0:1]
	v_cndmask_b32_e32 v34, v38, v36, vcc
	v_cndmask_b32_e64 v26, v26, v34, s[0:1]
	v_cndmask_b32_e64 v33, v33, v40, s[2:3]
	;; [unrolled: 1-line block ×3, first 2 shown]
	v_sub_u32_e32 v39, 32, v15
	v_alignbit_b32 v40, v33, v38, v39
	v_cmp_eq_u32_e64 s[4:5], 0, v15
	v_cndmask_b32_e64 v15, v40, v33, s[4:5]
	v_cndmask_b32_e32 v33, v37, v35, vcc
	v_cndmask_b32_e64 v34, v34, v33, s[0:1]
	v_cndmask_b32_e64 v26, v26, v34, s[2:3]
	v_alignbit_b32 v35, v38, v26, v39
	v_cndmask_b32_e32 v32, v36, v32, vcc
	v_cndmask_b32_e64 v35, v35, v38, s[4:5]
	v_bfe_u32 v40, v15, 29, 1
	v_cndmask_b32_e64 v32, v33, v32, s[0:1]
	v_alignbit_b32 v37, v15, v35, 30
	v_sub_u32_e32 v41, 0, v40
	v_cndmask_b32_e64 v32, v34, v32, s[2:3]
	v_xor_b32_e32 v37, v37, v41
	v_alignbit_b32 v33, v26, v32, v39
	v_cndmask_b32_e64 v26, v33, v26, s[4:5]
	v_ffbh_u32_e32 v34, v37
	v_alignbit_b32 v33, v35, v26, 30
	v_min_u32_e32 v34, 32, v34
	v_alignbit_b32 v26, v26, v32, 30
	v_xor_b32_e32 v33, v33, v41
	v_sub_u32_e32 v35, 31, v34
	v_xor_b32_e32 v26, v26, v41
	v_alignbit_b32 v36, v37, v33, v35
	v_alignbit_b32 v26, v33, v26, v35
	;; [unrolled: 1-line block ×3, first 2 shown]
	v_ffbh_u32_e32 v33, v32
	v_min_u32_e32 v33, 32, v33
	v_lshrrev_b32_e32 v38, 29, v15
	v_not_b32_e32 v35, v33
	v_alignbit_b32 v26, v32, v26, v35
	v_lshlrev_b32_e32 v32, 31, v38
	v_or_b32_e32 v35, 0x33000000, v32
	v_add_lshl_u32 v33, v33, v34, 23
	v_lshrrev_b32_e32 v26, 9, v26
	v_sub_u32_e32 v33, v35, v33
	v_or_b32_e32 v32, 0.5, v32
	v_lshlrev_b32_e32 v34, 23, v34
	v_or_b32_e32 v26, v33, v26
	v_lshrrev_b32_e32 v33, 9, v36
	v_sub_u32_e32 v32, v32, v34
	v_or_b32_e32 v32, v33, v32
	s_mov_b32 s0, 0x3fc90fda
	v_mul_f32_e32 v33, 0x3fc90fda, v32
	v_fma_f32 v34, v32, s0, -v33
	v_fmac_f32_e32 v34, 0x33a22168, v32
	v_fmac_f32_e32 v34, 0x3fc90fda, v26
	v_lshrrev_b32_e32 v15, 30, v15
	v_add_f32_e32 v26, v33, v34
	v_add_u32_e32 v15, v40, v15
.LBB65_167:
	s_andn2_saveexec_b64 s[0:1], s[12:13]
	s_cbranch_execz .LBB65_169
; %bb.168:
	s_mov_b32 s2, 0x3f22f983
	v_mul_f32_e64 v15, |v12|, s2
	v_rndne_f32_e32 v32, v15
	s_mov_b32 s2, 0xbfc90fda
	v_cvt_i32_f32_e32 v15, v32
	v_fma_f32 v26, v32, s2, |v12|
	v_fmac_f32_e32 v26, 0xb3a22168, v32
	v_fmac_f32_e32 v26, 0xa7c234c4, v32
.LBB65_169:
	s_or_b64 exec, exec, s[0:1]
	v_mul_f32_e32 v32, v26, v26
	v_mov_b32_e32 v33, 0x3c0881c4
	v_fmac_f32_e32 v33, 0xb94c1982, v32
	v_mov_b32_e32 v34, 0xbe2aaa9d
	v_fmac_f32_e32 v34, v32, v33
	v_mul_f32_e32 v33, v32, v34
	v_fmac_f32_e32 v26, v26, v33
	v_mov_b32_e32 v33, 0xbab64f3b
	v_fmac_f32_e32 v33, 0x37d75334, v32
	v_mov_b32_e32 v34, 0x3d2aabf7
	;; [unrolled: 2-line block ×3, first 2 shown]
	v_fmac_f32_e32 v33, v32, v34
	v_fma_f32 v32, v32, v33, 1.0
	v_and_b32_e32 v33, 1, v15
	v_lshlrev_b32_e32 v15, 30, v15
	v_cmp_eq_u32_e32 vcc, 0, v33
	v_and_b32_e32 v15, 0x80000000, v15
	v_xor_b32_e32 v14, v14, v12
	v_cndmask_b32_e32 v26, v32, v26, vcc
	v_xor_b32_e32 v14, v14, v15
	s_movk_i32 s0, 0x1f8
	v_xor_b32_e32 v14, v14, v26
	v_mov_b32_e32 v15, 0x7fc00000
	v_cmp_class_f32_e64 vcc, v12, s0
	v_cndmask_b32_e32 v12, v15, v14, vcc
	v_mul_f32_e32 v12, v12, v12
	s_mov_b32 s2, 0xc11de9e7
	v_div_scale_f32 v14, s[0:1], v12, v12, s2
	v_div_scale_f32 v15, vcc, s2, v12, s2
	v_sub_f32_e32 v13, 1.0, v13
	v_rcp_f32_e32 v26, v14
	v_fma_f32 v32, -v14, v26, 1.0
	v_fmac_f32_e32 v26, v32, v26
	v_mul_f32_e32 v32, v15, v26
	v_fma_f32 v33, -v14, v32, v15
	v_fmac_f32_e32 v32, v33, v26
	v_fma_f32 v14, -v14, v32, v15
	v_div_fmas_f32 v14, v14, v26, v32
	v_mov_b32_e32 v15, -1.0
	v_div_fixup_f32 v12, v14, v12, s2
	v_add_f32_e32 v26, 0, v12
.LBB65_170:
	s_or_b64 exec, exec, s[6:7]
	global_load_ushort v12, v16, s[10:11]
	v_mov_b32_e32 v16, 0
	s_waitcnt vmcnt(0)
	v_cvt_f32_f16_e32 v14, v12
	v_cmp_gt_f16_e32 vcc, 0.5, v12
	v_mov_b32_e32 v12, 1.0
	s_and_saveexec_b64 s[6:7], vcc
	s_cbranch_execz .LBB65_176
; %bb.171:
	v_mul_f32_e32 v12, 0x40490fdb, v14
	s_brev_b32 s0, 18
	v_and_b32_e32 v16, 0x7fffffff, v12
	v_cmp_nlt_f32_e64 s[0:1], |v12|, s0
                                        ; implicit-def: $vgpr32
                                        ; implicit-def: $vgpr33
	s_and_saveexec_b64 s[2:3], s[0:1]
	s_xor_b64 s[10:11], exec, s[2:3]
	s_cbranch_execz .LBB65_173
; %bb.172:
	v_and_b32_e32 v32, 0x7fffff, v16
	v_or_b32_e32 v41, 0x800000, v32
	s_mov_b32 s0, 0xfe5163ab
	v_mad_u64_u32 v[32:33], s[0:1], v41, s0, 0
	v_mov_b32_e32 v34, 0
	s_mov_b32 s0, 0x3c439041
	v_mad_u64_u32 v[35:36], s[0:1], v41, s0, v[33:34]
	s_mov_b32 s0, 0xdb629599
	v_not_b32_e32 v40, 63
	v_mov_b32_e32 v33, v36
	v_mad_u64_u32 v[36:37], s[0:1], v41, s0, v[33:34]
	s_mov_b32 s0, 0xf534ddc0
	v_not_b32_e32 v43, 31
	v_mov_b32_e32 v33, v37
	v_mad_u64_u32 v[37:38], s[0:1], v41, s0, v[33:34]
	v_lshrrev_b32_e32 v33, 23, v16
	v_add_u32_e32 v42, 0xffffff88, v33
	v_mov_b32_e32 v33, v38
	s_mov_b32 s0, 0xfc2757d1
	v_mad_u64_u32 v[38:39], s[0:1], v41, s0, v[33:34]
	v_cmp_lt_u32_e32 vcc, 63, v42
	v_cndmask_b32_e32 v33, 0, v40, vcc
	v_add_u32_e32 v42, v33, v42
	v_mov_b32_e32 v33, v39
	s_mov_b32 s0, 0x4e441529
	v_mad_u64_u32 v[39:40], s[0:1], v41, s0, v[33:34]
	v_cmp_lt_u32_e64 s[0:1], 31, v42
	v_cndmask_b32_e64 v33, 0, v43, s[0:1]
	v_add_u32_e32 v42, v33, v42
	v_mov_b32_e32 v33, v40
	s_mov_b32 s2, 0xa2f9836e
	v_mad_u64_u32 v[33:34], s[2:3], v41, s2, v[33:34]
	v_cmp_lt_u32_e64 s[2:3], 31, v42
	v_cndmask_b32_e64 v40, 0, v43, s[2:3]
	v_cndmask_b32_e32 v41, v39, v37, vcc
	v_cndmask_b32_e32 v33, v33, v38, vcc
	;; [unrolled: 1-line block ×3, first 2 shown]
	v_add_u32_e32 v40, v40, v42
	v_cndmask_b32_e64 v42, v33, v41, s[0:1]
	v_cndmask_b32_e64 v33, v34, v33, s[0:1]
	v_cndmask_b32_e32 v34, v38, v36, vcc
	v_cndmask_b32_e64 v38, v41, v34, s[0:1]
	v_cndmask_b32_e64 v33, v33, v42, s[2:3]
	;; [unrolled: 1-line block ×3, first 2 shown]
	v_sub_u32_e32 v41, 32, v40
	v_alignbit_b32 v42, v33, v39, v41
	v_cmp_eq_u32_e64 s[4:5], 0, v40
	v_cndmask_b32_e64 v40, v42, v33, s[4:5]
	v_cndmask_b32_e32 v33, v37, v35, vcc
	v_cndmask_b32_e64 v34, v34, v33, s[0:1]
	v_cndmask_b32_e64 v35, v38, v34, s[2:3]
	v_alignbit_b32 v37, v39, v35, v41
	v_cndmask_b32_e32 v32, v36, v32, vcc
	v_cndmask_b32_e64 v37, v37, v39, s[4:5]
	v_bfe_u32 v42, v40, 29, 1
	v_cndmask_b32_e64 v32, v33, v32, s[0:1]
	v_alignbit_b32 v38, v40, v37, 30
	v_sub_u32_e32 v43, 0, v42
	v_cndmask_b32_e64 v32, v34, v32, s[2:3]
	v_xor_b32_e32 v38, v38, v43
	v_alignbit_b32 v33, v35, v32, v41
	v_cndmask_b32_e64 v33, v33, v35, s[4:5]
	v_ffbh_u32_e32 v35, v38
	v_alignbit_b32 v34, v37, v33, 30
	v_min_u32_e32 v35, 32, v35
	v_alignbit_b32 v32, v33, v32, 30
	v_xor_b32_e32 v34, v34, v43
	v_sub_u32_e32 v36, 31, v35
	v_xor_b32_e32 v32, v32, v43
	v_alignbit_b32 v37, v38, v34, v36
	v_alignbit_b32 v32, v34, v32, v36
	;; [unrolled: 1-line block ×3, first 2 shown]
	v_ffbh_u32_e32 v34, v33
	v_min_u32_e32 v34, 32, v34
	v_lshrrev_b32_e32 v39, 29, v40
	v_not_b32_e32 v36, v34
	v_alignbit_b32 v32, v33, v32, v36
	v_lshlrev_b32_e32 v33, 31, v39
	v_or_b32_e32 v36, 0x33000000, v33
	v_add_lshl_u32 v34, v34, v35, 23
	v_lshrrev_b32_e32 v32, 9, v32
	v_sub_u32_e32 v34, v36, v34
	v_or_b32_e32 v33, 0.5, v33
	v_lshlrev_b32_e32 v35, 23, v35
	v_or_b32_e32 v32, v34, v32
	v_lshrrev_b32_e32 v34, 9, v37
	v_sub_u32_e32 v33, v33, v35
	v_or_b32_e32 v33, v34, v33
	s_mov_b32 s0, 0x3fc90fda
	v_mul_f32_e32 v34, 0x3fc90fda, v33
	v_fma_f32 v35, v33, s0, -v34
	v_fmac_f32_e32 v35, 0x33a22168, v33
	v_fmac_f32_e32 v35, 0x3fc90fda, v32
	v_lshrrev_b32_e32 v32, 30, v40
	v_add_f32_e32 v33, v34, v35
	v_add_u32_e32 v32, v42, v32
.LBB65_173:
	s_andn2_saveexec_b64 s[0:1], s[10:11]
	s_cbranch_execz .LBB65_175
; %bb.174:
	s_mov_b32 s2, 0x3f22f983
	v_mul_f32_e64 v32, |v12|, s2
	v_rndne_f32_e32 v34, v32
	s_mov_b32 s2, 0xbfc90fda
	v_cvt_i32_f32_e32 v32, v34
	v_fma_f32 v33, v34, s2, |v12|
	v_fmac_f32_e32 v33, 0xb3a22168, v34
	v_fmac_f32_e32 v33, 0xa7c234c4, v34
.LBB65_175:
	s_or_b64 exec, exec, s[0:1]
	v_mul_f32_e32 v34, v33, v33
	v_mov_b32_e32 v35, 0x3c0881c4
	v_fmac_f32_e32 v35, 0xb94c1982, v34
	v_mov_b32_e32 v36, 0xbe2aaa9d
	v_fmac_f32_e32 v36, v34, v35
	v_mul_f32_e32 v35, v34, v36
	v_fmac_f32_e32 v33, v33, v35
	v_mov_b32_e32 v35, 0xbab64f3b
	v_fmac_f32_e32 v35, 0x37d75334, v34
	v_mov_b32_e32 v36, 0x3d2aabf7
	;; [unrolled: 2-line block ×3, first 2 shown]
	v_fmac_f32_e32 v35, v34, v36
	v_fma_f32 v34, v34, v35, 1.0
	v_and_b32_e32 v35, 1, v32
	v_lshlrev_b32_e32 v32, 30, v32
	v_cmp_eq_u32_e32 vcc, 0, v35
	v_and_b32_e32 v32, 0x80000000, v32
	v_xor_b32_e32 v16, v16, v12
	v_cndmask_b32_e32 v33, v34, v33, vcc
	v_xor_b32_e32 v16, v16, v32
	s_movk_i32 s0, 0x1f8
	v_xor_b32_e32 v16, v16, v33
	v_mov_b32_e32 v32, 0x7fc00000
	v_cmp_class_f32_e64 vcc, v12, s0
	v_cndmask_b32_e32 v12, v32, v16, vcc
	v_mul_f32_e32 v12, v12, v12
	s_mov_b32 s2, 0xc11de9e7
	v_div_scale_f32 v16, s[0:1], v12, v12, s2
	v_div_scale_f32 v32, vcc, s2, v12, s2
	v_sub_f32_e32 v14, 1.0, v14
	v_rcp_f32_e32 v33, v16
	v_fma_f32 v34, -v16, v33, 1.0
	v_fmac_f32_e32 v33, v34, v33
	v_mul_f32_e32 v34, v32, v33
	v_fma_f32 v35, -v16, v34, v32
	v_fmac_f32_e32 v34, v35, v33
	v_fma_f32 v16, -v16, v34, v32
	v_div_fmas_f32 v16, v16, v33, v34
	v_div_fixup_f32 v12, v16, v12, s2
	v_add_f32_e32 v16, 0, v12
	v_mov_b32_e32 v12, -1.0
.LBB65_176:
	s_or_b64 exec, exec, s[6:7]
	v_mul_f32_e32 v32, v13, v13
	v_div_scale_f32 v33, s[0:1], v32, v32, 1.0
	v_add_f32_e32 v13, 1.0, v13
	v_rcp_f32_e32 v34, v33
	v_fma_f32 v35, -v33, v34, 1.0
	v_fmac_f32_e32 v34, v35, v34
	v_div_scale_f32 v35, vcc, 1.0, v32, 1.0
	v_mul_f32_e32 v36, v35, v34
	v_fma_f32 v37, -v33, v36, v35
	v_fmac_f32_e32 v36, v37, v34
	v_fma_f32 v33, -v33, v36, v35
	v_div_fmas_f32 v33, v33, v34, v36
	v_div_fixup_f32 v32, v33, v32, 1.0
	v_add_f32_e32 v26, v26, v32
	v_mul_f32_e32 v32, v13, v13
	v_div_scale_f32 v33, s[0:1], v32, v32, 1.0
	v_add_f32_e32 v13, 1.0, v13
	v_rcp_f32_e32 v34, v33
	v_fma_f32 v35, -v33, v34, 1.0
	v_fmac_f32_e32 v34, v35, v34
	v_div_scale_f32 v35, vcc, 1.0, v32, 1.0
	v_mul_f32_e32 v36, v35, v34
	v_fma_f32 v37, -v33, v36, v35
	v_fmac_f32_e32 v36, v37, v34
	v_fma_f32 v33, -v33, v36, v35
	v_div_fmas_f32 v33, v33, v34, v36
	v_div_fixup_f32 v32, v33, v32, 1.0
	v_add_f32_e32 v26, v26, v32
	;; [unrolled: 14-line block ×6, first 2 shown]
	v_mul_f32_e32 v26, v13, v13
	v_div_scale_f32 v33, s[0:1], v26, v26, 1.0
	v_rcp_f32_e32 v34, v33
	v_fma_f32 v35, -v33, v34, 1.0
	v_fmac_f32_e32 v34, v35, v34
	v_div_scale_f32 v35, vcc, 1.0, v26, 1.0
	v_mul_f32_e32 v36, v35, v34
	v_fma_f32 v37, -v33, v36, v35
	v_fmac_f32_e32 v36, v37, v34
	v_fma_f32 v33, -v33, v36, v35
	v_div_fmas_f32 v33, v33, v34, v36
	v_div_fixup_f32 v33, v33, v26, 1.0
	v_add_f32_e32 v26, v13, v13
	v_div_scale_f32 v34, s[0:1], v26, v26, 1.0
	s_mov_b32 s0, 0x3e2aaaab
	v_rcp_f32_e32 v35, v34
	v_fma_f32 v36, -v34, v35, 1.0
	v_fmac_f32_e32 v35, v36, v35
	v_div_scale_f32 v36, vcc, 1.0, v26, 1.0
	v_mul_f32_e32 v37, v36, v35
	v_fma_f32 v38, -v34, v37, v36
	v_fmac_f32_e32 v37, v38, v35
	v_fma_f32 v34, -v34, v37, v36
	v_div_fmas_f32 v34, v34, v35, v37
	v_mov_b32_e32 v35, 0x3d088889
	v_fmac_f32_e32 v35, 0xbcc30c31, v33
	v_fma_f32 v35, -v33, v35, s0
	v_div_fixup_f32 v26, v34, v26, 1.0
	v_add_f32_e32 v34, 1.0, v26
	v_fmac_f32_e32 v34, v33, v35
	v_div_scale_f32 v33, s[2:3], v13, v13, v34
	v_mov_b32_e32 v26, 0x3d088889
	v_rcp_f32_e32 v35, v33
	v_fma_f32 v36, -v33, v35, 1.0
	v_fmac_f32_e32 v35, v36, v35
	v_div_scale_f32 v36, vcc, v34, v13, v34
	v_mul_f32_e32 v37, v36, v35
	v_fma_f32 v38, -v33, v37, v36
	v_fmac_f32_e32 v37, v38, v35
	v_fma_f32 v33, -v33, v37, v36
	v_div_fmas_f32 v33, v33, v35, v37
	v_div_fixup_f32 v13, v33, v13, v34
	v_add_f32_e32 v13, v32, v13
	v_fma_mixlo_f16 v13, v15, v13, 0
	v_mul_f32_e32 v15, v29, v29
	v_div_scale_f32 v32, s[2:3], v15, v15, 1.0
	v_add_f32_e32 v29, 1.0, v29
	v_rcp_f32_e32 v33, v32
	v_fma_f32 v34, -v32, v33, 1.0
	v_fmac_f32_e32 v33, v34, v33
	v_div_scale_f32 v34, vcc, 1.0, v15, 1.0
	v_mul_f32_e32 v35, v34, v33
	v_fma_f32 v36, -v32, v35, v34
	v_fmac_f32_e32 v35, v36, v33
	v_fma_f32 v32, -v32, v35, v34
	v_div_fmas_f32 v32, v32, v33, v35
	v_div_fixup_f32 v15, v32, v15, 1.0
	v_add_f32_e32 v15, v31, v15
	v_mul_f32_e32 v31, v29, v29
	v_div_scale_f32 v32, s[2:3], v31, v31, 1.0
	v_add_f32_e32 v29, 1.0, v29
	v_rcp_f32_e32 v33, v32
	v_fma_f32 v34, -v32, v33, 1.0
	v_fmac_f32_e32 v33, v34, v33
	v_div_scale_f32 v34, vcc, 1.0, v31, 1.0
	v_mul_f32_e32 v35, v34, v33
	v_fma_f32 v36, -v32, v35, v34
	v_fmac_f32_e32 v35, v36, v33
	v_fma_f32 v32, -v32, v35, v34
	v_div_fmas_f32 v32, v32, v33, v35
	v_div_fixup_f32 v31, v32, v31, 1.0
	v_add_f32_e32 v15, v15, v31
	;; [unrolled: 14-line block ×6, first 2 shown]
	v_mul_f32_e32 v31, v29, v29
	v_div_scale_f32 v32, s[2:3], v31, v31, 1.0
	v_rcp_f32_e32 v33, v32
	v_fma_f32 v34, -v32, v33, 1.0
	v_fmac_f32_e32 v33, v34, v33
	v_div_scale_f32 v34, vcc, 1.0, v31, 1.0
	v_mul_f32_e32 v35, v34, v33
	v_fma_f32 v36, -v32, v35, v34
	v_fmac_f32_e32 v35, v36, v33
	v_fma_f32 v32, -v32, v35, v34
	v_div_fmas_f32 v32, v32, v33, v35
	v_div_fixup_f32 v31, v32, v31, 1.0
	v_add_f32_e32 v32, v29, v29
	v_div_scale_f32 v33, s[2:3], v32, v32, 1.0
	v_rcp_f32_e32 v34, v33
	v_fma_f32 v35, -v33, v34, 1.0
	v_fmac_f32_e32 v34, v35, v34
	v_div_scale_f32 v35, vcc, 1.0, v32, 1.0
	v_mul_f32_e32 v36, v35, v34
	v_fma_f32 v37, -v33, v36, v35
	v_fmac_f32_e32 v36, v37, v34
	v_fma_f32 v33, -v33, v36, v35
	v_div_fmas_f32 v33, v33, v34, v36
	v_div_fixup_f32 v32, v33, v32, 1.0
	v_mov_b32_e32 v33, 0x3d088889
	v_fmac_f32_e32 v33, 0xbcc30c31, v31
	v_add_f32_e32 v32, 1.0, v32
	v_fma_f32 v33, -v31, v33, s0
	v_fmac_f32_e32 v32, v31, v33
	v_div_scale_f32 v31, s[2:3], v29, v29, v32
	v_rcp_f32_e32 v33, v31
	v_fma_f32 v34, -v31, v33, 1.0
	v_fmac_f32_e32 v33, v34, v33
	v_div_scale_f32 v34, vcc, v32, v29, v32
	v_mul_f32_e32 v35, v34, v33
	v_fma_f32 v36, -v31, v35, v34
	v_fmac_f32_e32 v35, v36, v33
	v_fma_f32 v31, -v31, v35, v34
	v_div_fmas_f32 v31, v31, v33, v35
	v_div_fixup_f32 v29, v31, v29, v32
	v_add_f32_e32 v15, v15, v29
	v_mul_f32_e32 v29, v25, v25
	v_fma_mixlo_f16 v15, v30, v15, 0
	v_div_scale_f32 v30, s[2:3], v29, v29, 1.0
	v_add_f32_e32 v25, 1.0, v25
	v_rcp_f32_e32 v31, v30
	v_fma_f32 v32, -v30, v31, 1.0
	v_fmac_f32_e32 v31, v32, v31
	v_div_scale_f32 v32, vcc, 1.0, v29, 1.0
	v_mul_f32_e32 v33, v32, v31
	v_fma_f32 v34, -v30, v33, v32
	v_fmac_f32_e32 v33, v34, v31
	v_fma_f32 v30, -v30, v33, v32
	v_div_fmas_f32 v30, v30, v31, v33
	v_div_fixup_f32 v29, v30, v29, 1.0
	v_add_f32_e32 v28, v28, v29
	v_mul_f32_e32 v29, v25, v25
	v_div_scale_f32 v30, s[2:3], v29, v29, 1.0
	v_add_f32_e32 v25, 1.0, v25
	v_rcp_f32_e32 v31, v30
	v_fma_f32 v32, -v30, v31, 1.0
	v_fmac_f32_e32 v31, v32, v31
	v_div_scale_f32 v32, vcc, 1.0, v29, 1.0
	v_mul_f32_e32 v33, v32, v31
	v_fma_f32 v34, -v30, v33, v32
	v_fmac_f32_e32 v33, v34, v31
	v_fma_f32 v30, -v30, v33, v32
	v_div_fmas_f32 v30, v30, v31, v33
	v_div_fixup_f32 v29, v30, v29, 1.0
	v_add_f32_e32 v28, v28, v29
	v_mul_f32_e32 v29, v25, v25
	v_div_scale_f32 v30, s[2:3], v29, v29, 1.0
	v_add_f32_e32 v25, 1.0, v25
	v_rcp_f32_e32 v31, v30
	v_fma_f32 v32, -v30, v31, 1.0
	v_fmac_f32_e32 v31, v32, v31
	v_div_scale_f32 v32, vcc, 1.0, v29, 1.0
	v_mul_f32_e32 v33, v32, v31
	v_fma_f32 v34, -v30, v33, v32
	v_fmac_f32_e32 v33, v34, v31
	v_fma_f32 v30, -v30, v33, v32
	v_div_fmas_f32 v30, v30, v31, v33
	v_div_fixup_f32 v29, v30, v29, 1.0
	v_add_f32_e32 v28, v28, v29
	v_mul_f32_e32 v29, v25, v25
	v_div_scale_f32 v30, s[2:3], v29, v29, 1.0
	v_add_f32_e32 v25, 1.0, v25
	v_rcp_f32_e32 v31, v30
	v_fma_f32 v32, -v30, v31, 1.0
	v_fmac_f32_e32 v31, v32, v31
	v_div_scale_f32 v32, vcc, 1.0, v29, 1.0
	v_mul_f32_e32 v33, v32, v31
	v_fma_f32 v34, -v30, v33, v32
	v_fmac_f32_e32 v33, v34, v31
	v_fma_f32 v30, -v30, v33, v32
	v_div_fmas_f32 v30, v30, v31, v33
	v_div_fixup_f32 v29, v30, v29, 1.0
	v_add_f32_e32 v28, v28, v29
	v_mul_f32_e32 v29, v25, v25
	v_div_scale_f32 v30, s[2:3], v29, v29, 1.0
	v_add_f32_e32 v25, 1.0, v25
	v_rcp_f32_e32 v31, v30
	v_fma_f32 v32, -v30, v31, 1.0
	v_fmac_f32_e32 v31, v32, v31
	v_div_scale_f32 v32, vcc, 1.0, v29, 1.0
	v_mul_f32_e32 v33, v32, v31
	v_fma_f32 v34, -v30, v33, v32
	v_fmac_f32_e32 v33, v34, v31
	v_fma_f32 v30, -v30, v33, v32
	v_div_fmas_f32 v30, v30, v31, v33
	v_div_fixup_f32 v29, v30, v29, 1.0
	v_add_f32_e32 v28, v28, v29
	v_mul_f32_e32 v29, v25, v25
	v_div_scale_f32 v30, s[2:3], v29, v29, 1.0
	v_add_f32_e32 v25, 1.0, v25
	v_rcp_f32_e32 v31, v30
	v_fma_f32 v32, -v30, v31, 1.0
	v_fmac_f32_e32 v31, v32, v31
	v_div_scale_f32 v32, vcc, 1.0, v29, 1.0
	v_mul_f32_e32 v33, v32, v31
	v_fma_f32 v34, -v30, v33, v32
	v_fmac_f32_e32 v33, v34, v31
	v_fma_f32 v30, -v30, v33, v32
	v_div_fmas_f32 v30, v30, v31, v33
	v_div_fixup_f32 v29, v30, v29, 1.0
	v_add_f32_e32 v28, v28, v29
	v_mul_f32_e32 v29, v25, v25
	v_div_scale_f32 v30, s[2:3], v29, v29, 1.0
	v_rcp_f32_e32 v31, v30
	v_fma_f32 v32, -v30, v31, 1.0
	v_fmac_f32_e32 v31, v32, v31
	v_div_scale_f32 v32, vcc, 1.0, v29, 1.0
	v_mul_f32_e32 v33, v32, v31
	v_fma_f32 v34, -v30, v33, v32
	v_fmac_f32_e32 v33, v34, v31
	v_fma_f32 v30, -v30, v33, v32
	v_div_fmas_f32 v30, v30, v31, v33
	v_div_fixup_f32 v29, v30, v29, 1.0
	v_add_f32_e32 v30, v25, v25
	v_div_scale_f32 v31, s[2:3], v30, v30, 1.0
	v_rcp_f32_e32 v32, v31
	v_fma_f32 v33, -v31, v32, 1.0
	v_fmac_f32_e32 v32, v33, v32
	v_div_scale_f32 v33, vcc, 1.0, v30, 1.0
	v_mul_f32_e32 v34, v33, v32
	v_fma_f32 v35, -v31, v34, v33
	v_fmac_f32_e32 v34, v35, v32
	v_fma_f32 v31, -v31, v34, v33
	v_div_fmas_f32 v31, v31, v32, v34
	v_div_fixup_f32 v30, v31, v30, 1.0
	v_mov_b32_e32 v31, 0x3d088889
	v_fmac_f32_e32 v31, 0xbcc30c31, v29
	v_add_f32_e32 v30, 1.0, v30
	v_fma_f32 v31, -v29, v31, s0
	v_fmac_f32_e32 v30, v29, v31
	v_div_scale_f32 v29, s[2:3], v25, v25, v30
	v_rcp_f32_e32 v31, v29
	v_fma_f32 v32, -v29, v31, 1.0
	v_fmac_f32_e32 v31, v32, v31
	v_div_scale_f32 v32, vcc, v30, v25, v30
	v_mul_f32_e32 v33, v32, v31
	v_fma_f32 v34, -v29, v33, v32
	v_fmac_f32_e32 v33, v34, v31
	v_fma_f32 v29, -v29, v33, v32
	v_div_fmas_f32 v29, v29, v31, v33
	v_div_fixup_f32 v25, v29, v25, v30
	v_add_f32_e32 v25, v28, v25
	v_fma_mixlo_f16 v25, v27, v25, 0
	v_mul_f32_e32 v27, v22, v22
	v_div_scale_f32 v28, s[2:3], v27, v27, 1.0
	v_add_f32_e32 v22, 1.0, v22
	v_rcp_f32_e32 v29, v28
	v_fma_f32 v30, -v28, v29, 1.0
	v_fmac_f32_e32 v29, v30, v29
	v_div_scale_f32 v30, vcc, 1.0, v27, 1.0
	v_mul_f32_e32 v31, v30, v29
	v_fma_f32 v32, -v28, v31, v30
	v_fmac_f32_e32 v31, v32, v29
	v_fma_f32 v28, -v28, v31, v30
	v_div_fmas_f32 v28, v28, v29, v31
	v_div_fixup_f32 v27, v28, v27, 1.0
	v_add_f32_e32 v24, v24, v27
	v_mul_f32_e32 v27, v22, v22
	v_div_scale_f32 v28, s[2:3], v27, v27, 1.0
	v_add_f32_e32 v22, 1.0, v22
	v_rcp_f32_e32 v29, v28
	v_fma_f32 v30, -v28, v29, 1.0
	v_fmac_f32_e32 v29, v30, v29
	v_div_scale_f32 v30, vcc, 1.0, v27, 1.0
	v_mul_f32_e32 v31, v30, v29
	v_fma_f32 v32, -v28, v31, v30
	v_fmac_f32_e32 v31, v32, v29
	v_fma_f32 v28, -v28, v31, v30
	v_div_fmas_f32 v28, v28, v29, v31
	v_div_fixup_f32 v27, v28, v27, 1.0
	v_add_f32_e32 v24, v24, v27
	;; [unrolled: 14-line block ×6, first 2 shown]
	v_mul_f32_e32 v27, v22, v22
	v_div_scale_f32 v28, s[2:3], v27, v27, 1.0
	v_rcp_f32_e32 v29, v28
	v_fma_f32 v30, -v28, v29, 1.0
	v_fmac_f32_e32 v29, v30, v29
	v_div_scale_f32 v30, vcc, 1.0, v27, 1.0
	v_mul_f32_e32 v31, v30, v29
	v_fma_f32 v32, -v28, v31, v30
	v_fmac_f32_e32 v31, v32, v29
	v_fma_f32 v28, -v28, v31, v30
	v_div_fmas_f32 v28, v28, v29, v31
	v_div_fixup_f32 v27, v28, v27, 1.0
	v_add_f32_e32 v28, v22, v22
	v_div_scale_f32 v29, s[2:3], v28, v28, 1.0
	v_rcp_f32_e32 v30, v29
	v_fma_f32 v31, -v29, v30, 1.0
	v_fmac_f32_e32 v30, v31, v30
	v_div_scale_f32 v31, vcc, 1.0, v28, 1.0
	v_mul_f32_e32 v32, v31, v30
	v_fma_f32 v33, -v29, v32, v31
	v_fmac_f32_e32 v32, v33, v30
	v_fma_f32 v29, -v29, v32, v31
	v_div_fmas_f32 v29, v29, v30, v32
	v_div_fixup_f32 v28, v29, v28, 1.0
	v_mov_b32_e32 v29, 0x3d088889
	v_fmac_f32_e32 v29, 0xbcc30c31, v27
	v_add_f32_e32 v28, 1.0, v28
	v_fma_f32 v29, -v27, v29, s0
	v_fmac_f32_e32 v28, v27, v29
	v_div_scale_f32 v27, s[2:3], v22, v22, v28
	v_rcp_f32_e32 v29, v27
	v_fma_f32 v30, -v27, v29, 1.0
	v_fmac_f32_e32 v29, v30, v29
	v_div_scale_f32 v30, vcc, v28, v22, v28
	v_mul_f32_e32 v31, v30, v29
	v_fma_f32 v32, -v27, v31, v30
	v_fmac_f32_e32 v31, v32, v29
	v_fma_f32 v27, -v27, v31, v30
	v_div_fmas_f32 v27, v27, v29, v31
	v_div_fixup_f32 v22, v27, v22, v28
	v_add_f32_e32 v22, v24, v22
	v_fma_mixlo_f16 v22, v23, v22, 0
	v_mul_f32_e32 v23, v11, v11
	v_div_scale_f32 v24, s[2:3], v23, v23, 1.0
	v_add_f32_e32 v11, 1.0, v11
	v_rcp_f32_e32 v27, v24
	v_fma_f32 v28, -v24, v27, 1.0
	v_fmac_f32_e32 v27, v28, v27
	v_div_scale_f32 v28, vcc, 1.0, v23, 1.0
	v_mul_f32_e32 v29, v28, v27
	v_fma_f32 v30, -v24, v29, v28
	v_fmac_f32_e32 v29, v30, v27
	v_fma_f32 v24, -v24, v29, v28
	v_div_fmas_f32 v24, v24, v27, v29
	v_div_fixup_f32 v23, v24, v23, 1.0
	v_add_f32_e32 v21, v21, v23
	v_mul_f32_e32 v23, v11, v11
	v_div_scale_f32 v24, s[2:3], v23, v23, 1.0
	v_add_f32_e32 v11, 1.0, v11
	v_rcp_f32_e32 v27, v24
	v_fma_f32 v28, -v24, v27, 1.0
	v_fmac_f32_e32 v27, v28, v27
	v_div_scale_f32 v28, vcc, 1.0, v23, 1.0
	v_mul_f32_e32 v29, v28, v27
	v_fma_f32 v30, -v24, v29, v28
	v_fmac_f32_e32 v29, v30, v27
	v_fma_f32 v24, -v24, v29, v28
	v_div_fmas_f32 v24, v24, v27, v29
	v_div_fixup_f32 v23, v24, v23, 1.0
	v_add_f32_e32 v21, v21, v23
	;; [unrolled: 14-line block ×6, first 2 shown]
	v_mul_f32_e32 v23, v11, v11
	v_div_scale_f32 v24, s[2:3], v23, v23, 1.0
	v_rcp_f32_e32 v27, v24
	v_fma_f32 v28, -v24, v27, 1.0
	v_fmac_f32_e32 v27, v28, v27
	v_div_scale_f32 v28, vcc, 1.0, v23, 1.0
	v_mul_f32_e32 v29, v28, v27
	v_fma_f32 v30, -v24, v29, v28
	v_fmac_f32_e32 v29, v30, v27
	v_fma_f32 v24, -v24, v29, v28
	v_div_fmas_f32 v24, v24, v27, v29
	v_div_fixup_f32 v23, v24, v23, 1.0
	v_add_f32_e32 v24, v11, v11
	v_div_scale_f32 v27, s[2:3], v24, v24, 1.0
	v_rcp_f32_e32 v28, v27
	v_fma_f32 v29, -v27, v28, 1.0
	v_fmac_f32_e32 v28, v29, v28
	v_div_scale_f32 v29, vcc, 1.0, v24, 1.0
	v_mul_f32_e32 v30, v29, v28
	v_fma_f32 v31, -v27, v30, v29
	v_fmac_f32_e32 v30, v31, v28
	v_fma_f32 v27, -v27, v30, v29
	v_div_fmas_f32 v27, v27, v28, v30
	v_div_fixup_f32 v24, v27, v24, 1.0
	v_mov_b32_e32 v27, 0x3d088889
	v_fmac_f32_e32 v27, 0xbcc30c31, v23
	v_add_f32_e32 v24, 1.0, v24
	v_fma_f32 v27, -v23, v27, s0
	v_fmac_f32_e32 v24, v23, v27
	v_div_scale_f32 v23, s[2:3], v11, v11, v24
	v_rcp_f32_e32 v27, v23
	v_fma_f32 v28, -v23, v27, 1.0
	v_fmac_f32_e32 v27, v28, v27
	v_div_scale_f32 v28, vcc, v24, v11, v24
	v_mul_f32_e32 v29, v28, v27
	v_fma_f32 v30, -v23, v29, v28
	v_fmac_f32_e32 v29, v30, v27
	v_fma_f32 v23, -v23, v29, v28
	v_div_fmas_f32 v23, v23, v27, v29
	v_div_fixup_f32 v11, v23, v11, v24
	v_add_f32_e32 v11, v21, v11
	v_fma_mixlo_f16 v11, v20, v11, 0
	v_mul_f32_e32 v20, v10, v10
	v_div_scale_f32 v21, s[2:3], v20, v20, 1.0
	v_add_f32_e32 v10, 1.0, v10
	v_rcp_f32_e32 v23, v21
	v_fma_f32 v24, -v21, v23, 1.0
	v_fmac_f32_e32 v23, v24, v23
	v_div_scale_f32 v24, vcc, 1.0, v20, 1.0
	v_mul_f32_e32 v27, v24, v23
	v_fma_f32 v28, -v21, v27, v24
	v_fmac_f32_e32 v27, v28, v23
	v_fma_f32 v21, -v21, v27, v24
	v_div_fmas_f32 v21, v21, v23, v27
	v_div_fixup_f32 v20, v21, v20, 1.0
	v_add_f32_e32 v19, v19, v20
	v_mul_f32_e32 v20, v10, v10
	v_div_scale_f32 v21, s[2:3], v20, v20, 1.0
	v_add_f32_e32 v10, 1.0, v10
	v_rcp_f32_e32 v23, v21
	v_fma_f32 v24, -v21, v23, 1.0
	v_fmac_f32_e32 v23, v24, v23
	v_div_scale_f32 v24, vcc, 1.0, v20, 1.0
	v_mul_f32_e32 v27, v24, v23
	v_fma_f32 v28, -v21, v27, v24
	v_fmac_f32_e32 v27, v28, v23
	v_fma_f32 v21, -v21, v27, v24
	v_div_fmas_f32 v21, v21, v23, v27
	v_div_fixup_f32 v20, v21, v20, 1.0
	v_add_f32_e32 v19, v19, v20
	;; [unrolled: 14-line block ×6, first 2 shown]
	v_mul_f32_e32 v20, v10, v10
	v_div_scale_f32 v21, s[2:3], v20, v20, 1.0
	v_rcp_f32_e32 v23, v21
	v_fma_f32 v24, -v21, v23, 1.0
	v_fmac_f32_e32 v23, v24, v23
	v_div_scale_f32 v24, vcc, 1.0, v20, 1.0
	v_mul_f32_e32 v27, v24, v23
	v_fma_f32 v28, -v21, v27, v24
	v_fmac_f32_e32 v27, v28, v23
	v_fma_f32 v21, -v21, v27, v24
	v_div_fmas_f32 v21, v21, v23, v27
	v_div_fixup_f32 v20, v21, v20, 1.0
	v_add_f32_e32 v21, v10, v10
	v_div_scale_f32 v23, s[2:3], v21, v21, 1.0
	v_rcp_f32_e32 v24, v23
	v_fma_f32 v27, -v23, v24, 1.0
	v_fmac_f32_e32 v24, v27, v24
	v_div_scale_f32 v27, vcc, 1.0, v21, 1.0
	v_mul_f32_e32 v28, v27, v24
	v_fma_f32 v29, -v23, v28, v27
	v_fmac_f32_e32 v28, v29, v24
	v_fma_f32 v23, -v23, v28, v27
	v_div_fmas_f32 v23, v23, v24, v28
	v_div_fixup_f32 v21, v23, v21, 1.0
	v_mov_b32_e32 v23, 0x3d088889
	v_fmac_f32_e32 v23, 0xbcc30c31, v20
	v_add_f32_e32 v21, 1.0, v21
	v_fma_f32 v23, -v20, v23, s0
	v_fmac_f32_e32 v21, v20, v23
	v_div_scale_f32 v20, s[2:3], v10, v10, v21
	v_rcp_f32_e32 v23, v20
	v_fma_f32 v24, -v20, v23, 1.0
	v_fmac_f32_e32 v23, v24, v23
	v_div_scale_f32 v24, vcc, v21, v10, v21
	v_mul_f32_e32 v27, v24, v23
	v_fma_f32 v28, -v20, v27, v24
	v_fmac_f32_e32 v27, v28, v23
	v_fma_f32 v20, -v20, v27, v24
	v_div_fmas_f32 v20, v20, v23, v27
	v_div_fixup_f32 v10, v20, v10, v21
	v_add_f32_e32 v10, v19, v10
	v_fma_mixlo_f16 v10, v18, v10, 0
	v_mul_f32_e32 v18, v8, v8
	v_div_scale_f32 v19, s[2:3], v18, v18, 1.0
	v_add_f32_e32 v8, 1.0, v8
	v_rcp_f32_e32 v20, v19
	v_fma_f32 v21, -v19, v20, 1.0
	v_fmac_f32_e32 v20, v21, v20
	v_div_scale_f32 v21, vcc, 1.0, v18, 1.0
	v_mul_f32_e32 v23, v21, v20
	v_fma_f32 v24, -v19, v23, v21
	v_fmac_f32_e32 v23, v24, v20
	v_fma_f32 v19, -v19, v23, v21
	v_div_fmas_f32 v19, v19, v20, v23
	v_div_fixup_f32 v18, v19, v18, 1.0
	v_add_f32_e32 v17, v17, v18
	v_mul_f32_e32 v18, v8, v8
	v_div_scale_f32 v19, s[2:3], v18, v18, 1.0
	v_add_f32_e32 v8, 1.0, v8
	v_rcp_f32_e32 v20, v19
	v_fma_f32 v21, -v19, v20, 1.0
	v_fmac_f32_e32 v20, v21, v20
	v_div_scale_f32 v21, vcc, 1.0, v18, 1.0
	v_mul_f32_e32 v23, v21, v20
	v_fma_f32 v24, -v19, v23, v21
	v_fmac_f32_e32 v23, v24, v20
	v_fma_f32 v19, -v19, v23, v21
	v_div_fmas_f32 v19, v19, v20, v23
	v_div_fixup_f32 v18, v19, v18, 1.0
	v_add_f32_e32 v17, v17, v18
	v_mul_f32_e32 v18, v8, v8
	v_div_scale_f32 v19, s[2:3], v18, v18, 1.0
	v_add_f32_e32 v8, 1.0, v8
	v_rcp_f32_e32 v20, v19
	v_fma_f32 v21, -v19, v20, 1.0
	v_fmac_f32_e32 v20, v21, v20
	v_div_scale_f32 v21, vcc, 1.0, v18, 1.0
	v_mul_f32_e32 v23, v21, v20
	v_fma_f32 v24, -v19, v23, v21
	v_fmac_f32_e32 v23, v24, v20
	v_fma_f32 v19, -v19, v23, v21
	v_div_fmas_f32 v19, v19, v20, v23
	v_div_fixup_f32 v18, v19, v18, 1.0
	v_add_f32_e32 v17, v17, v18
	v_mul_f32_e32 v18, v8, v8
	v_div_scale_f32 v19, s[2:3], v18, v18, 1.0
	v_add_f32_e32 v8, 1.0, v8
	v_rcp_f32_e32 v20, v19
	v_fma_f32 v21, -v19, v20, 1.0
	v_fmac_f32_e32 v20, v21, v20
	v_div_scale_f32 v21, vcc, 1.0, v18, 1.0
	v_mul_f32_e32 v23, v21, v20
	v_fma_f32 v24, -v19, v23, v21
	v_fmac_f32_e32 v23, v24, v20
	v_fma_f32 v19, -v19, v23, v21
	v_div_fmas_f32 v19, v19, v20, v23
	v_div_fixup_f32 v18, v19, v18, 1.0
	v_add_f32_e32 v17, v17, v18
	v_mul_f32_e32 v18, v8, v8
	v_div_scale_f32 v19, s[2:3], v18, v18, 1.0
	v_add_f32_e32 v8, 1.0, v8
	v_rcp_f32_e32 v20, v19
	v_fma_f32 v21, -v19, v20, 1.0
	v_fmac_f32_e32 v20, v21, v20
	v_div_scale_f32 v21, vcc, 1.0, v18, 1.0
	v_mul_f32_e32 v23, v21, v20
	v_fma_f32 v24, -v19, v23, v21
	v_fmac_f32_e32 v23, v24, v20
	v_fma_f32 v19, -v19, v23, v21
	v_div_fmas_f32 v19, v19, v20, v23
	v_div_fixup_f32 v18, v19, v18, 1.0
	v_add_f32_e32 v17, v17, v18
	v_mul_f32_e32 v18, v8, v8
	v_div_scale_f32 v19, s[2:3], v18, v18, 1.0
	v_add_f32_e32 v8, 1.0, v8
	v_rcp_f32_e32 v20, v19
	v_fma_f32 v21, -v19, v20, 1.0
	v_fmac_f32_e32 v20, v21, v20
	v_div_scale_f32 v21, vcc, 1.0, v18, 1.0
	v_mul_f32_e32 v23, v21, v20
	v_fma_f32 v24, -v19, v23, v21
	v_fmac_f32_e32 v23, v24, v20
	v_fma_f32 v19, -v19, v23, v21
	v_div_fmas_f32 v19, v19, v20, v23
	v_div_fixup_f32 v18, v19, v18, 1.0
	v_add_f32_e32 v17, v17, v18
	v_mul_f32_e32 v18, v8, v8
	v_div_scale_f32 v19, s[2:3], v18, v18, 1.0
	v_rcp_f32_e32 v20, v19
	v_fma_f32 v21, -v19, v20, 1.0
	v_fmac_f32_e32 v20, v21, v20
	v_div_scale_f32 v21, vcc, 1.0, v18, 1.0
	v_mul_f32_e32 v23, v21, v20
	v_fma_f32 v24, -v19, v23, v21
	v_fmac_f32_e32 v23, v24, v20
	v_fma_f32 v19, -v19, v23, v21
	v_div_fmas_f32 v19, v19, v20, v23
	v_div_fixup_f32 v18, v19, v18, 1.0
	v_add_f32_e32 v19, v8, v8
	v_div_scale_f32 v20, s[2:3], v19, v19, 1.0
	v_rcp_f32_e32 v21, v20
	v_fma_f32 v23, -v20, v21, 1.0
	v_fmac_f32_e32 v21, v23, v21
	v_div_scale_f32 v23, vcc, 1.0, v19, 1.0
	v_mul_f32_e32 v24, v23, v21
	v_fma_f32 v27, -v20, v24, v23
	v_fmac_f32_e32 v24, v27, v21
	v_fma_f32 v20, -v20, v24, v23
	v_div_fmas_f32 v20, v20, v21, v24
	v_div_fixup_f32 v19, v20, v19, 1.0
	v_mov_b32_e32 v20, 0x3d088889
	v_fmac_f32_e32 v20, 0xbcc30c31, v18
	v_add_f32_e32 v19, 1.0, v19
	v_fma_f32 v20, -v18, v20, s0
	v_fmac_f32_e32 v19, v18, v20
	v_div_scale_f32 v18, s[2:3], v8, v8, v19
	v_rcp_f32_e32 v20, v18
	v_fma_f32 v21, -v18, v20, 1.0
	v_fmac_f32_e32 v20, v21, v20
	v_div_scale_f32 v21, vcc, v19, v8, v19
	v_mul_f32_e32 v23, v21, v20
	v_fma_f32 v24, -v18, v23, v21
	v_fmac_f32_e32 v23, v24, v20
	v_fma_f32 v18, -v18, v23, v21
	v_div_fmas_f32 v18, v18, v20, v23
	v_div_fixup_f32 v8, v18, v8, v19
	v_add_f32_e32 v8, v17, v8
	v_fma_mixlo_f16 v8, v9, v8, 0
	v_mul_f32_e32 v9, v14, v14
	v_div_scale_f32 v17, s[2:3], v9, v9, 1.0
	v_add_f32_e32 v14, 1.0, v14
	v_rcp_f32_e32 v18, v17
	v_fma_f32 v19, -v17, v18, 1.0
	v_fmac_f32_e32 v18, v19, v18
	v_div_scale_f32 v19, vcc, 1.0, v9, 1.0
	v_mul_f32_e32 v20, v19, v18
	v_fma_f32 v21, -v17, v20, v19
	v_fmac_f32_e32 v20, v21, v18
	v_fma_f32 v17, -v17, v20, v19
	v_div_fmas_f32 v17, v17, v18, v20
	v_div_fixup_f32 v9, v17, v9, 1.0
	v_add_f32_e32 v9, v16, v9
	v_mul_f32_e32 v16, v14, v14
	v_div_scale_f32 v17, s[2:3], v16, v16, 1.0
	v_add_f32_e32 v14, 1.0, v14
	v_rcp_f32_e32 v18, v17
	v_fma_f32 v19, -v17, v18, 1.0
	v_fmac_f32_e32 v18, v19, v18
	v_div_scale_f32 v19, vcc, 1.0, v16, 1.0
	v_mul_f32_e32 v20, v19, v18
	v_fma_f32 v21, -v17, v20, v19
	v_fmac_f32_e32 v20, v21, v18
	v_fma_f32 v17, -v17, v20, v19
	v_div_fmas_f32 v17, v17, v18, v20
	v_div_fixup_f32 v16, v17, v16, 1.0
	v_add_f32_e32 v9, v9, v16
	;; [unrolled: 14-line block ×6, first 2 shown]
	v_mul_f32_e32 v16, v14, v14
	v_div_scale_f32 v17, s[2:3], v16, v16, 1.0
	v_rcp_f32_e32 v18, v17
	v_fma_f32 v19, -v17, v18, 1.0
	v_fmac_f32_e32 v18, v19, v18
	v_div_scale_f32 v19, vcc, 1.0, v16, 1.0
	v_mul_f32_e32 v20, v19, v18
	v_fma_f32 v21, -v17, v20, v19
	v_fmac_f32_e32 v20, v21, v18
	v_fma_f32 v17, -v17, v20, v19
	v_div_fmas_f32 v17, v17, v18, v20
	v_div_fixup_f32 v17, v17, v16, 1.0
	v_add_f32_e32 v16, v14, v14
	v_div_scale_f32 v18, s[2:3], v16, v16, 1.0
	v_fmac_f32_e32 v26, 0xbcc30c31, v17
	v_rcp_f32_e32 v19, v18
	v_fma_f32 v20, -v18, v19, 1.0
	v_fmac_f32_e32 v19, v20, v19
	v_div_scale_f32 v20, vcc, 1.0, v16, 1.0
	v_mul_f32_e32 v21, v20, v19
	v_fma_f32 v23, -v18, v21, v20
	v_fmac_f32_e32 v21, v23, v19
	v_fma_f32 v18, -v18, v21, v20
	v_div_fmas_f32 v18, v18, v19, v21
	v_div_fixup_f32 v16, v18, v16, 1.0
	v_add_f32_e32 v16, 1.0, v16
	v_fma_f32 v18, -v17, v26, s0
	v_fmac_f32_e32 v16, v17, v18
	v_div_scale_f32 v17, s[0:1], v14, v14, v16
	v_rcp_f32_e32 v18, v17
	v_fma_f32 v19, -v17, v18, 1.0
	v_fmac_f32_e32 v18, v19, v18
	v_div_scale_f32 v19, vcc, v16, v14, v16
	v_mul_f32_e32 v20, v19, v18
	v_fma_f32 v21, -v17, v20, v19
	v_fmac_f32_e32 v20, v21, v18
	v_fma_f32 v17, -v17, v20, v19
	v_div_fmas_f32 v17, v17, v18, v20
	v_div_fixup_f32 v14, v17, v14, v16
	v_add_f32_e32 v9, v9, v14
	v_fma_mixlo_f16 v9, v12, v9, 0
	global_store_short v0, v8, s[8:9]
	global_store_short v1, v10, s[8:9]
	;; [unrolled: 1-line block ×8, first 2 shown]
	s_endpgm
.LBB65_177:
	v_mov_b32_e32 v0, 0
	v_mov_b32_e32 v2, 0
	s_branch .LBB65_183
.LBB65_178:
	v_mov_b32_e32 v0, 0
	v_mov_b32_e32 v2, 0
	s_branch .LBB65_205
.LBB65_179:
	s_mov_b32 s57, 0
	v_mov_b32_e32 v0, 0
	v_mov_b32_e32 v2, 0
	;; [unrolled: 1-line block ×3, first 2 shown]
.LBB65_180:
	s_and_b32 s4, s58, 3
	s_cmp_eq_u32 s4, 0
	s_cbranch_scc1 .LBB65_183
; %bb.181:
	s_lshl_b32 s0, s57, 3
	s_add_u32 s0, s34, s0
	s_addc_u32 s1, s35, 0
	s_add_u32 s0, s0, 0xc4
	s_addc_u32 s1, s1, 0
	s_mul_i32 s2, s57, 12
	s_add_u32 s2, s34, s2
	s_addc_u32 s3, s35, 0
.LBB65_182:                             ; =>This Inner Loop Header: Depth=1
	s_load_dwordx2 s[6:7], s[2:3], 0x4
	s_load_dword s5, s[2:3], 0xc
	s_load_dwordx2 s[8:9], s[0:1], 0x0
	s_add_u32 s2, s2, 12
	s_addc_u32 s3, s3, 0
	s_waitcnt lgkmcnt(0)
	v_mul_hi_u32 v3, s7, v1
	s_add_u32 s0, s0, 8
	s_addc_u32 s1, s1, 0
	s_add_i32 s4, s4, -1
	v_add_u32_e32 v3, v1, v3
	v_lshrrev_b32_e32 v4, s5, v3
	v_mul_lo_u32 v3, v4, s6
	s_cmp_lg_u32 s4, 0
	v_sub_u32_e32 v3, v1, v3
	v_mad_u64_u32 v[0:1], s[6:7], v3, s8, v[0:1]
	v_mad_u64_u32 v[2:3], s[6:7], v3, s9, v[2:3]
	v_mov_b32_e32 v1, v4
	s_cbranch_scc1 .LBB65_182
.LBB65_183:
	s_cbranch_execnz .LBB65_186
.LBB65_184:
	s_waitcnt lgkmcnt(0)
	v_mul_hi_u32 v0, s25, v7
	s_andn2_b64 vcc, exec, s[42:43]
	v_add_u32_e32 v0, v7, v0
	v_lshrrev_b32_e32 v1, s26, v0
	v_mul_lo_u32 v0, v1, s24
	v_sub_u32_e32 v2, v7, v0
	v_mul_lo_u32 v0, v2, s20
	v_mul_lo_u32 v2, v2, s21
	s_cbranch_vccnz .LBB65_186
; %bb.185:
	v_mul_hi_u32 v3, s40, v1
	v_add_u32_e32 v3, v1, v3
	v_lshrrev_b32_e32 v3, s41, v3
	v_mul_lo_u32 v3, v3, s27
	v_sub_u32_e32 v3, v1, v3
	v_mad_u64_u32 v[0:1], s[0:1], v3, s22, v[0:1]
	v_mad_u64_u32 v[2:3], s[0:1], v3, s23, v[2:3]
.LBB65_186:
	s_waitcnt lgkmcnt(0)
	global_load_ushort v2, v2, s[18:19]
	v_mov_b32_e32 v3, 0
	s_waitcnt vmcnt(0)
	v_cvt_f32_f16_e32 v1, v2
	v_cmp_gt_f16_e32 vcc, 0.5, v2
	v_mov_b32_e32 v2, 1.0
	s_and_saveexec_b64 s[6:7], vcc
	s_cbranch_execz .LBB65_192
; %bb.187:
	v_mul_f32_e32 v2, 0x40490fdb, v1
	s_brev_b32 s0, 18
	v_and_b32_e32 v3, 0x7fffffff, v2
	v_cmp_nlt_f32_e64 s[0:1], |v2|, s0
                                        ; implicit-def: $vgpr4
                                        ; implicit-def: $vgpr5
	s_and_saveexec_b64 s[2:3], s[0:1]
	s_xor_b64 s[8:9], exec, s[2:3]
	s_cbranch_execz .LBB65_189
; %bb.188:
	v_and_b32_e32 v4, 0x7fffff, v3
	v_or_b32_e32 v14, 0x800000, v4
	s_mov_b32 s0, 0xfe5163ab
	v_mad_u64_u32 v[4:5], s[0:1], v14, s0, 0
	v_mov_b32_e32 v6, 0
	s_mov_b32 s0, 0x3c439041
	v_mad_u64_u32 v[8:9], s[0:1], v14, s0, v[5:6]
	s_mov_b32 s0, 0xdb629599
	v_not_b32_e32 v13, 63
	v_mov_b32_e32 v5, v9
	v_mad_u64_u32 v[9:10], s[0:1], v14, s0, v[5:6]
	s_mov_b32 s0, 0xf534ddc0
	v_not_b32_e32 v16, 31
	v_mov_b32_e32 v5, v10
	v_mad_u64_u32 v[10:11], s[0:1], v14, s0, v[5:6]
	v_lshrrev_b32_e32 v5, 23, v3
	v_add_u32_e32 v15, 0xffffff88, v5
	v_mov_b32_e32 v5, v11
	s_mov_b32 s0, 0xfc2757d1
	v_mad_u64_u32 v[11:12], s[0:1], v14, s0, v[5:6]
	v_cmp_lt_u32_e32 vcc, 63, v15
	v_cndmask_b32_e32 v5, 0, v13, vcc
	v_add_u32_e32 v15, v5, v15
	v_mov_b32_e32 v5, v12
	s_mov_b32 s0, 0x4e441529
	v_mad_u64_u32 v[12:13], s[0:1], v14, s0, v[5:6]
	v_cmp_lt_u32_e64 s[0:1], 31, v15
	v_cndmask_b32_e64 v5, 0, v16, s[0:1]
	v_add_u32_e32 v15, v5, v15
	v_mov_b32_e32 v5, v13
	s_mov_b32 s2, 0xa2f9836e
	v_mad_u64_u32 v[5:6], s[2:3], v14, s2, v[5:6]
	v_cmp_lt_u32_e64 s[2:3], 31, v15
	v_cndmask_b32_e64 v13, 0, v16, s[2:3]
	v_cndmask_b32_e32 v14, v12, v10, vcc
	v_cndmask_b32_e32 v5, v5, v11, vcc
	v_cndmask_b32_e32 v6, v6, v12, vcc
	v_add_u32_e32 v13, v13, v15
	v_cndmask_b32_e64 v15, v5, v14, s[0:1]
	v_cndmask_b32_e64 v5, v6, v5, s[0:1]
	v_cndmask_b32_e32 v6, v11, v9, vcc
	v_cndmask_b32_e64 v11, v14, v6, s[0:1]
	v_cndmask_b32_e64 v5, v5, v15, s[2:3]
	v_cndmask_b32_e64 v12, v15, v11, s[2:3]
	v_sub_u32_e32 v14, 32, v13
	v_alignbit_b32 v15, v5, v12, v14
	v_cmp_eq_u32_e64 s[4:5], 0, v13
	v_cndmask_b32_e64 v13, v15, v5, s[4:5]
	v_cndmask_b32_e32 v5, v10, v8, vcc
	v_cndmask_b32_e64 v6, v6, v5, s[0:1]
	v_cndmask_b32_e64 v8, v11, v6, s[2:3]
	v_alignbit_b32 v10, v12, v8, v14
	v_cndmask_b32_e32 v4, v9, v4, vcc
	v_cndmask_b32_e64 v10, v10, v12, s[4:5]
	v_bfe_u32 v15, v13, 29, 1
	v_cndmask_b32_e64 v4, v5, v4, s[0:1]
	v_alignbit_b32 v11, v13, v10, 30
	v_sub_u32_e32 v16, 0, v15
	v_cndmask_b32_e64 v4, v6, v4, s[2:3]
	v_xor_b32_e32 v11, v11, v16
	v_alignbit_b32 v5, v8, v4, v14
	v_cndmask_b32_e64 v5, v5, v8, s[4:5]
	v_ffbh_u32_e32 v8, v11
	v_alignbit_b32 v6, v10, v5, 30
	v_min_u32_e32 v8, 32, v8
	v_alignbit_b32 v4, v5, v4, 30
	v_xor_b32_e32 v6, v6, v16
	v_sub_u32_e32 v9, 31, v8
	v_xor_b32_e32 v4, v4, v16
	v_alignbit_b32 v10, v11, v6, v9
	v_alignbit_b32 v4, v6, v4, v9
	;; [unrolled: 1-line block ×3, first 2 shown]
	v_ffbh_u32_e32 v6, v5
	v_min_u32_e32 v6, 32, v6
	v_lshrrev_b32_e32 v12, 29, v13
	v_not_b32_e32 v9, v6
	v_alignbit_b32 v4, v5, v4, v9
	v_lshlrev_b32_e32 v5, 31, v12
	v_or_b32_e32 v9, 0x33000000, v5
	v_add_lshl_u32 v6, v6, v8, 23
	v_lshrrev_b32_e32 v4, 9, v4
	v_sub_u32_e32 v6, v9, v6
	v_or_b32_e32 v5, 0.5, v5
	v_lshlrev_b32_e32 v8, 23, v8
	v_or_b32_e32 v4, v6, v4
	v_lshrrev_b32_e32 v6, 9, v10
	v_sub_u32_e32 v5, v5, v8
	v_or_b32_e32 v5, v6, v5
	s_mov_b32 s0, 0x3fc90fda
	v_mul_f32_e32 v6, 0x3fc90fda, v5
	v_fma_f32 v8, v5, s0, -v6
	v_fmac_f32_e32 v8, 0x33a22168, v5
	v_fmac_f32_e32 v8, 0x3fc90fda, v4
	v_lshrrev_b32_e32 v4, 30, v13
	v_add_f32_e32 v5, v6, v8
	v_add_u32_e32 v4, v15, v4
.LBB65_189:
	s_andn2_saveexec_b64 s[0:1], s[8:9]
	s_cbranch_execz .LBB65_191
; %bb.190:
	s_mov_b32 s2, 0x3f22f983
	v_mul_f32_e64 v4, |v2|, s2
	v_rndne_f32_e32 v6, v4
	s_mov_b32 s2, 0xbfc90fda
	v_cvt_i32_f32_e32 v4, v6
	v_fma_f32 v5, v6, s2, |v2|
	v_fmac_f32_e32 v5, 0xb3a22168, v6
	v_fmac_f32_e32 v5, 0xa7c234c4, v6
.LBB65_191:
	s_or_b64 exec, exec, s[0:1]
	v_mul_f32_e32 v6, v5, v5
	v_mov_b32_e32 v8, 0x3c0881c4
	v_fmac_f32_e32 v8, 0xb94c1982, v6
	v_mov_b32_e32 v9, 0xbe2aaa9d
	v_fmac_f32_e32 v9, v6, v8
	v_mul_f32_e32 v8, v6, v9
	v_fmac_f32_e32 v5, v5, v8
	v_mov_b32_e32 v8, 0xbab64f3b
	v_fmac_f32_e32 v8, 0x37d75334, v6
	v_mov_b32_e32 v9, 0x3d2aabf7
	;; [unrolled: 2-line block ×3, first 2 shown]
	v_fmac_f32_e32 v8, v6, v9
	v_fma_f32 v6, v6, v8, 1.0
	v_and_b32_e32 v8, 1, v4
	v_lshlrev_b32_e32 v4, 30, v4
	v_cmp_eq_u32_e32 vcc, 0, v8
	v_and_b32_e32 v4, 0x80000000, v4
	v_xor_b32_e32 v3, v3, v2
	v_cndmask_b32_e32 v5, v6, v5, vcc
	v_xor_b32_e32 v3, v3, v4
	s_movk_i32 s0, 0x1f8
	v_xor_b32_e32 v3, v3, v5
	v_mov_b32_e32 v4, 0x7fc00000
	v_cmp_class_f32_e64 vcc, v2, s0
	v_cndmask_b32_e32 v2, v4, v3, vcc
	v_mul_f32_e32 v2, v2, v2
	s_mov_b32 s2, 0xc11de9e7
	v_div_scale_f32 v3, s[0:1], v2, v2, s2
	v_div_scale_f32 v4, vcc, s2, v2, s2
	v_sub_f32_e32 v1, 1.0, v1
	v_rcp_f32_e32 v5, v3
	v_fma_f32 v6, -v3, v5, 1.0
	v_fmac_f32_e32 v5, v6, v5
	v_mul_f32_e32 v6, v4, v5
	v_fma_f32 v8, -v3, v6, v4
	v_fmac_f32_e32 v6, v8, v5
	v_fma_f32 v3, -v3, v6, v4
	v_div_fmas_f32 v3, v3, v5, v6
	v_div_fixup_f32 v2, v3, v2, s2
	v_add_f32_e32 v3, 0, v2
	v_mov_b32_e32 v2, -1.0
.LBB65_192:
	s_or_b64 exec, exec, s[6:7]
	v_mul_f32_e32 v4, v1, v1
	v_div_scale_f32 v6, s[0:1], v4, v4, 1.0
	v_add_f32_e32 v5, 1.0, v1
	v_mul_f32_e32 v1, v5, v5
	v_div_scale_f32 v9, s[0:1], v1, v1, 1.0
	v_div_scale_f32 v8, vcc, 1.0, v4, 1.0
	v_add_f32_e32 v10, 1.0, v5
	v_div_scale_f32 v11, s[0:1], 1.0, v1, 1.0
	v_mul_f32_e32 v5, v10, v10
	v_div_scale_f32 v12, s[2:3], v5, v5, 1.0
	v_div_scale_f32 v15, s[2:3], 1.0, v5, 1.0
	v_rcp_f32_e32 v13, v6
	v_add_f32_e32 v10, 1.0, v10
	v_add_u32_e32 v7, 0x80, v7
	v_rcp_f32_e32 v14, v9
	v_fma_f32 v16, -v6, v13, 1.0
	v_fmac_f32_e32 v13, v16, v13
	v_mul_f32_e32 v17, v8, v13
	v_fma_f32 v18, -v6, v17, v8
	v_fma_f32 v16, -v9, v14, 1.0
	v_fmac_f32_e32 v17, v18, v13
	v_fma_f32 v6, -v6, v17, v8
	v_fmac_f32_e32 v14, v16, v14
	v_div_fmas_f32 v6, v6, v13, v17
	v_mul_f32_e32 v13, v11, v14
	v_fma_f32 v8, -v9, v13, v11
	v_rcp_f32_e32 v16, v12
	v_fmac_f32_e32 v13, v8, v14
	v_mul_f32_e32 v8, v10, v10
	v_div_scale_f32 v17, s[4:5], v8, v8, 1.0
	v_fma_f32 v9, -v9, v13, v11
	v_fma_f32 v11, -v12, v16, 1.0
	v_fmac_f32_e32 v16, v11, v16
	s_mov_b64 vcc, s[0:1]
	v_mul_f32_e32 v11, v15, v16
	v_div_fmas_f32 v9, v9, v14, v13
	v_fma_f32 v13, -v12, v11, v15
	v_fmac_f32_e32 v11, v13, v16
	v_div_scale_f32 v13, s[0:1], 1.0, v8, 1.0
	v_add_f32_e32 v14, 1.0, v10
	v_mul_f32_e32 v10, v14, v14
	v_div_scale_f32 v18, s[4:5], v10, v10, 1.0
	v_fma_f32 v12, -v12, v11, v15
	s_mov_b64 vcc, s[2:3]
	v_div_fmas_f32 v11, v12, v16, v11
	v_div_scale_f32 v12, s[2:3], 1.0, v10, 1.0
	v_rcp_f32_e32 v15, v17
	v_add_f32_e32 v14, 1.0, v14
	v_mul_f32_e32 v19, v14, v14
	v_div_scale_f32 v20, s[4:5], v19, v19, 1.0
	v_fma_f32 v16, -v17, v15, 1.0
	v_fmac_f32_e32 v15, v16, v15
	v_mul_f32_e32 v16, v13, v15
	v_fma_f32 v21, -v17, v16, v13
	v_fmac_f32_e32 v16, v21, v15
	v_rcp_f32_e32 v21, v18
	v_fma_f32 v13, -v17, v16, v13
	s_mov_b64 vcc, s[0:1]
	v_div_fmas_f32 v13, v13, v15, v16
	v_fma_f32 v15, -v18, v21, 1.0
	v_fmac_f32_e32 v21, v15, v21
	v_mul_f32_e32 v15, v12, v21
	v_fma_f32 v16, -v18, v15, v12
	v_fmac_f32_e32 v15, v16, v21
	v_div_scale_f32 v16, s[0:1], 1.0, v19, 1.0
	v_add_f32_e32 v14, 1.0, v14
	v_mul_f32_e32 v22, v14, v14
	v_div_scale_f32 v23, s[4:5], v22, v22, 1.0
	v_rcp_f32_e32 v17, v20
	v_fma_f32 v12, -v18, v15, v12
	s_mov_b64 vcc, s[2:3]
	v_div_scale_f32 v18, s[2:3], 1.0, v22, 1.0
	v_div_fmas_f32 v12, v12, v21, v15
	v_add_f32_e32 v21, v14, v14
	v_div_scale_f32 v24, s[4:5], v21, v21, 1.0
	v_fma_f32 v15, -v20, v17, 1.0
	v_fmac_f32_e32 v17, v15, v17
	v_mul_f32_e32 v15, v16, v17
	v_fma_f32 v25, -v20, v15, v16
	v_fmac_f32_e32 v15, v25, v17
	v_div_scale_f32 v25, s[4:5], 1.0, v21, 1.0
	v_rcp_f32_e32 v26, v23
	v_fma_f32 v16, -v20, v15, v16
	s_mov_b64 vcc, s[0:1]
	v_div_fmas_f32 v15, v16, v17, v15
	v_fma_f32 v16, -v23, v26, 1.0
	v_fmac_f32_e32 v26, v16, v26
	v_mul_f32_e32 v16, v18, v26
	v_fma_f32 v17, -v23, v16, v18
	v_fmac_f32_e32 v16, v17, v26
	v_rcp_f32_e32 v17, v24
	v_fma_f32 v18, -v23, v16, v18
	s_mov_b64 vcc, s[2:3]
	v_div_fmas_f32 v16, v18, v26, v16
	v_fma_f32 v18, -v24, v17, 1.0
	v_fmac_f32_e32 v17, v18, v17
	v_mul_f32_e32 v18, v25, v17
	v_fma_f32 v20, -v24, v18, v25
	v_fmac_f32_e32 v18, v20, v17
	v_fma_f32 v20, -v24, v18, v25
	s_mov_b64 vcc, s[4:5]
	v_div_fmas_f32 v17, v20, v17, v18
	v_mov_b32_e32 v18, 0x3d088889
	s_mov_b32 s0, 0x3e2aaaab
	v_div_fixup_f32 v4, v6, v4, 1.0
	v_add_f32_e32 v3, v3, v4
	v_div_fixup_f32 v1, v9, v1, 1.0
	v_add_f32_e32 v1, v3, v1
	v_div_fixup_f32 v3, v11, v5, 1.0
	v_div_fixup_f32 v16, v16, v22, 1.0
	v_fmac_f32_e32 v18, 0xbcc30c31, v16
	v_fma_f32 v18, -v16, v18, s0
	v_add_f32_e32 v1, v1, v3
	v_div_fixup_f32 v3, v13, v8, 1.0
	v_add_f32_e32 v1, v1, v3
	v_div_fixup_f32 v3, v12, v10, 1.0
	;; [unrolled: 2-line block ×3, first 2 shown]
	v_add_f32_e32 v17, 1.0, v17
	v_fmac_f32_e32 v17, v16, v18
	v_div_scale_f32 v16, s[0:1], v14, v14, v17
	v_div_scale_f32 v18, vcc, v17, v14, v17
	v_div_fixup_f32 v3, v15, v19, 1.0
	v_add_f32_e32 v1, v1, v3
	v_rcp_f32_e32 v20, v16
	v_fma_f32 v21, -v16, v20, 1.0
	v_fmac_f32_e32 v20, v21, v20
	v_mul_f32_e32 v21, v18, v20
	v_fma_f32 v22, -v16, v21, v18
	v_fmac_f32_e32 v21, v22, v20
	v_fma_f32 v16, -v16, v21, v18
	v_div_fmas_f32 v16, v16, v20, v21
	v_div_fixup_f32 v3, v16, v14, v17
	v_add_f32_e32 v1, v1, v3
	v_fma_mixlo_f16 v1, v2, v1, 0
	global_store_short v0, v1, s[16:17]
	s_or_b64 exec, exec, s[48:49]
	v_cmp_gt_i32_e32 vcc, s55, v7
	s_and_saveexec_b64 s[48:49], vcc
	s_cbranch_execnz .LBB65_15
.LBB65_193:
	s_or_b64 exec, exec, s[48:49]
	v_cmp_gt_i32_e32 vcc, s55, v7
	s_and_saveexec_b64 s[48:49], vcc
	s_cbranch_execz .LBB65_215
.LBB65_194:
	s_andn2_b64 vcc, exec, s[36:37]
	s_cbranch_vccnz .LBB65_199
; %bb.195:
	s_andn2_b64 vcc, exec, s[46:47]
	s_cbranch_vccnz .LBB65_200
; %bb.196:
	s_add_i32 s58, s56, 1
	s_cmp_eq_u32 s54, 2
	s_cbranch_scc1 .LBB65_223
; %bb.197:
	s_and_b32 s57, s58, 28
	v_mov_b32_e32 v2, 0
	s_mov_b32 s59, 0
	s_mov_b64 s[50:51], s[34:35]
	s_mov_b64 s[52:53], s[44:45]
	v_mov_b32_e32 v0, 0
	v_mov_b32_e32 v1, v7
.LBB65_198:                             ; =>This Inner Loop Header: Depth=1
	s_load_dwordx8 s[8:15], s[50:51], 0x4
	s_load_dwordx4 s[28:31], s[50:51], 0x24
	s_load_dwordx8 s[0:7], s[52:53], 0x0
	s_add_u32 s50, s50, 48
	s_addc_u32 s51, s51, 0
	s_waitcnt lgkmcnt(0)
	v_mul_hi_u32 v3, s9, v1
	s_add_i32 s59, s59, 4
	s_add_u32 s52, s52, 32
	s_addc_u32 s53, s53, 0
	v_add_u32_e32 v3, v1, v3
	v_lshrrev_b32_e32 v3, s10, v3
	v_mul_lo_u32 v4, v3, s8
	v_mul_hi_u32 v5, s12, v3
	s_cmp_eq_u32 s57, s59
	v_sub_u32_e32 v1, v1, v4
	v_add_u32_e32 v4, v3, v5
	v_mul_lo_u32 v5, v1, s0
	v_mul_lo_u32 v6, v1, s1
	v_lshrrev_b32_e32 v1, s13, v4
	v_mul_lo_u32 v4, v1, s11
	v_mul_hi_u32 v8, s15, v1
	v_sub_u32_e32 v3, v3, v4
	v_add_u32_e32 v4, v1, v8
	v_lshrrev_b32_e32 v4, s28, v4
	v_mul_hi_u32 v9, s30, v4
	v_mul_lo_u32 v10, v4, s14
	v_mul_lo_u32 v8, v3, s2
	;; [unrolled: 1-line block ×3, first 2 shown]
	v_sub_u32_e32 v10, v1, v10
	v_add_u32_e32 v1, v4, v9
	v_lshrrev_b32_e32 v1, s31, v1
	v_mul_lo_u32 v9, v1, s29
	v_mul_lo_u32 v11, v10, s4
	;; [unrolled: 1-line block ×3, first 2 shown]
	v_add3_u32 v0, v5, v0, v8
	v_sub_u32_e32 v4, v4, v9
	v_mul_lo_u32 v9, v4, s6
	v_mul_lo_u32 v4, v4, s7
	v_add3_u32 v2, v6, v2, v3
	v_add3_u32 v0, v11, v0, v9
	v_add3_u32 v2, v10, v2, v4
	s_cbranch_scc0 .LBB65_198
	s_branch .LBB65_224
.LBB65_199:
                                        ; implicit-def: $vgpr0
                                        ; implicit-def: $vgpr2
	s_branch .LBB65_228
.LBB65_200:
	v_mov_b32_e32 v0, 0
	v_mov_b32_e32 v2, 0
	s_branch .LBB65_227
.LBB65_201:
	s_mov_b32 s57, 0
	v_mov_b32_e32 v0, 0
	v_mov_b32_e32 v2, 0
	;; [unrolled: 1-line block ×3, first 2 shown]
.LBB65_202:
	s_and_b32 s4, s58, 3
	s_cmp_eq_u32 s4, 0
	s_cbranch_scc1 .LBB65_205
; %bb.203:
	s_lshl_b32 s0, s57, 3
	s_add_u32 s0, s34, s0
	s_addc_u32 s1, s35, 0
	s_add_u32 s0, s0, 0xc4
	s_addc_u32 s1, s1, 0
	s_mul_i32 s2, s57, 12
	s_add_u32 s2, s34, s2
	s_addc_u32 s3, s35, 0
.LBB65_204:                             ; =>This Inner Loop Header: Depth=1
	s_load_dwordx2 s[6:7], s[2:3], 0x4
	s_load_dword s5, s[2:3], 0xc
	s_load_dwordx2 s[8:9], s[0:1], 0x0
	s_add_u32 s2, s2, 12
	s_addc_u32 s3, s3, 0
	s_waitcnt lgkmcnt(0)
	v_mul_hi_u32 v3, s7, v1
	s_add_u32 s0, s0, 8
	s_addc_u32 s1, s1, 0
	s_add_i32 s4, s4, -1
	v_add_u32_e32 v3, v1, v3
	v_lshrrev_b32_e32 v4, s5, v3
	v_mul_lo_u32 v3, v4, s6
	s_cmp_lg_u32 s4, 0
	v_sub_u32_e32 v3, v1, v3
	v_mad_u64_u32 v[0:1], s[6:7], v3, s8, v[0:1]
	v_mad_u64_u32 v[2:3], s[6:7], v3, s9, v[2:3]
	v_mov_b32_e32 v1, v4
	s_cbranch_scc1 .LBB65_204
.LBB65_205:
	s_cbranch_execnz .LBB65_208
.LBB65_206:
	s_waitcnt lgkmcnt(0)
	v_mul_hi_u32 v0, s25, v7
	s_andn2_b64 vcc, exec, s[42:43]
	v_add_u32_e32 v0, v7, v0
	v_lshrrev_b32_e32 v1, s26, v0
	v_mul_lo_u32 v0, v1, s24
	v_sub_u32_e32 v2, v7, v0
	v_mul_lo_u32 v0, v2, s20
	v_mul_lo_u32 v2, v2, s21
	s_cbranch_vccnz .LBB65_208
; %bb.207:
	v_mul_hi_u32 v3, s40, v1
	v_add_u32_e32 v3, v1, v3
	v_lshrrev_b32_e32 v3, s41, v3
	v_mul_lo_u32 v3, v3, s27
	v_sub_u32_e32 v3, v1, v3
	v_mad_u64_u32 v[0:1], s[0:1], v3, s22, v[0:1]
	v_mad_u64_u32 v[2:3], s[0:1], v3, s23, v[2:3]
.LBB65_208:
	s_waitcnt lgkmcnt(0)
	global_load_ushort v2, v2, s[18:19]
	v_mov_b32_e32 v3, 0
	s_waitcnt vmcnt(0)
	v_cvt_f32_f16_e32 v1, v2
	v_cmp_gt_f16_e32 vcc, 0.5, v2
	v_mov_b32_e32 v2, 1.0
	s_and_saveexec_b64 s[6:7], vcc
	s_cbranch_execz .LBB65_214
; %bb.209:
	v_mul_f32_e32 v2, 0x40490fdb, v1
	s_brev_b32 s0, 18
	v_and_b32_e32 v3, 0x7fffffff, v2
	v_cmp_nlt_f32_e64 s[0:1], |v2|, s0
                                        ; implicit-def: $vgpr4
                                        ; implicit-def: $vgpr5
	s_and_saveexec_b64 s[2:3], s[0:1]
	s_xor_b64 s[8:9], exec, s[2:3]
	s_cbranch_execz .LBB65_211
; %bb.210:
	v_and_b32_e32 v4, 0x7fffff, v3
	v_or_b32_e32 v14, 0x800000, v4
	s_mov_b32 s0, 0xfe5163ab
	v_mad_u64_u32 v[4:5], s[0:1], v14, s0, 0
	v_mov_b32_e32 v6, 0
	s_mov_b32 s0, 0x3c439041
	v_mad_u64_u32 v[8:9], s[0:1], v14, s0, v[5:6]
	s_mov_b32 s0, 0xdb629599
	v_not_b32_e32 v13, 63
	v_mov_b32_e32 v5, v9
	v_mad_u64_u32 v[9:10], s[0:1], v14, s0, v[5:6]
	s_mov_b32 s0, 0xf534ddc0
	v_not_b32_e32 v16, 31
	v_mov_b32_e32 v5, v10
	v_mad_u64_u32 v[10:11], s[0:1], v14, s0, v[5:6]
	v_lshrrev_b32_e32 v5, 23, v3
	v_add_u32_e32 v15, 0xffffff88, v5
	v_mov_b32_e32 v5, v11
	s_mov_b32 s0, 0xfc2757d1
	v_mad_u64_u32 v[11:12], s[0:1], v14, s0, v[5:6]
	v_cmp_lt_u32_e32 vcc, 63, v15
	v_cndmask_b32_e32 v5, 0, v13, vcc
	v_add_u32_e32 v15, v5, v15
	v_mov_b32_e32 v5, v12
	s_mov_b32 s0, 0x4e441529
	v_mad_u64_u32 v[12:13], s[0:1], v14, s0, v[5:6]
	v_cmp_lt_u32_e64 s[0:1], 31, v15
	v_cndmask_b32_e64 v5, 0, v16, s[0:1]
	v_add_u32_e32 v15, v5, v15
	v_mov_b32_e32 v5, v13
	s_mov_b32 s2, 0xa2f9836e
	v_mad_u64_u32 v[5:6], s[2:3], v14, s2, v[5:6]
	v_cmp_lt_u32_e64 s[2:3], 31, v15
	v_cndmask_b32_e64 v13, 0, v16, s[2:3]
	v_cndmask_b32_e32 v14, v12, v10, vcc
	v_cndmask_b32_e32 v5, v5, v11, vcc
	v_cndmask_b32_e32 v6, v6, v12, vcc
	v_add_u32_e32 v13, v13, v15
	v_cndmask_b32_e64 v15, v5, v14, s[0:1]
	v_cndmask_b32_e64 v5, v6, v5, s[0:1]
	v_cndmask_b32_e32 v6, v11, v9, vcc
	v_cndmask_b32_e64 v11, v14, v6, s[0:1]
	v_cndmask_b32_e64 v5, v5, v15, s[2:3]
	;; [unrolled: 1-line block ×3, first 2 shown]
	v_sub_u32_e32 v14, 32, v13
	v_alignbit_b32 v15, v5, v12, v14
	v_cmp_eq_u32_e64 s[4:5], 0, v13
	v_cndmask_b32_e64 v13, v15, v5, s[4:5]
	v_cndmask_b32_e32 v5, v10, v8, vcc
	v_cndmask_b32_e64 v6, v6, v5, s[0:1]
	v_cndmask_b32_e64 v8, v11, v6, s[2:3]
	v_alignbit_b32 v10, v12, v8, v14
	v_cndmask_b32_e32 v4, v9, v4, vcc
	v_cndmask_b32_e64 v10, v10, v12, s[4:5]
	v_bfe_u32 v15, v13, 29, 1
	v_cndmask_b32_e64 v4, v5, v4, s[0:1]
	v_alignbit_b32 v11, v13, v10, 30
	v_sub_u32_e32 v16, 0, v15
	v_cndmask_b32_e64 v4, v6, v4, s[2:3]
	v_xor_b32_e32 v11, v11, v16
	v_alignbit_b32 v5, v8, v4, v14
	v_cndmask_b32_e64 v5, v5, v8, s[4:5]
	v_ffbh_u32_e32 v8, v11
	v_alignbit_b32 v6, v10, v5, 30
	v_min_u32_e32 v8, 32, v8
	v_alignbit_b32 v4, v5, v4, 30
	v_xor_b32_e32 v6, v6, v16
	v_sub_u32_e32 v9, 31, v8
	v_xor_b32_e32 v4, v4, v16
	v_alignbit_b32 v10, v11, v6, v9
	v_alignbit_b32 v4, v6, v4, v9
	;; [unrolled: 1-line block ×3, first 2 shown]
	v_ffbh_u32_e32 v6, v5
	v_min_u32_e32 v6, 32, v6
	v_lshrrev_b32_e32 v12, 29, v13
	v_not_b32_e32 v9, v6
	v_alignbit_b32 v4, v5, v4, v9
	v_lshlrev_b32_e32 v5, 31, v12
	v_or_b32_e32 v9, 0x33000000, v5
	v_add_lshl_u32 v6, v6, v8, 23
	v_lshrrev_b32_e32 v4, 9, v4
	v_sub_u32_e32 v6, v9, v6
	v_or_b32_e32 v5, 0.5, v5
	v_lshlrev_b32_e32 v8, 23, v8
	v_or_b32_e32 v4, v6, v4
	v_lshrrev_b32_e32 v6, 9, v10
	v_sub_u32_e32 v5, v5, v8
	v_or_b32_e32 v5, v6, v5
	s_mov_b32 s0, 0x3fc90fda
	v_mul_f32_e32 v6, 0x3fc90fda, v5
	v_fma_f32 v8, v5, s0, -v6
	v_fmac_f32_e32 v8, 0x33a22168, v5
	v_fmac_f32_e32 v8, 0x3fc90fda, v4
	v_lshrrev_b32_e32 v4, 30, v13
	v_add_f32_e32 v5, v6, v8
	v_add_u32_e32 v4, v15, v4
.LBB65_211:
	s_andn2_saveexec_b64 s[0:1], s[8:9]
	s_cbranch_execz .LBB65_213
; %bb.212:
	s_mov_b32 s2, 0x3f22f983
	v_mul_f32_e64 v4, |v2|, s2
	v_rndne_f32_e32 v6, v4
	s_mov_b32 s2, 0xbfc90fda
	v_cvt_i32_f32_e32 v4, v6
	v_fma_f32 v5, v6, s2, |v2|
	v_fmac_f32_e32 v5, 0xb3a22168, v6
	v_fmac_f32_e32 v5, 0xa7c234c4, v6
.LBB65_213:
	s_or_b64 exec, exec, s[0:1]
	v_mul_f32_e32 v6, v5, v5
	v_mov_b32_e32 v8, 0x3c0881c4
	v_fmac_f32_e32 v8, 0xb94c1982, v6
	v_mov_b32_e32 v9, 0xbe2aaa9d
	v_fmac_f32_e32 v9, v6, v8
	v_mul_f32_e32 v8, v6, v9
	v_fmac_f32_e32 v5, v5, v8
	v_mov_b32_e32 v8, 0xbab64f3b
	v_fmac_f32_e32 v8, 0x37d75334, v6
	v_mov_b32_e32 v9, 0x3d2aabf7
	;; [unrolled: 2-line block ×3, first 2 shown]
	v_fmac_f32_e32 v8, v6, v9
	v_fma_f32 v6, v6, v8, 1.0
	v_and_b32_e32 v8, 1, v4
	v_lshlrev_b32_e32 v4, 30, v4
	v_cmp_eq_u32_e32 vcc, 0, v8
	v_and_b32_e32 v4, 0x80000000, v4
	v_xor_b32_e32 v3, v3, v2
	v_cndmask_b32_e32 v5, v6, v5, vcc
	v_xor_b32_e32 v3, v3, v4
	s_movk_i32 s0, 0x1f8
	v_xor_b32_e32 v3, v3, v5
	v_mov_b32_e32 v4, 0x7fc00000
	v_cmp_class_f32_e64 vcc, v2, s0
	v_cndmask_b32_e32 v2, v4, v3, vcc
	v_mul_f32_e32 v2, v2, v2
	s_mov_b32 s2, 0xc11de9e7
	v_div_scale_f32 v3, s[0:1], v2, v2, s2
	v_div_scale_f32 v4, vcc, s2, v2, s2
	v_sub_f32_e32 v1, 1.0, v1
	v_rcp_f32_e32 v5, v3
	v_fma_f32 v6, -v3, v5, 1.0
	v_fmac_f32_e32 v5, v6, v5
	v_mul_f32_e32 v6, v4, v5
	v_fma_f32 v8, -v3, v6, v4
	v_fmac_f32_e32 v6, v8, v5
	v_fma_f32 v3, -v3, v6, v4
	v_div_fmas_f32 v3, v3, v5, v6
	v_div_fixup_f32 v2, v3, v2, s2
	v_add_f32_e32 v3, 0, v2
	v_mov_b32_e32 v2, -1.0
.LBB65_214:
	s_or_b64 exec, exec, s[6:7]
	v_mul_f32_e32 v4, v1, v1
	v_div_scale_f32 v6, s[0:1], v4, v4, 1.0
	v_add_f32_e32 v5, 1.0, v1
	v_mul_f32_e32 v1, v5, v5
	v_div_scale_f32 v9, s[0:1], v1, v1, 1.0
	v_div_scale_f32 v8, vcc, 1.0, v4, 1.0
	v_add_f32_e32 v10, 1.0, v5
	v_div_scale_f32 v11, s[0:1], 1.0, v1, 1.0
	v_mul_f32_e32 v5, v10, v10
	v_div_scale_f32 v12, s[2:3], v5, v5, 1.0
	v_div_scale_f32 v15, s[2:3], 1.0, v5, 1.0
	v_rcp_f32_e32 v13, v6
	v_add_f32_e32 v10, 1.0, v10
	v_add_u32_e32 v7, 0x80, v7
	v_rcp_f32_e32 v14, v9
	v_fma_f32 v16, -v6, v13, 1.0
	v_fmac_f32_e32 v13, v16, v13
	v_mul_f32_e32 v17, v8, v13
	v_fma_f32 v18, -v6, v17, v8
	v_fma_f32 v16, -v9, v14, 1.0
	v_fmac_f32_e32 v17, v18, v13
	v_fma_f32 v6, -v6, v17, v8
	v_fmac_f32_e32 v14, v16, v14
	v_div_fmas_f32 v6, v6, v13, v17
	v_mul_f32_e32 v13, v11, v14
	v_fma_f32 v8, -v9, v13, v11
	v_rcp_f32_e32 v16, v12
	v_fmac_f32_e32 v13, v8, v14
	v_mul_f32_e32 v8, v10, v10
	v_div_scale_f32 v17, s[4:5], v8, v8, 1.0
	v_fma_f32 v9, -v9, v13, v11
	v_fma_f32 v11, -v12, v16, 1.0
	v_fmac_f32_e32 v16, v11, v16
	s_mov_b64 vcc, s[0:1]
	v_mul_f32_e32 v11, v15, v16
	v_div_fmas_f32 v9, v9, v14, v13
	v_fma_f32 v13, -v12, v11, v15
	v_fmac_f32_e32 v11, v13, v16
	v_div_scale_f32 v13, s[0:1], 1.0, v8, 1.0
	v_add_f32_e32 v14, 1.0, v10
	v_mul_f32_e32 v10, v14, v14
	v_div_scale_f32 v18, s[4:5], v10, v10, 1.0
	v_fma_f32 v12, -v12, v11, v15
	s_mov_b64 vcc, s[2:3]
	v_div_fmas_f32 v11, v12, v16, v11
	v_div_scale_f32 v12, s[2:3], 1.0, v10, 1.0
	v_rcp_f32_e32 v15, v17
	v_add_f32_e32 v14, 1.0, v14
	v_mul_f32_e32 v19, v14, v14
	v_div_scale_f32 v20, s[4:5], v19, v19, 1.0
	v_fma_f32 v16, -v17, v15, 1.0
	v_fmac_f32_e32 v15, v16, v15
	v_mul_f32_e32 v16, v13, v15
	v_fma_f32 v21, -v17, v16, v13
	v_fmac_f32_e32 v16, v21, v15
	v_rcp_f32_e32 v21, v18
	v_fma_f32 v13, -v17, v16, v13
	s_mov_b64 vcc, s[0:1]
	v_div_fmas_f32 v13, v13, v15, v16
	v_fma_f32 v15, -v18, v21, 1.0
	v_fmac_f32_e32 v21, v15, v21
	v_mul_f32_e32 v15, v12, v21
	v_fma_f32 v16, -v18, v15, v12
	v_fmac_f32_e32 v15, v16, v21
	v_div_scale_f32 v16, s[0:1], 1.0, v19, 1.0
	v_add_f32_e32 v14, 1.0, v14
	v_mul_f32_e32 v22, v14, v14
	v_div_scale_f32 v23, s[4:5], v22, v22, 1.0
	v_rcp_f32_e32 v17, v20
	v_fma_f32 v12, -v18, v15, v12
	s_mov_b64 vcc, s[2:3]
	v_div_scale_f32 v18, s[2:3], 1.0, v22, 1.0
	v_div_fmas_f32 v12, v12, v21, v15
	v_add_f32_e32 v21, v14, v14
	v_div_scale_f32 v24, s[4:5], v21, v21, 1.0
	v_fma_f32 v15, -v20, v17, 1.0
	v_fmac_f32_e32 v17, v15, v17
	v_mul_f32_e32 v15, v16, v17
	v_fma_f32 v25, -v20, v15, v16
	v_fmac_f32_e32 v15, v25, v17
	v_div_scale_f32 v25, s[4:5], 1.0, v21, 1.0
	v_rcp_f32_e32 v26, v23
	v_fma_f32 v16, -v20, v15, v16
	s_mov_b64 vcc, s[0:1]
	v_div_fmas_f32 v15, v16, v17, v15
	v_fma_f32 v16, -v23, v26, 1.0
	v_fmac_f32_e32 v26, v16, v26
	v_mul_f32_e32 v16, v18, v26
	v_fma_f32 v17, -v23, v16, v18
	v_fmac_f32_e32 v16, v17, v26
	v_rcp_f32_e32 v17, v24
	v_fma_f32 v18, -v23, v16, v18
	s_mov_b64 vcc, s[2:3]
	v_div_fmas_f32 v16, v18, v26, v16
	v_fma_f32 v18, -v24, v17, 1.0
	v_fmac_f32_e32 v17, v18, v17
	v_mul_f32_e32 v18, v25, v17
	v_fma_f32 v20, -v24, v18, v25
	v_fmac_f32_e32 v18, v20, v17
	v_fma_f32 v20, -v24, v18, v25
	s_mov_b64 vcc, s[4:5]
	v_div_fmas_f32 v17, v20, v17, v18
	v_mov_b32_e32 v18, 0x3d088889
	s_mov_b32 s0, 0x3e2aaaab
	v_div_fixup_f32 v4, v6, v4, 1.0
	v_add_f32_e32 v3, v3, v4
	v_div_fixup_f32 v1, v9, v1, 1.0
	v_add_f32_e32 v1, v3, v1
	v_div_fixup_f32 v3, v11, v5, 1.0
	v_div_fixup_f32 v16, v16, v22, 1.0
	v_fmac_f32_e32 v18, 0xbcc30c31, v16
	v_fma_f32 v18, -v16, v18, s0
	v_add_f32_e32 v1, v1, v3
	v_div_fixup_f32 v3, v13, v8, 1.0
	v_add_f32_e32 v1, v1, v3
	v_div_fixup_f32 v3, v12, v10, 1.0
	;; [unrolled: 2-line block ×3, first 2 shown]
	v_add_f32_e32 v17, 1.0, v17
	v_fmac_f32_e32 v17, v16, v18
	v_div_scale_f32 v16, s[0:1], v14, v14, v17
	v_div_scale_f32 v18, vcc, v17, v14, v17
	v_div_fixup_f32 v3, v15, v19, 1.0
	v_add_f32_e32 v1, v1, v3
	v_rcp_f32_e32 v20, v16
	v_fma_f32 v21, -v16, v20, 1.0
	v_fmac_f32_e32 v20, v21, v20
	v_mul_f32_e32 v21, v18, v20
	v_fma_f32 v22, -v16, v21, v18
	v_fmac_f32_e32 v21, v22, v20
	v_fma_f32 v16, -v16, v21, v18
	v_div_fmas_f32 v16, v16, v20, v21
	v_div_fixup_f32 v3, v16, v14, v17
	v_add_f32_e32 v1, v1, v3
	v_fma_mixlo_f16 v1, v2, v1, 0
	global_store_short v0, v1, s[16:17]
	s_or_b64 exec, exec, s[48:49]
	v_cmp_gt_i32_e32 vcc, s55, v7
	s_and_saveexec_b64 s[48:49], vcc
	s_cbranch_execnz .LBB65_194
.LBB65_215:
	s_or_b64 exec, exec, s[48:49]
	v_cmp_gt_i32_e32 vcc, s55, v7
	s_and_saveexec_b64 s[48:49], vcc
	s_cbranch_execz .LBB65_237
.LBB65_216:
	s_andn2_b64 vcc, exec, s[36:37]
	s_cbranch_vccnz .LBB65_221
; %bb.217:
	s_andn2_b64 vcc, exec, s[46:47]
	s_cbranch_vccnz .LBB65_222
; %bb.218:
	s_add_i32 s58, s56, 1
	s_cmp_eq_u32 s54, 2
	s_cbranch_scc1 .LBB65_245
; %bb.219:
	s_and_b32 s57, s58, 28
	v_mov_b32_e32 v2, 0
	s_mov_b32 s59, 0
	s_mov_b64 s[50:51], s[34:35]
	s_mov_b64 s[52:53], s[44:45]
	v_mov_b32_e32 v0, 0
	v_mov_b32_e32 v1, v7
.LBB65_220:                             ; =>This Inner Loop Header: Depth=1
	s_load_dwordx8 s[8:15], s[50:51], 0x4
	s_load_dwordx4 s[28:31], s[50:51], 0x24
	s_load_dwordx8 s[0:7], s[52:53], 0x0
	s_add_u32 s50, s50, 48
	s_addc_u32 s51, s51, 0
	s_waitcnt lgkmcnt(0)
	v_mul_hi_u32 v3, s9, v1
	s_add_i32 s59, s59, 4
	s_add_u32 s52, s52, 32
	s_addc_u32 s53, s53, 0
	v_add_u32_e32 v3, v1, v3
	v_lshrrev_b32_e32 v3, s10, v3
	v_mul_lo_u32 v4, v3, s8
	v_mul_hi_u32 v5, s12, v3
	s_cmp_eq_u32 s57, s59
	v_sub_u32_e32 v1, v1, v4
	v_add_u32_e32 v4, v3, v5
	v_mul_lo_u32 v5, v1, s0
	v_mul_lo_u32 v6, v1, s1
	v_lshrrev_b32_e32 v1, s13, v4
	v_mul_lo_u32 v4, v1, s11
	v_mul_hi_u32 v8, s15, v1
	v_sub_u32_e32 v3, v3, v4
	v_add_u32_e32 v4, v1, v8
	v_lshrrev_b32_e32 v4, s28, v4
	v_mul_hi_u32 v9, s30, v4
	v_mul_lo_u32 v10, v4, s14
	v_mul_lo_u32 v8, v3, s2
	;; [unrolled: 1-line block ×3, first 2 shown]
	v_sub_u32_e32 v10, v1, v10
	v_add_u32_e32 v1, v4, v9
	v_lshrrev_b32_e32 v1, s31, v1
	v_mul_lo_u32 v9, v1, s29
	v_mul_lo_u32 v11, v10, s4
	;; [unrolled: 1-line block ×3, first 2 shown]
	v_add3_u32 v0, v5, v0, v8
	v_sub_u32_e32 v4, v4, v9
	v_mul_lo_u32 v9, v4, s6
	v_mul_lo_u32 v4, v4, s7
	v_add3_u32 v2, v6, v2, v3
	v_add3_u32 v0, v11, v0, v9
	;; [unrolled: 1-line block ×3, first 2 shown]
	s_cbranch_scc0 .LBB65_220
	s_branch .LBB65_246
.LBB65_221:
                                        ; implicit-def: $vgpr0
                                        ; implicit-def: $vgpr2
	s_branch .LBB65_250
.LBB65_222:
	v_mov_b32_e32 v0, 0
	v_mov_b32_e32 v2, 0
	s_branch .LBB65_249
.LBB65_223:
	s_mov_b32 s57, 0
	v_mov_b32_e32 v0, 0
	v_mov_b32_e32 v2, 0
	;; [unrolled: 1-line block ×3, first 2 shown]
.LBB65_224:
	s_and_b32 s4, s58, 3
	s_cmp_eq_u32 s4, 0
	s_cbranch_scc1 .LBB65_227
; %bb.225:
	s_lshl_b32 s0, s57, 3
	s_add_u32 s0, s34, s0
	s_addc_u32 s1, s35, 0
	s_add_u32 s0, s0, 0xc4
	s_addc_u32 s1, s1, 0
	s_mul_i32 s2, s57, 12
	s_add_u32 s2, s34, s2
	s_addc_u32 s3, s35, 0
.LBB65_226:                             ; =>This Inner Loop Header: Depth=1
	s_load_dwordx2 s[6:7], s[2:3], 0x4
	s_load_dword s5, s[2:3], 0xc
	s_load_dwordx2 s[8:9], s[0:1], 0x0
	s_add_u32 s2, s2, 12
	s_addc_u32 s3, s3, 0
	s_waitcnt lgkmcnt(0)
	v_mul_hi_u32 v3, s7, v1
	s_add_u32 s0, s0, 8
	s_addc_u32 s1, s1, 0
	s_add_i32 s4, s4, -1
	v_add_u32_e32 v3, v1, v3
	v_lshrrev_b32_e32 v4, s5, v3
	v_mul_lo_u32 v3, v4, s6
	s_cmp_lg_u32 s4, 0
	v_sub_u32_e32 v3, v1, v3
	v_mad_u64_u32 v[0:1], s[6:7], v3, s8, v[0:1]
	v_mad_u64_u32 v[2:3], s[6:7], v3, s9, v[2:3]
	v_mov_b32_e32 v1, v4
	s_cbranch_scc1 .LBB65_226
.LBB65_227:
	s_cbranch_execnz .LBB65_230
.LBB65_228:
	s_waitcnt lgkmcnt(0)
	v_mul_hi_u32 v0, s25, v7
	s_andn2_b64 vcc, exec, s[42:43]
	v_add_u32_e32 v0, v7, v0
	v_lshrrev_b32_e32 v1, s26, v0
	v_mul_lo_u32 v0, v1, s24
	v_sub_u32_e32 v2, v7, v0
	v_mul_lo_u32 v0, v2, s20
	v_mul_lo_u32 v2, v2, s21
	s_cbranch_vccnz .LBB65_230
; %bb.229:
	v_mul_hi_u32 v3, s40, v1
	v_add_u32_e32 v3, v1, v3
	v_lshrrev_b32_e32 v3, s41, v3
	v_mul_lo_u32 v3, v3, s27
	v_sub_u32_e32 v3, v1, v3
	v_mad_u64_u32 v[0:1], s[0:1], v3, s22, v[0:1]
	v_mad_u64_u32 v[2:3], s[0:1], v3, s23, v[2:3]
.LBB65_230:
	s_waitcnt lgkmcnt(0)
	global_load_ushort v2, v2, s[18:19]
	v_mov_b32_e32 v3, 0
	s_waitcnt vmcnt(0)
	v_cvt_f32_f16_e32 v1, v2
	v_cmp_gt_f16_e32 vcc, 0.5, v2
	v_mov_b32_e32 v2, 1.0
	s_and_saveexec_b64 s[6:7], vcc
	s_cbranch_execz .LBB65_236
; %bb.231:
	v_mul_f32_e32 v2, 0x40490fdb, v1
	s_brev_b32 s0, 18
	v_and_b32_e32 v3, 0x7fffffff, v2
	v_cmp_nlt_f32_e64 s[0:1], |v2|, s0
                                        ; implicit-def: $vgpr4
                                        ; implicit-def: $vgpr5
	s_and_saveexec_b64 s[2:3], s[0:1]
	s_xor_b64 s[8:9], exec, s[2:3]
	s_cbranch_execz .LBB65_233
; %bb.232:
	v_and_b32_e32 v4, 0x7fffff, v3
	v_or_b32_e32 v14, 0x800000, v4
	s_mov_b32 s0, 0xfe5163ab
	v_mad_u64_u32 v[4:5], s[0:1], v14, s0, 0
	v_mov_b32_e32 v6, 0
	s_mov_b32 s0, 0x3c439041
	v_mad_u64_u32 v[8:9], s[0:1], v14, s0, v[5:6]
	s_mov_b32 s0, 0xdb629599
	v_not_b32_e32 v13, 63
	v_mov_b32_e32 v5, v9
	v_mad_u64_u32 v[9:10], s[0:1], v14, s0, v[5:6]
	s_mov_b32 s0, 0xf534ddc0
	v_not_b32_e32 v16, 31
	v_mov_b32_e32 v5, v10
	v_mad_u64_u32 v[10:11], s[0:1], v14, s0, v[5:6]
	v_lshrrev_b32_e32 v5, 23, v3
	v_add_u32_e32 v15, 0xffffff88, v5
	v_mov_b32_e32 v5, v11
	s_mov_b32 s0, 0xfc2757d1
	v_mad_u64_u32 v[11:12], s[0:1], v14, s0, v[5:6]
	v_cmp_lt_u32_e32 vcc, 63, v15
	v_cndmask_b32_e32 v5, 0, v13, vcc
	v_add_u32_e32 v15, v5, v15
	v_mov_b32_e32 v5, v12
	s_mov_b32 s0, 0x4e441529
	v_mad_u64_u32 v[12:13], s[0:1], v14, s0, v[5:6]
	v_cmp_lt_u32_e64 s[0:1], 31, v15
	v_cndmask_b32_e64 v5, 0, v16, s[0:1]
	v_add_u32_e32 v15, v5, v15
	v_mov_b32_e32 v5, v13
	s_mov_b32 s2, 0xa2f9836e
	v_mad_u64_u32 v[5:6], s[2:3], v14, s2, v[5:6]
	v_cmp_lt_u32_e64 s[2:3], 31, v15
	v_cndmask_b32_e64 v13, 0, v16, s[2:3]
	v_cndmask_b32_e32 v14, v12, v10, vcc
	v_cndmask_b32_e32 v5, v5, v11, vcc
	;; [unrolled: 1-line block ×3, first 2 shown]
	v_add_u32_e32 v13, v13, v15
	v_cndmask_b32_e64 v15, v5, v14, s[0:1]
	v_cndmask_b32_e64 v5, v6, v5, s[0:1]
	v_cndmask_b32_e32 v6, v11, v9, vcc
	v_cndmask_b32_e64 v11, v14, v6, s[0:1]
	v_cndmask_b32_e64 v5, v5, v15, s[2:3]
	;; [unrolled: 1-line block ×3, first 2 shown]
	v_sub_u32_e32 v14, 32, v13
	v_alignbit_b32 v15, v5, v12, v14
	v_cmp_eq_u32_e64 s[4:5], 0, v13
	v_cndmask_b32_e64 v13, v15, v5, s[4:5]
	v_cndmask_b32_e32 v5, v10, v8, vcc
	v_cndmask_b32_e64 v6, v6, v5, s[0:1]
	v_cndmask_b32_e64 v8, v11, v6, s[2:3]
	v_alignbit_b32 v10, v12, v8, v14
	v_cndmask_b32_e32 v4, v9, v4, vcc
	v_cndmask_b32_e64 v10, v10, v12, s[4:5]
	v_bfe_u32 v15, v13, 29, 1
	v_cndmask_b32_e64 v4, v5, v4, s[0:1]
	v_alignbit_b32 v11, v13, v10, 30
	v_sub_u32_e32 v16, 0, v15
	v_cndmask_b32_e64 v4, v6, v4, s[2:3]
	v_xor_b32_e32 v11, v11, v16
	v_alignbit_b32 v5, v8, v4, v14
	v_cndmask_b32_e64 v5, v5, v8, s[4:5]
	v_ffbh_u32_e32 v8, v11
	v_alignbit_b32 v6, v10, v5, 30
	v_min_u32_e32 v8, 32, v8
	v_alignbit_b32 v4, v5, v4, 30
	v_xor_b32_e32 v6, v6, v16
	v_sub_u32_e32 v9, 31, v8
	v_xor_b32_e32 v4, v4, v16
	v_alignbit_b32 v10, v11, v6, v9
	v_alignbit_b32 v4, v6, v4, v9
	;; [unrolled: 1-line block ×3, first 2 shown]
	v_ffbh_u32_e32 v6, v5
	v_min_u32_e32 v6, 32, v6
	v_lshrrev_b32_e32 v12, 29, v13
	v_not_b32_e32 v9, v6
	v_alignbit_b32 v4, v5, v4, v9
	v_lshlrev_b32_e32 v5, 31, v12
	v_or_b32_e32 v9, 0x33000000, v5
	v_add_lshl_u32 v6, v6, v8, 23
	v_lshrrev_b32_e32 v4, 9, v4
	v_sub_u32_e32 v6, v9, v6
	v_or_b32_e32 v5, 0.5, v5
	v_lshlrev_b32_e32 v8, 23, v8
	v_or_b32_e32 v4, v6, v4
	v_lshrrev_b32_e32 v6, 9, v10
	v_sub_u32_e32 v5, v5, v8
	v_or_b32_e32 v5, v6, v5
	s_mov_b32 s0, 0x3fc90fda
	v_mul_f32_e32 v6, 0x3fc90fda, v5
	v_fma_f32 v8, v5, s0, -v6
	v_fmac_f32_e32 v8, 0x33a22168, v5
	v_fmac_f32_e32 v8, 0x3fc90fda, v4
	v_lshrrev_b32_e32 v4, 30, v13
	v_add_f32_e32 v5, v6, v8
	v_add_u32_e32 v4, v15, v4
.LBB65_233:
	s_andn2_saveexec_b64 s[0:1], s[8:9]
	s_cbranch_execz .LBB65_235
; %bb.234:
	s_mov_b32 s2, 0x3f22f983
	v_mul_f32_e64 v4, |v2|, s2
	v_rndne_f32_e32 v6, v4
	s_mov_b32 s2, 0xbfc90fda
	v_cvt_i32_f32_e32 v4, v6
	v_fma_f32 v5, v6, s2, |v2|
	v_fmac_f32_e32 v5, 0xb3a22168, v6
	v_fmac_f32_e32 v5, 0xa7c234c4, v6
.LBB65_235:
	s_or_b64 exec, exec, s[0:1]
	v_mul_f32_e32 v6, v5, v5
	v_mov_b32_e32 v8, 0x3c0881c4
	v_fmac_f32_e32 v8, 0xb94c1982, v6
	v_mov_b32_e32 v9, 0xbe2aaa9d
	v_fmac_f32_e32 v9, v6, v8
	v_mul_f32_e32 v8, v6, v9
	v_fmac_f32_e32 v5, v5, v8
	v_mov_b32_e32 v8, 0xbab64f3b
	v_fmac_f32_e32 v8, 0x37d75334, v6
	v_mov_b32_e32 v9, 0x3d2aabf7
	;; [unrolled: 2-line block ×3, first 2 shown]
	v_fmac_f32_e32 v8, v6, v9
	v_fma_f32 v6, v6, v8, 1.0
	v_and_b32_e32 v8, 1, v4
	v_lshlrev_b32_e32 v4, 30, v4
	v_cmp_eq_u32_e32 vcc, 0, v8
	v_and_b32_e32 v4, 0x80000000, v4
	v_xor_b32_e32 v3, v3, v2
	v_cndmask_b32_e32 v5, v6, v5, vcc
	v_xor_b32_e32 v3, v3, v4
	s_movk_i32 s0, 0x1f8
	v_xor_b32_e32 v3, v3, v5
	v_mov_b32_e32 v4, 0x7fc00000
	v_cmp_class_f32_e64 vcc, v2, s0
	v_cndmask_b32_e32 v2, v4, v3, vcc
	v_mul_f32_e32 v2, v2, v2
	s_mov_b32 s2, 0xc11de9e7
	v_div_scale_f32 v3, s[0:1], v2, v2, s2
	v_div_scale_f32 v4, vcc, s2, v2, s2
	v_sub_f32_e32 v1, 1.0, v1
	v_rcp_f32_e32 v5, v3
	v_fma_f32 v6, -v3, v5, 1.0
	v_fmac_f32_e32 v5, v6, v5
	v_mul_f32_e32 v6, v4, v5
	v_fma_f32 v8, -v3, v6, v4
	v_fmac_f32_e32 v6, v8, v5
	v_fma_f32 v3, -v3, v6, v4
	v_div_fmas_f32 v3, v3, v5, v6
	v_div_fixup_f32 v2, v3, v2, s2
	v_add_f32_e32 v3, 0, v2
	v_mov_b32_e32 v2, -1.0
.LBB65_236:
	s_or_b64 exec, exec, s[6:7]
	v_mul_f32_e32 v4, v1, v1
	v_div_scale_f32 v6, s[0:1], v4, v4, 1.0
	v_add_f32_e32 v5, 1.0, v1
	v_mul_f32_e32 v1, v5, v5
	v_div_scale_f32 v9, s[0:1], v1, v1, 1.0
	v_div_scale_f32 v8, vcc, 1.0, v4, 1.0
	v_add_f32_e32 v10, 1.0, v5
	v_div_scale_f32 v11, s[0:1], 1.0, v1, 1.0
	v_mul_f32_e32 v5, v10, v10
	v_div_scale_f32 v12, s[2:3], v5, v5, 1.0
	v_div_scale_f32 v15, s[2:3], 1.0, v5, 1.0
	v_rcp_f32_e32 v13, v6
	v_add_f32_e32 v10, 1.0, v10
	v_add_u32_e32 v7, 0x80, v7
	v_rcp_f32_e32 v14, v9
	v_fma_f32 v16, -v6, v13, 1.0
	v_fmac_f32_e32 v13, v16, v13
	v_mul_f32_e32 v17, v8, v13
	v_fma_f32 v18, -v6, v17, v8
	v_fma_f32 v16, -v9, v14, 1.0
	v_fmac_f32_e32 v17, v18, v13
	v_fma_f32 v6, -v6, v17, v8
	v_fmac_f32_e32 v14, v16, v14
	v_div_fmas_f32 v6, v6, v13, v17
	v_mul_f32_e32 v13, v11, v14
	v_fma_f32 v8, -v9, v13, v11
	v_rcp_f32_e32 v16, v12
	v_fmac_f32_e32 v13, v8, v14
	v_mul_f32_e32 v8, v10, v10
	v_div_scale_f32 v17, s[4:5], v8, v8, 1.0
	v_fma_f32 v9, -v9, v13, v11
	v_fma_f32 v11, -v12, v16, 1.0
	v_fmac_f32_e32 v16, v11, v16
	s_mov_b64 vcc, s[0:1]
	v_mul_f32_e32 v11, v15, v16
	v_div_fmas_f32 v9, v9, v14, v13
	v_fma_f32 v13, -v12, v11, v15
	v_fmac_f32_e32 v11, v13, v16
	v_div_scale_f32 v13, s[0:1], 1.0, v8, 1.0
	v_add_f32_e32 v14, 1.0, v10
	v_mul_f32_e32 v10, v14, v14
	v_div_scale_f32 v18, s[4:5], v10, v10, 1.0
	v_fma_f32 v12, -v12, v11, v15
	s_mov_b64 vcc, s[2:3]
	v_div_fmas_f32 v11, v12, v16, v11
	v_div_scale_f32 v12, s[2:3], 1.0, v10, 1.0
	v_rcp_f32_e32 v15, v17
	v_add_f32_e32 v14, 1.0, v14
	v_mul_f32_e32 v19, v14, v14
	v_div_scale_f32 v20, s[4:5], v19, v19, 1.0
	v_fma_f32 v16, -v17, v15, 1.0
	v_fmac_f32_e32 v15, v16, v15
	v_mul_f32_e32 v16, v13, v15
	v_fma_f32 v21, -v17, v16, v13
	v_fmac_f32_e32 v16, v21, v15
	v_rcp_f32_e32 v21, v18
	v_fma_f32 v13, -v17, v16, v13
	s_mov_b64 vcc, s[0:1]
	v_div_fmas_f32 v13, v13, v15, v16
	v_fma_f32 v15, -v18, v21, 1.0
	v_fmac_f32_e32 v21, v15, v21
	v_mul_f32_e32 v15, v12, v21
	v_fma_f32 v16, -v18, v15, v12
	v_fmac_f32_e32 v15, v16, v21
	v_div_scale_f32 v16, s[0:1], 1.0, v19, 1.0
	v_add_f32_e32 v14, 1.0, v14
	v_mul_f32_e32 v22, v14, v14
	v_div_scale_f32 v23, s[4:5], v22, v22, 1.0
	v_rcp_f32_e32 v17, v20
	v_fma_f32 v12, -v18, v15, v12
	s_mov_b64 vcc, s[2:3]
	v_div_scale_f32 v18, s[2:3], 1.0, v22, 1.0
	v_div_fmas_f32 v12, v12, v21, v15
	v_add_f32_e32 v21, v14, v14
	v_div_scale_f32 v24, s[4:5], v21, v21, 1.0
	v_fma_f32 v15, -v20, v17, 1.0
	v_fmac_f32_e32 v17, v15, v17
	v_mul_f32_e32 v15, v16, v17
	v_fma_f32 v25, -v20, v15, v16
	v_fmac_f32_e32 v15, v25, v17
	v_div_scale_f32 v25, s[4:5], 1.0, v21, 1.0
	v_rcp_f32_e32 v26, v23
	v_fma_f32 v16, -v20, v15, v16
	s_mov_b64 vcc, s[0:1]
	v_div_fmas_f32 v15, v16, v17, v15
	v_fma_f32 v16, -v23, v26, 1.0
	v_fmac_f32_e32 v26, v16, v26
	v_mul_f32_e32 v16, v18, v26
	v_fma_f32 v17, -v23, v16, v18
	v_fmac_f32_e32 v16, v17, v26
	v_rcp_f32_e32 v17, v24
	v_fma_f32 v18, -v23, v16, v18
	s_mov_b64 vcc, s[2:3]
	v_div_fmas_f32 v16, v18, v26, v16
	v_fma_f32 v18, -v24, v17, 1.0
	v_fmac_f32_e32 v17, v18, v17
	v_mul_f32_e32 v18, v25, v17
	v_fma_f32 v20, -v24, v18, v25
	v_fmac_f32_e32 v18, v20, v17
	v_fma_f32 v20, -v24, v18, v25
	s_mov_b64 vcc, s[4:5]
	v_div_fmas_f32 v17, v20, v17, v18
	v_mov_b32_e32 v18, 0x3d088889
	s_mov_b32 s0, 0x3e2aaaab
	v_div_fixup_f32 v4, v6, v4, 1.0
	v_add_f32_e32 v3, v3, v4
	v_div_fixup_f32 v1, v9, v1, 1.0
	v_add_f32_e32 v1, v3, v1
	v_div_fixup_f32 v3, v11, v5, 1.0
	v_div_fixup_f32 v16, v16, v22, 1.0
	v_fmac_f32_e32 v18, 0xbcc30c31, v16
	v_fma_f32 v18, -v16, v18, s0
	v_add_f32_e32 v1, v1, v3
	v_div_fixup_f32 v3, v13, v8, 1.0
	v_add_f32_e32 v1, v1, v3
	v_div_fixup_f32 v3, v12, v10, 1.0
	;; [unrolled: 2-line block ×3, first 2 shown]
	v_add_f32_e32 v17, 1.0, v17
	v_fmac_f32_e32 v17, v16, v18
	v_div_scale_f32 v16, s[0:1], v14, v14, v17
	v_div_scale_f32 v18, vcc, v17, v14, v17
	v_div_fixup_f32 v3, v15, v19, 1.0
	v_add_f32_e32 v1, v1, v3
	v_rcp_f32_e32 v20, v16
	v_fma_f32 v21, -v16, v20, 1.0
	v_fmac_f32_e32 v20, v21, v20
	v_mul_f32_e32 v21, v18, v20
	v_fma_f32 v22, -v16, v21, v18
	v_fmac_f32_e32 v21, v22, v20
	v_fma_f32 v16, -v16, v21, v18
	v_div_fmas_f32 v16, v16, v20, v21
	v_div_fixup_f32 v3, v16, v14, v17
	v_add_f32_e32 v1, v1, v3
	v_fma_mixlo_f16 v1, v2, v1, 0
	global_store_short v0, v1, s[16:17]
	s_or_b64 exec, exec, s[48:49]
	v_cmp_gt_i32_e32 vcc, s55, v7
	s_and_saveexec_b64 s[48:49], vcc
	s_cbranch_execnz .LBB65_216
.LBB65_237:
	s_or_b64 exec, exec, s[48:49]
	v_cmp_gt_i32_e32 vcc, s55, v7
	s_and_saveexec_b64 s[48:49], vcc
	s_cbranch_execz .LBB65_259
.LBB65_238:
	s_andn2_b64 vcc, exec, s[36:37]
	s_cbranch_vccnz .LBB65_243
; %bb.239:
	s_andn2_b64 vcc, exec, s[46:47]
	s_cbranch_vccnz .LBB65_244
; %bb.240:
	s_add_i32 s58, s56, 1
	s_cmp_eq_u32 s54, 2
	s_cbranch_scc1 .LBB65_267
; %bb.241:
	s_and_b32 s57, s58, 28
	v_mov_b32_e32 v2, 0
	s_mov_b32 s59, 0
	s_mov_b64 s[50:51], s[34:35]
	s_mov_b64 s[52:53], s[44:45]
	v_mov_b32_e32 v0, 0
	v_mov_b32_e32 v1, v7
.LBB65_242:                             ; =>This Inner Loop Header: Depth=1
	s_load_dwordx8 s[8:15], s[50:51], 0x4
	s_load_dwordx4 s[28:31], s[50:51], 0x24
	s_load_dwordx8 s[0:7], s[52:53], 0x0
	s_add_u32 s50, s50, 48
	s_addc_u32 s51, s51, 0
	s_waitcnt lgkmcnt(0)
	v_mul_hi_u32 v3, s9, v1
	s_add_i32 s59, s59, 4
	s_add_u32 s52, s52, 32
	s_addc_u32 s53, s53, 0
	v_add_u32_e32 v3, v1, v3
	v_lshrrev_b32_e32 v3, s10, v3
	v_mul_lo_u32 v4, v3, s8
	v_mul_hi_u32 v5, s12, v3
	s_cmp_eq_u32 s57, s59
	v_sub_u32_e32 v1, v1, v4
	v_add_u32_e32 v4, v3, v5
	v_mul_lo_u32 v5, v1, s0
	v_mul_lo_u32 v6, v1, s1
	v_lshrrev_b32_e32 v1, s13, v4
	v_mul_lo_u32 v4, v1, s11
	v_mul_hi_u32 v8, s15, v1
	v_sub_u32_e32 v3, v3, v4
	v_add_u32_e32 v4, v1, v8
	v_lshrrev_b32_e32 v4, s28, v4
	v_mul_hi_u32 v9, s30, v4
	v_mul_lo_u32 v10, v4, s14
	v_mul_lo_u32 v8, v3, s2
	;; [unrolled: 1-line block ×3, first 2 shown]
	v_sub_u32_e32 v10, v1, v10
	v_add_u32_e32 v1, v4, v9
	v_lshrrev_b32_e32 v1, s31, v1
	v_mul_lo_u32 v9, v1, s29
	v_mul_lo_u32 v11, v10, s4
	;; [unrolled: 1-line block ×3, first 2 shown]
	v_add3_u32 v0, v5, v0, v8
	v_sub_u32_e32 v4, v4, v9
	v_mul_lo_u32 v9, v4, s6
	v_mul_lo_u32 v4, v4, s7
	v_add3_u32 v2, v6, v2, v3
	v_add3_u32 v0, v11, v0, v9
	;; [unrolled: 1-line block ×3, first 2 shown]
	s_cbranch_scc0 .LBB65_242
	s_branch .LBB65_268
.LBB65_243:
                                        ; implicit-def: $vgpr0
                                        ; implicit-def: $vgpr2
	s_branch .LBB65_272
.LBB65_244:
	v_mov_b32_e32 v0, 0
	v_mov_b32_e32 v2, 0
	s_branch .LBB65_271
.LBB65_245:
	s_mov_b32 s57, 0
	v_mov_b32_e32 v0, 0
	v_mov_b32_e32 v2, 0
	;; [unrolled: 1-line block ×3, first 2 shown]
.LBB65_246:
	s_and_b32 s4, s58, 3
	s_cmp_eq_u32 s4, 0
	s_cbranch_scc1 .LBB65_249
; %bb.247:
	s_lshl_b32 s0, s57, 3
	s_add_u32 s0, s34, s0
	s_addc_u32 s1, s35, 0
	s_add_u32 s0, s0, 0xc4
	s_addc_u32 s1, s1, 0
	s_mul_i32 s2, s57, 12
	s_add_u32 s2, s34, s2
	s_addc_u32 s3, s35, 0
.LBB65_248:                             ; =>This Inner Loop Header: Depth=1
	s_load_dwordx2 s[6:7], s[2:3], 0x4
	s_load_dword s5, s[2:3], 0xc
	s_load_dwordx2 s[8:9], s[0:1], 0x0
	s_add_u32 s2, s2, 12
	s_addc_u32 s3, s3, 0
	s_waitcnt lgkmcnt(0)
	v_mul_hi_u32 v3, s7, v1
	s_add_u32 s0, s0, 8
	s_addc_u32 s1, s1, 0
	s_add_i32 s4, s4, -1
	v_add_u32_e32 v3, v1, v3
	v_lshrrev_b32_e32 v4, s5, v3
	v_mul_lo_u32 v3, v4, s6
	s_cmp_lg_u32 s4, 0
	v_sub_u32_e32 v3, v1, v3
	v_mad_u64_u32 v[0:1], s[6:7], v3, s8, v[0:1]
	v_mad_u64_u32 v[2:3], s[6:7], v3, s9, v[2:3]
	v_mov_b32_e32 v1, v4
	s_cbranch_scc1 .LBB65_248
.LBB65_249:
	s_cbranch_execnz .LBB65_252
.LBB65_250:
	s_waitcnt lgkmcnt(0)
	v_mul_hi_u32 v0, s25, v7
	s_andn2_b64 vcc, exec, s[42:43]
	v_add_u32_e32 v0, v7, v0
	v_lshrrev_b32_e32 v1, s26, v0
	v_mul_lo_u32 v0, v1, s24
	v_sub_u32_e32 v2, v7, v0
	v_mul_lo_u32 v0, v2, s20
	v_mul_lo_u32 v2, v2, s21
	s_cbranch_vccnz .LBB65_252
; %bb.251:
	v_mul_hi_u32 v3, s40, v1
	v_add_u32_e32 v3, v1, v3
	v_lshrrev_b32_e32 v3, s41, v3
	v_mul_lo_u32 v3, v3, s27
	v_sub_u32_e32 v3, v1, v3
	v_mad_u64_u32 v[0:1], s[0:1], v3, s22, v[0:1]
	v_mad_u64_u32 v[2:3], s[0:1], v3, s23, v[2:3]
.LBB65_252:
	s_waitcnt lgkmcnt(0)
	global_load_ushort v2, v2, s[18:19]
	v_mov_b32_e32 v3, 0
	s_waitcnt vmcnt(0)
	v_cvt_f32_f16_e32 v1, v2
	v_cmp_gt_f16_e32 vcc, 0.5, v2
	v_mov_b32_e32 v2, 1.0
	s_and_saveexec_b64 s[6:7], vcc
	s_cbranch_execz .LBB65_258
; %bb.253:
	v_mul_f32_e32 v2, 0x40490fdb, v1
	s_brev_b32 s0, 18
	v_and_b32_e32 v3, 0x7fffffff, v2
	v_cmp_nlt_f32_e64 s[0:1], |v2|, s0
                                        ; implicit-def: $vgpr4
                                        ; implicit-def: $vgpr5
	s_and_saveexec_b64 s[2:3], s[0:1]
	s_xor_b64 s[8:9], exec, s[2:3]
	s_cbranch_execz .LBB65_255
; %bb.254:
	v_and_b32_e32 v4, 0x7fffff, v3
	v_or_b32_e32 v14, 0x800000, v4
	s_mov_b32 s0, 0xfe5163ab
	v_mad_u64_u32 v[4:5], s[0:1], v14, s0, 0
	v_mov_b32_e32 v6, 0
	s_mov_b32 s0, 0x3c439041
	v_mad_u64_u32 v[8:9], s[0:1], v14, s0, v[5:6]
	s_mov_b32 s0, 0xdb629599
	v_not_b32_e32 v13, 63
	v_mov_b32_e32 v5, v9
	v_mad_u64_u32 v[9:10], s[0:1], v14, s0, v[5:6]
	s_mov_b32 s0, 0xf534ddc0
	v_not_b32_e32 v16, 31
	v_mov_b32_e32 v5, v10
	v_mad_u64_u32 v[10:11], s[0:1], v14, s0, v[5:6]
	v_lshrrev_b32_e32 v5, 23, v3
	v_add_u32_e32 v15, 0xffffff88, v5
	v_mov_b32_e32 v5, v11
	s_mov_b32 s0, 0xfc2757d1
	v_mad_u64_u32 v[11:12], s[0:1], v14, s0, v[5:6]
	v_cmp_lt_u32_e32 vcc, 63, v15
	v_cndmask_b32_e32 v5, 0, v13, vcc
	v_add_u32_e32 v15, v5, v15
	v_mov_b32_e32 v5, v12
	s_mov_b32 s0, 0x4e441529
	v_mad_u64_u32 v[12:13], s[0:1], v14, s0, v[5:6]
	v_cmp_lt_u32_e64 s[0:1], 31, v15
	v_cndmask_b32_e64 v5, 0, v16, s[0:1]
	v_add_u32_e32 v15, v5, v15
	v_mov_b32_e32 v5, v13
	s_mov_b32 s2, 0xa2f9836e
	v_mad_u64_u32 v[5:6], s[2:3], v14, s2, v[5:6]
	v_cmp_lt_u32_e64 s[2:3], 31, v15
	v_cndmask_b32_e64 v13, 0, v16, s[2:3]
	v_cndmask_b32_e32 v14, v12, v10, vcc
	v_cndmask_b32_e32 v5, v5, v11, vcc
	;; [unrolled: 1-line block ×3, first 2 shown]
	v_add_u32_e32 v13, v13, v15
	v_cndmask_b32_e64 v15, v5, v14, s[0:1]
	v_cndmask_b32_e64 v5, v6, v5, s[0:1]
	v_cndmask_b32_e32 v6, v11, v9, vcc
	v_cndmask_b32_e64 v11, v14, v6, s[0:1]
	v_cndmask_b32_e64 v5, v5, v15, s[2:3]
	;; [unrolled: 1-line block ×3, first 2 shown]
	v_sub_u32_e32 v14, 32, v13
	v_alignbit_b32 v15, v5, v12, v14
	v_cmp_eq_u32_e64 s[4:5], 0, v13
	v_cndmask_b32_e64 v13, v15, v5, s[4:5]
	v_cndmask_b32_e32 v5, v10, v8, vcc
	v_cndmask_b32_e64 v6, v6, v5, s[0:1]
	v_cndmask_b32_e64 v8, v11, v6, s[2:3]
	v_alignbit_b32 v10, v12, v8, v14
	v_cndmask_b32_e32 v4, v9, v4, vcc
	v_cndmask_b32_e64 v10, v10, v12, s[4:5]
	v_bfe_u32 v15, v13, 29, 1
	v_cndmask_b32_e64 v4, v5, v4, s[0:1]
	v_alignbit_b32 v11, v13, v10, 30
	v_sub_u32_e32 v16, 0, v15
	v_cndmask_b32_e64 v4, v6, v4, s[2:3]
	v_xor_b32_e32 v11, v11, v16
	v_alignbit_b32 v5, v8, v4, v14
	v_cndmask_b32_e64 v5, v5, v8, s[4:5]
	v_ffbh_u32_e32 v8, v11
	v_alignbit_b32 v6, v10, v5, 30
	v_min_u32_e32 v8, 32, v8
	v_alignbit_b32 v4, v5, v4, 30
	v_xor_b32_e32 v6, v6, v16
	v_sub_u32_e32 v9, 31, v8
	v_xor_b32_e32 v4, v4, v16
	v_alignbit_b32 v10, v11, v6, v9
	v_alignbit_b32 v4, v6, v4, v9
	;; [unrolled: 1-line block ×3, first 2 shown]
	v_ffbh_u32_e32 v6, v5
	v_min_u32_e32 v6, 32, v6
	v_lshrrev_b32_e32 v12, 29, v13
	v_not_b32_e32 v9, v6
	v_alignbit_b32 v4, v5, v4, v9
	v_lshlrev_b32_e32 v5, 31, v12
	v_or_b32_e32 v9, 0x33000000, v5
	v_add_lshl_u32 v6, v6, v8, 23
	v_lshrrev_b32_e32 v4, 9, v4
	v_sub_u32_e32 v6, v9, v6
	v_or_b32_e32 v5, 0.5, v5
	v_lshlrev_b32_e32 v8, 23, v8
	v_or_b32_e32 v4, v6, v4
	v_lshrrev_b32_e32 v6, 9, v10
	v_sub_u32_e32 v5, v5, v8
	v_or_b32_e32 v5, v6, v5
	s_mov_b32 s0, 0x3fc90fda
	v_mul_f32_e32 v6, 0x3fc90fda, v5
	v_fma_f32 v8, v5, s0, -v6
	v_fmac_f32_e32 v8, 0x33a22168, v5
	v_fmac_f32_e32 v8, 0x3fc90fda, v4
	v_lshrrev_b32_e32 v4, 30, v13
	v_add_f32_e32 v5, v6, v8
	v_add_u32_e32 v4, v15, v4
.LBB65_255:
	s_andn2_saveexec_b64 s[0:1], s[8:9]
	s_cbranch_execz .LBB65_257
; %bb.256:
	s_mov_b32 s2, 0x3f22f983
	v_mul_f32_e64 v4, |v2|, s2
	v_rndne_f32_e32 v6, v4
	s_mov_b32 s2, 0xbfc90fda
	v_cvt_i32_f32_e32 v4, v6
	v_fma_f32 v5, v6, s2, |v2|
	v_fmac_f32_e32 v5, 0xb3a22168, v6
	v_fmac_f32_e32 v5, 0xa7c234c4, v6
.LBB65_257:
	s_or_b64 exec, exec, s[0:1]
	v_mul_f32_e32 v6, v5, v5
	v_mov_b32_e32 v8, 0x3c0881c4
	v_fmac_f32_e32 v8, 0xb94c1982, v6
	v_mov_b32_e32 v9, 0xbe2aaa9d
	v_fmac_f32_e32 v9, v6, v8
	v_mul_f32_e32 v8, v6, v9
	v_fmac_f32_e32 v5, v5, v8
	v_mov_b32_e32 v8, 0xbab64f3b
	v_fmac_f32_e32 v8, 0x37d75334, v6
	v_mov_b32_e32 v9, 0x3d2aabf7
	;; [unrolled: 2-line block ×3, first 2 shown]
	v_fmac_f32_e32 v8, v6, v9
	v_fma_f32 v6, v6, v8, 1.0
	v_and_b32_e32 v8, 1, v4
	v_lshlrev_b32_e32 v4, 30, v4
	v_cmp_eq_u32_e32 vcc, 0, v8
	v_and_b32_e32 v4, 0x80000000, v4
	v_xor_b32_e32 v3, v3, v2
	v_cndmask_b32_e32 v5, v6, v5, vcc
	v_xor_b32_e32 v3, v3, v4
	s_movk_i32 s0, 0x1f8
	v_xor_b32_e32 v3, v3, v5
	v_mov_b32_e32 v4, 0x7fc00000
	v_cmp_class_f32_e64 vcc, v2, s0
	v_cndmask_b32_e32 v2, v4, v3, vcc
	v_mul_f32_e32 v2, v2, v2
	s_mov_b32 s2, 0xc11de9e7
	v_div_scale_f32 v3, s[0:1], v2, v2, s2
	v_div_scale_f32 v4, vcc, s2, v2, s2
	v_sub_f32_e32 v1, 1.0, v1
	v_rcp_f32_e32 v5, v3
	v_fma_f32 v6, -v3, v5, 1.0
	v_fmac_f32_e32 v5, v6, v5
	v_mul_f32_e32 v6, v4, v5
	v_fma_f32 v8, -v3, v6, v4
	v_fmac_f32_e32 v6, v8, v5
	v_fma_f32 v3, -v3, v6, v4
	v_div_fmas_f32 v3, v3, v5, v6
	v_div_fixup_f32 v2, v3, v2, s2
	v_add_f32_e32 v3, 0, v2
	v_mov_b32_e32 v2, -1.0
.LBB65_258:
	s_or_b64 exec, exec, s[6:7]
	v_mul_f32_e32 v4, v1, v1
	v_div_scale_f32 v6, s[0:1], v4, v4, 1.0
	v_add_f32_e32 v5, 1.0, v1
	v_mul_f32_e32 v1, v5, v5
	v_div_scale_f32 v9, s[0:1], v1, v1, 1.0
	v_div_scale_f32 v8, vcc, 1.0, v4, 1.0
	v_add_f32_e32 v10, 1.0, v5
	v_div_scale_f32 v11, s[0:1], 1.0, v1, 1.0
	v_mul_f32_e32 v5, v10, v10
	v_div_scale_f32 v12, s[2:3], v5, v5, 1.0
	v_div_scale_f32 v15, s[2:3], 1.0, v5, 1.0
	v_rcp_f32_e32 v13, v6
	v_add_f32_e32 v10, 1.0, v10
	v_add_u32_e32 v7, 0x80, v7
	v_rcp_f32_e32 v14, v9
	v_fma_f32 v16, -v6, v13, 1.0
	v_fmac_f32_e32 v13, v16, v13
	v_mul_f32_e32 v17, v8, v13
	v_fma_f32 v18, -v6, v17, v8
	v_fma_f32 v16, -v9, v14, 1.0
	v_fmac_f32_e32 v17, v18, v13
	v_fma_f32 v6, -v6, v17, v8
	v_fmac_f32_e32 v14, v16, v14
	v_div_fmas_f32 v6, v6, v13, v17
	v_mul_f32_e32 v13, v11, v14
	v_fma_f32 v8, -v9, v13, v11
	v_rcp_f32_e32 v16, v12
	v_fmac_f32_e32 v13, v8, v14
	v_mul_f32_e32 v8, v10, v10
	v_div_scale_f32 v17, s[4:5], v8, v8, 1.0
	v_fma_f32 v9, -v9, v13, v11
	v_fma_f32 v11, -v12, v16, 1.0
	v_fmac_f32_e32 v16, v11, v16
	s_mov_b64 vcc, s[0:1]
	v_mul_f32_e32 v11, v15, v16
	v_div_fmas_f32 v9, v9, v14, v13
	v_fma_f32 v13, -v12, v11, v15
	v_fmac_f32_e32 v11, v13, v16
	v_div_scale_f32 v13, s[0:1], 1.0, v8, 1.0
	v_add_f32_e32 v14, 1.0, v10
	v_mul_f32_e32 v10, v14, v14
	v_div_scale_f32 v18, s[4:5], v10, v10, 1.0
	v_fma_f32 v12, -v12, v11, v15
	s_mov_b64 vcc, s[2:3]
	v_div_fmas_f32 v11, v12, v16, v11
	v_div_scale_f32 v12, s[2:3], 1.0, v10, 1.0
	v_rcp_f32_e32 v15, v17
	v_add_f32_e32 v14, 1.0, v14
	v_mul_f32_e32 v19, v14, v14
	v_div_scale_f32 v20, s[4:5], v19, v19, 1.0
	v_fma_f32 v16, -v17, v15, 1.0
	v_fmac_f32_e32 v15, v16, v15
	v_mul_f32_e32 v16, v13, v15
	v_fma_f32 v21, -v17, v16, v13
	v_fmac_f32_e32 v16, v21, v15
	v_rcp_f32_e32 v21, v18
	v_fma_f32 v13, -v17, v16, v13
	s_mov_b64 vcc, s[0:1]
	v_div_fmas_f32 v13, v13, v15, v16
	v_fma_f32 v15, -v18, v21, 1.0
	v_fmac_f32_e32 v21, v15, v21
	v_mul_f32_e32 v15, v12, v21
	v_fma_f32 v16, -v18, v15, v12
	v_fmac_f32_e32 v15, v16, v21
	v_div_scale_f32 v16, s[0:1], 1.0, v19, 1.0
	v_add_f32_e32 v14, 1.0, v14
	v_mul_f32_e32 v22, v14, v14
	v_div_scale_f32 v23, s[4:5], v22, v22, 1.0
	v_rcp_f32_e32 v17, v20
	v_fma_f32 v12, -v18, v15, v12
	s_mov_b64 vcc, s[2:3]
	v_div_scale_f32 v18, s[2:3], 1.0, v22, 1.0
	v_div_fmas_f32 v12, v12, v21, v15
	v_add_f32_e32 v21, v14, v14
	v_div_scale_f32 v24, s[4:5], v21, v21, 1.0
	v_fma_f32 v15, -v20, v17, 1.0
	v_fmac_f32_e32 v17, v15, v17
	v_mul_f32_e32 v15, v16, v17
	v_fma_f32 v25, -v20, v15, v16
	v_fmac_f32_e32 v15, v25, v17
	v_div_scale_f32 v25, s[4:5], 1.0, v21, 1.0
	v_rcp_f32_e32 v26, v23
	v_fma_f32 v16, -v20, v15, v16
	s_mov_b64 vcc, s[0:1]
	v_div_fmas_f32 v15, v16, v17, v15
	v_fma_f32 v16, -v23, v26, 1.0
	v_fmac_f32_e32 v26, v16, v26
	v_mul_f32_e32 v16, v18, v26
	v_fma_f32 v17, -v23, v16, v18
	v_fmac_f32_e32 v16, v17, v26
	v_rcp_f32_e32 v17, v24
	v_fma_f32 v18, -v23, v16, v18
	s_mov_b64 vcc, s[2:3]
	v_div_fmas_f32 v16, v18, v26, v16
	v_fma_f32 v18, -v24, v17, 1.0
	v_fmac_f32_e32 v17, v18, v17
	v_mul_f32_e32 v18, v25, v17
	v_fma_f32 v20, -v24, v18, v25
	v_fmac_f32_e32 v18, v20, v17
	v_fma_f32 v20, -v24, v18, v25
	s_mov_b64 vcc, s[4:5]
	v_div_fmas_f32 v17, v20, v17, v18
	v_mov_b32_e32 v18, 0x3d088889
	s_mov_b32 s0, 0x3e2aaaab
	v_div_fixup_f32 v4, v6, v4, 1.0
	v_add_f32_e32 v3, v3, v4
	v_div_fixup_f32 v1, v9, v1, 1.0
	v_add_f32_e32 v1, v3, v1
	v_div_fixup_f32 v3, v11, v5, 1.0
	v_div_fixup_f32 v16, v16, v22, 1.0
	v_fmac_f32_e32 v18, 0xbcc30c31, v16
	v_fma_f32 v18, -v16, v18, s0
	v_add_f32_e32 v1, v1, v3
	v_div_fixup_f32 v3, v13, v8, 1.0
	v_add_f32_e32 v1, v1, v3
	v_div_fixup_f32 v3, v12, v10, 1.0
	;; [unrolled: 2-line block ×3, first 2 shown]
	v_add_f32_e32 v17, 1.0, v17
	v_fmac_f32_e32 v17, v16, v18
	v_div_scale_f32 v16, s[0:1], v14, v14, v17
	v_div_scale_f32 v18, vcc, v17, v14, v17
	v_div_fixup_f32 v3, v15, v19, 1.0
	v_add_f32_e32 v1, v1, v3
	v_rcp_f32_e32 v20, v16
	v_fma_f32 v21, -v16, v20, 1.0
	v_fmac_f32_e32 v20, v21, v20
	v_mul_f32_e32 v21, v18, v20
	v_fma_f32 v22, -v16, v21, v18
	v_fmac_f32_e32 v21, v22, v20
	v_fma_f32 v16, -v16, v21, v18
	v_div_fmas_f32 v16, v16, v20, v21
	v_div_fixup_f32 v3, v16, v14, v17
	v_add_f32_e32 v1, v1, v3
	v_fma_mixlo_f16 v1, v2, v1, 0
	global_store_short v0, v1, s[16:17]
	s_or_b64 exec, exec, s[48:49]
	v_cmp_gt_i32_e32 vcc, s55, v7
	s_and_saveexec_b64 s[48:49], vcc
	s_cbranch_execnz .LBB65_238
.LBB65_259:
	s_or_b64 exec, exec, s[48:49]
	v_cmp_gt_i32_e32 vcc, s55, v7
	s_and_saveexec_b64 s[48:49], vcc
	s_cbranch_execz .LBB65_281
.LBB65_260:
	s_andn2_b64 vcc, exec, s[36:37]
	s_cbranch_vccnz .LBB65_265
; %bb.261:
	s_andn2_b64 vcc, exec, s[46:47]
	s_cbranch_vccnz .LBB65_266
; %bb.262:
	s_add_i32 s58, s56, 1
	s_cmp_eq_u32 s54, 2
	s_cbranch_scc1 .LBB65_289
; %bb.263:
	s_and_b32 s57, s58, 28
	v_mov_b32_e32 v2, 0
	s_mov_b32 s59, 0
	s_mov_b64 s[50:51], s[34:35]
	s_mov_b64 s[52:53], s[44:45]
	v_mov_b32_e32 v0, 0
	v_mov_b32_e32 v1, v7
.LBB65_264:                             ; =>This Inner Loop Header: Depth=1
	s_load_dwordx8 s[8:15], s[50:51], 0x4
	s_load_dwordx4 s[28:31], s[50:51], 0x24
	s_load_dwordx8 s[0:7], s[52:53], 0x0
	s_add_u32 s50, s50, 48
	s_addc_u32 s51, s51, 0
	s_waitcnt lgkmcnt(0)
	v_mul_hi_u32 v3, s9, v1
	s_add_i32 s59, s59, 4
	s_add_u32 s52, s52, 32
	s_addc_u32 s53, s53, 0
	v_add_u32_e32 v3, v1, v3
	v_lshrrev_b32_e32 v3, s10, v3
	v_mul_lo_u32 v4, v3, s8
	v_mul_hi_u32 v5, s12, v3
	s_cmp_eq_u32 s57, s59
	v_sub_u32_e32 v1, v1, v4
	v_add_u32_e32 v4, v3, v5
	v_mul_lo_u32 v5, v1, s0
	v_mul_lo_u32 v6, v1, s1
	v_lshrrev_b32_e32 v1, s13, v4
	v_mul_lo_u32 v4, v1, s11
	v_mul_hi_u32 v8, s15, v1
	v_sub_u32_e32 v3, v3, v4
	v_add_u32_e32 v4, v1, v8
	v_lshrrev_b32_e32 v4, s28, v4
	v_mul_hi_u32 v9, s30, v4
	v_mul_lo_u32 v10, v4, s14
	v_mul_lo_u32 v8, v3, s2
	;; [unrolled: 1-line block ×3, first 2 shown]
	v_sub_u32_e32 v10, v1, v10
	v_add_u32_e32 v1, v4, v9
	v_lshrrev_b32_e32 v1, s31, v1
	v_mul_lo_u32 v9, v1, s29
	v_mul_lo_u32 v11, v10, s4
	;; [unrolled: 1-line block ×3, first 2 shown]
	v_add3_u32 v0, v5, v0, v8
	v_sub_u32_e32 v4, v4, v9
	v_mul_lo_u32 v9, v4, s6
	v_mul_lo_u32 v4, v4, s7
	v_add3_u32 v2, v6, v2, v3
	v_add3_u32 v0, v11, v0, v9
	;; [unrolled: 1-line block ×3, first 2 shown]
	s_cbranch_scc0 .LBB65_264
	s_branch .LBB65_290
.LBB65_265:
                                        ; implicit-def: $vgpr0
                                        ; implicit-def: $vgpr2
	s_branch .LBB65_294
.LBB65_266:
	v_mov_b32_e32 v0, 0
	v_mov_b32_e32 v2, 0
	s_branch .LBB65_293
.LBB65_267:
	s_mov_b32 s57, 0
	v_mov_b32_e32 v0, 0
	v_mov_b32_e32 v2, 0
	;; [unrolled: 1-line block ×3, first 2 shown]
.LBB65_268:
	s_and_b32 s4, s58, 3
	s_cmp_eq_u32 s4, 0
	s_cbranch_scc1 .LBB65_271
; %bb.269:
	s_lshl_b32 s0, s57, 3
	s_add_u32 s0, s34, s0
	s_addc_u32 s1, s35, 0
	s_add_u32 s0, s0, 0xc4
	s_addc_u32 s1, s1, 0
	s_mul_i32 s2, s57, 12
	s_add_u32 s2, s34, s2
	s_addc_u32 s3, s35, 0
.LBB65_270:                             ; =>This Inner Loop Header: Depth=1
	s_load_dwordx2 s[6:7], s[2:3], 0x4
	s_load_dword s5, s[2:3], 0xc
	s_load_dwordx2 s[8:9], s[0:1], 0x0
	s_add_u32 s2, s2, 12
	s_addc_u32 s3, s3, 0
	s_waitcnt lgkmcnt(0)
	v_mul_hi_u32 v3, s7, v1
	s_add_u32 s0, s0, 8
	s_addc_u32 s1, s1, 0
	s_add_i32 s4, s4, -1
	v_add_u32_e32 v3, v1, v3
	v_lshrrev_b32_e32 v4, s5, v3
	v_mul_lo_u32 v3, v4, s6
	s_cmp_lg_u32 s4, 0
	v_sub_u32_e32 v3, v1, v3
	v_mad_u64_u32 v[0:1], s[6:7], v3, s8, v[0:1]
	v_mad_u64_u32 v[2:3], s[6:7], v3, s9, v[2:3]
	v_mov_b32_e32 v1, v4
	s_cbranch_scc1 .LBB65_270
.LBB65_271:
	s_cbranch_execnz .LBB65_274
.LBB65_272:
	s_waitcnt lgkmcnt(0)
	v_mul_hi_u32 v0, s25, v7
	s_andn2_b64 vcc, exec, s[42:43]
	v_add_u32_e32 v0, v7, v0
	v_lshrrev_b32_e32 v1, s26, v0
	v_mul_lo_u32 v0, v1, s24
	v_sub_u32_e32 v2, v7, v0
	v_mul_lo_u32 v0, v2, s20
	v_mul_lo_u32 v2, v2, s21
	s_cbranch_vccnz .LBB65_274
; %bb.273:
	v_mul_hi_u32 v3, s40, v1
	v_add_u32_e32 v3, v1, v3
	v_lshrrev_b32_e32 v3, s41, v3
	v_mul_lo_u32 v3, v3, s27
	v_sub_u32_e32 v3, v1, v3
	v_mad_u64_u32 v[0:1], s[0:1], v3, s22, v[0:1]
	v_mad_u64_u32 v[2:3], s[0:1], v3, s23, v[2:3]
.LBB65_274:
	s_waitcnt lgkmcnt(0)
	global_load_ushort v2, v2, s[18:19]
	v_mov_b32_e32 v3, 0
	s_waitcnt vmcnt(0)
	v_cvt_f32_f16_e32 v1, v2
	v_cmp_gt_f16_e32 vcc, 0.5, v2
	v_mov_b32_e32 v2, 1.0
	s_and_saveexec_b64 s[6:7], vcc
	s_cbranch_execz .LBB65_280
; %bb.275:
	v_mul_f32_e32 v2, 0x40490fdb, v1
	s_brev_b32 s0, 18
	v_and_b32_e32 v3, 0x7fffffff, v2
	v_cmp_nlt_f32_e64 s[0:1], |v2|, s0
                                        ; implicit-def: $vgpr4
                                        ; implicit-def: $vgpr5
	s_and_saveexec_b64 s[2:3], s[0:1]
	s_xor_b64 s[8:9], exec, s[2:3]
	s_cbranch_execz .LBB65_277
; %bb.276:
	v_and_b32_e32 v4, 0x7fffff, v3
	v_or_b32_e32 v14, 0x800000, v4
	s_mov_b32 s0, 0xfe5163ab
	v_mad_u64_u32 v[4:5], s[0:1], v14, s0, 0
	v_mov_b32_e32 v6, 0
	s_mov_b32 s0, 0x3c439041
	v_mad_u64_u32 v[8:9], s[0:1], v14, s0, v[5:6]
	s_mov_b32 s0, 0xdb629599
	v_not_b32_e32 v13, 63
	v_mov_b32_e32 v5, v9
	v_mad_u64_u32 v[9:10], s[0:1], v14, s0, v[5:6]
	s_mov_b32 s0, 0xf534ddc0
	v_not_b32_e32 v16, 31
	v_mov_b32_e32 v5, v10
	v_mad_u64_u32 v[10:11], s[0:1], v14, s0, v[5:6]
	v_lshrrev_b32_e32 v5, 23, v3
	v_add_u32_e32 v15, 0xffffff88, v5
	v_mov_b32_e32 v5, v11
	s_mov_b32 s0, 0xfc2757d1
	v_mad_u64_u32 v[11:12], s[0:1], v14, s0, v[5:6]
	v_cmp_lt_u32_e32 vcc, 63, v15
	v_cndmask_b32_e32 v5, 0, v13, vcc
	v_add_u32_e32 v15, v5, v15
	v_mov_b32_e32 v5, v12
	s_mov_b32 s0, 0x4e441529
	v_mad_u64_u32 v[12:13], s[0:1], v14, s0, v[5:6]
	v_cmp_lt_u32_e64 s[0:1], 31, v15
	v_cndmask_b32_e64 v5, 0, v16, s[0:1]
	v_add_u32_e32 v15, v5, v15
	v_mov_b32_e32 v5, v13
	s_mov_b32 s2, 0xa2f9836e
	v_mad_u64_u32 v[5:6], s[2:3], v14, s2, v[5:6]
	v_cmp_lt_u32_e64 s[2:3], 31, v15
	v_cndmask_b32_e64 v13, 0, v16, s[2:3]
	v_cndmask_b32_e32 v14, v12, v10, vcc
	v_cndmask_b32_e32 v5, v5, v11, vcc
	;; [unrolled: 1-line block ×3, first 2 shown]
	v_add_u32_e32 v13, v13, v15
	v_cndmask_b32_e64 v15, v5, v14, s[0:1]
	v_cndmask_b32_e64 v5, v6, v5, s[0:1]
	v_cndmask_b32_e32 v6, v11, v9, vcc
	v_cndmask_b32_e64 v11, v14, v6, s[0:1]
	v_cndmask_b32_e64 v5, v5, v15, s[2:3]
	;; [unrolled: 1-line block ×3, first 2 shown]
	v_sub_u32_e32 v14, 32, v13
	v_alignbit_b32 v15, v5, v12, v14
	v_cmp_eq_u32_e64 s[4:5], 0, v13
	v_cndmask_b32_e64 v13, v15, v5, s[4:5]
	v_cndmask_b32_e32 v5, v10, v8, vcc
	v_cndmask_b32_e64 v6, v6, v5, s[0:1]
	v_cndmask_b32_e64 v8, v11, v6, s[2:3]
	v_alignbit_b32 v10, v12, v8, v14
	v_cndmask_b32_e32 v4, v9, v4, vcc
	v_cndmask_b32_e64 v10, v10, v12, s[4:5]
	v_bfe_u32 v15, v13, 29, 1
	v_cndmask_b32_e64 v4, v5, v4, s[0:1]
	v_alignbit_b32 v11, v13, v10, 30
	v_sub_u32_e32 v16, 0, v15
	v_cndmask_b32_e64 v4, v6, v4, s[2:3]
	v_xor_b32_e32 v11, v11, v16
	v_alignbit_b32 v5, v8, v4, v14
	v_cndmask_b32_e64 v5, v5, v8, s[4:5]
	v_ffbh_u32_e32 v8, v11
	v_alignbit_b32 v6, v10, v5, 30
	v_min_u32_e32 v8, 32, v8
	v_alignbit_b32 v4, v5, v4, 30
	v_xor_b32_e32 v6, v6, v16
	v_sub_u32_e32 v9, 31, v8
	v_xor_b32_e32 v4, v4, v16
	v_alignbit_b32 v10, v11, v6, v9
	v_alignbit_b32 v4, v6, v4, v9
	;; [unrolled: 1-line block ×3, first 2 shown]
	v_ffbh_u32_e32 v6, v5
	v_min_u32_e32 v6, 32, v6
	v_lshrrev_b32_e32 v12, 29, v13
	v_not_b32_e32 v9, v6
	v_alignbit_b32 v4, v5, v4, v9
	v_lshlrev_b32_e32 v5, 31, v12
	v_or_b32_e32 v9, 0x33000000, v5
	v_add_lshl_u32 v6, v6, v8, 23
	v_lshrrev_b32_e32 v4, 9, v4
	v_sub_u32_e32 v6, v9, v6
	v_or_b32_e32 v5, 0.5, v5
	v_lshlrev_b32_e32 v8, 23, v8
	v_or_b32_e32 v4, v6, v4
	v_lshrrev_b32_e32 v6, 9, v10
	v_sub_u32_e32 v5, v5, v8
	v_or_b32_e32 v5, v6, v5
	s_mov_b32 s0, 0x3fc90fda
	v_mul_f32_e32 v6, 0x3fc90fda, v5
	v_fma_f32 v8, v5, s0, -v6
	v_fmac_f32_e32 v8, 0x33a22168, v5
	v_fmac_f32_e32 v8, 0x3fc90fda, v4
	v_lshrrev_b32_e32 v4, 30, v13
	v_add_f32_e32 v5, v6, v8
	v_add_u32_e32 v4, v15, v4
.LBB65_277:
	s_andn2_saveexec_b64 s[0:1], s[8:9]
	s_cbranch_execz .LBB65_279
; %bb.278:
	s_mov_b32 s2, 0x3f22f983
	v_mul_f32_e64 v4, |v2|, s2
	v_rndne_f32_e32 v6, v4
	s_mov_b32 s2, 0xbfc90fda
	v_cvt_i32_f32_e32 v4, v6
	v_fma_f32 v5, v6, s2, |v2|
	v_fmac_f32_e32 v5, 0xb3a22168, v6
	v_fmac_f32_e32 v5, 0xa7c234c4, v6
.LBB65_279:
	s_or_b64 exec, exec, s[0:1]
	v_mul_f32_e32 v6, v5, v5
	v_mov_b32_e32 v8, 0x3c0881c4
	v_fmac_f32_e32 v8, 0xb94c1982, v6
	v_mov_b32_e32 v9, 0xbe2aaa9d
	v_fmac_f32_e32 v9, v6, v8
	v_mul_f32_e32 v8, v6, v9
	v_fmac_f32_e32 v5, v5, v8
	v_mov_b32_e32 v8, 0xbab64f3b
	v_fmac_f32_e32 v8, 0x37d75334, v6
	v_mov_b32_e32 v9, 0x3d2aabf7
	;; [unrolled: 2-line block ×3, first 2 shown]
	v_fmac_f32_e32 v8, v6, v9
	v_fma_f32 v6, v6, v8, 1.0
	v_and_b32_e32 v8, 1, v4
	v_lshlrev_b32_e32 v4, 30, v4
	v_cmp_eq_u32_e32 vcc, 0, v8
	v_and_b32_e32 v4, 0x80000000, v4
	v_xor_b32_e32 v3, v3, v2
	v_cndmask_b32_e32 v5, v6, v5, vcc
	v_xor_b32_e32 v3, v3, v4
	s_movk_i32 s0, 0x1f8
	v_xor_b32_e32 v3, v3, v5
	v_mov_b32_e32 v4, 0x7fc00000
	v_cmp_class_f32_e64 vcc, v2, s0
	v_cndmask_b32_e32 v2, v4, v3, vcc
	v_mul_f32_e32 v2, v2, v2
	s_mov_b32 s2, 0xc11de9e7
	v_div_scale_f32 v3, s[0:1], v2, v2, s2
	v_div_scale_f32 v4, vcc, s2, v2, s2
	v_sub_f32_e32 v1, 1.0, v1
	v_rcp_f32_e32 v5, v3
	v_fma_f32 v6, -v3, v5, 1.0
	v_fmac_f32_e32 v5, v6, v5
	v_mul_f32_e32 v6, v4, v5
	v_fma_f32 v8, -v3, v6, v4
	v_fmac_f32_e32 v6, v8, v5
	v_fma_f32 v3, -v3, v6, v4
	v_div_fmas_f32 v3, v3, v5, v6
	v_div_fixup_f32 v2, v3, v2, s2
	v_add_f32_e32 v3, 0, v2
	v_mov_b32_e32 v2, -1.0
.LBB65_280:
	s_or_b64 exec, exec, s[6:7]
	v_mul_f32_e32 v4, v1, v1
	v_div_scale_f32 v6, s[0:1], v4, v4, 1.0
	v_add_f32_e32 v5, 1.0, v1
	v_mul_f32_e32 v1, v5, v5
	v_div_scale_f32 v9, s[0:1], v1, v1, 1.0
	v_div_scale_f32 v8, vcc, 1.0, v4, 1.0
	v_add_f32_e32 v10, 1.0, v5
	v_div_scale_f32 v11, s[0:1], 1.0, v1, 1.0
	v_mul_f32_e32 v5, v10, v10
	v_div_scale_f32 v12, s[2:3], v5, v5, 1.0
	v_div_scale_f32 v15, s[2:3], 1.0, v5, 1.0
	v_rcp_f32_e32 v13, v6
	v_add_f32_e32 v10, 1.0, v10
	v_add_u32_e32 v7, 0x80, v7
	v_rcp_f32_e32 v14, v9
	v_fma_f32 v16, -v6, v13, 1.0
	v_fmac_f32_e32 v13, v16, v13
	v_mul_f32_e32 v17, v8, v13
	v_fma_f32 v18, -v6, v17, v8
	v_fma_f32 v16, -v9, v14, 1.0
	v_fmac_f32_e32 v17, v18, v13
	v_fma_f32 v6, -v6, v17, v8
	v_fmac_f32_e32 v14, v16, v14
	v_div_fmas_f32 v6, v6, v13, v17
	v_mul_f32_e32 v13, v11, v14
	v_fma_f32 v8, -v9, v13, v11
	v_rcp_f32_e32 v16, v12
	v_fmac_f32_e32 v13, v8, v14
	v_mul_f32_e32 v8, v10, v10
	v_div_scale_f32 v17, s[4:5], v8, v8, 1.0
	v_fma_f32 v9, -v9, v13, v11
	v_fma_f32 v11, -v12, v16, 1.0
	v_fmac_f32_e32 v16, v11, v16
	s_mov_b64 vcc, s[0:1]
	v_mul_f32_e32 v11, v15, v16
	v_div_fmas_f32 v9, v9, v14, v13
	v_fma_f32 v13, -v12, v11, v15
	v_fmac_f32_e32 v11, v13, v16
	v_div_scale_f32 v13, s[0:1], 1.0, v8, 1.0
	v_add_f32_e32 v14, 1.0, v10
	v_mul_f32_e32 v10, v14, v14
	v_div_scale_f32 v18, s[4:5], v10, v10, 1.0
	v_fma_f32 v12, -v12, v11, v15
	s_mov_b64 vcc, s[2:3]
	v_div_fmas_f32 v11, v12, v16, v11
	v_div_scale_f32 v12, s[2:3], 1.0, v10, 1.0
	v_rcp_f32_e32 v15, v17
	v_add_f32_e32 v14, 1.0, v14
	v_mul_f32_e32 v19, v14, v14
	v_div_scale_f32 v20, s[4:5], v19, v19, 1.0
	v_fma_f32 v16, -v17, v15, 1.0
	v_fmac_f32_e32 v15, v16, v15
	v_mul_f32_e32 v16, v13, v15
	v_fma_f32 v21, -v17, v16, v13
	v_fmac_f32_e32 v16, v21, v15
	v_rcp_f32_e32 v21, v18
	v_fma_f32 v13, -v17, v16, v13
	s_mov_b64 vcc, s[0:1]
	v_div_fmas_f32 v13, v13, v15, v16
	v_fma_f32 v15, -v18, v21, 1.0
	v_fmac_f32_e32 v21, v15, v21
	v_mul_f32_e32 v15, v12, v21
	v_fma_f32 v16, -v18, v15, v12
	v_fmac_f32_e32 v15, v16, v21
	v_div_scale_f32 v16, s[0:1], 1.0, v19, 1.0
	v_add_f32_e32 v14, 1.0, v14
	v_mul_f32_e32 v22, v14, v14
	v_div_scale_f32 v23, s[4:5], v22, v22, 1.0
	v_rcp_f32_e32 v17, v20
	v_fma_f32 v12, -v18, v15, v12
	s_mov_b64 vcc, s[2:3]
	v_div_scale_f32 v18, s[2:3], 1.0, v22, 1.0
	v_div_fmas_f32 v12, v12, v21, v15
	v_add_f32_e32 v21, v14, v14
	v_div_scale_f32 v24, s[4:5], v21, v21, 1.0
	v_fma_f32 v15, -v20, v17, 1.0
	v_fmac_f32_e32 v17, v15, v17
	v_mul_f32_e32 v15, v16, v17
	v_fma_f32 v25, -v20, v15, v16
	v_fmac_f32_e32 v15, v25, v17
	v_div_scale_f32 v25, s[4:5], 1.0, v21, 1.0
	v_rcp_f32_e32 v26, v23
	v_fma_f32 v16, -v20, v15, v16
	s_mov_b64 vcc, s[0:1]
	v_div_fmas_f32 v15, v16, v17, v15
	v_fma_f32 v16, -v23, v26, 1.0
	v_fmac_f32_e32 v26, v16, v26
	v_mul_f32_e32 v16, v18, v26
	v_fma_f32 v17, -v23, v16, v18
	v_fmac_f32_e32 v16, v17, v26
	v_rcp_f32_e32 v17, v24
	v_fma_f32 v18, -v23, v16, v18
	s_mov_b64 vcc, s[2:3]
	v_div_fmas_f32 v16, v18, v26, v16
	v_fma_f32 v18, -v24, v17, 1.0
	v_fmac_f32_e32 v17, v18, v17
	v_mul_f32_e32 v18, v25, v17
	v_fma_f32 v20, -v24, v18, v25
	v_fmac_f32_e32 v18, v20, v17
	v_fma_f32 v20, -v24, v18, v25
	s_mov_b64 vcc, s[4:5]
	v_div_fmas_f32 v17, v20, v17, v18
	v_mov_b32_e32 v18, 0x3d088889
	s_mov_b32 s0, 0x3e2aaaab
	v_div_fixup_f32 v4, v6, v4, 1.0
	v_add_f32_e32 v3, v3, v4
	v_div_fixup_f32 v1, v9, v1, 1.0
	v_add_f32_e32 v1, v3, v1
	v_div_fixup_f32 v3, v11, v5, 1.0
	v_div_fixup_f32 v16, v16, v22, 1.0
	v_fmac_f32_e32 v18, 0xbcc30c31, v16
	v_fma_f32 v18, -v16, v18, s0
	v_add_f32_e32 v1, v1, v3
	v_div_fixup_f32 v3, v13, v8, 1.0
	v_add_f32_e32 v1, v1, v3
	v_div_fixup_f32 v3, v12, v10, 1.0
	;; [unrolled: 2-line block ×3, first 2 shown]
	v_add_f32_e32 v17, 1.0, v17
	v_fmac_f32_e32 v17, v16, v18
	v_div_scale_f32 v16, s[0:1], v14, v14, v17
	v_div_scale_f32 v18, vcc, v17, v14, v17
	v_div_fixup_f32 v3, v15, v19, 1.0
	v_add_f32_e32 v1, v1, v3
	v_rcp_f32_e32 v20, v16
	v_fma_f32 v21, -v16, v20, 1.0
	v_fmac_f32_e32 v20, v21, v20
	v_mul_f32_e32 v21, v18, v20
	v_fma_f32 v22, -v16, v21, v18
	v_fmac_f32_e32 v21, v22, v20
	v_fma_f32 v16, -v16, v21, v18
	v_div_fmas_f32 v16, v16, v20, v21
	v_div_fixup_f32 v3, v16, v14, v17
	v_add_f32_e32 v1, v1, v3
	v_fma_mixlo_f16 v1, v2, v1, 0
	global_store_short v0, v1, s[16:17]
	s_or_b64 exec, exec, s[48:49]
	v_cmp_gt_i32_e32 vcc, s55, v7
	s_and_saveexec_b64 s[48:49], vcc
	s_cbranch_execnz .LBB65_260
.LBB65_281:
	s_or_b64 exec, exec, s[48:49]
	v_cmp_gt_i32_e32 vcc, s55, v7
	s_and_saveexec_b64 s[48:49], vcc
	s_cbranch_execz .LBB65_303
.LBB65_282:
	s_andn2_b64 vcc, exec, s[36:37]
	s_cbranch_vccnz .LBB65_287
; %bb.283:
	s_andn2_b64 vcc, exec, s[46:47]
	s_cbranch_vccnz .LBB65_288
; %bb.284:
	s_add_i32 s58, s56, 1
	s_cmp_eq_u32 s54, 2
	s_cbranch_scc1 .LBB65_306
; %bb.285:
	s_and_b32 s57, s58, 28
	v_mov_b32_e32 v2, 0
	s_mov_b32 s59, 0
	s_mov_b64 s[50:51], s[34:35]
	s_mov_b64 s[52:53], s[44:45]
	v_mov_b32_e32 v0, 0
	v_mov_b32_e32 v1, v7
.LBB65_286:                             ; =>This Inner Loop Header: Depth=1
	s_load_dwordx8 s[8:15], s[50:51], 0x4
	s_load_dwordx4 s[28:31], s[50:51], 0x24
	s_load_dwordx8 s[0:7], s[52:53], 0x0
	s_add_u32 s50, s50, 48
	s_addc_u32 s51, s51, 0
	s_waitcnt lgkmcnt(0)
	v_mul_hi_u32 v3, s9, v1
	s_add_i32 s59, s59, 4
	s_add_u32 s52, s52, 32
	s_addc_u32 s53, s53, 0
	v_add_u32_e32 v3, v1, v3
	v_lshrrev_b32_e32 v3, s10, v3
	v_mul_lo_u32 v4, v3, s8
	v_mul_hi_u32 v5, s12, v3
	s_cmp_eq_u32 s57, s59
	v_sub_u32_e32 v1, v1, v4
	v_add_u32_e32 v4, v3, v5
	v_mul_lo_u32 v5, v1, s0
	v_mul_lo_u32 v6, v1, s1
	v_lshrrev_b32_e32 v1, s13, v4
	v_mul_lo_u32 v4, v1, s11
	v_mul_hi_u32 v8, s15, v1
	v_sub_u32_e32 v3, v3, v4
	v_add_u32_e32 v4, v1, v8
	v_lshrrev_b32_e32 v4, s28, v4
	v_mul_hi_u32 v9, s30, v4
	v_mul_lo_u32 v10, v4, s14
	v_mul_lo_u32 v8, v3, s2
	;; [unrolled: 1-line block ×3, first 2 shown]
	v_sub_u32_e32 v10, v1, v10
	v_add_u32_e32 v1, v4, v9
	v_lshrrev_b32_e32 v1, s31, v1
	v_mul_lo_u32 v9, v1, s29
	v_mul_lo_u32 v11, v10, s4
	;; [unrolled: 1-line block ×3, first 2 shown]
	v_add3_u32 v0, v5, v0, v8
	v_sub_u32_e32 v4, v4, v9
	v_mul_lo_u32 v9, v4, s6
	v_mul_lo_u32 v4, v4, s7
	v_add3_u32 v2, v6, v2, v3
	v_add3_u32 v0, v11, v0, v9
	v_add3_u32 v2, v10, v2, v4
	s_cbranch_scc0 .LBB65_286
	s_branch .LBB65_307
.LBB65_287:
                                        ; implicit-def: $vgpr0
                                        ; implicit-def: $vgpr2
	s_branch .LBB65_311
.LBB65_288:
	v_mov_b32_e32 v0, 0
	v_mov_b32_e32 v2, 0
	s_branch .LBB65_310
.LBB65_289:
	s_mov_b32 s57, 0
	v_mov_b32_e32 v0, 0
	v_mov_b32_e32 v2, 0
	;; [unrolled: 1-line block ×3, first 2 shown]
.LBB65_290:
	s_and_b32 s4, s58, 3
	s_cmp_eq_u32 s4, 0
	s_cbranch_scc1 .LBB65_293
; %bb.291:
	s_lshl_b32 s0, s57, 3
	s_add_u32 s0, s34, s0
	s_addc_u32 s1, s35, 0
	s_add_u32 s0, s0, 0xc4
	s_addc_u32 s1, s1, 0
	s_mul_i32 s2, s57, 12
	s_add_u32 s2, s34, s2
	s_addc_u32 s3, s35, 0
.LBB65_292:                             ; =>This Inner Loop Header: Depth=1
	s_load_dwordx2 s[6:7], s[2:3], 0x4
	s_load_dword s5, s[2:3], 0xc
	s_load_dwordx2 s[8:9], s[0:1], 0x0
	s_add_u32 s2, s2, 12
	s_addc_u32 s3, s3, 0
	s_waitcnt lgkmcnt(0)
	v_mul_hi_u32 v3, s7, v1
	s_add_u32 s0, s0, 8
	s_addc_u32 s1, s1, 0
	s_add_i32 s4, s4, -1
	v_add_u32_e32 v3, v1, v3
	v_lshrrev_b32_e32 v4, s5, v3
	v_mul_lo_u32 v3, v4, s6
	s_cmp_lg_u32 s4, 0
	v_sub_u32_e32 v3, v1, v3
	v_mad_u64_u32 v[0:1], s[6:7], v3, s8, v[0:1]
	v_mad_u64_u32 v[2:3], s[6:7], v3, s9, v[2:3]
	v_mov_b32_e32 v1, v4
	s_cbranch_scc1 .LBB65_292
.LBB65_293:
	s_cbranch_execnz .LBB65_296
.LBB65_294:
	s_waitcnt lgkmcnt(0)
	v_mul_hi_u32 v0, s25, v7
	s_andn2_b64 vcc, exec, s[42:43]
	v_add_u32_e32 v0, v7, v0
	v_lshrrev_b32_e32 v1, s26, v0
	v_mul_lo_u32 v0, v1, s24
	v_sub_u32_e32 v2, v7, v0
	v_mul_lo_u32 v0, v2, s20
	v_mul_lo_u32 v2, v2, s21
	s_cbranch_vccnz .LBB65_296
; %bb.295:
	v_mul_hi_u32 v3, s40, v1
	v_add_u32_e32 v3, v1, v3
	v_lshrrev_b32_e32 v3, s41, v3
	v_mul_lo_u32 v3, v3, s27
	v_sub_u32_e32 v3, v1, v3
	v_mad_u64_u32 v[0:1], s[0:1], v3, s22, v[0:1]
	v_mad_u64_u32 v[2:3], s[0:1], v3, s23, v[2:3]
.LBB65_296:
	s_waitcnt lgkmcnt(0)
	global_load_ushort v2, v2, s[18:19]
	v_mov_b32_e32 v3, 0
	s_waitcnt vmcnt(0)
	v_cvt_f32_f16_e32 v1, v2
	v_cmp_gt_f16_e32 vcc, 0.5, v2
	v_mov_b32_e32 v2, 1.0
	s_and_saveexec_b64 s[6:7], vcc
	s_cbranch_execz .LBB65_302
; %bb.297:
	v_mul_f32_e32 v2, 0x40490fdb, v1
	s_brev_b32 s0, 18
	v_and_b32_e32 v3, 0x7fffffff, v2
	v_cmp_nlt_f32_e64 s[0:1], |v2|, s0
                                        ; implicit-def: $vgpr4
                                        ; implicit-def: $vgpr5
	s_and_saveexec_b64 s[2:3], s[0:1]
	s_xor_b64 s[8:9], exec, s[2:3]
	s_cbranch_execz .LBB65_299
; %bb.298:
	v_and_b32_e32 v4, 0x7fffff, v3
	v_or_b32_e32 v14, 0x800000, v4
	s_mov_b32 s0, 0xfe5163ab
	v_mad_u64_u32 v[4:5], s[0:1], v14, s0, 0
	v_mov_b32_e32 v6, 0
	s_mov_b32 s0, 0x3c439041
	v_mad_u64_u32 v[8:9], s[0:1], v14, s0, v[5:6]
	s_mov_b32 s0, 0xdb629599
	v_not_b32_e32 v13, 63
	v_mov_b32_e32 v5, v9
	v_mad_u64_u32 v[9:10], s[0:1], v14, s0, v[5:6]
	s_mov_b32 s0, 0xf534ddc0
	v_not_b32_e32 v16, 31
	v_mov_b32_e32 v5, v10
	v_mad_u64_u32 v[10:11], s[0:1], v14, s0, v[5:6]
	v_lshrrev_b32_e32 v5, 23, v3
	v_add_u32_e32 v15, 0xffffff88, v5
	v_mov_b32_e32 v5, v11
	s_mov_b32 s0, 0xfc2757d1
	v_mad_u64_u32 v[11:12], s[0:1], v14, s0, v[5:6]
	v_cmp_lt_u32_e32 vcc, 63, v15
	v_cndmask_b32_e32 v5, 0, v13, vcc
	v_add_u32_e32 v15, v5, v15
	v_mov_b32_e32 v5, v12
	s_mov_b32 s0, 0x4e441529
	v_mad_u64_u32 v[12:13], s[0:1], v14, s0, v[5:6]
	v_cmp_lt_u32_e64 s[0:1], 31, v15
	v_cndmask_b32_e64 v5, 0, v16, s[0:1]
	v_add_u32_e32 v15, v5, v15
	v_mov_b32_e32 v5, v13
	s_mov_b32 s2, 0xa2f9836e
	v_mad_u64_u32 v[5:6], s[2:3], v14, s2, v[5:6]
	v_cmp_lt_u32_e64 s[2:3], 31, v15
	v_cndmask_b32_e64 v13, 0, v16, s[2:3]
	v_cndmask_b32_e32 v14, v12, v10, vcc
	v_cndmask_b32_e32 v5, v5, v11, vcc
	;; [unrolled: 1-line block ×3, first 2 shown]
	v_add_u32_e32 v13, v13, v15
	v_cndmask_b32_e64 v15, v5, v14, s[0:1]
	v_cndmask_b32_e64 v5, v6, v5, s[0:1]
	v_cndmask_b32_e32 v6, v11, v9, vcc
	v_cndmask_b32_e64 v11, v14, v6, s[0:1]
	v_cndmask_b32_e64 v5, v5, v15, s[2:3]
	;; [unrolled: 1-line block ×3, first 2 shown]
	v_sub_u32_e32 v14, 32, v13
	v_alignbit_b32 v15, v5, v12, v14
	v_cmp_eq_u32_e64 s[4:5], 0, v13
	v_cndmask_b32_e64 v13, v15, v5, s[4:5]
	v_cndmask_b32_e32 v5, v10, v8, vcc
	v_cndmask_b32_e64 v6, v6, v5, s[0:1]
	v_cndmask_b32_e64 v8, v11, v6, s[2:3]
	v_alignbit_b32 v10, v12, v8, v14
	v_cndmask_b32_e32 v4, v9, v4, vcc
	v_cndmask_b32_e64 v10, v10, v12, s[4:5]
	v_bfe_u32 v15, v13, 29, 1
	v_cndmask_b32_e64 v4, v5, v4, s[0:1]
	v_alignbit_b32 v11, v13, v10, 30
	v_sub_u32_e32 v16, 0, v15
	v_cndmask_b32_e64 v4, v6, v4, s[2:3]
	v_xor_b32_e32 v11, v11, v16
	v_alignbit_b32 v5, v8, v4, v14
	v_cndmask_b32_e64 v5, v5, v8, s[4:5]
	v_ffbh_u32_e32 v8, v11
	v_alignbit_b32 v6, v10, v5, 30
	v_min_u32_e32 v8, 32, v8
	v_alignbit_b32 v4, v5, v4, 30
	v_xor_b32_e32 v6, v6, v16
	v_sub_u32_e32 v9, 31, v8
	v_xor_b32_e32 v4, v4, v16
	v_alignbit_b32 v10, v11, v6, v9
	v_alignbit_b32 v4, v6, v4, v9
	;; [unrolled: 1-line block ×3, first 2 shown]
	v_ffbh_u32_e32 v6, v5
	v_min_u32_e32 v6, 32, v6
	v_lshrrev_b32_e32 v12, 29, v13
	v_not_b32_e32 v9, v6
	v_alignbit_b32 v4, v5, v4, v9
	v_lshlrev_b32_e32 v5, 31, v12
	v_or_b32_e32 v9, 0x33000000, v5
	v_add_lshl_u32 v6, v6, v8, 23
	v_lshrrev_b32_e32 v4, 9, v4
	v_sub_u32_e32 v6, v9, v6
	v_or_b32_e32 v5, 0.5, v5
	v_lshlrev_b32_e32 v8, 23, v8
	v_or_b32_e32 v4, v6, v4
	v_lshrrev_b32_e32 v6, 9, v10
	v_sub_u32_e32 v5, v5, v8
	v_or_b32_e32 v5, v6, v5
	s_mov_b32 s0, 0x3fc90fda
	v_mul_f32_e32 v6, 0x3fc90fda, v5
	v_fma_f32 v8, v5, s0, -v6
	v_fmac_f32_e32 v8, 0x33a22168, v5
	v_fmac_f32_e32 v8, 0x3fc90fda, v4
	v_lshrrev_b32_e32 v4, 30, v13
	v_add_f32_e32 v5, v6, v8
	v_add_u32_e32 v4, v15, v4
.LBB65_299:
	s_andn2_saveexec_b64 s[0:1], s[8:9]
	s_cbranch_execz .LBB65_301
; %bb.300:
	s_mov_b32 s2, 0x3f22f983
	v_mul_f32_e64 v4, |v2|, s2
	v_rndne_f32_e32 v6, v4
	s_mov_b32 s2, 0xbfc90fda
	v_cvt_i32_f32_e32 v4, v6
	v_fma_f32 v5, v6, s2, |v2|
	v_fmac_f32_e32 v5, 0xb3a22168, v6
	v_fmac_f32_e32 v5, 0xa7c234c4, v6
.LBB65_301:
	s_or_b64 exec, exec, s[0:1]
	v_mul_f32_e32 v6, v5, v5
	v_mov_b32_e32 v8, 0x3c0881c4
	v_fmac_f32_e32 v8, 0xb94c1982, v6
	v_mov_b32_e32 v9, 0xbe2aaa9d
	v_fmac_f32_e32 v9, v6, v8
	v_mul_f32_e32 v8, v6, v9
	v_fmac_f32_e32 v5, v5, v8
	v_mov_b32_e32 v8, 0xbab64f3b
	v_fmac_f32_e32 v8, 0x37d75334, v6
	v_mov_b32_e32 v9, 0x3d2aabf7
	v_fmac_f32_e32 v9, v6, v8
	v_mov_b32_e32 v8, 0xbf000004
	v_fmac_f32_e32 v8, v6, v9
	v_fma_f32 v6, v6, v8, 1.0
	v_and_b32_e32 v8, 1, v4
	v_lshlrev_b32_e32 v4, 30, v4
	v_cmp_eq_u32_e32 vcc, 0, v8
	v_and_b32_e32 v4, 0x80000000, v4
	v_xor_b32_e32 v3, v3, v2
	v_cndmask_b32_e32 v5, v6, v5, vcc
	v_xor_b32_e32 v3, v3, v4
	s_movk_i32 s0, 0x1f8
	v_xor_b32_e32 v3, v3, v5
	v_mov_b32_e32 v4, 0x7fc00000
	v_cmp_class_f32_e64 vcc, v2, s0
	v_cndmask_b32_e32 v2, v4, v3, vcc
	v_mul_f32_e32 v2, v2, v2
	s_mov_b32 s2, 0xc11de9e7
	v_div_scale_f32 v3, s[0:1], v2, v2, s2
	v_div_scale_f32 v4, vcc, s2, v2, s2
	v_sub_f32_e32 v1, 1.0, v1
	v_rcp_f32_e32 v5, v3
	v_fma_f32 v6, -v3, v5, 1.0
	v_fmac_f32_e32 v5, v6, v5
	v_mul_f32_e32 v6, v4, v5
	v_fma_f32 v8, -v3, v6, v4
	v_fmac_f32_e32 v6, v8, v5
	v_fma_f32 v3, -v3, v6, v4
	v_div_fmas_f32 v3, v3, v5, v6
	v_div_fixup_f32 v2, v3, v2, s2
	v_add_f32_e32 v3, 0, v2
	v_mov_b32_e32 v2, -1.0
.LBB65_302:
	s_or_b64 exec, exec, s[6:7]
	v_mul_f32_e32 v4, v1, v1
	v_div_scale_f32 v6, s[0:1], v4, v4, 1.0
	v_add_f32_e32 v5, 1.0, v1
	v_mul_f32_e32 v1, v5, v5
	v_div_scale_f32 v9, s[0:1], v1, v1, 1.0
	v_div_scale_f32 v8, vcc, 1.0, v4, 1.0
	v_add_f32_e32 v10, 1.0, v5
	v_div_scale_f32 v11, s[0:1], 1.0, v1, 1.0
	v_mul_f32_e32 v5, v10, v10
	v_div_scale_f32 v12, s[2:3], v5, v5, 1.0
	v_div_scale_f32 v15, s[2:3], 1.0, v5, 1.0
	v_rcp_f32_e32 v13, v6
	v_add_f32_e32 v10, 1.0, v10
	v_add_u32_e32 v7, 0x80, v7
	v_rcp_f32_e32 v14, v9
	v_fma_f32 v16, -v6, v13, 1.0
	v_fmac_f32_e32 v13, v16, v13
	v_mul_f32_e32 v17, v8, v13
	v_fma_f32 v18, -v6, v17, v8
	v_fma_f32 v16, -v9, v14, 1.0
	v_fmac_f32_e32 v17, v18, v13
	v_fma_f32 v6, -v6, v17, v8
	v_fmac_f32_e32 v14, v16, v14
	v_div_fmas_f32 v6, v6, v13, v17
	v_mul_f32_e32 v13, v11, v14
	v_fma_f32 v8, -v9, v13, v11
	v_rcp_f32_e32 v16, v12
	v_fmac_f32_e32 v13, v8, v14
	v_mul_f32_e32 v8, v10, v10
	v_div_scale_f32 v17, s[4:5], v8, v8, 1.0
	v_fma_f32 v9, -v9, v13, v11
	v_fma_f32 v11, -v12, v16, 1.0
	v_fmac_f32_e32 v16, v11, v16
	s_mov_b64 vcc, s[0:1]
	v_mul_f32_e32 v11, v15, v16
	v_div_fmas_f32 v9, v9, v14, v13
	v_fma_f32 v13, -v12, v11, v15
	v_fmac_f32_e32 v11, v13, v16
	v_div_scale_f32 v13, s[0:1], 1.0, v8, 1.0
	v_add_f32_e32 v14, 1.0, v10
	v_mul_f32_e32 v10, v14, v14
	v_div_scale_f32 v18, s[4:5], v10, v10, 1.0
	v_fma_f32 v12, -v12, v11, v15
	s_mov_b64 vcc, s[2:3]
	v_div_fmas_f32 v11, v12, v16, v11
	v_div_scale_f32 v12, s[2:3], 1.0, v10, 1.0
	v_rcp_f32_e32 v15, v17
	v_add_f32_e32 v14, 1.0, v14
	v_mul_f32_e32 v19, v14, v14
	v_div_scale_f32 v20, s[4:5], v19, v19, 1.0
	v_fma_f32 v16, -v17, v15, 1.0
	v_fmac_f32_e32 v15, v16, v15
	v_mul_f32_e32 v16, v13, v15
	v_fma_f32 v21, -v17, v16, v13
	v_fmac_f32_e32 v16, v21, v15
	v_rcp_f32_e32 v21, v18
	v_fma_f32 v13, -v17, v16, v13
	s_mov_b64 vcc, s[0:1]
	v_div_fmas_f32 v13, v13, v15, v16
	v_fma_f32 v15, -v18, v21, 1.0
	v_fmac_f32_e32 v21, v15, v21
	v_mul_f32_e32 v15, v12, v21
	v_fma_f32 v16, -v18, v15, v12
	v_fmac_f32_e32 v15, v16, v21
	v_div_scale_f32 v16, s[0:1], 1.0, v19, 1.0
	v_add_f32_e32 v14, 1.0, v14
	v_mul_f32_e32 v22, v14, v14
	v_div_scale_f32 v23, s[4:5], v22, v22, 1.0
	v_rcp_f32_e32 v17, v20
	v_fma_f32 v12, -v18, v15, v12
	s_mov_b64 vcc, s[2:3]
	v_div_scale_f32 v18, s[2:3], 1.0, v22, 1.0
	v_div_fmas_f32 v12, v12, v21, v15
	v_add_f32_e32 v21, v14, v14
	v_div_scale_f32 v24, s[4:5], v21, v21, 1.0
	v_fma_f32 v15, -v20, v17, 1.0
	v_fmac_f32_e32 v17, v15, v17
	v_mul_f32_e32 v15, v16, v17
	v_fma_f32 v25, -v20, v15, v16
	v_fmac_f32_e32 v15, v25, v17
	v_div_scale_f32 v25, s[4:5], 1.0, v21, 1.0
	v_rcp_f32_e32 v26, v23
	v_fma_f32 v16, -v20, v15, v16
	s_mov_b64 vcc, s[0:1]
	v_div_fmas_f32 v15, v16, v17, v15
	v_fma_f32 v16, -v23, v26, 1.0
	v_fmac_f32_e32 v26, v16, v26
	v_mul_f32_e32 v16, v18, v26
	v_fma_f32 v17, -v23, v16, v18
	v_fmac_f32_e32 v16, v17, v26
	v_rcp_f32_e32 v17, v24
	v_fma_f32 v18, -v23, v16, v18
	s_mov_b64 vcc, s[2:3]
	v_div_fmas_f32 v16, v18, v26, v16
	v_fma_f32 v18, -v24, v17, 1.0
	v_fmac_f32_e32 v17, v18, v17
	v_mul_f32_e32 v18, v25, v17
	v_fma_f32 v20, -v24, v18, v25
	v_fmac_f32_e32 v18, v20, v17
	v_fma_f32 v20, -v24, v18, v25
	s_mov_b64 vcc, s[4:5]
	v_div_fmas_f32 v17, v20, v17, v18
	v_mov_b32_e32 v18, 0x3d088889
	s_mov_b32 s0, 0x3e2aaaab
	v_div_fixup_f32 v4, v6, v4, 1.0
	v_add_f32_e32 v3, v3, v4
	v_div_fixup_f32 v1, v9, v1, 1.0
	v_add_f32_e32 v1, v3, v1
	v_div_fixup_f32 v3, v11, v5, 1.0
	v_div_fixup_f32 v16, v16, v22, 1.0
	v_fmac_f32_e32 v18, 0xbcc30c31, v16
	v_fma_f32 v18, -v16, v18, s0
	v_add_f32_e32 v1, v1, v3
	v_div_fixup_f32 v3, v13, v8, 1.0
	v_add_f32_e32 v1, v1, v3
	v_div_fixup_f32 v3, v12, v10, 1.0
	;; [unrolled: 2-line block ×3, first 2 shown]
	v_add_f32_e32 v17, 1.0, v17
	v_fmac_f32_e32 v17, v16, v18
	v_div_scale_f32 v16, s[0:1], v14, v14, v17
	v_div_scale_f32 v18, vcc, v17, v14, v17
	v_div_fixup_f32 v3, v15, v19, 1.0
	v_add_f32_e32 v1, v1, v3
	v_rcp_f32_e32 v20, v16
	v_fma_f32 v21, -v16, v20, 1.0
	v_fmac_f32_e32 v20, v21, v20
	v_mul_f32_e32 v21, v18, v20
	v_fma_f32 v22, -v16, v21, v18
	v_fmac_f32_e32 v21, v22, v20
	v_fma_f32 v16, -v16, v21, v18
	v_div_fmas_f32 v16, v16, v20, v21
	v_div_fixup_f32 v3, v16, v14, v17
	v_add_f32_e32 v1, v1, v3
	v_fma_mixlo_f16 v1, v2, v1, 0
	global_store_short v0, v1, s[16:17]
	s_or_b64 exec, exec, s[48:49]
	v_cmp_gt_i32_e32 vcc, s55, v7
	s_and_saveexec_b64 s[48:49], vcc
	s_cbranch_execnz .LBB65_282
.LBB65_303:
	s_or_b64 exec, exec, s[48:49]
	v_cmp_gt_i32_e32 vcc, s55, v7
	s_and_saveexec_b64 s[48:49], vcc
	s_cbranch_execnz .LBB65_320
.LBB65_304:
	s_or_b64 exec, exec, s[48:49]
                                        ; implicit-def: $vgpr18
                                        ; implicit-def: $vgpr7
	s_andn2_saveexec_b64 s[0:1], s[38:39]
	s_cbranch_execnz .LBB65_8
.LBB65_305:
	s_endpgm
.LBB65_306:
	s_mov_b32 s57, 0
	v_mov_b32_e32 v0, 0
	v_mov_b32_e32 v2, 0
	;; [unrolled: 1-line block ×3, first 2 shown]
.LBB65_307:
	s_and_b32 s4, s58, 3
	s_cmp_eq_u32 s4, 0
	s_cbranch_scc1 .LBB65_310
; %bb.308:
	s_lshl_b32 s0, s57, 3
	s_add_u32 s0, s34, s0
	s_addc_u32 s1, s35, 0
	s_add_u32 s0, s0, 0xc4
	s_addc_u32 s1, s1, 0
	s_mul_i32 s2, s57, 12
	s_add_u32 s2, s34, s2
	s_addc_u32 s3, s35, 0
.LBB65_309:                             ; =>This Inner Loop Header: Depth=1
	s_load_dwordx2 s[6:7], s[2:3], 0x4
	s_load_dword s5, s[2:3], 0xc
	s_load_dwordx2 s[8:9], s[0:1], 0x0
	s_add_u32 s2, s2, 12
	s_addc_u32 s3, s3, 0
	s_waitcnt lgkmcnt(0)
	v_mul_hi_u32 v3, s7, v1
	s_add_u32 s0, s0, 8
	s_addc_u32 s1, s1, 0
	s_add_i32 s4, s4, -1
	v_add_u32_e32 v3, v1, v3
	v_lshrrev_b32_e32 v4, s5, v3
	v_mul_lo_u32 v3, v4, s6
	s_cmp_lg_u32 s4, 0
	v_sub_u32_e32 v3, v1, v3
	v_mad_u64_u32 v[0:1], s[6:7], v3, s8, v[0:1]
	v_mad_u64_u32 v[2:3], s[6:7], v3, s9, v[2:3]
	v_mov_b32_e32 v1, v4
	s_cbranch_scc1 .LBB65_309
.LBB65_310:
	s_cbranch_execnz .LBB65_313
.LBB65_311:
	s_waitcnt lgkmcnt(0)
	v_mul_hi_u32 v0, s25, v7
	s_andn2_b64 vcc, exec, s[42:43]
	v_add_u32_e32 v0, v7, v0
	v_lshrrev_b32_e32 v1, s26, v0
	v_mul_lo_u32 v0, v1, s24
	v_sub_u32_e32 v2, v7, v0
	v_mul_lo_u32 v0, v2, s20
	v_mul_lo_u32 v2, v2, s21
	s_cbranch_vccnz .LBB65_313
; %bb.312:
	v_mul_hi_u32 v3, s40, v1
	v_add_u32_e32 v3, v1, v3
	v_lshrrev_b32_e32 v3, s41, v3
	v_mul_lo_u32 v3, v3, s27
	v_sub_u32_e32 v3, v1, v3
	v_mad_u64_u32 v[0:1], s[0:1], v3, s22, v[0:1]
	v_mad_u64_u32 v[2:3], s[0:1], v3, s23, v[2:3]
.LBB65_313:
	s_waitcnt lgkmcnt(0)
	global_load_ushort v2, v2, s[18:19]
	v_mov_b32_e32 v3, 0
	s_waitcnt vmcnt(0)
	v_cvt_f32_f16_e32 v1, v2
	v_cmp_gt_f16_e32 vcc, 0.5, v2
	v_mov_b32_e32 v2, 1.0
	s_and_saveexec_b64 s[6:7], vcc
	s_cbranch_execz .LBB65_319
; %bb.314:
	v_mul_f32_e32 v2, 0x40490fdb, v1
	s_brev_b32 s0, 18
	v_and_b32_e32 v3, 0x7fffffff, v2
	v_cmp_nlt_f32_e64 s[0:1], |v2|, s0
                                        ; implicit-def: $vgpr4
                                        ; implicit-def: $vgpr5
	s_and_saveexec_b64 s[2:3], s[0:1]
	s_xor_b64 s[8:9], exec, s[2:3]
	s_cbranch_execz .LBB65_316
; %bb.315:
	v_and_b32_e32 v4, 0x7fffff, v3
	v_or_b32_e32 v14, 0x800000, v4
	s_mov_b32 s0, 0xfe5163ab
	v_mad_u64_u32 v[4:5], s[0:1], v14, s0, 0
	v_mov_b32_e32 v6, 0
	s_mov_b32 s0, 0x3c439041
	v_mad_u64_u32 v[8:9], s[0:1], v14, s0, v[5:6]
	s_mov_b32 s0, 0xdb629599
	v_not_b32_e32 v13, 63
	v_mov_b32_e32 v5, v9
	v_mad_u64_u32 v[9:10], s[0:1], v14, s0, v[5:6]
	s_mov_b32 s0, 0xf534ddc0
	v_not_b32_e32 v16, 31
	v_mov_b32_e32 v5, v10
	v_mad_u64_u32 v[10:11], s[0:1], v14, s0, v[5:6]
	v_lshrrev_b32_e32 v5, 23, v3
	v_add_u32_e32 v15, 0xffffff88, v5
	v_mov_b32_e32 v5, v11
	s_mov_b32 s0, 0xfc2757d1
	v_mad_u64_u32 v[11:12], s[0:1], v14, s0, v[5:6]
	v_cmp_lt_u32_e32 vcc, 63, v15
	v_cndmask_b32_e32 v5, 0, v13, vcc
	v_add_u32_e32 v15, v5, v15
	v_mov_b32_e32 v5, v12
	s_mov_b32 s0, 0x4e441529
	v_mad_u64_u32 v[12:13], s[0:1], v14, s0, v[5:6]
	v_cmp_lt_u32_e64 s[0:1], 31, v15
	v_cndmask_b32_e64 v5, 0, v16, s[0:1]
	v_add_u32_e32 v15, v5, v15
	v_mov_b32_e32 v5, v13
	s_mov_b32 s2, 0xa2f9836e
	v_mad_u64_u32 v[5:6], s[2:3], v14, s2, v[5:6]
	v_cmp_lt_u32_e64 s[2:3], 31, v15
	v_cndmask_b32_e64 v13, 0, v16, s[2:3]
	v_cndmask_b32_e32 v14, v12, v10, vcc
	v_cndmask_b32_e32 v5, v5, v11, vcc
	;; [unrolled: 1-line block ×3, first 2 shown]
	v_add_u32_e32 v13, v13, v15
	v_cndmask_b32_e64 v15, v5, v14, s[0:1]
	v_cndmask_b32_e64 v5, v6, v5, s[0:1]
	v_cndmask_b32_e32 v6, v11, v9, vcc
	v_cndmask_b32_e64 v11, v14, v6, s[0:1]
	v_cndmask_b32_e64 v5, v5, v15, s[2:3]
	;; [unrolled: 1-line block ×3, first 2 shown]
	v_sub_u32_e32 v14, 32, v13
	v_alignbit_b32 v15, v5, v12, v14
	v_cmp_eq_u32_e64 s[4:5], 0, v13
	v_cndmask_b32_e64 v13, v15, v5, s[4:5]
	v_cndmask_b32_e32 v5, v10, v8, vcc
	v_cndmask_b32_e64 v6, v6, v5, s[0:1]
	v_cndmask_b32_e64 v8, v11, v6, s[2:3]
	v_alignbit_b32 v10, v12, v8, v14
	v_cndmask_b32_e32 v4, v9, v4, vcc
	v_cndmask_b32_e64 v10, v10, v12, s[4:5]
	v_bfe_u32 v15, v13, 29, 1
	v_cndmask_b32_e64 v4, v5, v4, s[0:1]
	v_alignbit_b32 v11, v13, v10, 30
	v_sub_u32_e32 v16, 0, v15
	v_cndmask_b32_e64 v4, v6, v4, s[2:3]
	v_xor_b32_e32 v11, v11, v16
	v_alignbit_b32 v5, v8, v4, v14
	v_cndmask_b32_e64 v5, v5, v8, s[4:5]
	v_ffbh_u32_e32 v8, v11
	v_alignbit_b32 v6, v10, v5, 30
	v_min_u32_e32 v8, 32, v8
	v_alignbit_b32 v4, v5, v4, 30
	v_xor_b32_e32 v6, v6, v16
	v_sub_u32_e32 v9, 31, v8
	v_xor_b32_e32 v4, v4, v16
	v_alignbit_b32 v10, v11, v6, v9
	v_alignbit_b32 v4, v6, v4, v9
	;; [unrolled: 1-line block ×3, first 2 shown]
	v_ffbh_u32_e32 v6, v5
	v_min_u32_e32 v6, 32, v6
	v_lshrrev_b32_e32 v12, 29, v13
	v_not_b32_e32 v9, v6
	v_alignbit_b32 v4, v5, v4, v9
	v_lshlrev_b32_e32 v5, 31, v12
	v_or_b32_e32 v9, 0x33000000, v5
	v_add_lshl_u32 v6, v6, v8, 23
	v_lshrrev_b32_e32 v4, 9, v4
	v_sub_u32_e32 v6, v9, v6
	v_or_b32_e32 v5, 0.5, v5
	v_lshlrev_b32_e32 v8, 23, v8
	v_or_b32_e32 v4, v6, v4
	v_lshrrev_b32_e32 v6, 9, v10
	v_sub_u32_e32 v5, v5, v8
	v_or_b32_e32 v5, v6, v5
	s_mov_b32 s0, 0x3fc90fda
	v_mul_f32_e32 v6, 0x3fc90fda, v5
	v_fma_f32 v8, v5, s0, -v6
	v_fmac_f32_e32 v8, 0x33a22168, v5
	v_fmac_f32_e32 v8, 0x3fc90fda, v4
	v_lshrrev_b32_e32 v4, 30, v13
	v_add_f32_e32 v5, v6, v8
	v_add_u32_e32 v4, v15, v4
.LBB65_316:
	s_andn2_saveexec_b64 s[0:1], s[8:9]
	s_cbranch_execz .LBB65_318
; %bb.317:
	s_mov_b32 s2, 0x3f22f983
	v_mul_f32_e64 v4, |v2|, s2
	v_rndne_f32_e32 v6, v4
	s_mov_b32 s2, 0xbfc90fda
	v_cvt_i32_f32_e32 v4, v6
	v_fma_f32 v5, v6, s2, |v2|
	v_fmac_f32_e32 v5, 0xb3a22168, v6
	v_fmac_f32_e32 v5, 0xa7c234c4, v6
.LBB65_318:
	s_or_b64 exec, exec, s[0:1]
	v_mul_f32_e32 v6, v5, v5
	v_mov_b32_e32 v8, 0x3c0881c4
	v_fmac_f32_e32 v8, 0xb94c1982, v6
	v_mov_b32_e32 v9, 0xbe2aaa9d
	v_fmac_f32_e32 v9, v6, v8
	v_mul_f32_e32 v8, v6, v9
	v_fmac_f32_e32 v5, v5, v8
	v_mov_b32_e32 v8, 0xbab64f3b
	v_fmac_f32_e32 v8, 0x37d75334, v6
	v_mov_b32_e32 v9, 0x3d2aabf7
	;; [unrolled: 2-line block ×3, first 2 shown]
	v_fmac_f32_e32 v8, v6, v9
	v_fma_f32 v6, v6, v8, 1.0
	v_and_b32_e32 v8, 1, v4
	v_lshlrev_b32_e32 v4, 30, v4
	v_cmp_eq_u32_e32 vcc, 0, v8
	v_and_b32_e32 v4, 0x80000000, v4
	v_xor_b32_e32 v3, v3, v2
	v_cndmask_b32_e32 v5, v6, v5, vcc
	v_xor_b32_e32 v3, v3, v4
	s_movk_i32 s0, 0x1f8
	v_xor_b32_e32 v3, v3, v5
	v_mov_b32_e32 v4, 0x7fc00000
	v_cmp_class_f32_e64 vcc, v2, s0
	v_cndmask_b32_e32 v2, v4, v3, vcc
	v_mul_f32_e32 v2, v2, v2
	s_mov_b32 s2, 0xc11de9e7
	v_div_scale_f32 v3, s[0:1], v2, v2, s2
	v_div_scale_f32 v4, vcc, s2, v2, s2
	v_sub_f32_e32 v1, 1.0, v1
	v_rcp_f32_e32 v5, v3
	v_fma_f32 v6, -v3, v5, 1.0
	v_fmac_f32_e32 v5, v6, v5
	v_mul_f32_e32 v6, v4, v5
	v_fma_f32 v8, -v3, v6, v4
	v_fmac_f32_e32 v6, v8, v5
	v_fma_f32 v3, -v3, v6, v4
	v_div_fmas_f32 v3, v3, v5, v6
	v_div_fixup_f32 v2, v3, v2, s2
	v_add_f32_e32 v3, 0, v2
	v_mov_b32_e32 v2, -1.0
.LBB65_319:
	s_or_b64 exec, exec, s[6:7]
	v_mul_f32_e32 v4, v1, v1
	v_div_scale_f32 v6, s[0:1], v4, v4, 1.0
	v_add_f32_e32 v5, 1.0, v1
	v_mul_f32_e32 v1, v5, v5
	v_div_scale_f32 v9, s[0:1], v1, v1, 1.0
	v_div_scale_f32 v8, vcc, 1.0, v4, 1.0
	v_add_f32_e32 v10, 1.0, v5
	v_div_scale_f32 v11, s[0:1], 1.0, v1, 1.0
	v_mul_f32_e32 v5, v10, v10
	v_div_scale_f32 v12, s[2:3], v5, v5, 1.0
	v_div_scale_f32 v15, s[2:3], 1.0, v5, 1.0
	v_rcp_f32_e32 v13, v6
	v_add_f32_e32 v10, 1.0, v10
	v_add_u32_e32 v7, 0x80, v7
	v_rcp_f32_e32 v14, v9
	v_fma_f32 v16, -v6, v13, 1.0
	v_fmac_f32_e32 v13, v16, v13
	v_mul_f32_e32 v17, v8, v13
	v_fma_f32 v18, -v6, v17, v8
	v_fma_f32 v16, -v9, v14, 1.0
	v_fmac_f32_e32 v17, v18, v13
	v_fma_f32 v6, -v6, v17, v8
	v_fmac_f32_e32 v14, v16, v14
	v_div_fmas_f32 v6, v6, v13, v17
	v_mul_f32_e32 v13, v11, v14
	v_fma_f32 v8, -v9, v13, v11
	v_rcp_f32_e32 v16, v12
	v_fmac_f32_e32 v13, v8, v14
	v_mul_f32_e32 v8, v10, v10
	v_div_scale_f32 v17, s[4:5], v8, v8, 1.0
	v_fma_f32 v9, -v9, v13, v11
	v_fma_f32 v11, -v12, v16, 1.0
	v_fmac_f32_e32 v16, v11, v16
	s_mov_b64 vcc, s[0:1]
	v_mul_f32_e32 v11, v15, v16
	v_div_fmas_f32 v9, v9, v14, v13
	v_fma_f32 v13, -v12, v11, v15
	v_fmac_f32_e32 v11, v13, v16
	v_div_scale_f32 v13, s[0:1], 1.0, v8, 1.0
	v_add_f32_e32 v14, 1.0, v10
	v_mul_f32_e32 v10, v14, v14
	v_div_scale_f32 v18, s[4:5], v10, v10, 1.0
	v_fma_f32 v12, -v12, v11, v15
	s_mov_b64 vcc, s[2:3]
	v_div_fmas_f32 v11, v12, v16, v11
	v_div_scale_f32 v12, s[2:3], 1.0, v10, 1.0
	v_rcp_f32_e32 v15, v17
	v_add_f32_e32 v14, 1.0, v14
	v_mul_f32_e32 v19, v14, v14
	v_div_scale_f32 v20, s[4:5], v19, v19, 1.0
	v_fma_f32 v16, -v17, v15, 1.0
	v_fmac_f32_e32 v15, v16, v15
	v_mul_f32_e32 v16, v13, v15
	v_fma_f32 v21, -v17, v16, v13
	v_fmac_f32_e32 v16, v21, v15
	v_rcp_f32_e32 v21, v18
	v_fma_f32 v13, -v17, v16, v13
	s_mov_b64 vcc, s[0:1]
	v_div_fmas_f32 v13, v13, v15, v16
	v_fma_f32 v15, -v18, v21, 1.0
	v_fmac_f32_e32 v21, v15, v21
	v_mul_f32_e32 v15, v12, v21
	v_fma_f32 v16, -v18, v15, v12
	v_fmac_f32_e32 v15, v16, v21
	v_div_scale_f32 v16, s[0:1], 1.0, v19, 1.0
	v_add_f32_e32 v14, 1.0, v14
	v_mul_f32_e32 v22, v14, v14
	v_div_scale_f32 v23, s[4:5], v22, v22, 1.0
	v_rcp_f32_e32 v17, v20
	v_fma_f32 v12, -v18, v15, v12
	s_mov_b64 vcc, s[2:3]
	v_div_scale_f32 v18, s[2:3], 1.0, v22, 1.0
	v_div_fmas_f32 v12, v12, v21, v15
	v_add_f32_e32 v21, v14, v14
	v_div_scale_f32 v24, s[4:5], v21, v21, 1.0
	v_fma_f32 v15, -v20, v17, 1.0
	v_fmac_f32_e32 v17, v15, v17
	v_mul_f32_e32 v15, v16, v17
	v_fma_f32 v25, -v20, v15, v16
	v_fmac_f32_e32 v15, v25, v17
	v_div_scale_f32 v25, s[4:5], 1.0, v21, 1.0
	v_rcp_f32_e32 v26, v23
	v_fma_f32 v16, -v20, v15, v16
	s_mov_b64 vcc, s[0:1]
	v_div_fmas_f32 v15, v16, v17, v15
	v_fma_f32 v16, -v23, v26, 1.0
	v_fmac_f32_e32 v26, v16, v26
	v_mul_f32_e32 v16, v18, v26
	v_fma_f32 v17, -v23, v16, v18
	v_fmac_f32_e32 v16, v17, v26
	v_rcp_f32_e32 v17, v24
	v_fma_f32 v18, -v23, v16, v18
	s_mov_b64 vcc, s[2:3]
	v_div_fmas_f32 v16, v18, v26, v16
	v_fma_f32 v18, -v24, v17, 1.0
	v_fmac_f32_e32 v17, v18, v17
	v_mul_f32_e32 v18, v25, v17
	v_fma_f32 v20, -v24, v18, v25
	v_fmac_f32_e32 v18, v20, v17
	v_fma_f32 v20, -v24, v18, v25
	s_mov_b64 vcc, s[4:5]
	v_div_fmas_f32 v17, v20, v17, v18
	v_mov_b32_e32 v18, 0x3d088889
	s_mov_b32 s0, 0x3e2aaaab
	v_div_fixup_f32 v4, v6, v4, 1.0
	v_add_f32_e32 v3, v3, v4
	v_div_fixup_f32 v1, v9, v1, 1.0
	v_add_f32_e32 v1, v3, v1
	v_div_fixup_f32 v3, v11, v5, 1.0
	v_div_fixup_f32 v16, v16, v22, 1.0
	v_fmac_f32_e32 v18, 0xbcc30c31, v16
	v_fma_f32 v18, -v16, v18, s0
	v_add_f32_e32 v1, v1, v3
	v_div_fixup_f32 v3, v13, v8, 1.0
	v_add_f32_e32 v1, v1, v3
	v_div_fixup_f32 v3, v12, v10, 1.0
	;; [unrolled: 2-line block ×3, first 2 shown]
	v_add_f32_e32 v17, 1.0, v17
	v_fmac_f32_e32 v17, v16, v18
	v_div_scale_f32 v16, s[0:1], v14, v14, v17
	v_div_scale_f32 v18, vcc, v17, v14, v17
	v_div_fixup_f32 v3, v15, v19, 1.0
	v_add_f32_e32 v1, v1, v3
	v_rcp_f32_e32 v20, v16
	v_fma_f32 v21, -v16, v20, 1.0
	v_fmac_f32_e32 v20, v21, v20
	v_mul_f32_e32 v21, v18, v20
	v_fma_f32 v22, -v16, v21, v18
	v_fmac_f32_e32 v21, v22, v20
	v_fma_f32 v16, -v16, v21, v18
	v_div_fmas_f32 v16, v16, v20, v21
	v_div_fixup_f32 v3, v16, v14, v17
	v_add_f32_e32 v1, v1, v3
	v_fma_mixlo_f16 v1, v2, v1, 0
	global_store_short v0, v1, s[16:17]
	s_or_b64 exec, exec, s[48:49]
	v_cmp_gt_i32_e32 vcc, s55, v7
	s_and_saveexec_b64 s[48:49], vcc
	s_cbranch_execz .LBB65_304
.LBB65_320:
	s_andn2_b64 vcc, exec, s[36:37]
	s_cbranch_vccnz .LBB65_325
; %bb.321:
	s_andn2_b64 vcc, exec, s[46:47]
	s_cbranch_vccnz .LBB65_326
; %bb.322:
	s_add_i32 s56, s56, 1
	s_cmp_eq_u32 s54, 2
	s_cbranch_scc1 .LBB65_327
; %bb.323:
	s_and_b32 s50, s56, 28
	v_mov_b32_e32 v2, 0
	s_mov_b32 s51, 0
	s_mov_b64 s[46:47], s[34:35]
	v_mov_b32_e32 v0, 0
	v_mov_b32_e32 v1, v7
.LBB65_324:                             ; =>This Inner Loop Header: Depth=1
	s_load_dwordx8 s[8:15], s[46:47], 0x4
	s_load_dwordx4 s[28:31], s[46:47], 0x24
	s_load_dwordx8 s[0:7], s[44:45], 0x0
	s_add_u32 s46, s46, 48
	s_addc_u32 s47, s47, 0
	s_waitcnt lgkmcnt(0)
	v_mul_hi_u32 v3, s9, v1
	s_add_i32 s51, s51, 4
	s_add_u32 s44, s44, 32
	s_addc_u32 s45, s45, 0
	v_add_u32_e32 v3, v1, v3
	v_lshrrev_b32_e32 v3, s10, v3
	v_mul_lo_u32 v4, v3, s8
	v_mul_hi_u32 v5, s12, v3
	s_cmp_eq_u32 s50, s51
	v_sub_u32_e32 v1, v1, v4
	v_add_u32_e32 v4, v3, v5
	v_mul_lo_u32 v5, v1, s0
	v_mul_lo_u32 v6, v1, s1
	v_lshrrev_b32_e32 v1, s13, v4
	v_mul_lo_u32 v4, v1, s11
	v_mul_hi_u32 v8, s15, v1
	v_sub_u32_e32 v3, v3, v4
	v_add_u32_e32 v4, v1, v8
	v_lshrrev_b32_e32 v4, s28, v4
	v_mul_hi_u32 v9, s30, v4
	v_mul_lo_u32 v10, v4, s14
	v_mul_lo_u32 v8, v3, s2
	;; [unrolled: 1-line block ×3, first 2 shown]
	v_sub_u32_e32 v10, v1, v10
	v_add_u32_e32 v1, v4, v9
	v_lshrrev_b32_e32 v1, s31, v1
	v_mul_lo_u32 v9, v1, s29
	v_mul_lo_u32 v11, v10, s4
	;; [unrolled: 1-line block ×3, first 2 shown]
	v_add3_u32 v0, v5, v0, v8
	v_sub_u32_e32 v4, v4, v9
	v_mul_lo_u32 v9, v4, s6
	v_mul_lo_u32 v4, v4, s7
	v_add3_u32 v2, v6, v2, v3
	v_add3_u32 v0, v11, v0, v9
	;; [unrolled: 1-line block ×3, first 2 shown]
	s_cbranch_scc0 .LBB65_324
	s_branch .LBB65_328
.LBB65_325:
                                        ; implicit-def: $vgpr0
                                        ; implicit-def: $vgpr2
	s_branch .LBB65_332
.LBB65_326:
	v_mov_b32_e32 v0, 0
	v_mov_b32_e32 v2, 0
	s_branch .LBB65_331
.LBB65_327:
	s_mov_b32 s50, 0
	v_mov_b32_e32 v0, 0
	v_mov_b32_e32 v2, 0
	;; [unrolled: 1-line block ×3, first 2 shown]
.LBB65_328:
	s_and_b32 s4, s56, 3
	s_cmp_eq_u32 s4, 0
	s_cbranch_scc1 .LBB65_331
; %bb.329:
	s_lshl_b32 s0, s50, 3
	s_add_u32 s0, s34, s0
	s_addc_u32 s1, s35, 0
	s_add_u32 s0, s0, 0xc4
	s_addc_u32 s1, s1, 0
	s_mul_i32 s2, s50, 12
	s_add_u32 s2, s34, s2
	s_addc_u32 s3, s35, 0
.LBB65_330:                             ; =>This Inner Loop Header: Depth=1
	s_load_dwordx2 s[6:7], s[2:3], 0x4
	s_load_dword s5, s[2:3], 0xc
	s_load_dwordx2 s[8:9], s[0:1], 0x0
	s_add_u32 s2, s2, 12
	s_addc_u32 s3, s3, 0
	s_waitcnt lgkmcnt(0)
	v_mul_hi_u32 v3, s7, v1
	s_add_u32 s0, s0, 8
	s_addc_u32 s1, s1, 0
	s_add_i32 s4, s4, -1
	v_add_u32_e32 v3, v1, v3
	v_lshrrev_b32_e32 v4, s5, v3
	v_mul_lo_u32 v3, v4, s6
	s_cmp_lg_u32 s4, 0
	v_sub_u32_e32 v3, v1, v3
	v_mad_u64_u32 v[0:1], s[6:7], v3, s8, v[0:1]
	v_mad_u64_u32 v[2:3], s[6:7], v3, s9, v[2:3]
	v_mov_b32_e32 v1, v4
	s_cbranch_scc1 .LBB65_330
.LBB65_331:
	s_cbranch_execnz .LBB65_334
.LBB65_332:
	s_waitcnt lgkmcnt(0)
	v_mul_hi_u32 v0, s25, v7
	s_andn2_b64 vcc, exec, s[42:43]
	v_add_u32_e32 v0, v7, v0
	v_lshrrev_b32_e32 v1, s26, v0
	v_mul_lo_u32 v0, v1, s24
	v_sub_u32_e32 v2, v7, v0
	v_mul_lo_u32 v0, v2, s20
	v_mul_lo_u32 v2, v2, s21
	s_cbranch_vccnz .LBB65_334
; %bb.333:
	v_mul_hi_u32 v3, s40, v1
	v_add_u32_e32 v3, v1, v3
	v_lshrrev_b32_e32 v3, s41, v3
	v_mul_lo_u32 v3, v3, s27
	v_sub_u32_e32 v3, v1, v3
	v_mad_u64_u32 v[0:1], s[0:1], v3, s22, v[0:1]
	v_mad_u64_u32 v[2:3], s[0:1], v3, s23, v[2:3]
.LBB65_334:
	s_waitcnt lgkmcnt(0)
	global_load_ushort v2, v2, s[18:19]
	v_mov_b32_e32 v3, 0
	s_waitcnt vmcnt(0)
	v_cvt_f32_f16_e32 v1, v2
	v_cmp_gt_f16_e32 vcc, 0.5, v2
	v_mov_b32_e32 v2, 1.0
	s_and_saveexec_b64 s[6:7], vcc
	s_cbranch_execz .LBB65_340
; %bb.335:
	v_mul_f32_e32 v2, 0x40490fdb, v1
	s_brev_b32 s0, 18
	v_and_b32_e32 v3, 0x7fffffff, v2
	v_cmp_nlt_f32_e64 s[0:1], |v2|, s0
                                        ; implicit-def: $vgpr4
                                        ; implicit-def: $vgpr5
	s_and_saveexec_b64 s[2:3], s[0:1]
	s_xor_b64 s[8:9], exec, s[2:3]
	s_cbranch_execz .LBB65_337
; %bb.336:
	v_and_b32_e32 v4, 0x7fffff, v3
	v_or_b32_e32 v13, 0x800000, v4
	s_mov_b32 s0, 0xfe5163ab
	v_mad_u64_u32 v[4:5], s[0:1], v13, s0, 0
	v_mov_b32_e32 v6, 0
	s_mov_b32 s0, 0x3c439041
	v_mad_u64_u32 v[7:8], s[0:1], v13, s0, v[5:6]
	s_mov_b32 s0, 0xdb629599
	v_not_b32_e32 v12, 63
	v_mov_b32_e32 v5, v8
	v_mad_u64_u32 v[8:9], s[0:1], v13, s0, v[5:6]
	s_mov_b32 s0, 0xf534ddc0
	v_not_b32_e32 v15, 31
	v_mov_b32_e32 v5, v9
	v_mad_u64_u32 v[9:10], s[0:1], v13, s0, v[5:6]
	v_lshrrev_b32_e32 v5, 23, v3
	v_add_u32_e32 v14, 0xffffff88, v5
	v_mov_b32_e32 v5, v10
	s_mov_b32 s0, 0xfc2757d1
	v_mad_u64_u32 v[10:11], s[0:1], v13, s0, v[5:6]
	v_cmp_lt_u32_e32 vcc, 63, v14
	v_cndmask_b32_e32 v5, 0, v12, vcc
	v_add_u32_e32 v14, v5, v14
	v_mov_b32_e32 v5, v11
	s_mov_b32 s0, 0x4e441529
	v_mad_u64_u32 v[11:12], s[0:1], v13, s0, v[5:6]
	v_cmp_lt_u32_e64 s[0:1], 31, v14
	v_cndmask_b32_e64 v5, 0, v15, s[0:1]
	v_add_u32_e32 v14, v5, v14
	v_mov_b32_e32 v5, v12
	s_mov_b32 s2, 0xa2f9836e
	v_mad_u64_u32 v[5:6], s[2:3], v13, s2, v[5:6]
	v_cmp_lt_u32_e64 s[2:3], 31, v14
	v_cndmask_b32_e64 v12, 0, v15, s[2:3]
	v_cndmask_b32_e32 v13, v11, v9, vcc
	v_cndmask_b32_e32 v5, v5, v10, vcc
	;; [unrolled: 1-line block ×3, first 2 shown]
	v_add_u32_e32 v12, v12, v14
	v_cndmask_b32_e64 v14, v5, v13, s[0:1]
	v_cndmask_b32_e64 v5, v6, v5, s[0:1]
	v_cndmask_b32_e32 v6, v10, v8, vcc
	v_cndmask_b32_e64 v10, v13, v6, s[0:1]
	v_cndmask_b32_e64 v5, v5, v14, s[2:3]
	;; [unrolled: 1-line block ×3, first 2 shown]
	v_sub_u32_e32 v13, 32, v12
	v_alignbit_b32 v14, v5, v11, v13
	v_cmp_eq_u32_e64 s[4:5], 0, v12
	v_cndmask_b32_e64 v12, v14, v5, s[4:5]
	v_cndmask_b32_e32 v5, v9, v7, vcc
	v_cndmask_b32_e64 v6, v6, v5, s[0:1]
	v_cndmask_b32_e64 v7, v10, v6, s[2:3]
	v_alignbit_b32 v9, v11, v7, v13
	v_cndmask_b32_e32 v4, v8, v4, vcc
	v_cndmask_b32_e64 v9, v9, v11, s[4:5]
	v_bfe_u32 v14, v12, 29, 1
	v_cndmask_b32_e64 v4, v5, v4, s[0:1]
	v_alignbit_b32 v10, v12, v9, 30
	v_sub_u32_e32 v15, 0, v14
	v_cndmask_b32_e64 v4, v6, v4, s[2:3]
	v_xor_b32_e32 v10, v10, v15
	v_alignbit_b32 v5, v7, v4, v13
	v_cndmask_b32_e64 v5, v5, v7, s[4:5]
	v_ffbh_u32_e32 v7, v10
	v_alignbit_b32 v6, v9, v5, 30
	v_min_u32_e32 v7, 32, v7
	v_alignbit_b32 v4, v5, v4, 30
	v_xor_b32_e32 v6, v6, v15
	v_sub_u32_e32 v8, 31, v7
	v_xor_b32_e32 v4, v4, v15
	v_alignbit_b32 v9, v10, v6, v8
	v_alignbit_b32 v4, v6, v4, v8
	;; [unrolled: 1-line block ×3, first 2 shown]
	v_ffbh_u32_e32 v6, v5
	v_min_u32_e32 v6, 32, v6
	v_lshrrev_b32_e32 v11, 29, v12
	v_not_b32_e32 v8, v6
	v_alignbit_b32 v4, v5, v4, v8
	v_lshlrev_b32_e32 v5, 31, v11
	v_or_b32_e32 v8, 0x33000000, v5
	v_add_lshl_u32 v6, v6, v7, 23
	v_lshrrev_b32_e32 v4, 9, v4
	v_sub_u32_e32 v6, v8, v6
	v_or_b32_e32 v5, 0.5, v5
	v_lshlrev_b32_e32 v7, 23, v7
	v_or_b32_e32 v4, v6, v4
	v_lshrrev_b32_e32 v6, 9, v9
	v_sub_u32_e32 v5, v5, v7
	v_or_b32_e32 v5, v6, v5
	s_mov_b32 s0, 0x3fc90fda
	v_mul_f32_e32 v6, 0x3fc90fda, v5
	v_fma_f32 v7, v5, s0, -v6
	v_fmac_f32_e32 v7, 0x33a22168, v5
	v_fmac_f32_e32 v7, 0x3fc90fda, v4
	v_lshrrev_b32_e32 v4, 30, v12
	v_add_f32_e32 v5, v6, v7
	v_add_u32_e32 v4, v14, v4
.LBB65_337:
	s_andn2_saveexec_b64 s[0:1], s[8:9]
	s_cbranch_execz .LBB65_339
; %bb.338:
	s_mov_b32 s2, 0x3f22f983
	v_mul_f32_e64 v4, |v2|, s2
	v_rndne_f32_e32 v6, v4
	s_mov_b32 s2, 0xbfc90fda
	v_cvt_i32_f32_e32 v4, v6
	v_fma_f32 v5, v6, s2, |v2|
	v_fmac_f32_e32 v5, 0xb3a22168, v6
	v_fmac_f32_e32 v5, 0xa7c234c4, v6
.LBB65_339:
	s_or_b64 exec, exec, s[0:1]
	v_mul_f32_e32 v6, v5, v5
	v_mov_b32_e32 v7, 0x3c0881c4
	v_fmac_f32_e32 v7, 0xb94c1982, v6
	v_mov_b32_e32 v8, 0xbe2aaa9d
	v_fmac_f32_e32 v8, v6, v7
	v_mul_f32_e32 v7, v6, v8
	v_fmac_f32_e32 v5, v5, v7
	v_mov_b32_e32 v7, 0xbab64f3b
	v_fmac_f32_e32 v7, 0x37d75334, v6
	v_mov_b32_e32 v8, 0x3d2aabf7
	;; [unrolled: 2-line block ×3, first 2 shown]
	v_fmac_f32_e32 v7, v6, v8
	v_fma_f32 v6, v6, v7, 1.0
	v_and_b32_e32 v7, 1, v4
	v_lshlrev_b32_e32 v4, 30, v4
	v_cmp_eq_u32_e32 vcc, 0, v7
	v_and_b32_e32 v4, 0x80000000, v4
	v_xor_b32_e32 v3, v3, v2
	v_cndmask_b32_e32 v5, v6, v5, vcc
	v_xor_b32_e32 v3, v3, v4
	s_movk_i32 s0, 0x1f8
	v_xor_b32_e32 v3, v3, v5
	v_mov_b32_e32 v4, 0x7fc00000
	v_cmp_class_f32_e64 vcc, v2, s0
	v_cndmask_b32_e32 v2, v4, v3, vcc
	v_mul_f32_e32 v2, v2, v2
	s_mov_b32 s2, 0xc11de9e7
	v_div_scale_f32 v3, s[0:1], v2, v2, s2
	v_div_scale_f32 v4, vcc, s2, v2, s2
	v_sub_f32_e32 v1, 1.0, v1
	v_rcp_f32_e32 v5, v3
	v_fma_f32 v6, -v3, v5, 1.0
	v_fmac_f32_e32 v5, v6, v5
	v_mul_f32_e32 v6, v4, v5
	v_fma_f32 v7, -v3, v6, v4
	v_fmac_f32_e32 v6, v7, v5
	v_fma_f32 v3, -v3, v6, v4
	v_div_fmas_f32 v3, v3, v5, v6
	v_div_fixup_f32 v2, v3, v2, s2
	v_add_f32_e32 v3, 0, v2
	v_mov_b32_e32 v2, -1.0
.LBB65_340:
	s_or_b64 exec, exec, s[6:7]
	v_mul_f32_e32 v4, v1, v1
	v_div_scale_f32 v6, s[0:1], v4, v4, 1.0
	v_add_f32_e32 v5, 1.0, v1
	v_mul_f32_e32 v1, v5, v5
	v_div_scale_f32 v8, s[0:1], v1, v1, 1.0
	v_div_scale_f32 v7, vcc, 1.0, v4, 1.0
	v_add_f32_e32 v9, 1.0, v5
	v_div_scale_f32 v10, s[0:1], 1.0, v1, 1.0
	v_mul_f32_e32 v5, v9, v9
	v_div_scale_f32 v11, s[2:3], v5, v5, 1.0
	v_div_scale_f32 v14, s[2:3], 1.0, v5, 1.0
	v_rcp_f32_e32 v12, v6
	v_add_f32_e32 v9, 1.0, v9
	v_rcp_f32_e32 v13, v8
	v_fma_f32 v15, -v6, v12, 1.0
	v_fmac_f32_e32 v12, v15, v12
	v_mul_f32_e32 v16, v7, v12
	v_fma_f32 v17, -v6, v16, v7
	v_fma_f32 v15, -v8, v13, 1.0
	v_fmac_f32_e32 v16, v17, v12
	v_fma_f32 v6, -v6, v16, v7
	v_fmac_f32_e32 v13, v15, v13
	v_div_fmas_f32 v6, v6, v12, v16
	v_mul_f32_e32 v12, v10, v13
	v_fma_f32 v7, -v8, v12, v10
	v_rcp_f32_e32 v15, v11
	v_fmac_f32_e32 v12, v7, v13
	v_mul_f32_e32 v7, v9, v9
	v_div_scale_f32 v16, s[4:5], v7, v7, 1.0
	v_fma_f32 v8, -v8, v12, v10
	v_fma_f32 v10, -v11, v15, 1.0
	v_fmac_f32_e32 v15, v10, v15
	s_mov_b64 vcc, s[0:1]
	v_mul_f32_e32 v10, v14, v15
	v_div_fmas_f32 v8, v8, v13, v12
	v_fma_f32 v12, -v11, v10, v14
	v_fmac_f32_e32 v10, v12, v15
	v_div_scale_f32 v12, s[0:1], 1.0, v7, 1.0
	v_add_f32_e32 v13, 1.0, v9
	v_mul_f32_e32 v9, v13, v13
	v_div_scale_f32 v17, s[4:5], v9, v9, 1.0
	v_fma_f32 v11, -v11, v10, v14
	s_mov_b64 vcc, s[2:3]
	v_div_fmas_f32 v10, v11, v15, v10
	v_div_scale_f32 v11, s[2:3], 1.0, v9, 1.0
	v_rcp_f32_e32 v14, v16
	v_add_f32_e32 v13, 1.0, v13
	v_mul_f32_e32 v18, v13, v13
	v_div_scale_f32 v19, s[4:5], v18, v18, 1.0
	v_fma_f32 v15, -v16, v14, 1.0
	v_fmac_f32_e32 v14, v15, v14
	v_mul_f32_e32 v15, v12, v14
	v_fma_f32 v20, -v16, v15, v12
	v_fmac_f32_e32 v15, v20, v14
	v_rcp_f32_e32 v20, v17
	v_fma_f32 v12, -v16, v15, v12
	s_mov_b64 vcc, s[0:1]
	v_div_fmas_f32 v12, v12, v14, v15
	v_fma_f32 v14, -v17, v20, 1.0
	v_fmac_f32_e32 v20, v14, v20
	v_mul_f32_e32 v14, v11, v20
	v_fma_f32 v15, -v17, v14, v11
	v_fmac_f32_e32 v14, v15, v20
	v_div_scale_f32 v15, s[0:1], 1.0, v18, 1.0
	v_add_f32_e32 v13, 1.0, v13
	v_mul_f32_e32 v21, v13, v13
	v_div_scale_f32 v22, s[4:5], v21, v21, 1.0
	v_rcp_f32_e32 v16, v19
	v_fma_f32 v11, -v17, v14, v11
	s_mov_b64 vcc, s[2:3]
	v_div_scale_f32 v17, s[2:3], 1.0, v21, 1.0
	v_div_fmas_f32 v11, v11, v20, v14
	v_add_f32_e32 v20, v13, v13
	v_div_scale_f32 v23, s[4:5], v20, v20, 1.0
	v_fma_f32 v14, -v19, v16, 1.0
	v_fmac_f32_e32 v16, v14, v16
	v_mul_f32_e32 v14, v15, v16
	v_fma_f32 v24, -v19, v14, v15
	v_fmac_f32_e32 v14, v24, v16
	v_div_scale_f32 v24, s[4:5], 1.0, v20, 1.0
	v_rcp_f32_e32 v25, v22
	v_fma_f32 v15, -v19, v14, v15
	s_mov_b64 vcc, s[0:1]
	v_div_fmas_f32 v14, v15, v16, v14
	v_fma_f32 v15, -v22, v25, 1.0
	v_fmac_f32_e32 v25, v15, v25
	v_mul_f32_e32 v15, v17, v25
	v_fma_f32 v16, -v22, v15, v17
	v_fmac_f32_e32 v15, v16, v25
	v_rcp_f32_e32 v16, v23
	v_fma_f32 v17, -v22, v15, v17
	s_mov_b64 vcc, s[2:3]
	v_div_fmas_f32 v15, v17, v25, v15
	v_fma_f32 v17, -v23, v16, 1.0
	v_fmac_f32_e32 v16, v17, v16
	v_mul_f32_e32 v17, v24, v16
	v_fma_f32 v19, -v23, v17, v24
	v_fmac_f32_e32 v17, v19, v16
	v_fma_f32 v19, -v23, v17, v24
	s_mov_b64 vcc, s[4:5]
	v_div_fmas_f32 v16, v19, v16, v17
	v_mov_b32_e32 v17, 0x3d088889
	s_mov_b32 s0, 0x3e2aaaab
	v_div_fixup_f32 v4, v6, v4, 1.0
	v_add_f32_e32 v3, v3, v4
	v_div_fixup_f32 v1, v8, v1, 1.0
	v_add_f32_e32 v1, v3, v1
	v_div_fixup_f32 v3, v10, v5, 1.0
	v_div_fixup_f32 v15, v15, v21, 1.0
	v_fmac_f32_e32 v17, 0xbcc30c31, v15
	v_fma_f32 v17, -v15, v17, s0
	v_add_f32_e32 v1, v1, v3
	v_div_fixup_f32 v3, v12, v7, 1.0
	v_add_f32_e32 v1, v1, v3
	v_div_fixup_f32 v3, v11, v9, 1.0
	;; [unrolled: 2-line block ×3, first 2 shown]
	v_add_f32_e32 v16, 1.0, v16
	v_fmac_f32_e32 v16, v15, v17
	v_div_scale_f32 v15, s[0:1], v13, v13, v16
	v_div_scale_f32 v17, vcc, v16, v13, v16
	v_div_fixup_f32 v3, v14, v18, 1.0
	v_add_f32_e32 v1, v1, v3
	v_rcp_f32_e32 v19, v15
	v_fma_f32 v20, -v15, v19, 1.0
	v_fmac_f32_e32 v19, v20, v19
	v_mul_f32_e32 v20, v17, v19
	v_fma_f32 v21, -v15, v20, v17
	v_fmac_f32_e32 v20, v21, v19
	v_fma_f32 v15, -v15, v20, v17
	v_div_fmas_f32 v15, v15, v19, v20
	v_div_fixup_f32 v3, v15, v13, v16
	v_add_f32_e32 v1, v1, v3
	v_fma_mixlo_f16 v1, v2, v1, 0
	global_store_short v0, v1, s[16:17]
	s_or_b64 exec, exec, s[48:49]
                                        ; implicit-def: $vgpr18
                                        ; implicit-def: $vgpr7
	s_andn2_saveexec_b64 s[0:1], s[38:39]
	s_cbranch_execz .LBB65_305
	s_branch .LBB65_8
	.section	.rodata,"a",@progbits
	.p2align	6, 0x0
	.amdhsa_kernel _ZN2at6native32elementwise_kernel_manual_unrollILi128ELi8EZNS0_22gpu_kernel_impl_nocastIZZZNS0_20trigamma_kernel_cudaERNS_18TensorIteratorBaseEENKUlvE_clEvENKUlvE1_clEvEUlN3c104HalfEE_EEvS4_RKT_EUlibE_EEviT1_
		.amdhsa_group_segment_fixed_size 0
		.amdhsa_private_segment_fixed_size 0
		.amdhsa_kernarg_size 360
		.amdhsa_user_sgpr_count 6
		.amdhsa_user_sgpr_private_segment_buffer 1
		.amdhsa_user_sgpr_dispatch_ptr 0
		.amdhsa_user_sgpr_queue_ptr 0
		.amdhsa_user_sgpr_kernarg_segment_ptr 1
		.amdhsa_user_sgpr_dispatch_id 0
		.amdhsa_user_sgpr_flat_scratch_init 0
		.amdhsa_user_sgpr_private_segment_size 0
		.amdhsa_uses_dynamic_stack 0
		.amdhsa_system_sgpr_private_segment_wavefront_offset 0
		.amdhsa_system_sgpr_workgroup_id_x 1
		.amdhsa_system_sgpr_workgroup_id_y 0
		.amdhsa_system_sgpr_workgroup_id_z 0
		.amdhsa_system_sgpr_workgroup_info 0
		.amdhsa_system_vgpr_workitem_id 0
		.amdhsa_next_free_vgpr 44
		.amdhsa_next_free_sgpr 60
		.amdhsa_reserve_vcc 1
		.amdhsa_reserve_flat_scratch 0
		.amdhsa_float_round_mode_32 0
		.amdhsa_float_round_mode_16_64 0
		.amdhsa_float_denorm_mode_32 3
		.amdhsa_float_denorm_mode_16_64 3
		.amdhsa_dx10_clamp 1
		.amdhsa_ieee_mode 1
		.amdhsa_fp16_overflow 0
		.amdhsa_exception_fp_ieee_invalid_op 0
		.amdhsa_exception_fp_denorm_src 0
		.amdhsa_exception_fp_ieee_div_zero 0
		.amdhsa_exception_fp_ieee_overflow 0
		.amdhsa_exception_fp_ieee_underflow 0
		.amdhsa_exception_fp_ieee_inexact 0
		.amdhsa_exception_int_div_zero 0
	.end_amdhsa_kernel
	.section	.text._ZN2at6native32elementwise_kernel_manual_unrollILi128ELi8EZNS0_22gpu_kernel_impl_nocastIZZZNS0_20trigamma_kernel_cudaERNS_18TensorIteratorBaseEENKUlvE_clEvENKUlvE1_clEvEUlN3c104HalfEE_EEvS4_RKT_EUlibE_EEviT1_,"axG",@progbits,_ZN2at6native32elementwise_kernel_manual_unrollILi128ELi8EZNS0_22gpu_kernel_impl_nocastIZZZNS0_20trigamma_kernel_cudaERNS_18TensorIteratorBaseEENKUlvE_clEvENKUlvE1_clEvEUlN3c104HalfEE_EEvS4_RKT_EUlibE_EEviT1_,comdat
.Lfunc_end65:
	.size	_ZN2at6native32elementwise_kernel_manual_unrollILi128ELi8EZNS0_22gpu_kernel_impl_nocastIZZZNS0_20trigamma_kernel_cudaERNS_18TensorIteratorBaseEENKUlvE_clEvENKUlvE1_clEvEUlN3c104HalfEE_EEvS4_RKT_EUlibE_EEviT1_, .Lfunc_end65-_ZN2at6native32elementwise_kernel_manual_unrollILi128ELi8EZNS0_22gpu_kernel_impl_nocastIZZZNS0_20trigamma_kernel_cudaERNS_18TensorIteratorBaseEENKUlvE_clEvENKUlvE1_clEvEUlN3c104HalfEE_EEvS4_RKT_EUlibE_EEviT1_
                                        ; -- End function
	.set _ZN2at6native32elementwise_kernel_manual_unrollILi128ELi8EZNS0_22gpu_kernel_impl_nocastIZZZNS0_20trigamma_kernel_cudaERNS_18TensorIteratorBaseEENKUlvE_clEvENKUlvE1_clEvEUlN3c104HalfEE_EEvS4_RKT_EUlibE_EEviT1_.num_vgpr, 44
	.set _ZN2at6native32elementwise_kernel_manual_unrollILi128ELi8EZNS0_22gpu_kernel_impl_nocastIZZZNS0_20trigamma_kernel_cudaERNS_18TensorIteratorBaseEENKUlvE_clEvENKUlvE1_clEvEUlN3c104HalfEE_EEvS4_RKT_EUlibE_EEviT1_.num_agpr, 0
	.set _ZN2at6native32elementwise_kernel_manual_unrollILi128ELi8EZNS0_22gpu_kernel_impl_nocastIZZZNS0_20trigamma_kernel_cudaERNS_18TensorIteratorBaseEENKUlvE_clEvENKUlvE1_clEvEUlN3c104HalfEE_EEvS4_RKT_EUlibE_EEviT1_.numbered_sgpr, 60
	.set _ZN2at6native32elementwise_kernel_manual_unrollILi128ELi8EZNS0_22gpu_kernel_impl_nocastIZZZNS0_20trigamma_kernel_cudaERNS_18TensorIteratorBaseEENKUlvE_clEvENKUlvE1_clEvEUlN3c104HalfEE_EEvS4_RKT_EUlibE_EEviT1_.num_named_barrier, 0
	.set _ZN2at6native32elementwise_kernel_manual_unrollILi128ELi8EZNS0_22gpu_kernel_impl_nocastIZZZNS0_20trigamma_kernel_cudaERNS_18TensorIteratorBaseEENKUlvE_clEvENKUlvE1_clEvEUlN3c104HalfEE_EEvS4_RKT_EUlibE_EEviT1_.private_seg_size, 0
	.set _ZN2at6native32elementwise_kernel_manual_unrollILi128ELi8EZNS0_22gpu_kernel_impl_nocastIZZZNS0_20trigamma_kernel_cudaERNS_18TensorIteratorBaseEENKUlvE_clEvENKUlvE1_clEvEUlN3c104HalfEE_EEvS4_RKT_EUlibE_EEviT1_.uses_vcc, 1
	.set _ZN2at6native32elementwise_kernel_manual_unrollILi128ELi8EZNS0_22gpu_kernel_impl_nocastIZZZNS0_20trigamma_kernel_cudaERNS_18TensorIteratorBaseEENKUlvE_clEvENKUlvE1_clEvEUlN3c104HalfEE_EEvS4_RKT_EUlibE_EEviT1_.uses_flat_scratch, 0
	.set _ZN2at6native32elementwise_kernel_manual_unrollILi128ELi8EZNS0_22gpu_kernel_impl_nocastIZZZNS0_20trigamma_kernel_cudaERNS_18TensorIteratorBaseEENKUlvE_clEvENKUlvE1_clEvEUlN3c104HalfEE_EEvS4_RKT_EUlibE_EEviT1_.has_dyn_sized_stack, 0
	.set _ZN2at6native32elementwise_kernel_manual_unrollILi128ELi8EZNS0_22gpu_kernel_impl_nocastIZZZNS0_20trigamma_kernel_cudaERNS_18TensorIteratorBaseEENKUlvE_clEvENKUlvE1_clEvEUlN3c104HalfEE_EEvS4_RKT_EUlibE_EEviT1_.has_recursion, 0
	.set _ZN2at6native32elementwise_kernel_manual_unrollILi128ELi8EZNS0_22gpu_kernel_impl_nocastIZZZNS0_20trigamma_kernel_cudaERNS_18TensorIteratorBaseEENKUlvE_clEvENKUlvE1_clEvEUlN3c104HalfEE_EEvS4_RKT_EUlibE_EEviT1_.has_indirect_call, 0
	.section	.AMDGPU.csdata,"",@progbits
; Kernel info:
; codeLenInByte = 39400
; TotalNumSgprs: 64
; NumVgprs: 44
; ScratchSize: 0
; MemoryBound: 0
; FloatMode: 240
; IeeeMode: 1
; LDSByteSize: 0 bytes/workgroup (compile time only)
; SGPRBlocks: 7
; VGPRBlocks: 10
; NumSGPRsForWavesPerEU: 64
; NumVGPRsForWavesPerEU: 44
; Occupancy: 5
; WaveLimiterHint : 1
; COMPUTE_PGM_RSRC2:SCRATCH_EN: 0
; COMPUTE_PGM_RSRC2:USER_SGPR: 6
; COMPUTE_PGM_RSRC2:TRAP_HANDLER: 0
; COMPUTE_PGM_RSRC2:TGID_X_EN: 1
; COMPUTE_PGM_RSRC2:TGID_Y_EN: 0
; COMPUTE_PGM_RSRC2:TGID_Z_EN: 0
; COMPUTE_PGM_RSRC2:TIDIG_COMP_CNT: 0
	.section	.text._ZN2at6native32elementwise_kernel_manual_unrollILi128ELi4EZNS0_15gpu_kernel_implIZZZNS0_20trigamma_kernel_cudaERNS_18TensorIteratorBaseEENKUlvE_clEvENKUlvE1_clEvEUlN3c104HalfEE_EEvS4_RKT_EUlibE_EEviT1_,"axG",@progbits,_ZN2at6native32elementwise_kernel_manual_unrollILi128ELi4EZNS0_15gpu_kernel_implIZZZNS0_20trigamma_kernel_cudaERNS_18TensorIteratorBaseEENKUlvE_clEvENKUlvE1_clEvEUlN3c104HalfEE_EEvS4_RKT_EUlibE_EEviT1_,comdat
	.globl	_ZN2at6native32elementwise_kernel_manual_unrollILi128ELi4EZNS0_15gpu_kernel_implIZZZNS0_20trigamma_kernel_cudaERNS_18TensorIteratorBaseEENKUlvE_clEvENKUlvE1_clEvEUlN3c104HalfEE_EEvS4_RKT_EUlibE_EEviT1_ ; -- Begin function _ZN2at6native32elementwise_kernel_manual_unrollILi128ELi4EZNS0_15gpu_kernel_implIZZZNS0_20trigamma_kernel_cudaERNS_18TensorIteratorBaseEENKUlvE_clEvENKUlvE1_clEvEUlN3c104HalfEE_EEvS4_RKT_EUlibE_EEviT1_
	.p2align	8
	.type	_ZN2at6native32elementwise_kernel_manual_unrollILi128ELi4EZNS0_15gpu_kernel_implIZZZNS0_20trigamma_kernel_cudaERNS_18TensorIteratorBaseEENKUlvE_clEvENKUlvE1_clEvEUlN3c104HalfEE_EEvS4_RKT_EUlibE_EEviT1_,@function
_ZN2at6native32elementwise_kernel_manual_unrollILi128ELi4EZNS0_15gpu_kernel_implIZZZNS0_20trigamma_kernel_cudaERNS_18TensorIteratorBaseEENKUlvE_clEvENKUlvE1_clEvEUlN3c104HalfEE_EEvS4_RKT_EUlibE_EEviT1_: ; @_ZN2at6native32elementwise_kernel_manual_unrollILi128ELi4EZNS0_15gpu_kernel_implIZZZNS0_20trigamma_kernel_cudaERNS_18TensorIteratorBaseEENKUlvE_clEvENKUlvE1_clEvEUlN3c104HalfEE_EEvS4_RKT_EUlibE_EEviT1_
; %bb.0:
	v_mov_b32_e32 v1, 0
	global_load_ushort v1, v1, s[4:5] offset:33
	s_load_dwordx4 s[8:11], s[4:5], 0x8
	s_load_dwordx2 s[12:13], s[4:5], 0x18
	s_load_dword s38, s[4:5], 0x0
	v_lshl_or_b32 v2, s6, 9, v0
	v_or_b32_e32 v0, 0x180, v2
	s_mov_b64 s[16:17], 0
	s_mov_b64 s[6:7], 0
	s_waitcnt lgkmcnt(0)
	v_cmp_le_i32_e32 vcc, s38, v0
	s_waitcnt vmcnt(0)
	v_readfirstlane_b32 s33, v1
	s_and_b32 s0, 0xffff, s33
	s_lshr_b32 s42, s0, 8
	s_and_saveexec_b64 s[0:1], vcc
	s_xor_b64 s[14:15], exec, s[0:1]
	s_cbranch_execz .LBB66_1050
; %bb.1:
	v_cmp_gt_i32_e32 vcc, s38, v2
	s_mov_b64 s[2:3], -1
	s_mov_b64 s[24:25], 0
	s_mov_b64 s[18:19], 0
	s_and_saveexec_b64 s[20:21], vcc
	s_cbranch_execz .LBB66_257
; %bb.2:
	v_mul_lo_u32 v0, v2, s13
	v_mov_b32_e32 v1, s11
	s_and_b32 s6, 0xffff, s42
	s_cmp_lt_i32 s6, 11
	v_ashrrev_i32_e32 v3, 31, v0
	v_add_co_u32_e32 v0, vcc, s10, v0
	v_addc_co_u32_e32 v1, vcc, v1, v3, vcc
	s_cbranch_scc1 .LBB66_9
; %bb.3:
	s_cmp_gt_i32 s6, 25
	s_cbranch_scc0 .LBB66_24
; %bb.4:
	s_cmp_gt_i32 s6, 28
	s_cbranch_scc0 .LBB66_28
	;; [unrolled: 3-line block ×4, first 2 shown]
; %bb.7:
	s_cmp_eq_u32 s6, 46
	s_mov_b64 s[2:3], 0
	s_cbranch_scc0 .LBB66_33
; %bb.8:
	global_load_dword v3, v[0:1], off
	s_mov_b64 s[0:1], -1
	s_waitcnt vmcnt(0)
	v_lshlrev_b32_e32 v3, 16, v3
	v_cvt_f16_f32_e32 v3, v3
	s_branch .LBB66_35
.LBB66_9:
                                        ; implicit-def: $vgpr3
	s_mov_b64 s[0:1], 0
	s_and_b64 vcc, exec, s[2:3]
	s_cbranch_vccnz .LBB66_208
.LBB66_10:
	s_andn2_b64 vcc, exec, s[0:1]
	s_cbranch_vccnz .LBB66_255
.LBB66_11:
	s_waitcnt vmcnt(0)
	v_cvt_f32_f16_e32 v0, v3
	v_cmp_gt_f16_e32 vcc, 0.5, v3
	v_mov_b32_e32 v3, 0
	v_mov_b32_e32 v1, 1.0
	s_and_saveexec_b64 s[6:7], vcc
	s_cbranch_execz .LBB66_17
; %bb.12:
	v_mul_f32_e32 v1, 0x40490fdb, v0
	s_brev_b32 s0, 18
	v_and_b32_e32 v3, 0x7fffffff, v1
	v_cmp_nlt_f32_e64 s[0:1], |v1|, s0
                                        ; implicit-def: $vgpr4
                                        ; implicit-def: $vgpr5
	s_and_saveexec_b64 s[2:3], s[0:1]
	s_xor_b64 s[22:23], exec, s[2:3]
	s_cbranch_execz .LBB66_14
; %bb.13:
	v_and_b32_e32 v4, 0x7fffff, v3
	v_or_b32_e32 v13, 0x800000, v4
	s_mov_b32 s0, 0xfe5163ab
	v_mad_u64_u32 v[4:5], s[0:1], v13, s0, 0
	v_mov_b32_e32 v6, 0
	s_mov_b32 s0, 0x3c439041
	v_mad_u64_u32 v[7:8], s[0:1], v13, s0, v[5:6]
	s_mov_b32 s0, 0xdb629599
	v_not_b32_e32 v12, 63
	v_mov_b32_e32 v5, v8
	v_mad_u64_u32 v[8:9], s[0:1], v13, s0, v[5:6]
	s_mov_b32 s0, 0xf534ddc0
	v_not_b32_e32 v15, 31
	v_mov_b32_e32 v5, v9
	v_mad_u64_u32 v[9:10], s[0:1], v13, s0, v[5:6]
	v_lshrrev_b32_e32 v5, 23, v3
	v_add_u32_e32 v14, 0xffffff88, v5
	v_mov_b32_e32 v5, v10
	s_mov_b32 s0, 0xfc2757d1
	v_mad_u64_u32 v[10:11], s[0:1], v13, s0, v[5:6]
	v_cmp_lt_u32_e32 vcc, 63, v14
	v_cndmask_b32_e32 v5, 0, v12, vcc
	v_add_u32_e32 v14, v5, v14
	v_mov_b32_e32 v5, v11
	s_mov_b32 s0, 0x4e441529
	v_mad_u64_u32 v[11:12], s[0:1], v13, s0, v[5:6]
	v_cmp_lt_u32_e64 s[0:1], 31, v14
	v_cndmask_b32_e64 v5, 0, v15, s[0:1]
	v_add_u32_e32 v14, v5, v14
	v_mov_b32_e32 v5, v12
	s_mov_b32 s2, 0xa2f9836e
	v_mad_u64_u32 v[5:6], s[2:3], v13, s2, v[5:6]
	v_cmp_lt_u32_e64 s[2:3], 31, v14
	v_cndmask_b32_e64 v12, 0, v15, s[2:3]
	v_cndmask_b32_e32 v13, v11, v9, vcc
	v_cndmask_b32_e32 v5, v5, v10, vcc
	;; [unrolled: 1-line block ×3, first 2 shown]
	v_add_u32_e32 v12, v12, v14
	v_cndmask_b32_e64 v14, v5, v13, s[0:1]
	v_cndmask_b32_e64 v5, v6, v5, s[0:1]
	v_cndmask_b32_e32 v6, v10, v8, vcc
	v_cndmask_b32_e64 v10, v13, v6, s[0:1]
	v_cndmask_b32_e64 v5, v5, v14, s[2:3]
	;; [unrolled: 1-line block ×3, first 2 shown]
	v_sub_u32_e32 v13, 32, v12
	v_alignbit_b32 v14, v5, v11, v13
	v_cmp_eq_u32_e64 s[4:5], 0, v12
	v_cndmask_b32_e64 v12, v14, v5, s[4:5]
	v_cndmask_b32_e32 v5, v9, v7, vcc
	v_cndmask_b32_e64 v6, v6, v5, s[0:1]
	v_cndmask_b32_e64 v7, v10, v6, s[2:3]
	v_alignbit_b32 v9, v11, v7, v13
	v_cndmask_b32_e32 v4, v8, v4, vcc
	v_cndmask_b32_e64 v9, v9, v11, s[4:5]
	v_bfe_u32 v14, v12, 29, 1
	v_cndmask_b32_e64 v4, v5, v4, s[0:1]
	v_alignbit_b32 v10, v12, v9, 30
	v_sub_u32_e32 v15, 0, v14
	v_cndmask_b32_e64 v4, v6, v4, s[2:3]
	v_xor_b32_e32 v10, v10, v15
	v_alignbit_b32 v5, v7, v4, v13
	v_cndmask_b32_e64 v5, v5, v7, s[4:5]
	v_ffbh_u32_e32 v7, v10
	v_alignbit_b32 v6, v9, v5, 30
	v_min_u32_e32 v7, 32, v7
	v_alignbit_b32 v4, v5, v4, 30
	v_xor_b32_e32 v6, v6, v15
	v_sub_u32_e32 v8, 31, v7
	v_xor_b32_e32 v4, v4, v15
	v_alignbit_b32 v9, v10, v6, v8
	v_alignbit_b32 v4, v6, v4, v8
	;; [unrolled: 1-line block ×3, first 2 shown]
	v_ffbh_u32_e32 v6, v5
	v_min_u32_e32 v6, 32, v6
	v_lshrrev_b32_e32 v11, 29, v12
	v_not_b32_e32 v8, v6
	v_alignbit_b32 v4, v5, v4, v8
	v_lshlrev_b32_e32 v5, 31, v11
	v_or_b32_e32 v8, 0x33000000, v5
	v_add_lshl_u32 v6, v6, v7, 23
	v_lshrrev_b32_e32 v4, 9, v4
	v_sub_u32_e32 v6, v8, v6
	v_or_b32_e32 v5, 0.5, v5
	v_lshlrev_b32_e32 v7, 23, v7
	v_or_b32_e32 v4, v6, v4
	v_lshrrev_b32_e32 v6, 9, v9
	v_sub_u32_e32 v5, v5, v7
	v_or_b32_e32 v5, v6, v5
	s_mov_b32 s0, 0x3fc90fda
	v_mul_f32_e32 v6, 0x3fc90fda, v5
	v_fma_f32 v7, v5, s0, -v6
	v_fmac_f32_e32 v7, 0x33a22168, v5
	v_fmac_f32_e32 v7, 0x3fc90fda, v4
	v_lshrrev_b32_e32 v4, 30, v12
	v_add_f32_e32 v5, v6, v7
	v_add_u32_e32 v4, v14, v4
.LBB66_14:
	s_andn2_saveexec_b64 s[0:1], s[22:23]
	s_cbranch_execz .LBB66_16
; %bb.15:
	s_mov_b32 s2, 0x3f22f983
	v_mul_f32_e64 v4, |v1|, s2
	v_rndne_f32_e32 v6, v4
	s_mov_b32 s2, 0xbfc90fda
	v_cvt_i32_f32_e32 v4, v6
	v_fma_f32 v5, v6, s2, |v1|
	v_fmac_f32_e32 v5, 0xb3a22168, v6
	v_fmac_f32_e32 v5, 0xa7c234c4, v6
.LBB66_16:
	s_or_b64 exec, exec, s[0:1]
	v_mul_f32_e32 v6, v5, v5
	v_mov_b32_e32 v7, 0x3c0881c4
	v_fmac_f32_e32 v7, 0xb94c1982, v6
	v_mov_b32_e32 v8, 0xbe2aaa9d
	v_fmac_f32_e32 v8, v6, v7
	v_mul_f32_e32 v7, v6, v8
	v_fmac_f32_e32 v5, v5, v7
	v_mov_b32_e32 v7, 0xbab64f3b
	v_fmac_f32_e32 v7, 0x37d75334, v6
	v_mov_b32_e32 v8, 0x3d2aabf7
	;; [unrolled: 2-line block ×3, first 2 shown]
	v_fmac_f32_e32 v7, v6, v8
	v_fma_f32 v6, v6, v7, 1.0
	v_and_b32_e32 v7, 1, v4
	v_lshlrev_b32_e32 v4, 30, v4
	v_cmp_eq_u32_e32 vcc, 0, v7
	v_and_b32_e32 v4, 0x80000000, v4
	v_xor_b32_e32 v3, v3, v1
	v_cndmask_b32_e32 v5, v6, v5, vcc
	v_xor_b32_e32 v3, v3, v4
	s_movk_i32 s0, 0x1f8
	v_xor_b32_e32 v3, v3, v5
	v_mov_b32_e32 v4, 0x7fc00000
	v_cmp_class_f32_e64 vcc, v1, s0
	v_cndmask_b32_e32 v1, v4, v3, vcc
	v_mul_f32_e32 v1, v1, v1
	s_mov_b32 s2, 0xc11de9e7
	v_div_scale_f32 v3, s[0:1], v1, v1, s2
	v_div_scale_f32 v4, vcc, s2, v1, s2
	v_sub_f32_e32 v0, 1.0, v0
	v_rcp_f32_e32 v5, v3
	v_fma_f32 v6, -v3, v5, 1.0
	v_fmac_f32_e32 v5, v6, v5
	v_mul_f32_e32 v6, v4, v5
	v_fma_f32 v7, -v3, v6, v4
	v_fmac_f32_e32 v6, v7, v5
	v_fma_f32 v3, -v3, v6, v4
	v_div_fmas_f32 v3, v3, v5, v6
	v_div_fixup_f32 v1, v3, v1, s2
	v_add_f32_e32 v3, 0, v1
	v_mov_b32_e32 v1, -1.0
.LBB66_17:
	s_or_b64 exec, exec, s[6:7]
	v_mul_f32_e32 v4, v0, v0
	v_div_scale_f32 v6, s[0:1], v4, v4, 1.0
	v_add_f32_e32 v5, 1.0, v0
	v_mul_f32_e32 v0, v5, v5
	v_div_scale_f32 v8, s[0:1], v0, v0, 1.0
	v_div_scale_f32 v7, vcc, 1.0, v4, 1.0
	v_div_scale_f32 v9, s[0:1], 1.0, v0, 1.0
	v_add_f32_e32 v10, 1.0, v5
	v_mul_f32_e32 v5, v10, v10
	v_div_scale_f32 v13, s[2:3], v5, v5, 1.0
	v_add_f32_e32 v10, 1.0, v10
	v_add_f32_e32 v18, 1.0, v10
	v_rcp_f32_e32 v11, v6
	s_and_b32 s22, s33, 0xff
	s_cmp_lt_i32 s22, 11
	v_rcp_f32_e32 v12, v8
	v_fma_f32 v14, -v6, v11, 1.0
	v_fmac_f32_e32 v11, v14, v11
	v_mul_f32_e32 v15, v7, v11
	v_fma_f32 v14, -v8, v12, 1.0
	v_fmac_f32_e32 v12, v14, v12
	v_fma_f32 v14, -v6, v15, v7
	v_fmac_f32_e32 v15, v14, v11
	v_fma_f32 v6, -v6, v15, v7
	v_mul_f32_e32 v16, v9, v12
	v_div_fmas_f32 v6, v6, v11, v15
	v_div_scale_f32 v11, s[2:3], 1.0, v5, 1.0
	v_fma_f32 v7, -v8, v16, v9
	v_fmac_f32_e32 v16, v7, v12
	v_mul_f32_e32 v7, v10, v10
	v_div_scale_f32 v14, s[4:5], v7, v7, 1.0
	v_div_scale_f32 v17, s[4:5], 1.0, v7, 1.0
	v_rcp_f32_e32 v15, v13
	v_fma_f32 v9, -v8, v16, v9
	v_mul_f32_e32 v8, v18, v18
	v_div_scale_f32 v19, s[6:7], v8, v8, 1.0
	v_fma_f32 v10, -v13, v15, 1.0
	v_fmac_f32_e32 v15, v10, v15
	s_mov_b64 vcc, s[0:1]
	v_mul_f32_e32 v10, v11, v15
	v_div_fmas_f32 v9, v9, v12, v16
	v_fma_f32 v12, -v13, v10, v11
	v_fmac_f32_e32 v10, v12, v15
	v_rcp_f32_e32 v12, v14
	v_fma_f32 v11, -v13, v10, v11
	s_mov_b64 vcc, s[2:3]
	v_div_fmas_f32 v10, v11, v15, v10
	v_div_scale_f32 v15, s[0:1], 1.0, v8, 1.0
	v_add_f32_e32 v16, 1.0, v18
	v_mul_f32_e32 v18, v16, v16
	v_fma_f32 v11, -v14, v12, 1.0
	v_div_scale_f32 v20, s[2:3], v18, v18, 1.0
	v_fmac_f32_e32 v12, v11, v12
	v_mul_f32_e32 v11, v17, v12
	v_fma_f32 v13, -v14, v11, v17
	v_fmac_f32_e32 v11, v13, v12
	v_fma_f32 v14, -v14, v11, v17
	s_mov_b64 vcc, s[4:5]
	v_div_fmas_f32 v11, v14, v12, v11
	v_div_scale_f32 v14, s[2:3], 1.0, v18, 1.0
	v_rcp_f32_e32 v13, v19
	v_add_f32_e32 v16, 1.0, v16
	v_mul_f32_e32 v17, v16, v16
	v_div_scale_f32 v21, s[4:5], v17, v17, 1.0
	v_fma_f32 v12, -v19, v13, 1.0
	v_fmac_f32_e32 v13, v12, v13
	v_mul_f32_e32 v12, v15, v13
	v_fma_f32 v22, -v19, v12, v15
	v_fmac_f32_e32 v12, v22, v13
	v_div_scale_f32 v22, s[4:5], 1.0, v17, 1.0
	v_fma_f32 v15, -v19, v12, v15
	v_rcp_f32_e32 v19, v20
	s_mov_b64 vcc, s[0:1]
	v_div_fmas_f32 v12, v15, v13, v12
	s_mov_b64 vcc, s[2:3]
	v_fma_f32 v13, -v20, v19, 1.0
	v_fmac_f32_e32 v19, v13, v19
	v_mul_f32_e32 v13, v14, v19
	v_fma_f32 v15, -v20, v13, v14
	v_fmac_f32_e32 v13, v15, v19
	v_rcp_f32_e32 v15, v21
	v_fma_f32 v14, -v20, v13, v14
	v_div_fmas_f32 v13, v14, v19, v13
	v_add_f32_e32 v19, v16, v16
	v_div_scale_f32 v20, s[0:1], v19, v19, 1.0
	v_fma_f32 v14, -v21, v15, 1.0
	v_fmac_f32_e32 v15, v14, v15
	v_mul_f32_e32 v14, v22, v15
	v_fma_f32 v23, -v21, v14, v22
	v_fmac_f32_e32 v14, v23, v15
	v_div_scale_f32 v23, s[0:1], 1.0, v19, 1.0
	v_fma_f32 v21, -v21, v14, v22
	s_mov_b64 vcc, s[4:5]
	v_div_fmas_f32 v14, v21, v15, v14
	s_mov_b64 vcc, s[0:1]
	s_mov_b32 s0, 0x3e2aaaab
	v_div_fixup_f32 v4, v6, v4, 1.0
	v_add_f32_e32 v3, v3, v4
	v_rcp_f32_e32 v22, v20
	v_div_fixup_f32 v0, v9, v0, 1.0
	v_add_f32_e32 v0, v3, v0
	v_div_fixup_f32 v3, v10, v5, 1.0
	v_fma_f32 v15, -v20, v22, 1.0
	v_fmac_f32_e32 v22, v15, v22
	v_add_f32_e32 v0, v0, v3
	v_mul_f32_e32 v15, v23, v22
	v_fma_f32 v21, -v20, v15, v23
	v_fmac_f32_e32 v15, v21, v22
	v_fma_f32 v20, -v20, v15, v23
	v_div_fmas_f32 v15, v20, v22, v15
	v_div_fixup_f32 v14, v14, v17, 1.0
	v_mov_b32_e32 v17, 0x3d088889
	v_fmac_f32_e32 v17, 0xbcc30c31, v14
	v_fma_f32 v17, -v14, v17, s0
	v_div_fixup_f32 v3, v11, v7, 1.0
	v_add_f32_e32 v0, v0, v3
	v_div_fixup_f32 v3, v12, v8, 1.0
	v_mul_lo_u32 v4, v2, s12
	v_add_f32_e32 v0, v0, v3
	v_div_fixup_f32 v3, v13, v18, 1.0
	v_add_f32_e32 v0, v0, v3
	v_mov_b32_e32 v5, s9
	v_div_fixup_f32 v15, v15, v19, 1.0
	v_add_f32_e32 v15, 1.0, v15
	v_fmac_f32_e32 v15, v14, v17
	v_div_scale_f32 v14, s[0:1], v16, v16, v15
	v_div_scale_f32 v17, vcc, v15, v16, v15
	v_rcp_f32_e32 v19, v14
	v_fma_f32 v20, -v14, v19, 1.0
	v_fmac_f32_e32 v19, v20, v19
	v_mul_f32_e32 v20, v17, v19
	v_fma_f32 v21, -v14, v20, v17
	v_fmac_f32_e32 v20, v21, v19
	v_fma_f32 v14, -v14, v20, v17
	v_div_fmas_f32 v14, v14, v19, v20
	v_div_fixup_f32 v3, v14, v16, v15
	v_add_f32_e32 v0, v0, v3
	v_fma_mixlo_f16 v3, v1, v0, 0
	v_ashrrev_i32_e32 v1, 31, v4
	v_add_co_u32_e32 v0, vcc, s8, v4
	v_addc_co_u32_e32 v1, vcc, v5, v1, vcc
	s_cbranch_scc1 .LBB66_25
; %bb.18:
	s_and_b32 s23, 0xffff, s22
	s_cmp_gt_i32 s23, 25
	s_cbranch_scc0 .LBB66_29
; %bb.19:
	s_cmp_gt_i32 s23, 28
	s_cbranch_scc0 .LBB66_31
; %bb.20:
	;; [unrolled: 3-line block ×4, first 2 shown]
	s_mov_b64 s[4:5], 0
	s_mov_b64 s[0:1], -1
	s_cmp_eq_u32 s23, 46
	s_mov_b64 s[2:3], 0
	s_cbranch_scc0 .LBB66_39
; %bb.23:
	v_cvt_f32_f16_e32 v4, v3
	s_movk_i32 s0, 0x7fff
	v_cmp_o_f16_e32 vcc, v3, v3
	v_mov_b32_e32 v5, 0x7fc0
	v_bfe_u32 v6, v4, 16, 1
	v_add3_u32 v4, v4, v6, s0
	v_cndmask_b32_sdwa v4, v5, v4, vcc dst_sel:DWORD dst_unused:UNUSED_PAD src0_sel:DWORD src1_sel:WORD_1
	global_store_dword v[0:1], v4, off
	s_mov_b64 s[2:3], -1
	s_mov_b64 s[0:1], 0
	s_branch .LBB66_39
.LBB66_24:
	s_mov_b64 s[0:1], 0
                                        ; implicit-def: $vgpr3
	s_and_b64 vcc, exec, s[2:3]
	s_cbranch_vccnz .LBB66_173
	s_branch .LBB66_207
.LBB66_25:
	s_mov_b64 s[0:1], 0
	s_mov_b64 s[2:3], 0
	s_cbranch_execnz .LBB66_108
.LBB66_26:
	s_andn2_b64 vcc, exec, s[2:3]
	s_cbranch_vccnz .LBB66_146
.LBB66_27:
	v_add_u32_e32 v2, 0x80, v2
	s_mov_b64 s[2:3], -1
	s_branch .LBB66_256
.LBB66_28:
	s_mov_b64 s[0:1], 0
                                        ; implicit-def: $vgpr3
	s_branch .LBB66_154
.LBB66_29:
	s_mov_b64 s[4:5], -1
	s_mov_b64 s[0:1], 0
	s_mov_b64 s[2:3], 0
	s_branch .LBB66_66
.LBB66_30:
	s_mov_b64 s[0:1], 0
                                        ; implicit-def: $vgpr3
	s_branch .LBB66_149
.LBB66_31:
	s_mov_b64 s[4:5], -1
	s_mov_b64 s[0:1], 0
	s_mov_b64 s[2:3], 0
	s_branch .LBB66_49
.LBB66_32:
	s_mov_b64 s[4:5], -1
	s_mov_b64 s[0:1], 0
	s_mov_b64 s[2:3], 0
	s_branch .LBB66_45
.LBB66_33:
	s_mov_b64 s[18:19], -1
.LBB66_34:
	s_mov_b64 s[0:1], 0
                                        ; implicit-def: $vgpr3
.LBB66_35:
	s_and_b64 vcc, exec, s[2:3]
	s_cbranch_vccz .LBB66_148
; %bb.36:
	s_cmp_eq_u32 s6, 44
	s_cbranch_scc0 .LBB66_147
; %bb.37:
	global_load_ubyte v3, v[0:1], off
	s_movk_i32 s2, 0xff
	v_mov_b32_e32 v5, 0x7e00
	s_mov_b64 s[0:1], -1
	s_mov_b64 s[18:19], 0
	s_waitcnt vmcnt(0)
	v_lshlrev_b32_e32 v4, 23, v3
	v_cvt_f16_f32_e32 v4, v4
	v_cmp_ne_u32_e32 vcc, s2, v3
	v_cndmask_b32_e32 v4, v5, v4, vcc
	v_cmp_ne_u32_e32 vcc, 0, v3
	v_cndmask_b32_e32 v3, 0, v4, vcc
	s_branch .LBB66_148
.LBB66_38:
	s_mov_b64 s[4:5], -1
	s_mov_b64 s[0:1], 0
	s_mov_b64 s[2:3], 0
.LBB66_39:
	s_and_b64 vcc, exec, s[4:5]
	s_cbranch_vccz .LBB66_44
; %bb.40:
	s_cmp_eq_u32 s23, 44
	s_mov_b64 s[0:1], -1
	s_cbranch_scc0 .LBB66_44
; %bb.41:
	v_cvt_f32_f16_e32 v4, v3
	s_movk_i32 s0, 0xff
	v_mov_b32_e32 v6, 0xff
	v_bfe_u32 v5, v4, 23, 8
	v_cmp_ne_u32_e32 vcc, s0, v5
	s_and_saveexec_b64 s[2:3], vcc
; %bb.42:
	s_mov_b32 s0, 0x3fffff
	v_lshrrev_b32_e32 v6, 23, v4
	v_and_b32_e32 v7, 0x400000, v4
	v_and_or_b32 v4, v4, s0, v5
	v_cmp_ne_u32_e32 vcc, 0, v7
	v_cmp_ne_u32_e64 s[0:1], 0, v4
	s_and_b64 s[0:1], vcc, s[0:1]
	v_cndmask_b32_e64 v4, 0, 1, s[0:1]
	v_add_u32_e32 v6, v6, v4
; %bb.43:
	s_or_b64 exec, exec, s[2:3]
	s_mov_b64 s[2:3], -1
	s_mov_b64 s[0:1], 0
	global_store_byte v[0:1], v6, off
.LBB66_44:
	s_mov_b64 s[4:5], 0
.LBB66_45:
	s_and_b64 vcc, exec, s[4:5]
	s_cbranch_vccz .LBB66_48
; %bb.46:
	s_cmp_eq_u32 s23, 29
	s_mov_b64 s[0:1], -1
	s_cbranch_scc0 .LBB66_48
; %bb.47:
	v_cvt_f32_f16_e32 v4, v3
	v_mov_b32_e32 v5, 0
	s_mov_b64 s[2:3], -1
	s_mov_b64 s[0:1], 0
	v_cvt_u32_f32_e32 v4, v4
	s_mov_b64 s[4:5], 0
	global_store_dwordx2 v[0:1], v[4:5], off
	s_branch .LBB66_49
.LBB66_48:
	s_mov_b64 s[4:5], 0
.LBB66_49:
	s_and_b64 vcc, exec, s[4:5]
	s_cbranch_vccz .LBB66_65
; %bb.50:
	s_cmp_lt_i32 s23, 27
	s_mov_b64 s[2:3], -1
	s_cbranch_scc1 .LBB66_56
; %bb.51:
	s_cmp_gt_i32 s23, 27
	s_cbranch_scc0 .LBB66_53
; %bb.52:
	v_cvt_f32_f16_e32 v4, v3
	s_mov_b64 s[2:3], 0
	v_cvt_u32_f32_e32 v4, v4
	global_store_dword v[0:1], v4, off
.LBB66_53:
	s_andn2_b64 vcc, exec, s[2:3]
	s_cbranch_vccnz .LBB66_55
; %bb.54:
	v_cvt_u16_f16_e32 v4, v3
	global_store_short v[0:1], v4, off
.LBB66_55:
	s_mov_b64 s[2:3], 0
.LBB66_56:
	s_andn2_b64 vcc, exec, s[2:3]
	s_cbranch_vccnz .LBB66_64
; %bb.57:
	v_cvt_f32_f16_e32 v4, v3
	s_mov_b32 s2, 0x43800000
	v_mov_b32_e32 v6, 0x80
	v_and_b32_e32 v5, 0x7fffffff, v4
	v_cmp_gt_u32_e32 vcc, s2, v5
	s_and_saveexec_b64 s[2:3], vcc
	s_cbranch_execz .LBB66_63
; %bb.58:
	s_mov_b32 s4, 0x3bffffff
	v_cmp_lt_u32_e32 vcc, s4, v5
	s_mov_b64 s[4:5], 0
                                        ; implicit-def: $vgpr5
	s_and_saveexec_b64 s[6:7], vcc
	s_xor_b64 s[6:7], exec, s[6:7]
	s_cbranch_execz .LBB66_290
; %bb.59:
	v_bfe_u32 v5, v4, 20, 1
	s_mov_b32 s26, 0x487ffff
	v_add3_u32 v5, v4, v5, s26
	s_mov_b64 s[4:5], exec
	v_lshrrev_b32_e32 v5, 20, v5
	s_andn2_saveexec_b64 s[6:7], s[6:7]
	s_cbranch_execnz .LBB66_291
.LBB66_60:
	s_or_b64 exec, exec, s[6:7]
	v_mov_b32_e32 v6, 0
	s_and_saveexec_b64 s[6:7], s[4:5]
.LBB66_61:
	v_lshrrev_b32_e32 v4, 24, v4
	s_movk_i32 s4, 0x80
	v_and_or_b32 v6, v4, s4, v5
.LBB66_62:
	s_or_b64 exec, exec, s[6:7]
.LBB66_63:
	s_or_b64 exec, exec, s[2:3]
	global_store_byte v[0:1], v6, off
.LBB66_64:
	s_mov_b64 s[2:3], -1
.LBB66_65:
	s_mov_b64 s[4:5], 0
.LBB66_66:
	s_and_b64 vcc, exec, s[4:5]
	s_cbranch_vccz .LBB66_107
; %bb.67:
	s_cmp_gt_i32 s23, 22
	s_mov_b64 s[4:5], -1
	s_cbranch_scc0 .LBB66_99
; %bb.68:
	s_cmp_lt_i32 s23, 24
	s_mov_b64 s[2:3], -1
	s_cbranch_scc1 .LBB66_88
; %bb.69:
	s_cmp_gt_i32 s23, 24
	s_cbranch_scc0 .LBB66_77
; %bb.70:
	v_cvt_f32_f16_e32 v4, v3
	s_mov_b32 s2, 0x47800000
	v_mov_b32_e32 v6, 0x80
	v_and_b32_e32 v5, 0x7fffffff, v4
	v_cmp_gt_u32_e32 vcc, s2, v5
	s_and_saveexec_b64 s[2:3], vcc
	s_cbranch_execz .LBB66_76
; %bb.71:
	s_mov_b32 s4, 0x37ffffff
	v_cmp_lt_u32_e32 vcc, s4, v5
	s_mov_b64 s[4:5], 0
                                        ; implicit-def: $vgpr5
	s_and_saveexec_b64 s[6:7], vcc
	s_xor_b64 s[6:7], exec, s[6:7]
	s_cbranch_execz .LBB66_294
; %bb.72:
	v_bfe_u32 v5, v4, 21, 1
	s_mov_b32 s26, 0x88fffff
	v_add3_u32 v5, v4, v5, s26
	s_mov_b64 s[4:5], exec
	v_lshrrev_b32_e32 v5, 21, v5
	s_andn2_saveexec_b64 s[6:7], s[6:7]
	s_cbranch_execnz .LBB66_295
.LBB66_73:
	s_or_b64 exec, exec, s[6:7]
	v_mov_b32_e32 v6, 0
	s_and_saveexec_b64 s[6:7], s[4:5]
.LBB66_74:
	v_lshrrev_b32_e32 v4, 24, v4
	s_movk_i32 s4, 0x80
	v_and_or_b32 v6, v4, s4, v5
.LBB66_75:
	s_or_b64 exec, exec, s[6:7]
.LBB66_76:
	s_or_b64 exec, exec, s[2:3]
	s_mov_b64 s[2:3], 0
	global_store_byte v[0:1], v6, off
.LBB66_77:
	s_and_b64 vcc, exec, s[2:3]
	s_cbranch_vccz .LBB66_87
; %bb.78:
	v_cvt_f32_f16_e32 v4, v3
	s_mov_b32 s2, 0x43f00000
                                        ; implicit-def: $vgpr5
	v_and_b32_e32 v6, 0x7fffffff, v4
	v_cmp_gt_u32_e32 vcc, s2, v6
	s_and_saveexec_b64 s[2:3], vcc
	s_xor_b64 s[2:3], exec, s[2:3]
	s_cbranch_execz .LBB66_84
; %bb.79:
	s_mov_b32 s4, 0x3c7fffff
	v_cmp_lt_u32_e32 vcc, s4, v6
                                        ; implicit-def: $vgpr5
	s_and_saveexec_b64 s[4:5], vcc
	s_xor_b64 s[4:5], exec, s[4:5]
; %bb.80:
	v_bfe_u32 v5, v4, 20, 1
	s_mov_b32 s6, 0x407ffff
	v_add3_u32 v5, v4, v5, s6
	v_lshrrev_b32_e32 v6, 20, v5
	v_and_b32_e32 v5, 0xff00000, v5
	s_mov_b32 s6, 0x7f00000
	v_mov_b32_e32 v7, 0x7e
	v_cmp_ne_u32_e32 vcc, s6, v5
	v_cndmask_b32_e32 v5, v7, v6, vcc
; %bb.81:
	s_andn2_saveexec_b64 s[4:5], s[4:5]
; %bb.82:
	s_mov_b32 s6, 0x46800000
	v_add_f32_e64 v5, |v4|, s6
; %bb.83:
	s_or_b64 exec, exec, s[4:5]
                                        ; implicit-def: $vgpr6
.LBB66_84:
	s_andn2_saveexec_b64 s[2:3], s[2:3]
; %bb.85:
	s_mov_b32 s4, 0x7f800000
	v_mov_b32_e32 v5, 0x7e
	v_mov_b32_e32 v7, 0x7f
	v_cmp_lt_u32_e32 vcc, s4, v6
	v_cndmask_b32_e32 v5, v5, v7, vcc
; %bb.86:
	s_or_b64 exec, exec, s[2:3]
	v_lshrrev_b32_e32 v4, 24, v4
	s_movk_i32 s2, 0x80
	v_and_or_b32 v4, v4, s2, v5
	global_store_byte v[0:1], v4, off
.LBB66_87:
	s_mov_b64 s[2:3], 0
.LBB66_88:
	s_andn2_b64 vcc, exec, s[2:3]
	s_cbranch_vccnz .LBB66_98
; %bb.89:
	v_cvt_f32_f16_e32 v4, v3
	s_mov_b32 s2, 0x47800000
                                        ; implicit-def: $vgpr5
	v_and_b32_e32 v6, 0x7fffffff, v4
	v_cmp_gt_u32_e32 vcc, s2, v6
	s_and_saveexec_b64 s[2:3], vcc
	s_xor_b64 s[2:3], exec, s[2:3]
	s_cbranch_execz .LBB66_95
; %bb.90:
	s_mov_b32 s4, 0x387fffff
	v_cmp_lt_u32_e32 vcc, s4, v6
                                        ; implicit-def: $vgpr5
	s_and_saveexec_b64 s[4:5], vcc
	s_xor_b64 s[4:5], exec, s[4:5]
; %bb.91:
	v_bfe_u32 v5, v4, 21, 1
	s_mov_b32 s6, 0x80fffff
	v_add3_u32 v5, v4, v5, s6
	v_lshrrev_b32_e32 v5, 21, v5
; %bb.92:
	s_andn2_saveexec_b64 s[4:5], s[4:5]
; %bb.93:
	s_mov_b32 s6, 0x43000000
	v_add_f32_e64 v5, |v4|, s6
; %bb.94:
	s_or_b64 exec, exec, s[4:5]
                                        ; implicit-def: $vgpr6
.LBB66_95:
	s_andn2_saveexec_b64 s[2:3], s[2:3]
; %bb.96:
	s_mov_b32 s4, 0x7f800000
	v_mov_b32_e32 v5, 0x7c
	v_mov_b32_e32 v7, 0x7f
	v_cmp_lt_u32_e32 vcc, s4, v6
	v_cndmask_b32_e32 v5, v5, v7, vcc
; %bb.97:
	s_or_b64 exec, exec, s[2:3]
	v_lshrrev_b32_e32 v4, 24, v4
	s_movk_i32 s2, 0x80
	v_and_or_b32 v4, v4, s2, v5
	global_store_byte v[0:1], v4, off
.LBB66_98:
	s_mov_b64 s[4:5], 0
	s_mov_b64 s[2:3], -1
.LBB66_99:
	s_andn2_b64 vcc, exec, s[4:5]
	s_cbranch_vccnz .LBB66_107
; %bb.100:
	s_cmp_gt_i32 s23, 14
	s_mov_b64 s[4:5], -1
	s_cbranch_scc0 .LBB66_104
; %bb.101:
	s_cmp_eq_u32 s23, 15
	s_mov_b64 s[0:1], -1
	s_cbranch_scc0 .LBB66_103
; %bb.102:
	v_cvt_f32_f16_e32 v4, v3
	s_movk_i32 s0, 0x7fff
	v_cmp_o_f16_e32 vcc, v3, v3
	v_mov_b32_e32 v5, 0x7fc0
	v_bfe_u32 v6, v4, 16, 1
	v_add3_u32 v4, v4, v6, s0
	v_cndmask_b32_sdwa v4, v5, v4, vcc dst_sel:DWORD dst_unused:UNUSED_PAD src0_sel:DWORD src1_sel:WORD_1
	global_store_short v[0:1], v4, off
	s_mov_b64 s[2:3], -1
	s_mov_b64 s[0:1], 0
.LBB66_103:
	s_mov_b64 s[4:5], 0
.LBB66_104:
	s_and_b64 vcc, exec, s[4:5]
	s_cbranch_vccz .LBB66_107
; %bb.105:
	s_cmp_eq_u32 s23, 11
	s_mov_b64 s[0:1], -1
	s_cbranch_scc0 .LBB66_107
; %bb.106:
	v_cmp_neq_f16_e32 vcc, 0, v3
	v_cndmask_b32_e64 v4, 0, 1, vcc
	s_mov_b64 s[2:3], -1
	s_mov_b64 s[0:1], 0
	global_store_byte v[0:1], v4, off
.LBB66_107:
	s_branch .LBB66_26
.LBB66_108:
	s_and_b32 s4, 0xffff, s22
	s_cmp_lt_i32 s4, 5
	s_mov_b64 s[2:3], -1
	s_cbranch_scc1 .LBB66_129
; %bb.109:
	s_cmp_lt_i32 s4, 8
	s_cbranch_scc1 .LBB66_119
; %bb.110:
	s_cmp_lt_i32 s4, 9
	s_cbranch_scc1 .LBB66_116
; %bb.111:
	s_cmp_gt_i32 s4, 9
	s_cbranch_scc0 .LBB66_113
; %bb.112:
	v_cvt_f32_f16_e32 v4, v3
	v_mov_b32_e32 v6, 0
	v_mov_b32_e32 v7, v6
	s_mov_b64 s[2:3], 0
	v_cvt_f64_f32_e32 v[4:5], v4
	global_store_dwordx4 v[0:1], v[4:7], off
.LBB66_113:
	s_andn2_b64 vcc, exec, s[2:3]
	s_cbranch_vccnz .LBB66_115
; %bb.114:
	v_cvt_f32_f16_e32 v4, v3
	v_mov_b32_e32 v5, 0
	global_store_dwordx2 v[0:1], v[4:5], off
.LBB66_115:
	s_mov_b64 s[2:3], 0
.LBB66_116:
	s_andn2_b64 vcc, exec, s[2:3]
	s_cbranch_vccnz .LBB66_118
; %bb.117:
	v_and_b32_e32 v4, 0xffff, v3
	global_store_dword v[0:1], v4, off
.LBB66_118:
	s_mov_b64 s[2:3], 0
.LBB66_119:
	s_andn2_b64 vcc, exec, s[2:3]
	s_cbranch_vccnz .LBB66_128
; %bb.120:
	s_cmp_lt_i32 s4, 6
	s_mov_b64 s[2:3], -1
	s_cbranch_scc1 .LBB66_126
; %bb.121:
	s_cmp_gt_i32 s4, 6
	s_cbranch_scc0 .LBB66_123
; %bb.122:
	v_cvt_f32_f16_e32 v4, v3
	s_mov_b64 s[2:3], 0
	v_cvt_f64_f32_e32 v[4:5], v4
	global_store_dwordx2 v[0:1], v[4:5], off
.LBB66_123:
	s_andn2_b64 vcc, exec, s[2:3]
	s_cbranch_vccnz .LBB66_125
; %bb.124:
	v_cvt_f32_f16_e32 v4, v3
	global_store_dword v[0:1], v4, off
.LBB66_125:
	s_mov_b64 s[2:3], 0
.LBB66_126:
	s_andn2_b64 vcc, exec, s[2:3]
	s_cbranch_vccnz .LBB66_128
; %bb.127:
	global_store_short v[0:1], v3, off
.LBB66_128:
	s_mov_b64 s[2:3], 0
.LBB66_129:
	s_andn2_b64 vcc, exec, s[2:3]
	s_cbranch_vccnz .LBB66_145
; %bb.130:
	s_cmp_lt_i32 s4, 2
	s_mov_b64 s[2:3], -1
	s_cbranch_scc1 .LBB66_140
; %bb.131:
	s_cmp_lt_i32 s4, 3
	s_cbranch_scc1 .LBB66_137
; %bb.132:
	s_cmp_gt_i32 s4, 3
	s_cbranch_scc0 .LBB66_134
; %bb.133:
	v_cvt_f32_f16_e32 v4, v3
	s_mov_b64 s[2:3], 0
	v_cvt_i32_f32_e32 v4, v4
	v_ashrrev_i32_e32 v5, 31, v4
	global_store_dwordx2 v[0:1], v[4:5], off
.LBB66_134:
	s_andn2_b64 vcc, exec, s[2:3]
	s_cbranch_vccnz .LBB66_136
; %bb.135:
	v_cvt_f32_f16_e32 v4, v3
	v_cvt_i32_f32_e32 v4, v4
	global_store_dword v[0:1], v4, off
.LBB66_136:
	s_mov_b64 s[2:3], 0
.LBB66_137:
	s_andn2_b64 vcc, exec, s[2:3]
	s_cbranch_vccnz .LBB66_139
; %bb.138:
	v_cvt_i16_f16_e32 v4, v3
	global_store_short v[0:1], v4, off
.LBB66_139:
	s_mov_b64 s[2:3], 0
.LBB66_140:
	s_andn2_b64 vcc, exec, s[2:3]
	s_cbranch_vccnz .LBB66_145
; %bb.141:
	s_cmp_gt_i32 s4, 0
	s_mov_b64 s[2:3], -1
	s_cbranch_scc0 .LBB66_143
; %bb.142:
	v_cvt_i16_f16_e32 v4, v3
	global_store_byte v[0:1], v4, off
	s_mov_b64 s[2:3], 0
.LBB66_143:
	s_andn2_b64 vcc, exec, s[2:3]
	s_cbranch_vccnz .LBB66_145
; %bb.144:
	v_cvt_f32_f16_e32 v3, v3
	v_cvt_i32_f32_e32 v3, v3
	global_store_byte v[0:1], v3, off
.LBB66_145:
	s_branch .LBB66_27
.LBB66_146:
	s_mov_b64 s[2:3], 0
                                        ; implicit-def: $vgpr2
	s_branch .LBB66_256
.LBB66_147:
	s_mov_b64 s[18:19], -1
                                        ; implicit-def: $vgpr3
.LBB66_148:
	s_mov_b64 s[2:3], 0
.LBB66_149:
	s_and_b64 vcc, exec, s[2:3]
	s_cbranch_vccz .LBB66_153
; %bb.150:
	s_cmp_eq_u32 s6, 29
	s_cbranch_scc0 .LBB66_152
; %bb.151:
	global_load_dwordx2 v[3:4], v[0:1], off
	s_mov_b64 s[0:1], -1
	s_mov_b64 s[18:19], 0
	s_mov_b64 s[2:3], 0
	s_waitcnt vmcnt(0)
	v_ffbh_u32_e32 v5, v4
	v_min_u32_e32 v5, 32, v5
	v_lshlrev_b64 v[3:4], v5, v[3:4]
	v_min_u32_e32 v3, 1, v3
	v_or_b32_e32 v3, v4, v3
	v_cvt_f32_u32_e32 v3, v3
	v_sub_u32_e32 v4, 32, v5
	v_ldexp_f32 v3, v3, v4
	v_cvt_f16_f32_e32 v3, v3
	s_branch .LBB66_154
.LBB66_152:
	s_mov_b64 s[18:19], -1
                                        ; implicit-def: $vgpr3
.LBB66_153:
	s_mov_b64 s[2:3], 0
.LBB66_154:
	s_and_b64 vcc, exec, s[2:3]
	s_cbranch_vccz .LBB66_172
; %bb.155:
	s_cmp_lt_i32 s6, 27
	s_cbranch_scc1 .LBB66_158
; %bb.156:
	s_cmp_gt_i32 s6, 27
	s_cbranch_scc0 .LBB66_159
; %bb.157:
	global_load_dword v3, v[0:1], off
	s_mov_b64 s[0:1], 0
	s_waitcnt vmcnt(0)
	v_cvt_f32_u32_e32 v3, v3
	v_cvt_f16_f32_e32 v3, v3
	s_branch .LBB66_160
.LBB66_158:
	s_mov_b64 s[0:1], -1
                                        ; implicit-def: $vgpr3
	s_branch .LBB66_163
.LBB66_159:
	s_mov_b64 s[0:1], -1
                                        ; implicit-def: $vgpr3
.LBB66_160:
	s_andn2_b64 vcc, exec, s[0:1]
	s_cbranch_vccnz .LBB66_162
; %bb.161:
	global_load_ushort v3, v[0:1], off
	s_waitcnt vmcnt(0)
	v_cvt_f16_u16_e32 v3, v3
.LBB66_162:
	s_mov_b64 s[0:1], 0
.LBB66_163:
	s_andn2_b64 vcc, exec, s[0:1]
	s_cbranch_vccnz .LBB66_171
; %bb.164:
	global_load_ubyte v4, v[0:1], off
	s_movk_i32 s0, 0x7f
	s_waitcnt vmcnt(0)
	v_cmp_lt_i16_e32 vcc, s0, v4
	s_mov_b64 s[0:1], 0
	s_and_saveexec_b64 s[2:3], vcc
	s_xor_b64 s[2:3], exec, s[2:3]
	s_cbranch_execz .LBB66_184
; %bb.165:
	s_movk_i32 s0, 0x80
	v_cmp_eq_u16_e32 vcc, s0, v4
	s_mov_b64 s[0:1], -1
	s_and_saveexec_b64 s[4:5], vcc
; %bb.166:
	s_xor_b64 s[0:1], exec, -1
; %bb.167:
	s_or_b64 exec, exec, s[4:5]
	s_and_b64 s[0:1], s[0:1], exec
	s_or_saveexec_b64 s[2:3], s[2:3]
	v_mov_b32_e32 v3, 0x7e00
	s_xor_b64 exec, exec, s[2:3]
	s_cbranch_execnz .LBB66_185
.LBB66_168:
	s_or_b64 exec, exec, s[2:3]
	s_and_saveexec_b64 s[2:3], s[0:1]
	s_cbranch_execz .LBB66_170
.LBB66_169:
	v_lshlrev_b32_e32 v3, 24, v4
	v_and_b32_e32 v4, 0xffff, v4
	v_and_b32_e32 v5, 7, v4
	v_ffbh_u32_e32 v7, v5
	v_min_u32_e32 v7, 32, v7
	v_subrev_u32_e32 v8, 28, v7
	v_bfe_u32 v6, v4, 3, 4
	v_lshlrev_b32_e32 v4, v8, v4
	v_sub_u32_e32 v7, 29, v7
	v_and_b32_e32 v4, 7, v4
	v_cmp_eq_u32_e32 vcc, 0, v6
	v_cndmask_b32_e32 v6, v6, v7, vcc
	v_cndmask_b32_e32 v4, v5, v4, vcc
	v_mov_b32_e32 v5, 0x3b800000
	v_lshlrev_b32_e32 v4, 20, v4
	v_and_b32_e32 v3, 0x80000000, v3
	v_lshl_add_u32 v5, v6, 23, v5
	v_or3_b32 v3, v3, v5, v4
	v_cvt_f16_f32_e32 v3, v3
.LBB66_170:
	s_or_b64 exec, exec, s[2:3]
.LBB66_171:
	s_mov_b64 s[0:1], -1
.LBB66_172:
	s_branch .LBB66_207
.LBB66_173:
	s_cmp_gt_i32 s6, 22
	s_cbranch_scc0 .LBB66_183
; %bb.174:
	s_cmp_lt_i32 s6, 24
	s_cbranch_scc1 .LBB66_186
; %bb.175:
	s_cmp_gt_i32 s6, 24
	s_cbranch_scc0 .LBB66_187
; %bb.176:
	global_load_ubyte v4, v[0:1], off
	s_movk_i32 s0, 0x7f
	s_waitcnt vmcnt(0)
	v_cmp_lt_i16_e32 vcc, s0, v4
	s_mov_b64 s[0:1], 0
	s_and_saveexec_b64 s[2:3], vcc
	s_xor_b64 s[2:3], exec, s[2:3]
	s_cbranch_execz .LBB66_199
; %bb.177:
	s_movk_i32 s0, 0x80
	v_cmp_eq_u16_e32 vcc, s0, v4
	s_mov_b64 s[0:1], -1
	s_and_saveexec_b64 s[4:5], vcc
; %bb.178:
	s_xor_b64 s[0:1], exec, -1
; %bb.179:
	s_or_b64 exec, exec, s[4:5]
	s_and_b64 s[0:1], s[0:1], exec
	s_or_saveexec_b64 s[2:3], s[2:3]
	v_mov_b32_e32 v3, 0x7e00
	s_xor_b64 exec, exec, s[2:3]
	s_cbranch_execnz .LBB66_200
.LBB66_180:
	s_or_b64 exec, exec, s[2:3]
	s_and_saveexec_b64 s[2:3], s[0:1]
	s_cbranch_execz .LBB66_182
.LBB66_181:
	v_lshlrev_b32_e32 v3, 24, v4
	v_and_b32_e32 v4, 0xffff, v4
	v_and_b32_e32 v5, 3, v4
	v_ffbh_u32_e32 v7, v5
	v_min_u32_e32 v7, 32, v7
	v_subrev_u32_e32 v8, 29, v7
	v_bfe_u32 v6, v4, 2, 5
	v_lshlrev_b32_e32 v4, v8, v4
	v_sub_u32_e32 v7, 30, v7
	v_and_b32_e32 v4, 3, v4
	v_cmp_eq_u32_e32 vcc, 0, v6
	v_cndmask_b32_e32 v6, v6, v7, vcc
	v_cndmask_b32_e32 v4, v5, v4, vcc
	v_mov_b32_e32 v5, 0x37800000
	v_lshlrev_b32_e32 v4, 21, v4
	v_and_b32_e32 v3, 0x80000000, v3
	v_lshl_add_u32 v5, v6, 23, v5
	v_or3_b32 v3, v3, v5, v4
	v_cvt_f16_f32_e32 v3, v3
.LBB66_182:
	s_or_b64 exec, exec, s[2:3]
	s_mov_b64 s[0:1], 0
	s_branch .LBB66_188
.LBB66_183:
	s_mov_b64 s[2:3], -1
                                        ; implicit-def: $vgpr3
	s_branch .LBB66_194
.LBB66_184:
	s_or_saveexec_b64 s[2:3], s[2:3]
	v_mov_b32_e32 v3, 0x7e00
	s_xor_b64 exec, exec, s[2:3]
	s_cbranch_execz .LBB66_168
.LBB66_185:
	v_cmp_ne_u16_e32 vcc, 0, v4
	s_andn2_b64 s[0:1], s[0:1], exec
	s_and_b64 s[4:5], vcc, exec
	s_or_b64 s[0:1], s[0:1], s[4:5]
	v_mov_b32_e32 v3, v4
	s_or_b64 exec, exec, s[2:3]
	s_and_saveexec_b64 s[2:3], s[0:1]
	s_cbranch_execnz .LBB66_169
	s_branch .LBB66_170
.LBB66_186:
	s_mov_b64 s[0:1], -1
                                        ; implicit-def: $vgpr3
	s_branch .LBB66_191
.LBB66_187:
	s_mov_b64 s[0:1], -1
                                        ; implicit-def: $vgpr3
.LBB66_188:
	s_and_b64 vcc, exec, s[0:1]
	s_cbranch_vccz .LBB66_190
; %bb.189:
	global_load_ubyte v3, v[0:1], off
	s_mov_b32 s0, 0x7f800000
	s_waitcnt vmcnt(0)
	v_lshlrev_b32_e32 v3, 24, v3
	v_and_b32_e32 v4, 0x7f000000, v3
	v_ffbh_u32_e32 v5, v4
	v_min_u32_e32 v5, 32, v5
	v_sub_u32_e64 v5, v5, 4 clamp
	v_lshlrev_b32_e32 v7, v5, v4
	v_lshlrev_b32_e32 v5, 23, v5
	v_lshrrev_b32_e32 v7, 4, v7
	v_add_u32_e32 v6, 0x1000000, v4
	v_sub_u32_e32 v5, v7, v5
	v_ashrrev_i32_e32 v6, 8, v6
	v_add_u32_e32 v5, 0x3c000000, v5
	v_and_or_b32 v5, v6, s0, v5
	v_cmp_ne_u32_e32 vcc, 0, v4
	v_cndmask_b32_e32 v4, 0, v5, vcc
	s_brev_b32 s0, 1
	v_and_or_b32 v3, v3, s0, v4
	v_cvt_f16_f32_e32 v3, v3
.LBB66_190:
	s_mov_b64 s[0:1], 0
.LBB66_191:
	s_andn2_b64 vcc, exec, s[0:1]
	s_cbranch_vccnz .LBB66_193
; %bb.192:
	global_load_ubyte v3, v[0:1], off
	s_movk_i32 s0, 0x7f00
	s_brev_b32 s1, 16
	s_waitcnt vmcnt(0)
	v_lshlrev_b16_e32 v4, 8, v3
	v_lshlrev_b32_e32 v3, 25, v3
	v_lshrrev_b32_e32 v5, 4, v3
	v_and_or_b32 v6, v4, s0, 0.5
	v_or_b32_e32 v5, 0x70000000, v5
	v_add_f32_e32 v6, -0.5, v6
	v_mul_f32_e32 v5, 0x7800000, v5
	v_cmp_gt_u32_e32 vcc, s1, v3
	v_bfe_i32 v4, v4, 0, 16
	v_cndmask_b32_e32 v3, v5, v6, vcc
	s_brev_b32 s0, 1
	v_and_or_b32 v3, v4, s0, v3
	v_cvt_f16_f32_e32 v3, v3
.LBB66_193:
	s_mov_b64 s[2:3], 0
	s_mov_b64 s[0:1], -1
.LBB66_194:
	s_andn2_b64 vcc, exec, s[2:3]
	s_cbranch_vccnz .LBB66_207
; %bb.195:
	s_cmp_gt_i32 s6, 14
	s_cbranch_scc0 .LBB66_198
; %bb.196:
	s_cmp_eq_u32 s6, 15
	s_cbranch_scc0 .LBB66_201
; %bb.197:
	global_load_ushort v3, v[0:1], off
	s_mov_b64 s[0:1], -1
	s_mov_b64 s[18:19], 0
	s_waitcnt vmcnt(0)
	v_lshlrev_b32_e32 v3, 16, v3
	v_cvt_f16_f32_e32 v3, v3
	s_branch .LBB66_202
.LBB66_198:
	s_mov_b64 s[2:3], -1
                                        ; implicit-def: $vgpr3
	s_branch .LBB66_203
.LBB66_199:
	s_or_saveexec_b64 s[2:3], s[2:3]
	v_mov_b32_e32 v3, 0x7e00
	s_xor_b64 exec, exec, s[2:3]
	s_cbranch_execz .LBB66_180
.LBB66_200:
	v_cmp_ne_u16_e32 vcc, 0, v4
	s_andn2_b64 s[0:1], s[0:1], exec
	s_and_b64 s[4:5], vcc, exec
	s_or_b64 s[0:1], s[0:1], s[4:5]
	v_mov_b32_e32 v3, v4
	s_or_b64 exec, exec, s[2:3]
	s_and_saveexec_b64 s[2:3], s[0:1]
	s_cbranch_execnz .LBB66_181
	s_branch .LBB66_182
.LBB66_201:
	s_mov_b64 s[18:19], -1
                                        ; implicit-def: $vgpr3
.LBB66_202:
	s_mov_b64 s[2:3], 0
.LBB66_203:
	s_and_b64 vcc, exec, s[2:3]
	s_cbranch_vccz .LBB66_207
; %bb.204:
	s_cmp_eq_u32 s6, 11
	s_cbranch_scc0 .LBB66_206
; %bb.205:
	global_load_ubyte v3, v[0:1], off
	v_mov_b32_e32 v4, 0x3c00
	s_mov_b64 s[0:1], -1
	s_mov_b64 s[18:19], 0
	s_waitcnt vmcnt(0)
	v_cmp_ne_u16_e32 vcc, 0, v3
	v_cndmask_b32_e32 v3, 0, v4, vcc
	s_branch .LBB66_207
.LBB66_206:
	s_mov_b64 s[18:19], -1
                                        ; implicit-def: $vgpr3
.LBB66_207:
	s_branch .LBB66_10
.LBB66_208:
	s_cmp_lt_i32 s6, 5
	s_cbranch_scc1 .LBB66_213
; %bb.209:
	s_cmp_lt_i32 s6, 8
	s_cbranch_scc1 .LBB66_214
; %bb.210:
	s_cmp_lt_i32 s6, 9
	s_cbranch_scc1 .LBB66_215
; %bb.211:
	s_cmp_gt_i32 s6, 9
	s_cbranch_scc0 .LBB66_216
; %bb.212:
	global_load_dwordx2 v[3:4], v[0:1], off
	s_movk_i32 s0, 0x1ff
	s_movk_i32 s1, 0xffe
	v_mov_b32_e32 v5, 0x7c00
	v_mov_b32_e32 v6, 0x7e00
	s_movk_i32 s2, 0x40f
	s_mov_b32 s3, 0x8000
	s_waitcnt vmcnt(0)
	v_and_or_b32 v3, v4, s0, v3
	v_cmp_ne_u32_e32 vcc, 0, v3
	v_lshrrev_b32_e32 v7, 8, v4
	v_bfe_u32 v8, v4, 20, 11
	v_cndmask_b32_e64 v3, 0, 1, vcc
	v_sub_u32_e32 v9, 0x3f1, v8
	v_and_or_b32 v3, v7, s1, v3
	v_add_u32_e32 v8, 0xfffffc10, v8
	v_med3_i32 v7, v9, 0, 13
	v_or_b32_e32 v9, 0x1000, v3
	v_cmp_ne_u32_e32 vcc, 0, v3
	v_lshl_or_b32 v10, v8, 12, v3
	v_cndmask_b32_e32 v3, v5, v6, vcc
	v_lshrrev_b32_e32 v6, v7, v9
	v_lshlrev_b32_e32 v7, v7, v6
	v_cmp_ne_u32_e32 vcc, v7, v9
	v_cndmask_b32_e64 v7, 0, 1, vcc
	v_or_b32_e32 v6, v6, v7
	v_cmp_gt_i32_e32 vcc, 1, v8
	v_cndmask_b32_e32 v6, v10, v6, vcc
	v_and_b32_e32 v7, 7, v6
	v_cmp_lt_i32_e32 vcc, 5, v7
	v_cndmask_b32_e64 v9, 0, 1, vcc
	v_cmp_eq_u32_e32 vcc, 3, v7
	v_cndmask_b32_e64 v7, 0, 1, vcc
	v_lshrrev_b32_e32 v6, 2, v6
	v_or_b32_e32 v7, v7, v9
	v_add_u32_e32 v6, v6, v7
	v_cmp_gt_i32_e32 vcc, 31, v8
	v_cndmask_b32_e32 v5, v5, v6, vcc
	v_cmp_eq_u32_e32 vcc, s2, v8
	v_lshrrev_b32_e32 v4, 16, v4
	v_cndmask_b32_e32 v3, v5, v3, vcc
	v_and_or_b32 v3, v4, s3, v3
	s_mov_b64 s[0:1], 0
	s_branch .LBB66_217
.LBB66_213:
                                        ; implicit-def: $vgpr3
	s_branch .LBB66_235
.LBB66_214:
	s_mov_b64 s[0:1], -1
                                        ; implicit-def: $vgpr3
	s_branch .LBB66_223
.LBB66_215:
	s_mov_b64 s[0:1], -1
                                        ; implicit-def: $vgpr3
	s_branch .LBB66_220
.LBB66_216:
	s_mov_b64 s[0:1], -1
                                        ; implicit-def: $vgpr3
.LBB66_217:
	s_andn2_b64 vcc, exec, s[0:1]
	s_cbranch_vccnz .LBB66_219
; %bb.218:
	global_load_dword v3, v[0:1], off
	s_waitcnt vmcnt(0)
	v_cvt_f16_f32_e32 v3, v3
.LBB66_219:
	s_mov_b64 s[0:1], 0
.LBB66_220:
	s_andn2_b64 vcc, exec, s[0:1]
	s_cbranch_vccnz .LBB66_222
; %bb.221:
	global_load_dword v3, v[0:1], off
.LBB66_222:
	s_mov_b64 s[0:1], 0
.LBB66_223:
	s_andn2_b64 vcc, exec, s[0:1]
	s_cbranch_vccnz .LBB66_234
; %bb.224:
	s_cmp_lt_i32 s6, 6
	s_cbranch_scc1 .LBB66_227
; %bb.225:
	s_cmp_gt_i32 s6, 6
	s_cbranch_scc0 .LBB66_228
; %bb.226:
	global_load_dwordx2 v[3:4], v[0:1], off
	s_movk_i32 s0, 0x1ff
	s_movk_i32 s1, 0xffe
	v_mov_b32_e32 v5, 0x7c00
	v_mov_b32_e32 v6, 0x7e00
	s_movk_i32 s2, 0x40f
	s_mov_b32 s3, 0x8000
	s_waitcnt vmcnt(0)
	v_and_or_b32 v3, v4, s0, v3
	v_cmp_ne_u32_e32 vcc, 0, v3
	v_lshrrev_b32_e32 v7, 8, v4
	v_bfe_u32 v8, v4, 20, 11
	v_cndmask_b32_e64 v3, 0, 1, vcc
	v_sub_u32_e32 v9, 0x3f1, v8
	v_and_or_b32 v3, v7, s1, v3
	v_add_u32_e32 v8, 0xfffffc10, v8
	v_med3_i32 v7, v9, 0, 13
	v_or_b32_e32 v9, 0x1000, v3
	v_cmp_ne_u32_e32 vcc, 0, v3
	v_lshl_or_b32 v10, v8, 12, v3
	v_cndmask_b32_e32 v3, v5, v6, vcc
	v_lshrrev_b32_e32 v6, v7, v9
	v_lshlrev_b32_e32 v7, v7, v6
	v_cmp_ne_u32_e32 vcc, v7, v9
	v_cndmask_b32_e64 v7, 0, 1, vcc
	v_or_b32_e32 v6, v6, v7
	v_cmp_gt_i32_e32 vcc, 1, v8
	v_cndmask_b32_e32 v6, v10, v6, vcc
	v_and_b32_e32 v7, 7, v6
	v_cmp_lt_i32_e32 vcc, 5, v7
	v_cndmask_b32_e64 v9, 0, 1, vcc
	v_cmp_eq_u32_e32 vcc, 3, v7
	v_cndmask_b32_e64 v7, 0, 1, vcc
	v_lshrrev_b32_e32 v6, 2, v6
	v_or_b32_e32 v7, v7, v9
	v_add_u32_e32 v6, v6, v7
	v_cmp_gt_i32_e32 vcc, 31, v8
	v_cndmask_b32_e32 v5, v5, v6, vcc
	v_cmp_eq_u32_e32 vcc, s2, v8
	v_lshrrev_b32_e32 v4, 16, v4
	v_cndmask_b32_e32 v3, v5, v3, vcc
	v_and_or_b32 v3, v4, s3, v3
	s_mov_b64 s[0:1], 0
	s_branch .LBB66_229
.LBB66_227:
	s_mov_b64 s[0:1], -1
                                        ; implicit-def: $vgpr3
	s_branch .LBB66_232
.LBB66_228:
	s_mov_b64 s[0:1], -1
                                        ; implicit-def: $vgpr3
.LBB66_229:
	s_andn2_b64 vcc, exec, s[0:1]
	s_cbranch_vccnz .LBB66_231
; %bb.230:
	global_load_dword v3, v[0:1], off
	s_waitcnt vmcnt(0)
	v_cvt_f16_f32_e32 v3, v3
.LBB66_231:
	s_mov_b64 s[0:1], 0
.LBB66_232:
	s_andn2_b64 vcc, exec, s[0:1]
	s_cbranch_vccnz .LBB66_234
; %bb.233:
	global_load_ushort v3, v[0:1], off
.LBB66_234:
	s_cbranch_execnz .LBB66_254
.LBB66_235:
	s_cmp_lt_i32 s6, 2
	s_cbranch_scc1 .LBB66_239
; %bb.236:
	s_cmp_lt_i32 s6, 3
	s_cbranch_scc1 .LBB66_240
; %bb.237:
	s_cmp_gt_i32 s6, 3
	s_cbranch_scc0 .LBB66_241
; %bb.238:
	global_load_dwordx2 v[3:4], v[0:1], off
	s_mov_b64 s[0:1], 0
	s_waitcnt vmcnt(0)
	v_xor_b32_e32 v6, v3, v4
	v_ffbh_i32_e32 v5, v4
	v_ashrrev_i32_e32 v6, 31, v6
	v_add_u32_e32 v5, -1, v5
	v_add_u32_e32 v6, 32, v6
	v_min_u32_e32 v5, v5, v6
	v_lshlrev_b64 v[3:4], v5, v[3:4]
	v_min_u32_e32 v3, 1, v3
	v_or_b32_e32 v3, v4, v3
	v_cvt_f32_i32_e32 v3, v3
	v_sub_u32_e32 v4, 32, v5
	v_ldexp_f32 v3, v3, v4
	v_cvt_f16_f32_e32 v3, v3
	s_branch .LBB66_242
.LBB66_239:
	s_mov_b64 s[0:1], -1
                                        ; implicit-def: $vgpr3
	s_branch .LBB66_248
.LBB66_240:
	s_mov_b64 s[0:1], -1
                                        ; implicit-def: $vgpr3
	s_branch .LBB66_245
.LBB66_241:
	s_mov_b64 s[0:1], -1
                                        ; implicit-def: $vgpr3
.LBB66_242:
	s_andn2_b64 vcc, exec, s[0:1]
	s_cbranch_vccnz .LBB66_244
; %bb.243:
	global_load_dword v3, v[0:1], off
	s_waitcnt vmcnt(0)
	v_cvt_f32_i32_e32 v3, v3
	v_cvt_f16_f32_e32 v3, v3
.LBB66_244:
	s_mov_b64 s[0:1], 0
.LBB66_245:
	s_andn2_b64 vcc, exec, s[0:1]
	s_cbranch_vccnz .LBB66_247
; %bb.246:
	global_load_ushort v3, v[0:1], off
	s_waitcnt vmcnt(0)
	v_cvt_f16_i16_e32 v3, v3
.LBB66_247:
	s_mov_b64 s[0:1], 0
.LBB66_248:
	s_andn2_b64 vcc, exec, s[0:1]
	s_cbranch_vccnz .LBB66_254
; %bb.249:
	s_cmp_gt_i32 s6, 0
	s_cbranch_scc0 .LBB66_251
; %bb.250:
	global_load_sbyte v3, v[0:1], off
	s_mov_b64 s[0:1], 0
	s_waitcnt vmcnt(0)
	v_cvt_f16_i16_e32 v3, v3
	s_branch .LBB66_252
.LBB66_251:
	s_mov_b64 s[0:1], -1
                                        ; implicit-def: $vgpr3
.LBB66_252:
	s_andn2_b64 vcc, exec, s[0:1]
	s_cbranch_vccnz .LBB66_254
; %bb.253:
	global_load_ubyte v0, v[0:1], off
	s_waitcnt vmcnt(0)
	v_cvt_f16_u16_e32 v3, v0
.LBB66_254:
	s_branch .LBB66_11
.LBB66_255:
	s_mov_b64 s[0:1], 0
                                        ; implicit-def: $vgpr2
	s_mov_b64 s[2:3], 0
.LBB66_256:
	s_and_b64 s[6:7], s[0:1], exec
	s_and_b64 s[18:19], s[18:19], exec
	s_orn2_b64 s[2:3], s[2:3], exec
.LBB66_257:
	s_or_b64 exec, exec, s[20:21]
	s_mov_b64 s[4:5], 0
	s_mov_b64 s[0:1], 0
                                        ; implicit-def: $vgpr0_vgpr1
                                        ; implicit-def: $vgpr4
	s_and_saveexec_b64 s[20:21], s[2:3]
	s_cbranch_execz .LBB66_266
; %bb.258:
	v_cmp_gt_i32_e32 vcc, s38, v2
	s_mov_b64 s[0:1], -1
	s_mov_b64 s[22:23], s[18:19]
	s_mov_b64 s[24:25], s[6:7]
	s_and_saveexec_b64 s[26:27], vcc
	s_cbranch_execz .LBB66_524
; %bb.259:
	v_mul_lo_u32 v0, v2, s13
	v_mov_b32_e32 v1, s11
	s_and_b32 s24, 0xffff, s42
	s_cmp_lt_i32 s24, 11
	s_waitcnt vmcnt(0)
	v_ashrrev_i32_e32 v3, 31, v0
	v_add_co_u32_e32 v0, vcc, s10, v0
	v_addc_co_u32_e32 v1, vcc, v1, v3, vcc
	s_cbranch_scc1 .LBB66_269
; %bb.260:
	s_cmp_gt_i32 s24, 25
	s_cbranch_scc0 .LBB66_284
; %bb.261:
	s_cmp_gt_i32 s24, 28
	s_cbranch_scc0 .LBB66_286
	;; [unrolled: 3-line block ×4, first 2 shown]
; %bb.264:
	s_cmp_eq_u32 s24, 46
	s_mov_b64 s[2:3], 0
	s_cbranch_scc0 .LBB66_296
; %bb.265:
	global_load_dword v3, v[0:1], off
	s_mov_b64 s[22:23], 0
	s_waitcnt vmcnt(0)
	v_lshlrev_b32_e32 v3, 16, v3
	v_cvt_f16_f32_e32 v3, v3
	s_branch .LBB66_297
.LBB66_266:
	s_or_b64 exec, exec, s[20:21]
	s_mov_b64 s[20:21], 0
	s_and_saveexec_b64 s[2:3], s[18:19]
	s_cbranch_execnz .LBB66_876
.LBB66_267:
	s_or_b64 exec, exec, s[2:3]
	s_and_saveexec_b64 s[2:3], s[24:25]
	s_xor_b64 s[2:3], exec, s[2:3]
	s_cbranch_execz .LBB66_877
.LBB66_268:
	global_load_ubyte v3, v[0:1], off
	v_mov_b32_e32 v4, 0x3c00
	s_or_b64 s[0:1], s[0:1], exec
	s_waitcnt vmcnt(0)
	v_cmp_ne_u16_e32 vcc, 0, v3
	v_cndmask_b32_e32 v4, 0, v4, vcc
	s_or_b64 exec, exec, s[2:3]
	s_and_saveexec_b64 s[2:3], s[4:5]
	s_cbranch_execz .LBB66_923
	s_branch .LBB66_878
.LBB66_269:
	s_mov_b64 s[0:1], 0
                                        ; implicit-def: $vgpr3
	s_mov_b64 s[22:23], s[18:19]
	s_cbranch_execnz .LBB66_474
.LBB66_270:
	s_andn2_b64 vcc, exec, s[0:1]
	s_cbranch_vccnz .LBB66_522
.LBB66_271:
	s_waitcnt vmcnt(0)
	v_cvt_f32_f16_e32 v0, v3
	v_cmp_gt_f16_e32 vcc, 0.5, v3
	v_mov_b32_e32 v3, 0
	v_mov_b32_e32 v1, 1.0
	s_and_saveexec_b64 s[24:25], vcc
	s_cbranch_execz .LBB66_277
; %bb.272:
	v_mul_f32_e32 v1, 0x40490fdb, v0
	s_brev_b32 s0, 18
	v_and_b32_e32 v3, 0x7fffffff, v1
	v_cmp_nlt_f32_e64 s[0:1], |v1|, s0
                                        ; implicit-def: $vgpr4
                                        ; implicit-def: $vgpr5
	s_and_saveexec_b64 s[2:3], s[0:1]
	s_xor_b64 s[28:29], exec, s[2:3]
	s_cbranch_execz .LBB66_274
; %bb.273:
	v_and_b32_e32 v4, 0x7fffff, v3
	v_or_b32_e32 v13, 0x800000, v4
	s_mov_b32 s0, 0xfe5163ab
	v_mad_u64_u32 v[4:5], s[0:1], v13, s0, 0
	v_mov_b32_e32 v6, 0
	s_mov_b32 s0, 0x3c439041
	v_mad_u64_u32 v[7:8], s[0:1], v13, s0, v[5:6]
	s_mov_b32 s0, 0xdb629599
	v_not_b32_e32 v12, 63
	v_mov_b32_e32 v5, v8
	v_mad_u64_u32 v[8:9], s[0:1], v13, s0, v[5:6]
	s_mov_b32 s0, 0xf534ddc0
	v_not_b32_e32 v15, 31
	v_mov_b32_e32 v5, v9
	v_mad_u64_u32 v[9:10], s[0:1], v13, s0, v[5:6]
	v_lshrrev_b32_e32 v5, 23, v3
	v_add_u32_e32 v14, 0xffffff88, v5
	v_mov_b32_e32 v5, v10
	s_mov_b32 s0, 0xfc2757d1
	v_mad_u64_u32 v[10:11], s[0:1], v13, s0, v[5:6]
	v_cmp_lt_u32_e32 vcc, 63, v14
	v_cndmask_b32_e32 v5, 0, v12, vcc
	v_add_u32_e32 v14, v5, v14
	v_mov_b32_e32 v5, v11
	s_mov_b32 s0, 0x4e441529
	v_mad_u64_u32 v[11:12], s[0:1], v13, s0, v[5:6]
	v_cmp_lt_u32_e64 s[0:1], 31, v14
	v_cndmask_b32_e64 v5, 0, v15, s[0:1]
	v_add_u32_e32 v14, v5, v14
	v_mov_b32_e32 v5, v12
	s_mov_b32 s2, 0xa2f9836e
	v_mad_u64_u32 v[5:6], s[2:3], v13, s2, v[5:6]
	v_cmp_lt_u32_e64 s[2:3], 31, v14
	v_cndmask_b32_e64 v12, 0, v15, s[2:3]
	v_cndmask_b32_e32 v13, v11, v9, vcc
	v_cndmask_b32_e32 v5, v5, v10, vcc
	;; [unrolled: 1-line block ×3, first 2 shown]
	v_add_u32_e32 v12, v12, v14
	v_cndmask_b32_e64 v14, v5, v13, s[0:1]
	v_cndmask_b32_e64 v5, v6, v5, s[0:1]
	v_cndmask_b32_e32 v6, v10, v8, vcc
	v_cndmask_b32_e64 v10, v13, v6, s[0:1]
	v_cndmask_b32_e64 v5, v5, v14, s[2:3]
	;; [unrolled: 1-line block ×3, first 2 shown]
	v_sub_u32_e32 v13, 32, v12
	v_alignbit_b32 v14, v5, v11, v13
	v_cmp_eq_u32_e64 s[4:5], 0, v12
	v_cndmask_b32_e64 v12, v14, v5, s[4:5]
	v_cndmask_b32_e32 v5, v9, v7, vcc
	v_cndmask_b32_e64 v6, v6, v5, s[0:1]
	v_cndmask_b32_e64 v7, v10, v6, s[2:3]
	v_alignbit_b32 v9, v11, v7, v13
	v_cndmask_b32_e32 v4, v8, v4, vcc
	v_cndmask_b32_e64 v9, v9, v11, s[4:5]
	v_bfe_u32 v14, v12, 29, 1
	v_cndmask_b32_e64 v4, v5, v4, s[0:1]
	v_alignbit_b32 v10, v12, v9, 30
	v_sub_u32_e32 v15, 0, v14
	v_cndmask_b32_e64 v4, v6, v4, s[2:3]
	v_xor_b32_e32 v10, v10, v15
	v_alignbit_b32 v5, v7, v4, v13
	v_cndmask_b32_e64 v5, v5, v7, s[4:5]
	v_ffbh_u32_e32 v7, v10
	v_alignbit_b32 v6, v9, v5, 30
	v_min_u32_e32 v7, 32, v7
	v_alignbit_b32 v4, v5, v4, 30
	v_xor_b32_e32 v6, v6, v15
	v_sub_u32_e32 v8, 31, v7
	v_xor_b32_e32 v4, v4, v15
	v_alignbit_b32 v9, v10, v6, v8
	v_alignbit_b32 v4, v6, v4, v8
	;; [unrolled: 1-line block ×3, first 2 shown]
	v_ffbh_u32_e32 v6, v5
	v_min_u32_e32 v6, 32, v6
	v_lshrrev_b32_e32 v11, 29, v12
	v_not_b32_e32 v8, v6
	v_alignbit_b32 v4, v5, v4, v8
	v_lshlrev_b32_e32 v5, 31, v11
	v_or_b32_e32 v8, 0x33000000, v5
	v_add_lshl_u32 v6, v6, v7, 23
	v_lshrrev_b32_e32 v4, 9, v4
	v_sub_u32_e32 v6, v8, v6
	v_or_b32_e32 v5, 0.5, v5
	v_lshlrev_b32_e32 v7, 23, v7
	v_or_b32_e32 v4, v6, v4
	v_lshrrev_b32_e32 v6, 9, v9
	v_sub_u32_e32 v5, v5, v7
	v_or_b32_e32 v5, v6, v5
	s_mov_b32 s0, 0x3fc90fda
	v_mul_f32_e32 v6, 0x3fc90fda, v5
	v_fma_f32 v7, v5, s0, -v6
	v_fmac_f32_e32 v7, 0x33a22168, v5
	v_fmac_f32_e32 v7, 0x3fc90fda, v4
	v_lshrrev_b32_e32 v4, 30, v12
	v_add_f32_e32 v5, v6, v7
	v_add_u32_e32 v4, v14, v4
.LBB66_274:
	s_andn2_saveexec_b64 s[0:1], s[28:29]
	s_cbranch_execz .LBB66_276
; %bb.275:
	s_mov_b32 s2, 0x3f22f983
	v_mul_f32_e64 v4, |v1|, s2
	v_rndne_f32_e32 v6, v4
	s_mov_b32 s2, 0xbfc90fda
	v_cvt_i32_f32_e32 v4, v6
	v_fma_f32 v5, v6, s2, |v1|
	v_fmac_f32_e32 v5, 0xb3a22168, v6
	v_fmac_f32_e32 v5, 0xa7c234c4, v6
.LBB66_276:
	s_or_b64 exec, exec, s[0:1]
	v_mul_f32_e32 v6, v5, v5
	v_mov_b32_e32 v7, 0x3c0881c4
	v_fmac_f32_e32 v7, 0xb94c1982, v6
	v_mov_b32_e32 v8, 0xbe2aaa9d
	v_fmac_f32_e32 v8, v6, v7
	v_mul_f32_e32 v7, v6, v8
	v_fmac_f32_e32 v5, v5, v7
	v_mov_b32_e32 v7, 0xbab64f3b
	v_fmac_f32_e32 v7, 0x37d75334, v6
	v_mov_b32_e32 v8, 0x3d2aabf7
	;; [unrolled: 2-line block ×3, first 2 shown]
	v_fmac_f32_e32 v7, v6, v8
	v_fma_f32 v6, v6, v7, 1.0
	v_and_b32_e32 v7, 1, v4
	v_lshlrev_b32_e32 v4, 30, v4
	v_cmp_eq_u32_e32 vcc, 0, v7
	v_and_b32_e32 v4, 0x80000000, v4
	v_xor_b32_e32 v3, v3, v1
	v_cndmask_b32_e32 v5, v6, v5, vcc
	v_xor_b32_e32 v3, v3, v4
	s_movk_i32 s0, 0x1f8
	v_xor_b32_e32 v3, v3, v5
	v_mov_b32_e32 v4, 0x7fc00000
	v_cmp_class_f32_e64 vcc, v1, s0
	v_cndmask_b32_e32 v1, v4, v3, vcc
	v_mul_f32_e32 v1, v1, v1
	s_mov_b32 s2, 0xc11de9e7
	v_div_scale_f32 v3, s[0:1], v1, v1, s2
	v_div_scale_f32 v4, vcc, s2, v1, s2
	v_sub_f32_e32 v0, 1.0, v0
	v_rcp_f32_e32 v5, v3
	v_fma_f32 v6, -v3, v5, 1.0
	v_fmac_f32_e32 v5, v6, v5
	v_mul_f32_e32 v6, v4, v5
	v_fma_f32 v7, -v3, v6, v4
	v_fmac_f32_e32 v6, v7, v5
	v_fma_f32 v3, -v3, v6, v4
	v_div_fmas_f32 v3, v3, v5, v6
	v_div_fixup_f32 v1, v3, v1, s2
	v_add_f32_e32 v3, 0, v1
	v_mov_b32_e32 v1, -1.0
.LBB66_277:
	s_or_b64 exec, exec, s[24:25]
	v_mul_f32_e32 v4, v0, v0
	v_div_scale_f32 v6, s[0:1], v4, v4, 1.0
	v_add_f32_e32 v5, 1.0, v0
	v_mul_f32_e32 v0, v5, v5
	v_div_scale_f32 v8, s[0:1], v0, v0, 1.0
	v_div_scale_f32 v7, vcc, 1.0, v4, 1.0
	v_div_scale_f32 v9, s[0:1], 1.0, v0, 1.0
	v_add_f32_e32 v10, 1.0, v5
	v_mul_f32_e32 v5, v10, v10
	v_div_scale_f32 v13, s[2:3], v5, v5, 1.0
	v_add_f32_e32 v10, 1.0, v10
	v_add_f32_e32 v18, 1.0, v10
	v_rcp_f32_e32 v11, v6
	s_and_b32 s28, s33, 0xff
	s_cmp_lt_i32 s28, 11
	v_rcp_f32_e32 v12, v8
	v_fma_f32 v14, -v6, v11, 1.0
	v_fmac_f32_e32 v11, v14, v11
	v_mul_f32_e32 v15, v7, v11
	v_fma_f32 v14, -v8, v12, 1.0
	v_fmac_f32_e32 v12, v14, v12
	v_fma_f32 v14, -v6, v15, v7
	v_fmac_f32_e32 v15, v14, v11
	v_fma_f32 v6, -v6, v15, v7
	v_mul_f32_e32 v16, v9, v12
	v_div_fmas_f32 v6, v6, v11, v15
	v_div_scale_f32 v11, s[2:3], 1.0, v5, 1.0
	v_fma_f32 v7, -v8, v16, v9
	v_fmac_f32_e32 v16, v7, v12
	v_mul_f32_e32 v7, v10, v10
	v_div_scale_f32 v14, s[4:5], v7, v7, 1.0
	v_div_scale_f32 v17, s[4:5], 1.0, v7, 1.0
	v_rcp_f32_e32 v15, v13
	v_fma_f32 v9, -v8, v16, v9
	v_mul_f32_e32 v8, v18, v18
	v_div_scale_f32 v19, s[24:25], v8, v8, 1.0
	v_fma_f32 v10, -v13, v15, 1.0
	v_fmac_f32_e32 v15, v10, v15
	s_mov_b64 vcc, s[0:1]
	v_mul_f32_e32 v10, v11, v15
	v_div_fmas_f32 v9, v9, v12, v16
	v_fma_f32 v12, -v13, v10, v11
	v_fmac_f32_e32 v10, v12, v15
	v_rcp_f32_e32 v12, v14
	v_fma_f32 v11, -v13, v10, v11
	s_mov_b64 vcc, s[2:3]
	v_div_fmas_f32 v10, v11, v15, v10
	v_div_scale_f32 v15, s[0:1], 1.0, v8, 1.0
	v_add_f32_e32 v16, 1.0, v18
	v_mul_f32_e32 v18, v16, v16
	v_fma_f32 v11, -v14, v12, 1.0
	v_div_scale_f32 v20, s[2:3], v18, v18, 1.0
	v_fmac_f32_e32 v12, v11, v12
	v_mul_f32_e32 v11, v17, v12
	v_fma_f32 v13, -v14, v11, v17
	v_fmac_f32_e32 v11, v13, v12
	v_fma_f32 v14, -v14, v11, v17
	s_mov_b64 vcc, s[4:5]
	v_div_fmas_f32 v11, v14, v12, v11
	v_div_scale_f32 v14, s[2:3], 1.0, v18, 1.0
	v_rcp_f32_e32 v13, v19
	v_add_f32_e32 v16, 1.0, v16
	v_mul_f32_e32 v17, v16, v16
	v_div_scale_f32 v21, s[4:5], v17, v17, 1.0
	v_fma_f32 v12, -v19, v13, 1.0
	v_fmac_f32_e32 v13, v12, v13
	v_mul_f32_e32 v12, v15, v13
	v_fma_f32 v22, -v19, v12, v15
	v_fmac_f32_e32 v12, v22, v13
	v_div_scale_f32 v22, s[4:5], 1.0, v17, 1.0
	v_fma_f32 v15, -v19, v12, v15
	v_rcp_f32_e32 v19, v20
	s_mov_b64 vcc, s[0:1]
	v_div_fmas_f32 v12, v15, v13, v12
	s_mov_b64 vcc, s[2:3]
	v_fma_f32 v13, -v20, v19, 1.0
	v_fmac_f32_e32 v19, v13, v19
	v_mul_f32_e32 v13, v14, v19
	v_fma_f32 v15, -v20, v13, v14
	v_fmac_f32_e32 v13, v15, v19
	v_rcp_f32_e32 v15, v21
	v_fma_f32 v14, -v20, v13, v14
	v_div_fmas_f32 v13, v14, v19, v13
	v_add_f32_e32 v19, v16, v16
	v_div_scale_f32 v20, s[0:1], v19, v19, 1.0
	v_fma_f32 v14, -v21, v15, 1.0
	v_fmac_f32_e32 v15, v14, v15
	v_mul_f32_e32 v14, v22, v15
	v_fma_f32 v23, -v21, v14, v22
	v_fmac_f32_e32 v14, v23, v15
	v_div_scale_f32 v23, s[0:1], 1.0, v19, 1.0
	v_fma_f32 v21, -v21, v14, v22
	s_mov_b64 vcc, s[4:5]
	v_div_fmas_f32 v14, v21, v15, v14
	s_mov_b64 vcc, s[0:1]
	s_mov_b32 s0, 0x3e2aaaab
	v_div_fixup_f32 v4, v6, v4, 1.0
	v_add_f32_e32 v3, v3, v4
	v_rcp_f32_e32 v22, v20
	v_div_fixup_f32 v0, v9, v0, 1.0
	v_add_f32_e32 v0, v3, v0
	v_div_fixup_f32 v3, v10, v5, 1.0
	v_fma_f32 v15, -v20, v22, 1.0
	v_fmac_f32_e32 v22, v15, v22
	v_add_f32_e32 v0, v0, v3
	v_mul_f32_e32 v15, v23, v22
	v_fma_f32 v21, -v20, v15, v23
	v_fmac_f32_e32 v15, v21, v22
	v_fma_f32 v20, -v20, v15, v23
	v_div_fmas_f32 v15, v20, v22, v15
	v_div_fixup_f32 v14, v14, v17, 1.0
	v_mov_b32_e32 v17, 0x3d088889
	v_fmac_f32_e32 v17, 0xbcc30c31, v14
	v_fma_f32 v17, -v14, v17, s0
	v_div_fixup_f32 v3, v11, v7, 1.0
	v_add_f32_e32 v0, v0, v3
	v_div_fixup_f32 v3, v12, v8, 1.0
	v_mul_lo_u32 v4, v2, s12
	v_add_f32_e32 v0, v0, v3
	v_div_fixup_f32 v3, v13, v18, 1.0
	v_add_f32_e32 v0, v0, v3
	v_mov_b32_e32 v5, s9
	v_div_fixup_f32 v15, v15, v19, 1.0
	v_add_f32_e32 v15, 1.0, v15
	v_fmac_f32_e32 v15, v14, v17
	v_div_scale_f32 v14, s[0:1], v16, v16, v15
	v_div_scale_f32 v17, vcc, v15, v16, v15
	v_rcp_f32_e32 v19, v14
	v_fma_f32 v20, -v14, v19, 1.0
	v_fmac_f32_e32 v19, v20, v19
	v_mul_f32_e32 v20, v17, v19
	v_fma_f32 v21, -v14, v20, v17
	v_fmac_f32_e32 v20, v21, v19
	v_fma_f32 v14, -v14, v20, v17
	v_div_fmas_f32 v14, v14, v19, v20
	v_div_fixup_f32 v3, v14, v16, v15
	v_add_f32_e32 v0, v0, v3
	v_fma_mixlo_f16 v3, v1, v0, 0
	v_ashrrev_i32_e32 v1, 31, v4
	v_add_co_u32_e32 v0, vcc, s8, v4
	v_addc_co_u32_e32 v1, vcc, v5, v1, vcc
	s_cbranch_scc1 .LBB66_285
; %bb.278:
	s_and_b32 s29, 0xffff, s28
	s_cmp_gt_i32 s29, 25
	s_cbranch_scc0 .LBB66_287
; %bb.279:
	s_cmp_gt_i32 s29, 28
	s_cbranch_scc0 .LBB66_289
; %bb.280:
	s_cmp_gt_i32 s29, 43
	s_cbranch_scc0 .LBB66_293
; %bb.281:
	s_cmp_gt_i32 s29, 45
	s_cbranch_scc0 .LBB66_300
; %bb.282:
	s_mov_b64 s[4:5], 0
	s_mov_b64 s[0:1], -1
	s_cmp_eq_u32 s29, 46
	s_mov_b64 s[2:3], 0
	s_cbranch_scc0 .LBB66_301
; %bb.283:
	v_cvt_f32_f16_e32 v4, v3
	s_movk_i32 s0, 0x7fff
	v_cmp_o_f16_e32 vcc, v3, v3
	v_mov_b32_e32 v5, 0x7fc0
	v_bfe_u32 v6, v4, 16, 1
	v_add3_u32 v4, v4, v6, s0
	v_cndmask_b32_sdwa v4, v5, v4, vcc dst_sel:DWORD dst_unused:UNUSED_PAD src0_sel:DWORD src1_sel:WORD_1
	global_store_dword v[0:1], v4, off
	s_mov_b64 s[2:3], -1
	s_mov_b64 s[0:1], 0
	s_branch .LBB66_301
.LBB66_284:
	s_mov_b64 s[2:3], -1
	s_mov_b64 s[0:1], 0
	s_mov_b64 s[22:23], s[18:19]
                                        ; implicit-def: $vgpr3
	s_branch .LBB66_438
.LBB66_285:
	s_mov_b64 s[4:5], -1
	s_mov_b64 s[2:3], 0
	s_mov_b64 s[0:1], s[6:7]
	s_branch .LBB66_370
.LBB66_286:
	s_mov_b64 s[2:3], -1
	s_mov_b64 s[0:1], 0
	s_mov_b64 s[22:23], s[18:19]
                                        ; implicit-def: $vgpr3
	s_branch .LBB66_419
.LBB66_287:
	s_mov_b64 s[4:5], -1
	s_mov_b64 s[2:3], 0
	s_mov_b64 s[0:1], s[6:7]
	s_branch .LBB66_328
.LBB66_288:
	s_mov_b64 s[2:3], -1
	s_mov_b64 s[0:1], 0
	s_mov_b64 s[22:23], s[18:19]
                                        ; implicit-def: $vgpr3
	s_branch .LBB66_414
.LBB66_289:
	s_mov_b64 s[4:5], -1
	s_mov_b64 s[2:3], 0
	s_mov_b64 s[0:1], s[6:7]
	s_branch .LBB66_311
.LBB66_290:
	s_andn2_saveexec_b64 s[6:7], s[6:7]
	s_cbranch_execz .LBB66_60
.LBB66_291:
	s_mov_b32 s26, 0x46000000
	v_add_f32_e64 v5, |v4|, s26
	v_and_b32_e32 v5, 0xff, v5
	v_cmp_ne_u32_e32 vcc, 0, v5
	s_andn2_b64 s[4:5], s[4:5], exec
	s_and_b64 s[26:27], vcc, exec
	s_or_b64 s[4:5], s[4:5], s[26:27]
	s_or_b64 exec, exec, s[6:7]
	v_mov_b32_e32 v6, 0
	s_and_saveexec_b64 s[6:7], s[4:5]
	s_cbranch_execnz .LBB66_61
	s_branch .LBB66_62
.LBB66_292:
	s_mov_b64 s[2:3], -1
	s_mov_b64 s[0:1], 0
	s_mov_b64 s[22:23], s[18:19]
                                        ; implicit-def: $vgpr3
	s_branch .LBB66_297
.LBB66_293:
	s_mov_b64 s[4:5], -1
	s_mov_b64 s[2:3], 0
	s_mov_b64 s[0:1], s[6:7]
	s_branch .LBB66_307
.LBB66_294:
	s_andn2_saveexec_b64 s[6:7], s[6:7]
	s_cbranch_execz .LBB66_73
.LBB66_295:
	s_mov_b32 s26, 0x42800000
	v_add_f32_e64 v5, |v4|, s26
	v_and_b32_e32 v5, 0xff, v5
	v_cmp_ne_u32_e32 vcc, 0, v5
	s_andn2_b64 s[4:5], s[4:5], exec
	s_and_b64 s[26:27], vcc, exec
	s_or_b64 s[4:5], s[4:5], s[26:27]
	s_or_b64 exec, exec, s[6:7]
	v_mov_b32_e32 v6, 0
	s_and_saveexec_b64 s[6:7], s[4:5]
	s_cbranch_execnz .LBB66_74
	s_branch .LBB66_75
.LBB66_296:
	s_mov_b64 s[22:23], -1
                                        ; implicit-def: $vgpr3
	s_mov_b64 s[0:1], 0
.LBB66_297:
	s_and_b64 vcc, exec, s[2:3]
	s_cbranch_vccz .LBB66_413
; %bb.298:
	s_cmp_eq_u32 s24, 44
	s_cbranch_scc0 .LBB66_412
; %bb.299:
	global_load_ubyte v3, v[0:1], off
	s_movk_i32 s2, 0xff
	v_mov_b32_e32 v5, 0x7e00
	s_mov_b64 s[0:1], -1
	s_mov_b64 s[22:23], 0
	s_waitcnt vmcnt(0)
	v_lshlrev_b32_e32 v4, 23, v3
	v_cvt_f16_f32_e32 v4, v4
	v_cmp_ne_u32_e32 vcc, s2, v3
	v_cndmask_b32_e32 v4, v5, v4, vcc
	v_cmp_ne_u32_e32 vcc, 0, v3
	v_cndmask_b32_e32 v3, 0, v4, vcc
	s_branch .LBB66_413
.LBB66_300:
	s_mov_b64 s[4:5], -1
	s_mov_b64 s[2:3], 0
	s_mov_b64 s[0:1], s[6:7]
.LBB66_301:
	s_and_b64 vcc, exec, s[4:5]
	s_cbranch_vccz .LBB66_306
; %bb.302:
	s_cmp_eq_u32 s29, 44
	s_mov_b64 s[0:1], -1
	s_cbranch_scc0 .LBB66_306
; %bb.303:
	v_cvt_f32_f16_e32 v4, v3
	s_movk_i32 s0, 0xff
	v_mov_b32_e32 v6, 0xff
	v_bfe_u32 v5, v4, 23, 8
	v_cmp_ne_u32_e32 vcc, s0, v5
	s_and_saveexec_b64 s[2:3], vcc
; %bb.304:
	s_mov_b32 s0, 0x3fffff
	v_lshrrev_b32_e32 v6, 23, v4
	v_and_b32_e32 v7, 0x400000, v4
	v_and_or_b32 v4, v4, s0, v5
	v_cmp_ne_u32_e32 vcc, 0, v7
	v_cmp_ne_u32_e64 s[0:1], 0, v4
	s_and_b64 s[0:1], vcc, s[0:1]
	v_cndmask_b32_e64 v4, 0, 1, s[0:1]
	v_add_u32_e32 v6, v6, v4
; %bb.305:
	s_or_b64 exec, exec, s[2:3]
	s_mov_b64 s[2:3], -1
	s_mov_b64 s[0:1], 0
	global_store_byte v[0:1], v6, off
.LBB66_306:
	s_mov_b64 s[4:5], 0
.LBB66_307:
	s_and_b64 vcc, exec, s[4:5]
	s_cbranch_vccz .LBB66_310
; %bb.308:
	s_cmp_eq_u32 s29, 29
	s_mov_b64 s[0:1], -1
	s_cbranch_scc0 .LBB66_310
; %bb.309:
	v_cvt_f32_f16_e32 v4, v3
	v_mov_b32_e32 v5, 0
	s_mov_b64 s[2:3], -1
	s_mov_b64 s[0:1], 0
	v_cvt_u32_f32_e32 v4, v4
	s_mov_b64 s[4:5], 0
	global_store_dwordx2 v[0:1], v[4:5], off
	s_branch .LBB66_311
.LBB66_310:
	s_mov_b64 s[4:5], 0
.LBB66_311:
	s_and_b64 vcc, exec, s[4:5]
	s_cbranch_vccz .LBB66_327
; %bb.312:
	s_cmp_lt_i32 s29, 27
	s_mov_b64 s[2:3], -1
	s_cbranch_scc1 .LBB66_318
; %bb.313:
	s_cmp_gt_i32 s29, 27
	s_cbranch_scc0 .LBB66_315
; %bb.314:
	v_cvt_f32_f16_e32 v4, v3
	s_mov_b64 s[2:3], 0
	v_cvt_u32_f32_e32 v4, v4
	global_store_dword v[0:1], v4, off
.LBB66_315:
	s_andn2_b64 vcc, exec, s[2:3]
	s_cbranch_vccnz .LBB66_317
; %bb.316:
	v_cvt_u16_f16_e32 v4, v3
	global_store_short v[0:1], v4, off
.LBB66_317:
	s_mov_b64 s[2:3], 0
.LBB66_318:
	s_andn2_b64 vcc, exec, s[2:3]
	s_cbranch_vccnz .LBB66_326
; %bb.319:
	v_cvt_f32_f16_e32 v4, v3
	s_mov_b32 s2, 0x43800000
	v_mov_b32_e32 v6, 0x80
	v_and_b32_e32 v5, 0x7fffffff, v4
	v_cmp_gt_u32_e32 vcc, s2, v5
	s_and_saveexec_b64 s[2:3], vcc
	s_cbranch_execz .LBB66_325
; %bb.320:
	s_mov_b32 s4, 0x3bffffff
	v_cmp_lt_u32_e32 vcc, s4, v5
	s_mov_b64 s[4:5], 0
                                        ; implicit-def: $vgpr5
	s_and_saveexec_b64 s[24:25], vcc
	s_xor_b64 s[24:25], exec, s[24:25]
	s_cbranch_execz .LBB66_537
; %bb.321:
	v_bfe_u32 v5, v4, 20, 1
	s_mov_b32 s30, 0x487ffff
	v_add3_u32 v5, v4, v5, s30
	s_mov_b64 s[4:5], exec
	v_lshrrev_b32_e32 v5, 20, v5
	s_andn2_saveexec_b64 s[24:25], s[24:25]
	s_cbranch_execnz .LBB66_538
.LBB66_322:
	s_or_b64 exec, exec, s[24:25]
	v_mov_b32_e32 v6, 0
	s_and_saveexec_b64 s[24:25], s[4:5]
.LBB66_323:
	v_lshrrev_b32_e32 v4, 24, v4
	s_movk_i32 s4, 0x80
	v_and_or_b32 v6, v4, s4, v5
.LBB66_324:
	s_or_b64 exec, exec, s[24:25]
.LBB66_325:
	s_or_b64 exec, exec, s[2:3]
	global_store_byte v[0:1], v6, off
.LBB66_326:
	s_mov_b64 s[2:3], -1
.LBB66_327:
	s_mov_b64 s[4:5], 0
.LBB66_328:
	s_and_b64 vcc, exec, s[4:5]
	s_cbranch_vccz .LBB66_369
; %bb.329:
	s_cmp_gt_i32 s29, 22
	s_mov_b64 s[4:5], -1
	s_cbranch_scc0 .LBB66_361
; %bb.330:
	s_cmp_lt_i32 s29, 24
	s_mov_b64 s[2:3], -1
	s_cbranch_scc1 .LBB66_350
; %bb.331:
	s_cmp_gt_i32 s29, 24
	s_cbranch_scc0 .LBB66_339
; %bb.332:
	v_cvt_f32_f16_e32 v4, v3
	s_mov_b32 s2, 0x47800000
	v_mov_b32_e32 v6, 0x80
	v_and_b32_e32 v5, 0x7fffffff, v4
	v_cmp_gt_u32_e32 vcc, s2, v5
	s_and_saveexec_b64 s[2:3], vcc
	s_cbranch_execz .LBB66_338
; %bb.333:
	s_mov_b32 s4, 0x37ffffff
	v_cmp_lt_u32_e32 vcc, s4, v5
	s_mov_b64 s[4:5], 0
                                        ; implicit-def: $vgpr5
	s_and_saveexec_b64 s[24:25], vcc
	s_xor_b64 s[24:25], exec, s[24:25]
	s_cbranch_execz .LBB66_540
; %bb.334:
	v_bfe_u32 v5, v4, 21, 1
	s_mov_b32 s30, 0x88fffff
	v_add3_u32 v5, v4, v5, s30
	s_mov_b64 s[4:5], exec
	v_lshrrev_b32_e32 v5, 21, v5
	s_andn2_saveexec_b64 s[24:25], s[24:25]
	s_cbranch_execnz .LBB66_541
.LBB66_335:
	s_or_b64 exec, exec, s[24:25]
	v_mov_b32_e32 v6, 0
	s_and_saveexec_b64 s[24:25], s[4:5]
.LBB66_336:
	v_lshrrev_b32_e32 v4, 24, v4
	s_movk_i32 s4, 0x80
	v_and_or_b32 v6, v4, s4, v5
.LBB66_337:
	s_or_b64 exec, exec, s[24:25]
.LBB66_338:
	s_or_b64 exec, exec, s[2:3]
	s_mov_b64 s[2:3], 0
	global_store_byte v[0:1], v6, off
.LBB66_339:
	s_and_b64 vcc, exec, s[2:3]
	s_cbranch_vccz .LBB66_349
; %bb.340:
	v_cvt_f32_f16_e32 v4, v3
	s_mov_b32 s2, 0x43f00000
                                        ; implicit-def: $vgpr5
	v_and_b32_e32 v6, 0x7fffffff, v4
	v_cmp_gt_u32_e32 vcc, s2, v6
	s_and_saveexec_b64 s[2:3], vcc
	s_xor_b64 s[2:3], exec, s[2:3]
	s_cbranch_execz .LBB66_346
; %bb.341:
	s_mov_b32 s4, 0x3c7fffff
	v_cmp_lt_u32_e32 vcc, s4, v6
                                        ; implicit-def: $vgpr5
	s_and_saveexec_b64 s[4:5], vcc
	s_xor_b64 s[4:5], exec, s[4:5]
; %bb.342:
	v_bfe_u32 v5, v4, 20, 1
	s_mov_b32 s24, 0x407ffff
	v_add3_u32 v5, v4, v5, s24
	v_lshrrev_b32_e32 v6, 20, v5
	v_and_b32_e32 v5, 0xff00000, v5
	s_mov_b32 s24, 0x7f00000
	v_mov_b32_e32 v7, 0x7e
	v_cmp_ne_u32_e32 vcc, s24, v5
	v_cndmask_b32_e32 v5, v7, v6, vcc
; %bb.343:
	s_andn2_saveexec_b64 s[4:5], s[4:5]
; %bb.344:
	s_mov_b32 s24, 0x46800000
	v_add_f32_e64 v5, |v4|, s24
; %bb.345:
	s_or_b64 exec, exec, s[4:5]
                                        ; implicit-def: $vgpr6
.LBB66_346:
	s_andn2_saveexec_b64 s[2:3], s[2:3]
; %bb.347:
	s_mov_b32 s4, 0x7f800000
	v_mov_b32_e32 v5, 0x7e
	v_mov_b32_e32 v7, 0x7f
	v_cmp_lt_u32_e32 vcc, s4, v6
	v_cndmask_b32_e32 v5, v5, v7, vcc
; %bb.348:
	s_or_b64 exec, exec, s[2:3]
	v_lshrrev_b32_e32 v4, 24, v4
	s_movk_i32 s2, 0x80
	v_and_or_b32 v4, v4, s2, v5
	global_store_byte v[0:1], v4, off
.LBB66_349:
	s_mov_b64 s[2:3], 0
.LBB66_350:
	s_andn2_b64 vcc, exec, s[2:3]
	s_cbranch_vccnz .LBB66_360
; %bb.351:
	v_cvt_f32_f16_e32 v4, v3
	s_mov_b32 s2, 0x47800000
                                        ; implicit-def: $vgpr5
	v_and_b32_e32 v6, 0x7fffffff, v4
	v_cmp_gt_u32_e32 vcc, s2, v6
	s_and_saveexec_b64 s[2:3], vcc
	s_xor_b64 s[2:3], exec, s[2:3]
	s_cbranch_execz .LBB66_357
; %bb.352:
	s_mov_b32 s4, 0x387fffff
	v_cmp_lt_u32_e32 vcc, s4, v6
                                        ; implicit-def: $vgpr5
	s_and_saveexec_b64 s[4:5], vcc
	s_xor_b64 s[4:5], exec, s[4:5]
; %bb.353:
	v_bfe_u32 v5, v4, 21, 1
	s_mov_b32 s24, 0x80fffff
	v_add3_u32 v5, v4, v5, s24
	v_lshrrev_b32_e32 v5, 21, v5
; %bb.354:
	s_andn2_saveexec_b64 s[4:5], s[4:5]
; %bb.355:
	s_mov_b32 s24, 0x43000000
	v_add_f32_e64 v5, |v4|, s24
; %bb.356:
	s_or_b64 exec, exec, s[4:5]
                                        ; implicit-def: $vgpr6
.LBB66_357:
	s_andn2_saveexec_b64 s[2:3], s[2:3]
; %bb.358:
	s_mov_b32 s4, 0x7f800000
	v_mov_b32_e32 v5, 0x7c
	v_mov_b32_e32 v7, 0x7f
	v_cmp_lt_u32_e32 vcc, s4, v6
	v_cndmask_b32_e32 v5, v5, v7, vcc
; %bb.359:
	s_or_b64 exec, exec, s[2:3]
	v_lshrrev_b32_e32 v4, 24, v4
	s_movk_i32 s2, 0x80
	v_and_or_b32 v4, v4, s2, v5
	global_store_byte v[0:1], v4, off
.LBB66_360:
	s_mov_b64 s[4:5], 0
	s_mov_b64 s[2:3], -1
.LBB66_361:
	s_andn2_b64 vcc, exec, s[4:5]
	s_cbranch_vccnz .LBB66_369
; %bb.362:
	s_cmp_gt_i32 s29, 14
	s_mov_b64 s[4:5], -1
	s_cbranch_scc0 .LBB66_366
; %bb.363:
	s_cmp_eq_u32 s29, 15
	s_mov_b64 s[0:1], -1
	s_cbranch_scc0 .LBB66_365
; %bb.364:
	v_cvt_f32_f16_e32 v4, v3
	s_movk_i32 s0, 0x7fff
	v_cmp_o_f16_e32 vcc, v3, v3
	v_mov_b32_e32 v5, 0x7fc0
	v_bfe_u32 v6, v4, 16, 1
	v_add3_u32 v4, v4, v6, s0
	v_cndmask_b32_sdwa v4, v5, v4, vcc dst_sel:DWORD dst_unused:UNUSED_PAD src0_sel:DWORD src1_sel:WORD_1
	global_store_short v[0:1], v4, off
	s_mov_b64 s[2:3], -1
	s_mov_b64 s[0:1], 0
.LBB66_365:
	s_mov_b64 s[4:5], 0
.LBB66_366:
	s_and_b64 vcc, exec, s[4:5]
	s_cbranch_vccz .LBB66_369
; %bb.367:
	s_cmp_eq_u32 s29, 11
	s_mov_b64 s[0:1], -1
	s_cbranch_scc0 .LBB66_369
; %bb.368:
	v_cmp_neq_f16_e32 vcc, 0, v3
	v_cndmask_b32_e64 v4, 0, 1, vcc
	s_mov_b64 s[2:3], -1
	s_mov_b64 s[0:1], 0
	global_store_byte v[0:1], v4, off
.LBB66_369:
	s_mov_b64 s[4:5], 0
.LBB66_370:
	s_and_b64 vcc, exec, s[4:5]
	s_cbranch_vccz .LBB66_409
; %bb.371:
	s_and_b32 s4, 0xffff, s28
	s_cmp_lt_i32 s4, 5
	s_mov_b64 s[2:3], -1
	s_cbranch_scc1 .LBB66_392
; %bb.372:
	s_cmp_lt_i32 s4, 8
	s_cbranch_scc1 .LBB66_382
; %bb.373:
	s_cmp_lt_i32 s4, 9
	s_cbranch_scc1 .LBB66_379
; %bb.374:
	s_cmp_gt_i32 s4, 9
	s_cbranch_scc0 .LBB66_376
; %bb.375:
	v_cvt_f32_f16_e32 v4, v3
	v_mov_b32_e32 v6, 0
	v_mov_b32_e32 v7, v6
	s_mov_b64 s[2:3], 0
	v_cvt_f64_f32_e32 v[4:5], v4
	global_store_dwordx4 v[0:1], v[4:7], off
.LBB66_376:
	s_andn2_b64 vcc, exec, s[2:3]
	s_cbranch_vccnz .LBB66_378
; %bb.377:
	v_cvt_f32_f16_e32 v4, v3
	v_mov_b32_e32 v5, 0
	global_store_dwordx2 v[0:1], v[4:5], off
.LBB66_378:
	s_mov_b64 s[2:3], 0
.LBB66_379:
	s_andn2_b64 vcc, exec, s[2:3]
	s_cbranch_vccnz .LBB66_381
; %bb.380:
	v_and_b32_e32 v4, 0xffff, v3
	global_store_dword v[0:1], v4, off
.LBB66_381:
	s_mov_b64 s[2:3], 0
.LBB66_382:
	s_andn2_b64 vcc, exec, s[2:3]
	s_cbranch_vccnz .LBB66_391
; %bb.383:
	s_cmp_lt_i32 s4, 6
	s_mov_b64 s[2:3], -1
	s_cbranch_scc1 .LBB66_389
; %bb.384:
	s_cmp_gt_i32 s4, 6
	s_cbranch_scc0 .LBB66_386
; %bb.385:
	v_cvt_f32_f16_e32 v4, v3
	s_mov_b64 s[2:3], 0
	v_cvt_f64_f32_e32 v[4:5], v4
	global_store_dwordx2 v[0:1], v[4:5], off
.LBB66_386:
	s_andn2_b64 vcc, exec, s[2:3]
	s_cbranch_vccnz .LBB66_388
; %bb.387:
	v_cvt_f32_f16_e32 v4, v3
	global_store_dword v[0:1], v4, off
.LBB66_388:
	s_mov_b64 s[2:3], 0
.LBB66_389:
	s_andn2_b64 vcc, exec, s[2:3]
	s_cbranch_vccnz .LBB66_391
; %bb.390:
	global_store_short v[0:1], v3, off
.LBB66_391:
	s_mov_b64 s[2:3], 0
.LBB66_392:
	s_andn2_b64 vcc, exec, s[2:3]
	s_cbranch_vccnz .LBB66_408
; %bb.393:
	s_cmp_lt_i32 s4, 2
	s_mov_b64 s[2:3], -1
	s_cbranch_scc1 .LBB66_403
; %bb.394:
	s_cmp_lt_i32 s4, 3
	s_cbranch_scc1 .LBB66_400
; %bb.395:
	s_cmp_gt_i32 s4, 3
	s_cbranch_scc0 .LBB66_397
; %bb.396:
	v_cvt_f32_f16_e32 v4, v3
	s_mov_b64 s[2:3], 0
	v_cvt_i32_f32_e32 v4, v4
	v_ashrrev_i32_e32 v5, 31, v4
	global_store_dwordx2 v[0:1], v[4:5], off
.LBB66_397:
	s_andn2_b64 vcc, exec, s[2:3]
	s_cbranch_vccnz .LBB66_399
; %bb.398:
	v_cvt_f32_f16_e32 v4, v3
	v_cvt_i32_f32_e32 v4, v4
	global_store_dword v[0:1], v4, off
.LBB66_399:
	s_mov_b64 s[2:3], 0
.LBB66_400:
	s_andn2_b64 vcc, exec, s[2:3]
	s_cbranch_vccnz .LBB66_402
; %bb.401:
	v_cvt_i16_f16_e32 v4, v3
	global_store_short v[0:1], v4, off
.LBB66_402:
	s_mov_b64 s[2:3], 0
.LBB66_403:
	s_andn2_b64 vcc, exec, s[2:3]
	s_cbranch_vccnz .LBB66_408
; %bb.404:
	s_cmp_gt_i32 s4, 0
	s_mov_b64 s[2:3], -1
	s_cbranch_scc0 .LBB66_406
; %bb.405:
	v_cvt_i16_f16_e32 v4, v3
	s_mov_b64 s[2:3], 0
	global_store_byte v[0:1], v4, off
.LBB66_406:
	s_andn2_b64 vcc, exec, s[2:3]
	s_cbranch_vccnz .LBB66_408
; %bb.407:
	v_cvt_f32_f16_e32 v3, v3
	v_cvt_i32_f32_e32 v3, v3
	global_store_byte v[0:1], v3, off
.LBB66_408:
	s_mov_b64 s[2:3], -1
.LBB66_409:
	s_andn2_b64 vcc, exec, s[2:3]
	s_cbranch_vccnz .LBB66_411
; %bb.410:
	v_add_u32_e32 v2, 0x80, v2
	s_mov_b64 s[2:3], -1
	s_branch .LBB66_523
.LBB66_411:
	s_mov_b64 s[2:3], 0
                                        ; implicit-def: $vgpr2
	s_branch .LBB66_523
.LBB66_412:
	s_mov_b64 s[22:23], -1
                                        ; implicit-def: $vgpr3
.LBB66_413:
	s_mov_b64 s[2:3], 0
.LBB66_414:
	s_and_b64 vcc, exec, s[2:3]
	s_cbranch_vccz .LBB66_418
; %bb.415:
	s_cmp_eq_u32 s24, 29
	s_cbranch_scc0 .LBB66_417
; %bb.416:
	global_load_dwordx2 v[3:4], v[0:1], off
	s_mov_b64 s[0:1], -1
	s_mov_b64 s[22:23], 0
	s_mov_b64 s[2:3], 0
	s_waitcnt vmcnt(0)
	v_ffbh_u32_e32 v5, v4
	v_min_u32_e32 v5, 32, v5
	v_lshlrev_b64 v[3:4], v5, v[3:4]
	v_min_u32_e32 v3, 1, v3
	v_or_b32_e32 v3, v4, v3
	v_cvt_f32_u32_e32 v3, v3
	v_sub_u32_e32 v4, 32, v5
	v_ldexp_f32 v3, v3, v4
	v_cvt_f16_f32_e32 v3, v3
	s_branch .LBB66_419
.LBB66_417:
	s_mov_b64 s[22:23], -1
                                        ; implicit-def: $vgpr3
.LBB66_418:
	s_mov_b64 s[2:3], 0
.LBB66_419:
	s_and_b64 vcc, exec, s[2:3]
	s_cbranch_vccz .LBB66_437
; %bb.420:
	s_cmp_lt_i32 s24, 27
	s_cbranch_scc1 .LBB66_423
; %bb.421:
	s_cmp_gt_i32 s24, 27
	s_cbranch_scc0 .LBB66_424
; %bb.422:
	global_load_dword v3, v[0:1], off
	s_mov_b64 s[0:1], 0
	s_waitcnt vmcnt(0)
	v_cvt_f32_u32_e32 v3, v3
	v_cvt_f16_f32_e32 v3, v3
	s_branch .LBB66_425
.LBB66_423:
	s_mov_b64 s[0:1], -1
                                        ; implicit-def: $vgpr3
	s_branch .LBB66_428
.LBB66_424:
	s_mov_b64 s[0:1], -1
                                        ; implicit-def: $vgpr3
.LBB66_425:
	s_andn2_b64 vcc, exec, s[0:1]
	s_cbranch_vccnz .LBB66_427
; %bb.426:
	global_load_ushort v3, v[0:1], off
	s_waitcnt vmcnt(0)
	v_cvt_f16_u16_e32 v3, v3
.LBB66_427:
	s_mov_b64 s[0:1], 0
.LBB66_428:
	s_andn2_b64 vcc, exec, s[0:1]
	s_cbranch_vccnz .LBB66_436
; %bb.429:
	global_load_ubyte v4, v[0:1], off
	s_movk_i32 s0, 0x7f
	s_waitcnt vmcnt(0)
	v_cmp_lt_i16_e32 vcc, s0, v4
	s_mov_b64 s[0:1], 0
	s_and_saveexec_b64 s[2:3], vcc
	s_xor_b64 s[2:3], exec, s[2:3]
	s_cbranch_execz .LBB66_450
; %bb.430:
	s_movk_i32 s0, 0x80
	v_cmp_eq_u16_e32 vcc, s0, v4
	s_mov_b64 s[0:1], -1
	s_and_saveexec_b64 s[4:5], vcc
; %bb.431:
	s_xor_b64 s[0:1], exec, -1
; %bb.432:
	s_or_b64 exec, exec, s[4:5]
	s_and_b64 s[0:1], s[0:1], exec
	s_or_saveexec_b64 s[2:3], s[2:3]
	v_mov_b32_e32 v3, 0x7e00
	s_xor_b64 exec, exec, s[2:3]
	s_cbranch_execnz .LBB66_451
.LBB66_433:
	s_or_b64 exec, exec, s[2:3]
	s_and_saveexec_b64 s[2:3], s[0:1]
	s_cbranch_execz .LBB66_435
.LBB66_434:
	v_lshlrev_b32_e32 v3, 24, v4
	v_and_b32_e32 v4, 0xffff, v4
	v_and_b32_e32 v5, 7, v4
	v_ffbh_u32_e32 v7, v5
	v_min_u32_e32 v7, 32, v7
	v_subrev_u32_e32 v8, 28, v7
	v_bfe_u32 v6, v4, 3, 4
	v_lshlrev_b32_e32 v4, v8, v4
	v_sub_u32_e32 v7, 29, v7
	v_and_b32_e32 v4, 7, v4
	v_cmp_eq_u32_e32 vcc, 0, v6
	v_cndmask_b32_e32 v6, v6, v7, vcc
	v_cndmask_b32_e32 v4, v5, v4, vcc
	v_mov_b32_e32 v5, 0x3b800000
	v_lshlrev_b32_e32 v4, 20, v4
	v_and_b32_e32 v3, 0x80000000, v3
	v_lshl_add_u32 v5, v6, 23, v5
	v_or3_b32 v3, v3, v5, v4
	v_cvt_f16_f32_e32 v3, v3
.LBB66_435:
	s_or_b64 exec, exec, s[2:3]
.LBB66_436:
	s_mov_b64 s[0:1], -1
.LBB66_437:
	s_mov_b64 s[2:3], 0
.LBB66_438:
	s_and_b64 vcc, exec, s[2:3]
	s_cbranch_vccz .LBB66_473
; %bb.439:
	s_cmp_gt_i32 s24, 22
	s_cbranch_scc0 .LBB66_449
; %bb.440:
	s_cmp_lt_i32 s24, 24
	s_cbranch_scc1 .LBB66_452
; %bb.441:
	s_cmp_gt_i32 s24, 24
	s_cbranch_scc0 .LBB66_453
; %bb.442:
	global_load_ubyte v4, v[0:1], off
	s_movk_i32 s0, 0x7f
	s_waitcnt vmcnt(0)
	v_cmp_lt_i16_e32 vcc, s0, v4
	s_mov_b64 s[0:1], 0
	s_and_saveexec_b64 s[2:3], vcc
	s_xor_b64 s[2:3], exec, s[2:3]
	s_cbranch_execz .LBB66_465
; %bb.443:
	s_movk_i32 s0, 0x80
	v_cmp_eq_u16_e32 vcc, s0, v4
	s_mov_b64 s[0:1], -1
	s_and_saveexec_b64 s[4:5], vcc
; %bb.444:
	s_xor_b64 s[0:1], exec, -1
; %bb.445:
	s_or_b64 exec, exec, s[4:5]
	s_and_b64 s[0:1], s[0:1], exec
	s_or_saveexec_b64 s[2:3], s[2:3]
	v_mov_b32_e32 v3, 0x7e00
	s_xor_b64 exec, exec, s[2:3]
	s_cbranch_execnz .LBB66_466
.LBB66_446:
	s_or_b64 exec, exec, s[2:3]
	s_and_saveexec_b64 s[2:3], s[0:1]
	s_cbranch_execz .LBB66_448
.LBB66_447:
	v_lshlrev_b32_e32 v3, 24, v4
	v_and_b32_e32 v4, 0xffff, v4
	v_and_b32_e32 v5, 3, v4
	v_ffbh_u32_e32 v7, v5
	v_min_u32_e32 v7, 32, v7
	v_subrev_u32_e32 v8, 29, v7
	v_bfe_u32 v6, v4, 2, 5
	v_lshlrev_b32_e32 v4, v8, v4
	v_sub_u32_e32 v7, 30, v7
	v_and_b32_e32 v4, 3, v4
	v_cmp_eq_u32_e32 vcc, 0, v6
	v_cndmask_b32_e32 v6, v6, v7, vcc
	v_cndmask_b32_e32 v4, v5, v4, vcc
	v_mov_b32_e32 v5, 0x37800000
	v_lshlrev_b32_e32 v4, 21, v4
	v_and_b32_e32 v3, 0x80000000, v3
	v_lshl_add_u32 v5, v6, 23, v5
	v_or3_b32 v3, v3, v5, v4
	v_cvt_f16_f32_e32 v3, v3
.LBB66_448:
	s_or_b64 exec, exec, s[2:3]
	s_mov_b64 s[0:1], 0
	s_branch .LBB66_454
.LBB66_449:
	s_mov_b64 s[2:3], -1
                                        ; implicit-def: $vgpr3
	s_branch .LBB66_460
.LBB66_450:
	s_or_saveexec_b64 s[2:3], s[2:3]
	v_mov_b32_e32 v3, 0x7e00
	s_xor_b64 exec, exec, s[2:3]
	s_cbranch_execz .LBB66_433
.LBB66_451:
	v_cmp_ne_u16_e32 vcc, 0, v4
	s_andn2_b64 s[0:1], s[0:1], exec
	s_and_b64 s[4:5], vcc, exec
	s_or_b64 s[0:1], s[0:1], s[4:5]
	v_mov_b32_e32 v3, v4
	s_or_b64 exec, exec, s[2:3]
	s_and_saveexec_b64 s[2:3], s[0:1]
	s_cbranch_execnz .LBB66_434
	s_branch .LBB66_435
.LBB66_452:
	s_mov_b64 s[0:1], -1
                                        ; implicit-def: $vgpr3
	s_branch .LBB66_457
.LBB66_453:
	s_mov_b64 s[0:1], -1
                                        ; implicit-def: $vgpr3
.LBB66_454:
	s_and_b64 vcc, exec, s[0:1]
	s_cbranch_vccz .LBB66_456
; %bb.455:
	global_load_ubyte v3, v[0:1], off
	s_mov_b32 s0, 0x7f800000
	s_waitcnt vmcnt(0)
	v_lshlrev_b32_e32 v3, 24, v3
	v_and_b32_e32 v4, 0x7f000000, v3
	v_ffbh_u32_e32 v5, v4
	v_min_u32_e32 v5, 32, v5
	v_sub_u32_e64 v5, v5, 4 clamp
	v_lshlrev_b32_e32 v7, v5, v4
	v_lshlrev_b32_e32 v5, 23, v5
	v_lshrrev_b32_e32 v7, 4, v7
	v_add_u32_e32 v6, 0x1000000, v4
	v_sub_u32_e32 v5, v7, v5
	v_ashrrev_i32_e32 v6, 8, v6
	v_add_u32_e32 v5, 0x3c000000, v5
	v_and_or_b32 v5, v6, s0, v5
	v_cmp_ne_u32_e32 vcc, 0, v4
	v_cndmask_b32_e32 v4, 0, v5, vcc
	s_brev_b32 s0, 1
	v_and_or_b32 v3, v3, s0, v4
	v_cvt_f16_f32_e32 v3, v3
.LBB66_456:
	s_mov_b64 s[0:1], 0
.LBB66_457:
	s_andn2_b64 vcc, exec, s[0:1]
	s_cbranch_vccnz .LBB66_459
; %bb.458:
	global_load_ubyte v3, v[0:1], off
	s_movk_i32 s0, 0x7f00
	s_brev_b32 s1, 16
	s_waitcnt vmcnt(0)
	v_lshlrev_b16_e32 v4, 8, v3
	v_lshlrev_b32_e32 v3, 25, v3
	v_lshrrev_b32_e32 v5, 4, v3
	v_and_or_b32 v6, v4, s0, 0.5
	v_or_b32_e32 v5, 0x70000000, v5
	v_add_f32_e32 v6, -0.5, v6
	v_mul_f32_e32 v5, 0x7800000, v5
	v_cmp_gt_u32_e32 vcc, s1, v3
	v_bfe_i32 v4, v4, 0, 16
	v_cndmask_b32_e32 v3, v5, v6, vcc
	s_brev_b32 s0, 1
	v_and_or_b32 v3, v4, s0, v3
	v_cvt_f16_f32_e32 v3, v3
.LBB66_459:
	s_mov_b64 s[2:3], 0
	s_mov_b64 s[0:1], -1
.LBB66_460:
	s_andn2_b64 vcc, exec, s[2:3]
	s_cbranch_vccnz .LBB66_473
; %bb.461:
	s_cmp_gt_i32 s24, 14
	s_cbranch_scc0 .LBB66_464
; %bb.462:
	s_cmp_eq_u32 s24, 15
	s_cbranch_scc0 .LBB66_467
; %bb.463:
	global_load_ushort v3, v[0:1], off
	s_mov_b64 s[0:1], -1
	s_mov_b64 s[22:23], 0
	s_waitcnt vmcnt(0)
	v_lshlrev_b32_e32 v3, 16, v3
	v_cvt_f16_f32_e32 v3, v3
	s_branch .LBB66_468
.LBB66_464:
	s_mov_b64 s[2:3], -1
                                        ; implicit-def: $vgpr3
	s_branch .LBB66_469
.LBB66_465:
	s_or_saveexec_b64 s[2:3], s[2:3]
	v_mov_b32_e32 v3, 0x7e00
	s_xor_b64 exec, exec, s[2:3]
	s_cbranch_execz .LBB66_446
.LBB66_466:
	v_cmp_ne_u16_e32 vcc, 0, v4
	s_andn2_b64 s[0:1], s[0:1], exec
	s_and_b64 s[4:5], vcc, exec
	s_or_b64 s[0:1], s[0:1], s[4:5]
	v_mov_b32_e32 v3, v4
	s_or_b64 exec, exec, s[2:3]
	s_and_saveexec_b64 s[2:3], s[0:1]
	s_cbranch_execnz .LBB66_447
	s_branch .LBB66_448
.LBB66_467:
	s_mov_b64 s[22:23], -1
                                        ; implicit-def: $vgpr3
.LBB66_468:
	s_mov_b64 s[2:3], 0
.LBB66_469:
	s_and_b64 vcc, exec, s[2:3]
	s_cbranch_vccz .LBB66_473
; %bb.470:
	s_cmp_eq_u32 s24, 11
	s_cbranch_scc0 .LBB66_472
; %bb.471:
	global_load_ubyte v3, v[0:1], off
	v_mov_b32_e32 v4, 0x3c00
	s_mov_b64 s[0:1], -1
	s_mov_b64 s[22:23], 0
	s_waitcnt vmcnt(0)
	v_cmp_ne_u16_e32 vcc, 0, v3
	v_cndmask_b32_e32 v3, 0, v4, vcc
	s_branch .LBB66_473
.LBB66_472:
	s_mov_b64 s[22:23], -1
                                        ; implicit-def: $vgpr3
.LBB66_473:
	s_branch .LBB66_270
.LBB66_474:
	s_cmp_lt_i32 s24, 5
	s_cbranch_scc1 .LBB66_479
; %bb.475:
	s_cmp_lt_i32 s24, 8
	s_cbranch_scc1 .LBB66_480
; %bb.476:
	;; [unrolled: 3-line block ×3, first 2 shown]
	s_cmp_gt_i32 s24, 9
	s_cbranch_scc0 .LBB66_482
; %bb.478:
	global_load_dwordx2 v[3:4], v[0:1], off
	s_movk_i32 s0, 0x1ff
	s_movk_i32 s1, 0xffe
	v_mov_b32_e32 v5, 0x7c00
	v_mov_b32_e32 v6, 0x7e00
	s_movk_i32 s2, 0x40f
	s_mov_b32 s3, 0x8000
	s_waitcnt vmcnt(0)
	v_and_or_b32 v3, v4, s0, v3
	v_cmp_ne_u32_e32 vcc, 0, v3
	v_lshrrev_b32_e32 v7, 8, v4
	v_bfe_u32 v8, v4, 20, 11
	v_cndmask_b32_e64 v3, 0, 1, vcc
	v_sub_u32_e32 v9, 0x3f1, v8
	v_and_or_b32 v3, v7, s1, v3
	v_add_u32_e32 v8, 0xfffffc10, v8
	v_med3_i32 v7, v9, 0, 13
	v_or_b32_e32 v9, 0x1000, v3
	v_cmp_ne_u32_e32 vcc, 0, v3
	v_lshl_or_b32 v10, v8, 12, v3
	v_cndmask_b32_e32 v3, v5, v6, vcc
	v_lshrrev_b32_e32 v6, v7, v9
	v_lshlrev_b32_e32 v7, v7, v6
	v_cmp_ne_u32_e32 vcc, v7, v9
	v_cndmask_b32_e64 v7, 0, 1, vcc
	v_or_b32_e32 v6, v6, v7
	v_cmp_gt_i32_e32 vcc, 1, v8
	v_cndmask_b32_e32 v6, v10, v6, vcc
	v_and_b32_e32 v7, 7, v6
	v_cmp_lt_i32_e32 vcc, 5, v7
	v_cndmask_b32_e64 v9, 0, 1, vcc
	v_cmp_eq_u32_e32 vcc, 3, v7
	v_cndmask_b32_e64 v7, 0, 1, vcc
	v_lshrrev_b32_e32 v6, 2, v6
	v_or_b32_e32 v7, v7, v9
	v_add_u32_e32 v6, v6, v7
	v_cmp_gt_i32_e32 vcc, 31, v8
	v_cndmask_b32_e32 v5, v5, v6, vcc
	v_cmp_eq_u32_e32 vcc, s2, v8
	v_lshrrev_b32_e32 v4, 16, v4
	v_cndmask_b32_e32 v3, v5, v3, vcc
	v_and_or_b32 v3, v4, s3, v3
	s_mov_b64 s[0:1], 0
	s_branch .LBB66_483
.LBB66_479:
	s_mov_b64 s[0:1], -1
                                        ; implicit-def: $vgpr3
	s_branch .LBB66_501
.LBB66_480:
	s_mov_b64 s[0:1], -1
                                        ; implicit-def: $vgpr3
	s_branch .LBB66_489
.LBB66_481:
	s_mov_b64 s[0:1], -1
                                        ; implicit-def: $vgpr3
	s_branch .LBB66_486
.LBB66_482:
	s_mov_b64 s[0:1], -1
                                        ; implicit-def: $vgpr3
.LBB66_483:
	s_andn2_b64 vcc, exec, s[0:1]
	s_cbranch_vccnz .LBB66_485
; %bb.484:
	global_load_dword v3, v[0:1], off
	s_waitcnt vmcnt(0)
	v_cvt_f16_f32_e32 v3, v3
.LBB66_485:
	s_mov_b64 s[0:1], 0
.LBB66_486:
	s_andn2_b64 vcc, exec, s[0:1]
	s_cbranch_vccnz .LBB66_488
; %bb.487:
	global_load_dword v3, v[0:1], off
.LBB66_488:
	s_mov_b64 s[0:1], 0
.LBB66_489:
	s_andn2_b64 vcc, exec, s[0:1]
	s_cbranch_vccnz .LBB66_500
; %bb.490:
	s_cmp_lt_i32 s24, 6
	s_cbranch_scc1 .LBB66_493
; %bb.491:
	s_cmp_gt_i32 s24, 6
	s_cbranch_scc0 .LBB66_494
; %bb.492:
	global_load_dwordx2 v[3:4], v[0:1], off
	s_movk_i32 s0, 0x1ff
	s_movk_i32 s1, 0xffe
	v_mov_b32_e32 v5, 0x7c00
	v_mov_b32_e32 v6, 0x7e00
	s_movk_i32 s2, 0x40f
	s_mov_b32 s3, 0x8000
	s_waitcnt vmcnt(0)
	v_and_or_b32 v3, v4, s0, v3
	v_cmp_ne_u32_e32 vcc, 0, v3
	v_lshrrev_b32_e32 v7, 8, v4
	v_bfe_u32 v8, v4, 20, 11
	v_cndmask_b32_e64 v3, 0, 1, vcc
	v_sub_u32_e32 v9, 0x3f1, v8
	v_and_or_b32 v3, v7, s1, v3
	v_add_u32_e32 v8, 0xfffffc10, v8
	v_med3_i32 v7, v9, 0, 13
	v_or_b32_e32 v9, 0x1000, v3
	v_cmp_ne_u32_e32 vcc, 0, v3
	v_lshl_or_b32 v10, v8, 12, v3
	v_cndmask_b32_e32 v3, v5, v6, vcc
	v_lshrrev_b32_e32 v6, v7, v9
	v_lshlrev_b32_e32 v7, v7, v6
	v_cmp_ne_u32_e32 vcc, v7, v9
	v_cndmask_b32_e64 v7, 0, 1, vcc
	v_or_b32_e32 v6, v6, v7
	v_cmp_gt_i32_e32 vcc, 1, v8
	v_cndmask_b32_e32 v6, v10, v6, vcc
	v_and_b32_e32 v7, 7, v6
	v_cmp_lt_i32_e32 vcc, 5, v7
	v_cndmask_b32_e64 v9, 0, 1, vcc
	v_cmp_eq_u32_e32 vcc, 3, v7
	v_cndmask_b32_e64 v7, 0, 1, vcc
	v_lshrrev_b32_e32 v6, 2, v6
	v_or_b32_e32 v7, v7, v9
	v_add_u32_e32 v6, v6, v7
	v_cmp_gt_i32_e32 vcc, 31, v8
	v_cndmask_b32_e32 v5, v5, v6, vcc
	v_cmp_eq_u32_e32 vcc, s2, v8
	v_lshrrev_b32_e32 v4, 16, v4
	v_cndmask_b32_e32 v3, v5, v3, vcc
	v_and_or_b32 v3, v4, s3, v3
	s_mov_b64 s[0:1], 0
	s_branch .LBB66_495
.LBB66_493:
	s_mov_b64 s[0:1], -1
                                        ; implicit-def: $vgpr3
	s_branch .LBB66_498
.LBB66_494:
	s_mov_b64 s[0:1], -1
                                        ; implicit-def: $vgpr3
.LBB66_495:
	s_andn2_b64 vcc, exec, s[0:1]
	s_cbranch_vccnz .LBB66_497
; %bb.496:
	global_load_dword v3, v[0:1], off
	s_waitcnt vmcnt(0)
	v_cvt_f16_f32_e32 v3, v3
.LBB66_497:
	s_mov_b64 s[0:1], 0
.LBB66_498:
	s_andn2_b64 vcc, exec, s[0:1]
	s_cbranch_vccnz .LBB66_500
; %bb.499:
	global_load_ushort v3, v[0:1], off
.LBB66_500:
	s_mov_b64 s[0:1], 0
.LBB66_501:
	s_andn2_b64 vcc, exec, s[0:1]
	s_cbranch_vccnz .LBB66_521
; %bb.502:
	s_cmp_lt_i32 s24, 2
	s_cbranch_scc1 .LBB66_506
; %bb.503:
	s_cmp_lt_i32 s24, 3
	s_cbranch_scc1 .LBB66_507
; %bb.504:
	s_cmp_gt_i32 s24, 3
	s_cbranch_scc0 .LBB66_508
; %bb.505:
	global_load_dwordx2 v[3:4], v[0:1], off
	s_mov_b64 s[0:1], 0
	s_waitcnt vmcnt(0)
	v_xor_b32_e32 v6, v3, v4
	v_ffbh_i32_e32 v5, v4
	v_ashrrev_i32_e32 v6, 31, v6
	v_add_u32_e32 v5, -1, v5
	v_add_u32_e32 v6, 32, v6
	v_min_u32_e32 v5, v5, v6
	v_lshlrev_b64 v[3:4], v5, v[3:4]
	v_min_u32_e32 v3, 1, v3
	v_or_b32_e32 v3, v4, v3
	v_cvt_f32_i32_e32 v3, v3
	v_sub_u32_e32 v4, 32, v5
	v_ldexp_f32 v3, v3, v4
	v_cvt_f16_f32_e32 v3, v3
	s_branch .LBB66_509
.LBB66_506:
	s_mov_b64 s[0:1], -1
                                        ; implicit-def: $vgpr3
	s_branch .LBB66_515
.LBB66_507:
	s_mov_b64 s[0:1], -1
                                        ; implicit-def: $vgpr3
	s_branch .LBB66_512
.LBB66_508:
	s_mov_b64 s[0:1], -1
                                        ; implicit-def: $vgpr3
.LBB66_509:
	s_andn2_b64 vcc, exec, s[0:1]
	s_cbranch_vccnz .LBB66_511
; %bb.510:
	global_load_dword v3, v[0:1], off
	s_waitcnt vmcnt(0)
	v_cvt_f32_i32_e32 v3, v3
	v_cvt_f16_f32_e32 v3, v3
.LBB66_511:
	s_mov_b64 s[0:1], 0
.LBB66_512:
	s_andn2_b64 vcc, exec, s[0:1]
	s_cbranch_vccnz .LBB66_514
; %bb.513:
	global_load_ushort v3, v[0:1], off
	s_waitcnt vmcnt(0)
	v_cvt_f16_i16_e32 v3, v3
.LBB66_514:
	s_mov_b64 s[0:1], 0
.LBB66_515:
	s_andn2_b64 vcc, exec, s[0:1]
	s_cbranch_vccnz .LBB66_521
; %bb.516:
	s_cmp_gt_i32 s24, 0
	s_cbranch_scc0 .LBB66_518
; %bb.517:
	global_load_sbyte v3, v[0:1], off
	s_mov_b64 s[0:1], 0
	s_waitcnt vmcnt(0)
	v_cvt_f16_i16_e32 v3, v3
	s_branch .LBB66_519
.LBB66_518:
	s_mov_b64 s[0:1], -1
                                        ; implicit-def: $vgpr3
.LBB66_519:
	s_andn2_b64 vcc, exec, s[0:1]
	s_cbranch_vccnz .LBB66_521
; %bb.520:
	global_load_ubyte v0, v[0:1], off
	s_waitcnt vmcnt(0)
	v_cvt_f16_u16_e32 v3, v0
.LBB66_521:
	s_branch .LBB66_271
.LBB66_522:
	s_mov_b64 s[2:3], 0
                                        ; implicit-def: $vgpr2
	s_mov_b64 s[0:1], s[6:7]
.LBB66_523:
	s_andn2_b64 s[4:5], s[6:7], exec
	s_and_b64 s[0:1], s[0:1], exec
	s_or_b64 s[24:25], s[4:5], s[0:1]
	s_andn2_b64 s[0:1], s[18:19], exec
	s_and_b64 s[4:5], s[22:23], exec
	s_or_b64 s[22:23], s[0:1], s[4:5]
	s_orn2_b64 s[0:1], s[2:3], exec
.LBB66_524:
	s_or_b64 exec, exec, s[26:27]
	s_mov_b64 s[2:3], 0
	s_mov_b64 s[4:5], 0
	;; [unrolled: 1-line block ×3, first 2 shown]
                                        ; implicit-def: $vgpr0_vgpr1
                                        ; implicit-def: $vgpr4
	s_and_saveexec_b64 s[26:27], s[0:1]
	s_cbranch_execz .LBB66_875
; %bb.525:
	v_cmp_gt_i32_e32 vcc, s38, v2
	s_mov_b64 s[34:35], -1
	s_mov_b64 s[0:1], s[22:23]
	s_mov_b64 s[2:3], s[24:25]
	s_and_saveexec_b64 s[28:29], vcc
	s_cbranch_execz .LBB66_789
; %bb.526:
	v_mul_lo_u32 v0, v2, s13
	v_mov_b32_e32 v1, s11
	s_and_b32 s34, 0xffff, s42
	s_cmp_lt_i32 s34, 11
	s_waitcnt vmcnt(0)
	v_ashrrev_i32_e32 v3, 31, v0
	v_add_co_u32_e32 v0, vcc, s10, v0
	v_addc_co_u32_e32 v1, vcc, v1, v3, vcc
	s_cbranch_scc1 .LBB66_533
; %bb.527:
	s_cmp_gt_i32 s34, 25
	s_cbranch_scc0 .LBB66_534
; %bb.528:
	s_cmp_gt_i32 s34, 28
	s_cbranch_scc0 .LBB66_535
	;; [unrolled: 3-line block ×4, first 2 shown]
; %bb.531:
	s_cmp_eq_u32 s34, 46
	s_mov_b64 s[2:3], 0
	s_cbranch_scc0 .LBB66_542
; %bb.532:
	global_load_dword v3, v[0:1], off
	s_mov_b64 s[0:1], -1
	s_mov_b64 s[30:31], 0
	s_waitcnt vmcnt(0)
	v_lshlrev_b32_e32 v3, 16, v3
	v_cvt_f16_f32_e32 v3, v3
	s_branch .LBB66_543
.LBB66_533:
	s_mov_b64 s[2:3], -1
	s_mov_b64 s[0:1], 0
                                        ; implicit-def: $vgpr3
	s_mov_b64 s[30:31], s[22:23]
	s_branch .LBB66_608
.LBB66_534:
	s_mov_b64 s[2:3], -1
	s_mov_b64 s[0:1], 0
	s_mov_b64 s[30:31], s[22:23]
                                        ; implicit-def: $vgpr3
	s_branch .LBB66_572
.LBB66_535:
	s_mov_b64 s[2:3], -1
	s_mov_b64 s[0:1], 0
	s_mov_b64 s[30:31], s[22:23]
                                        ; implicit-def: $vgpr3
	s_branch .LBB66_553
.LBB66_536:
	s_mov_b64 s[2:3], -1
	s_mov_b64 s[0:1], 0
	s_mov_b64 s[30:31], s[22:23]
                                        ; implicit-def: $vgpr3
	s_branch .LBB66_548
.LBB66_537:
	s_andn2_saveexec_b64 s[24:25], s[24:25]
	s_cbranch_execz .LBB66_322
.LBB66_538:
	s_mov_b32 s30, 0x46000000
	v_add_f32_e64 v5, |v4|, s30
	v_and_b32_e32 v5, 0xff, v5
	v_cmp_ne_u32_e32 vcc, 0, v5
	s_andn2_b64 s[4:5], s[4:5], exec
	s_and_b64 s[30:31], vcc, exec
	s_or_b64 s[4:5], s[4:5], s[30:31]
	s_or_b64 exec, exec, s[24:25]
	v_mov_b32_e32 v6, 0
	s_and_saveexec_b64 s[24:25], s[4:5]
	s_cbranch_execnz .LBB66_323
	s_branch .LBB66_324
.LBB66_539:
	s_mov_b64 s[2:3], -1
	s_mov_b64 s[0:1], 0
	s_mov_b64 s[30:31], s[22:23]
                                        ; implicit-def: $vgpr3
	s_branch .LBB66_543
.LBB66_540:
	s_andn2_saveexec_b64 s[24:25], s[24:25]
	s_cbranch_execz .LBB66_335
.LBB66_541:
	s_mov_b32 s30, 0x42800000
	v_add_f32_e64 v5, |v4|, s30
	v_and_b32_e32 v5, 0xff, v5
	v_cmp_ne_u32_e32 vcc, 0, v5
	s_andn2_b64 s[4:5], s[4:5], exec
	s_and_b64 s[30:31], vcc, exec
	s_or_b64 s[4:5], s[4:5], s[30:31]
	s_or_b64 exec, exec, s[24:25]
	v_mov_b32_e32 v6, 0
	s_and_saveexec_b64 s[24:25], s[4:5]
	s_cbranch_execnz .LBB66_336
	s_branch .LBB66_337
.LBB66_542:
	s_mov_b64 s[30:31], -1
                                        ; implicit-def: $vgpr3
	s_mov_b64 s[0:1], 0
.LBB66_543:
	s_and_b64 vcc, exec, s[2:3]
	s_cbranch_vccz .LBB66_547
; %bb.544:
	s_cmp_eq_u32 s34, 44
	s_cbranch_scc0 .LBB66_546
; %bb.545:
	global_load_ubyte v3, v[0:1], off
	s_movk_i32 s2, 0xff
	v_mov_b32_e32 v5, 0x7e00
	s_mov_b64 s[0:1], -1
	s_mov_b64 s[30:31], 0
	s_waitcnt vmcnt(0)
	v_lshlrev_b32_e32 v4, 23, v3
	v_cvt_f16_f32_e32 v4, v4
	v_cmp_ne_u32_e32 vcc, s2, v3
	v_cndmask_b32_e32 v4, v5, v4, vcc
	v_cmp_ne_u32_e32 vcc, 0, v3
	v_cndmask_b32_e32 v3, 0, v4, vcc
	s_branch .LBB66_547
.LBB66_546:
	s_mov_b64 s[30:31], -1
                                        ; implicit-def: $vgpr3
.LBB66_547:
	s_mov_b64 s[2:3], 0
.LBB66_548:
	s_and_b64 vcc, exec, s[2:3]
	s_cbranch_vccz .LBB66_552
; %bb.549:
	s_cmp_eq_u32 s34, 29
	s_cbranch_scc0 .LBB66_551
; %bb.550:
	global_load_dwordx2 v[3:4], v[0:1], off
	s_mov_b64 s[0:1], -1
	s_mov_b64 s[30:31], 0
	s_mov_b64 s[2:3], 0
	s_waitcnt vmcnt(0)
	v_ffbh_u32_e32 v5, v4
	v_min_u32_e32 v5, 32, v5
	v_lshlrev_b64 v[3:4], v5, v[3:4]
	v_min_u32_e32 v3, 1, v3
	v_or_b32_e32 v3, v4, v3
	v_cvt_f32_u32_e32 v3, v3
	v_sub_u32_e32 v4, 32, v5
	v_ldexp_f32 v3, v3, v4
	v_cvt_f16_f32_e32 v3, v3
	s_branch .LBB66_553
.LBB66_551:
	s_mov_b64 s[30:31], -1
                                        ; implicit-def: $vgpr3
.LBB66_552:
	s_mov_b64 s[2:3], 0
.LBB66_553:
	s_and_b64 vcc, exec, s[2:3]
	s_cbranch_vccz .LBB66_571
; %bb.554:
	s_cmp_lt_i32 s34, 27
	s_cbranch_scc1 .LBB66_557
; %bb.555:
	s_cmp_gt_i32 s34, 27
	s_cbranch_scc0 .LBB66_558
; %bb.556:
	global_load_dword v3, v[0:1], off
	s_mov_b64 s[0:1], 0
	s_waitcnt vmcnt(0)
	v_cvt_f32_u32_e32 v3, v3
	v_cvt_f16_f32_e32 v3, v3
	s_branch .LBB66_559
.LBB66_557:
	s_mov_b64 s[0:1], -1
                                        ; implicit-def: $vgpr3
	s_branch .LBB66_562
.LBB66_558:
	s_mov_b64 s[0:1], -1
                                        ; implicit-def: $vgpr3
.LBB66_559:
	s_andn2_b64 vcc, exec, s[0:1]
	s_cbranch_vccnz .LBB66_561
; %bb.560:
	global_load_ushort v3, v[0:1], off
	s_waitcnt vmcnt(0)
	v_cvt_f16_u16_e32 v3, v3
.LBB66_561:
	s_mov_b64 s[0:1], 0
.LBB66_562:
	s_andn2_b64 vcc, exec, s[0:1]
	s_cbranch_vccnz .LBB66_570
; %bb.563:
	global_load_ubyte v4, v[0:1], off
	s_movk_i32 s0, 0x7f
	s_waitcnt vmcnt(0)
	v_cmp_lt_i16_e32 vcc, s0, v4
	s_mov_b64 s[0:1], 0
	s_and_saveexec_b64 s[2:3], vcc
	s_xor_b64 s[2:3], exec, s[2:3]
	s_cbranch_execz .LBB66_584
; %bb.564:
	s_movk_i32 s0, 0x80
	v_cmp_eq_u16_e32 vcc, s0, v4
	s_mov_b64 s[0:1], -1
	s_and_saveexec_b64 s[4:5], vcc
; %bb.565:
	s_xor_b64 s[0:1], exec, -1
; %bb.566:
	s_or_b64 exec, exec, s[4:5]
	s_and_b64 s[0:1], s[0:1], exec
	s_or_saveexec_b64 s[2:3], s[2:3]
	v_mov_b32_e32 v3, 0x7e00
	s_xor_b64 exec, exec, s[2:3]
	s_cbranch_execnz .LBB66_585
.LBB66_567:
	s_or_b64 exec, exec, s[2:3]
	s_and_saveexec_b64 s[2:3], s[0:1]
	s_cbranch_execz .LBB66_569
.LBB66_568:
	v_lshlrev_b32_e32 v3, 24, v4
	v_and_b32_e32 v4, 0xffff, v4
	v_and_b32_e32 v5, 7, v4
	v_ffbh_u32_e32 v7, v5
	v_min_u32_e32 v7, 32, v7
	v_subrev_u32_e32 v8, 28, v7
	v_bfe_u32 v6, v4, 3, 4
	v_lshlrev_b32_e32 v4, v8, v4
	v_sub_u32_e32 v7, 29, v7
	v_and_b32_e32 v4, 7, v4
	v_cmp_eq_u32_e32 vcc, 0, v6
	v_cndmask_b32_e32 v6, v6, v7, vcc
	v_cndmask_b32_e32 v4, v5, v4, vcc
	v_mov_b32_e32 v5, 0x3b800000
	v_lshlrev_b32_e32 v4, 20, v4
	v_and_b32_e32 v3, 0x80000000, v3
	v_lshl_add_u32 v5, v6, 23, v5
	v_or3_b32 v3, v3, v5, v4
	v_cvt_f16_f32_e32 v3, v3
.LBB66_569:
	s_or_b64 exec, exec, s[2:3]
.LBB66_570:
	s_mov_b64 s[0:1], -1
.LBB66_571:
	s_mov_b64 s[2:3], 0
.LBB66_572:
	s_and_b64 vcc, exec, s[2:3]
	s_cbranch_vccz .LBB66_607
; %bb.573:
	s_cmp_gt_i32 s34, 22
	s_cbranch_scc0 .LBB66_583
; %bb.574:
	s_cmp_lt_i32 s34, 24
	s_cbranch_scc1 .LBB66_586
; %bb.575:
	s_cmp_gt_i32 s34, 24
	s_cbranch_scc0 .LBB66_587
; %bb.576:
	global_load_ubyte v4, v[0:1], off
	s_movk_i32 s0, 0x7f
	s_waitcnt vmcnt(0)
	v_cmp_lt_i16_e32 vcc, s0, v4
	s_mov_b64 s[0:1], 0
	s_and_saveexec_b64 s[2:3], vcc
	s_xor_b64 s[2:3], exec, s[2:3]
	s_cbranch_execz .LBB66_599
; %bb.577:
	s_movk_i32 s0, 0x80
	v_cmp_eq_u16_e32 vcc, s0, v4
	s_mov_b64 s[0:1], -1
	s_and_saveexec_b64 s[4:5], vcc
; %bb.578:
	s_xor_b64 s[0:1], exec, -1
; %bb.579:
	s_or_b64 exec, exec, s[4:5]
	s_and_b64 s[0:1], s[0:1], exec
	s_or_saveexec_b64 s[2:3], s[2:3]
	v_mov_b32_e32 v3, 0x7e00
	s_xor_b64 exec, exec, s[2:3]
	s_cbranch_execnz .LBB66_600
.LBB66_580:
	s_or_b64 exec, exec, s[2:3]
	s_and_saveexec_b64 s[2:3], s[0:1]
	s_cbranch_execz .LBB66_582
.LBB66_581:
	v_lshlrev_b32_e32 v3, 24, v4
	v_and_b32_e32 v4, 0xffff, v4
	v_and_b32_e32 v5, 3, v4
	v_ffbh_u32_e32 v7, v5
	v_min_u32_e32 v7, 32, v7
	v_subrev_u32_e32 v8, 29, v7
	v_bfe_u32 v6, v4, 2, 5
	v_lshlrev_b32_e32 v4, v8, v4
	v_sub_u32_e32 v7, 30, v7
	v_and_b32_e32 v4, 3, v4
	v_cmp_eq_u32_e32 vcc, 0, v6
	v_cndmask_b32_e32 v6, v6, v7, vcc
	v_cndmask_b32_e32 v4, v5, v4, vcc
	v_mov_b32_e32 v5, 0x37800000
	v_lshlrev_b32_e32 v4, 21, v4
	v_and_b32_e32 v3, 0x80000000, v3
	v_lshl_add_u32 v5, v6, 23, v5
	v_or3_b32 v3, v3, v5, v4
	v_cvt_f16_f32_e32 v3, v3
.LBB66_582:
	s_or_b64 exec, exec, s[2:3]
	s_mov_b64 s[0:1], 0
	s_branch .LBB66_588
.LBB66_583:
	s_mov_b64 s[2:3], -1
                                        ; implicit-def: $vgpr3
	s_branch .LBB66_594
.LBB66_584:
	s_or_saveexec_b64 s[2:3], s[2:3]
	v_mov_b32_e32 v3, 0x7e00
	s_xor_b64 exec, exec, s[2:3]
	s_cbranch_execz .LBB66_567
.LBB66_585:
	v_cmp_ne_u16_e32 vcc, 0, v4
	s_andn2_b64 s[0:1], s[0:1], exec
	s_and_b64 s[4:5], vcc, exec
	s_or_b64 s[0:1], s[0:1], s[4:5]
	v_mov_b32_e32 v3, v4
	s_or_b64 exec, exec, s[2:3]
	s_and_saveexec_b64 s[2:3], s[0:1]
	s_cbranch_execnz .LBB66_568
	s_branch .LBB66_569
.LBB66_586:
	s_mov_b64 s[0:1], -1
                                        ; implicit-def: $vgpr3
	s_branch .LBB66_591
.LBB66_587:
	s_mov_b64 s[0:1], -1
                                        ; implicit-def: $vgpr3
.LBB66_588:
	s_and_b64 vcc, exec, s[0:1]
	s_cbranch_vccz .LBB66_590
; %bb.589:
	global_load_ubyte v3, v[0:1], off
	s_mov_b32 s0, 0x7f800000
	s_waitcnt vmcnt(0)
	v_lshlrev_b32_e32 v3, 24, v3
	v_and_b32_e32 v4, 0x7f000000, v3
	v_ffbh_u32_e32 v5, v4
	v_min_u32_e32 v5, 32, v5
	v_sub_u32_e64 v5, v5, 4 clamp
	v_lshlrev_b32_e32 v7, v5, v4
	v_lshlrev_b32_e32 v5, 23, v5
	v_lshrrev_b32_e32 v7, 4, v7
	v_add_u32_e32 v6, 0x1000000, v4
	v_sub_u32_e32 v5, v7, v5
	v_ashrrev_i32_e32 v6, 8, v6
	v_add_u32_e32 v5, 0x3c000000, v5
	v_and_or_b32 v5, v6, s0, v5
	v_cmp_ne_u32_e32 vcc, 0, v4
	v_cndmask_b32_e32 v4, 0, v5, vcc
	s_brev_b32 s0, 1
	v_and_or_b32 v3, v3, s0, v4
	v_cvt_f16_f32_e32 v3, v3
.LBB66_590:
	s_mov_b64 s[0:1], 0
.LBB66_591:
	s_andn2_b64 vcc, exec, s[0:1]
	s_cbranch_vccnz .LBB66_593
; %bb.592:
	global_load_ubyte v3, v[0:1], off
	s_movk_i32 s0, 0x7f00
	s_brev_b32 s1, 16
	s_waitcnt vmcnt(0)
	v_lshlrev_b16_e32 v4, 8, v3
	v_lshlrev_b32_e32 v3, 25, v3
	v_lshrrev_b32_e32 v5, 4, v3
	v_and_or_b32 v6, v4, s0, 0.5
	v_or_b32_e32 v5, 0x70000000, v5
	v_add_f32_e32 v6, -0.5, v6
	v_mul_f32_e32 v5, 0x7800000, v5
	v_cmp_gt_u32_e32 vcc, s1, v3
	v_bfe_i32 v4, v4, 0, 16
	v_cndmask_b32_e32 v3, v5, v6, vcc
	s_brev_b32 s0, 1
	v_and_or_b32 v3, v4, s0, v3
	v_cvt_f16_f32_e32 v3, v3
.LBB66_593:
	s_mov_b64 s[2:3], 0
	s_mov_b64 s[0:1], -1
.LBB66_594:
	s_andn2_b64 vcc, exec, s[2:3]
	s_cbranch_vccnz .LBB66_607
; %bb.595:
	s_cmp_gt_i32 s34, 14
	s_cbranch_scc0 .LBB66_598
; %bb.596:
	s_cmp_eq_u32 s34, 15
	s_cbranch_scc0 .LBB66_601
; %bb.597:
	global_load_ushort v3, v[0:1], off
	s_mov_b64 s[0:1], -1
	s_mov_b64 s[30:31], 0
	s_waitcnt vmcnt(0)
	v_lshlrev_b32_e32 v3, 16, v3
	v_cvt_f16_f32_e32 v3, v3
	s_branch .LBB66_602
.LBB66_598:
	s_mov_b64 s[2:3], -1
                                        ; implicit-def: $vgpr3
	s_branch .LBB66_603
.LBB66_599:
	s_or_saveexec_b64 s[2:3], s[2:3]
	v_mov_b32_e32 v3, 0x7e00
	s_xor_b64 exec, exec, s[2:3]
	s_cbranch_execz .LBB66_580
.LBB66_600:
	v_cmp_ne_u16_e32 vcc, 0, v4
	s_andn2_b64 s[0:1], s[0:1], exec
	s_and_b64 s[4:5], vcc, exec
	s_or_b64 s[0:1], s[0:1], s[4:5]
	v_mov_b32_e32 v3, v4
	s_or_b64 exec, exec, s[2:3]
	s_and_saveexec_b64 s[2:3], s[0:1]
	s_cbranch_execnz .LBB66_581
	s_branch .LBB66_582
.LBB66_601:
	s_mov_b64 s[30:31], -1
                                        ; implicit-def: $vgpr3
.LBB66_602:
	s_mov_b64 s[2:3], 0
.LBB66_603:
	s_and_b64 vcc, exec, s[2:3]
	s_cbranch_vccz .LBB66_607
; %bb.604:
	s_cmp_eq_u32 s34, 11
	s_cbranch_scc0 .LBB66_606
; %bb.605:
	global_load_ubyte v3, v[0:1], off
	v_mov_b32_e32 v4, 0x3c00
	s_mov_b64 s[0:1], -1
	s_mov_b64 s[30:31], 0
	s_waitcnt vmcnt(0)
	v_cmp_ne_u16_e32 vcc, 0, v3
	v_cndmask_b32_e32 v3, 0, v4, vcc
	s_branch .LBB66_607
.LBB66_606:
	s_mov_b64 s[30:31], -1
                                        ; implicit-def: $vgpr3
.LBB66_607:
	s_mov_b64 s[2:3], 0
.LBB66_608:
	s_and_b64 vcc, exec, s[2:3]
	s_cbranch_vccz .LBB66_657
; %bb.609:
	s_cmp_lt_i32 s34, 5
	s_cbranch_scc1 .LBB66_614
; %bb.610:
	s_cmp_lt_i32 s34, 8
	s_cbranch_scc1 .LBB66_615
	;; [unrolled: 3-line block ×3, first 2 shown]
; %bb.612:
	s_cmp_gt_i32 s34, 9
	s_cbranch_scc0 .LBB66_617
; %bb.613:
	global_load_dwordx2 v[3:4], v[0:1], off
	s_movk_i32 s0, 0x1ff
	s_movk_i32 s1, 0xffe
	v_mov_b32_e32 v5, 0x7c00
	v_mov_b32_e32 v6, 0x7e00
	s_movk_i32 s2, 0x40f
	s_mov_b32 s3, 0x8000
	s_waitcnt vmcnt(0)
	v_and_or_b32 v3, v4, s0, v3
	v_cmp_ne_u32_e32 vcc, 0, v3
	v_lshrrev_b32_e32 v7, 8, v4
	v_bfe_u32 v8, v4, 20, 11
	v_cndmask_b32_e64 v3, 0, 1, vcc
	v_sub_u32_e32 v9, 0x3f1, v8
	v_and_or_b32 v3, v7, s1, v3
	v_add_u32_e32 v8, 0xfffffc10, v8
	v_med3_i32 v7, v9, 0, 13
	v_or_b32_e32 v9, 0x1000, v3
	v_cmp_ne_u32_e32 vcc, 0, v3
	v_lshl_or_b32 v10, v8, 12, v3
	v_cndmask_b32_e32 v3, v5, v6, vcc
	v_lshrrev_b32_e32 v6, v7, v9
	v_lshlrev_b32_e32 v7, v7, v6
	v_cmp_ne_u32_e32 vcc, v7, v9
	v_cndmask_b32_e64 v7, 0, 1, vcc
	v_or_b32_e32 v6, v6, v7
	v_cmp_gt_i32_e32 vcc, 1, v8
	v_cndmask_b32_e32 v6, v10, v6, vcc
	v_and_b32_e32 v7, 7, v6
	v_cmp_lt_i32_e32 vcc, 5, v7
	v_cndmask_b32_e64 v9, 0, 1, vcc
	v_cmp_eq_u32_e32 vcc, 3, v7
	v_cndmask_b32_e64 v7, 0, 1, vcc
	v_lshrrev_b32_e32 v6, 2, v6
	v_or_b32_e32 v7, v7, v9
	v_add_u32_e32 v6, v6, v7
	v_cmp_gt_i32_e32 vcc, 31, v8
	v_cndmask_b32_e32 v5, v5, v6, vcc
	v_cmp_eq_u32_e32 vcc, s2, v8
	v_lshrrev_b32_e32 v4, 16, v4
	v_cndmask_b32_e32 v3, v5, v3, vcc
	v_and_or_b32 v3, v4, s3, v3
	s_mov_b64 s[0:1], 0
	s_branch .LBB66_618
.LBB66_614:
	s_mov_b64 s[0:1], -1
                                        ; implicit-def: $vgpr3
	s_branch .LBB66_636
.LBB66_615:
	s_mov_b64 s[0:1], -1
                                        ; implicit-def: $vgpr3
	s_branch .LBB66_624
.LBB66_616:
	s_mov_b64 s[0:1], -1
                                        ; implicit-def: $vgpr3
	s_branch .LBB66_621
.LBB66_617:
	s_mov_b64 s[0:1], -1
                                        ; implicit-def: $vgpr3
.LBB66_618:
	s_andn2_b64 vcc, exec, s[0:1]
	s_cbranch_vccnz .LBB66_620
; %bb.619:
	global_load_dword v3, v[0:1], off
	s_waitcnt vmcnt(0)
	v_cvt_f16_f32_e32 v3, v3
.LBB66_620:
	s_mov_b64 s[0:1], 0
.LBB66_621:
	s_andn2_b64 vcc, exec, s[0:1]
	s_cbranch_vccnz .LBB66_623
; %bb.622:
	global_load_dword v3, v[0:1], off
.LBB66_623:
	s_mov_b64 s[0:1], 0
.LBB66_624:
	s_andn2_b64 vcc, exec, s[0:1]
	s_cbranch_vccnz .LBB66_635
; %bb.625:
	s_cmp_lt_i32 s34, 6
	s_cbranch_scc1 .LBB66_628
; %bb.626:
	s_cmp_gt_i32 s34, 6
	s_cbranch_scc0 .LBB66_629
; %bb.627:
	global_load_dwordx2 v[3:4], v[0:1], off
	s_movk_i32 s0, 0x1ff
	s_movk_i32 s1, 0xffe
	v_mov_b32_e32 v5, 0x7c00
	v_mov_b32_e32 v6, 0x7e00
	s_movk_i32 s2, 0x40f
	s_mov_b32 s3, 0x8000
	s_waitcnt vmcnt(0)
	v_and_or_b32 v3, v4, s0, v3
	v_cmp_ne_u32_e32 vcc, 0, v3
	v_lshrrev_b32_e32 v7, 8, v4
	v_bfe_u32 v8, v4, 20, 11
	v_cndmask_b32_e64 v3, 0, 1, vcc
	v_sub_u32_e32 v9, 0x3f1, v8
	v_and_or_b32 v3, v7, s1, v3
	v_add_u32_e32 v8, 0xfffffc10, v8
	v_med3_i32 v7, v9, 0, 13
	v_or_b32_e32 v9, 0x1000, v3
	v_cmp_ne_u32_e32 vcc, 0, v3
	v_lshl_or_b32 v10, v8, 12, v3
	v_cndmask_b32_e32 v3, v5, v6, vcc
	v_lshrrev_b32_e32 v6, v7, v9
	v_lshlrev_b32_e32 v7, v7, v6
	v_cmp_ne_u32_e32 vcc, v7, v9
	v_cndmask_b32_e64 v7, 0, 1, vcc
	v_or_b32_e32 v6, v6, v7
	v_cmp_gt_i32_e32 vcc, 1, v8
	v_cndmask_b32_e32 v6, v10, v6, vcc
	v_and_b32_e32 v7, 7, v6
	v_cmp_lt_i32_e32 vcc, 5, v7
	v_cndmask_b32_e64 v9, 0, 1, vcc
	v_cmp_eq_u32_e32 vcc, 3, v7
	v_cndmask_b32_e64 v7, 0, 1, vcc
	v_lshrrev_b32_e32 v6, 2, v6
	v_or_b32_e32 v7, v7, v9
	v_add_u32_e32 v6, v6, v7
	v_cmp_gt_i32_e32 vcc, 31, v8
	v_cndmask_b32_e32 v5, v5, v6, vcc
	v_cmp_eq_u32_e32 vcc, s2, v8
	v_lshrrev_b32_e32 v4, 16, v4
	v_cndmask_b32_e32 v3, v5, v3, vcc
	v_and_or_b32 v3, v4, s3, v3
	s_mov_b64 s[0:1], 0
	s_branch .LBB66_630
.LBB66_628:
	s_mov_b64 s[0:1], -1
                                        ; implicit-def: $vgpr3
	s_branch .LBB66_633
.LBB66_629:
	s_mov_b64 s[0:1], -1
                                        ; implicit-def: $vgpr3
.LBB66_630:
	s_andn2_b64 vcc, exec, s[0:1]
	s_cbranch_vccnz .LBB66_632
; %bb.631:
	global_load_dword v3, v[0:1], off
	s_waitcnt vmcnt(0)
	v_cvt_f16_f32_e32 v3, v3
.LBB66_632:
	s_mov_b64 s[0:1], 0
.LBB66_633:
	s_andn2_b64 vcc, exec, s[0:1]
	s_cbranch_vccnz .LBB66_635
; %bb.634:
	global_load_ushort v3, v[0:1], off
.LBB66_635:
	s_mov_b64 s[0:1], 0
.LBB66_636:
	s_andn2_b64 vcc, exec, s[0:1]
	s_cbranch_vccnz .LBB66_656
; %bb.637:
	s_cmp_lt_i32 s34, 2
	s_cbranch_scc1 .LBB66_641
; %bb.638:
	s_cmp_lt_i32 s34, 3
	s_cbranch_scc1 .LBB66_642
; %bb.639:
	s_cmp_gt_i32 s34, 3
	s_cbranch_scc0 .LBB66_643
; %bb.640:
	global_load_dwordx2 v[3:4], v[0:1], off
	s_mov_b64 s[0:1], 0
	s_waitcnt vmcnt(0)
	v_xor_b32_e32 v6, v3, v4
	v_ffbh_i32_e32 v5, v4
	v_ashrrev_i32_e32 v6, 31, v6
	v_add_u32_e32 v5, -1, v5
	v_add_u32_e32 v6, 32, v6
	v_min_u32_e32 v5, v5, v6
	v_lshlrev_b64 v[3:4], v5, v[3:4]
	v_min_u32_e32 v3, 1, v3
	v_or_b32_e32 v3, v4, v3
	v_cvt_f32_i32_e32 v3, v3
	v_sub_u32_e32 v4, 32, v5
	v_ldexp_f32 v3, v3, v4
	v_cvt_f16_f32_e32 v3, v3
	s_branch .LBB66_644
.LBB66_641:
	s_mov_b64 s[0:1], -1
                                        ; implicit-def: $vgpr3
	s_branch .LBB66_650
.LBB66_642:
	s_mov_b64 s[0:1], -1
                                        ; implicit-def: $vgpr3
	s_branch .LBB66_647
.LBB66_643:
	s_mov_b64 s[0:1], -1
                                        ; implicit-def: $vgpr3
.LBB66_644:
	s_andn2_b64 vcc, exec, s[0:1]
	s_cbranch_vccnz .LBB66_646
; %bb.645:
	global_load_dword v3, v[0:1], off
	s_waitcnt vmcnt(0)
	v_cvt_f32_i32_e32 v3, v3
	v_cvt_f16_f32_e32 v3, v3
.LBB66_646:
	s_mov_b64 s[0:1], 0
.LBB66_647:
	s_andn2_b64 vcc, exec, s[0:1]
	s_cbranch_vccnz .LBB66_649
; %bb.648:
	global_load_ushort v3, v[0:1], off
	s_waitcnt vmcnt(0)
	v_cvt_f16_i16_e32 v3, v3
.LBB66_649:
	s_mov_b64 s[0:1], 0
.LBB66_650:
	s_andn2_b64 vcc, exec, s[0:1]
	s_cbranch_vccnz .LBB66_656
; %bb.651:
	s_cmp_gt_i32 s34, 0
	s_cbranch_scc0 .LBB66_653
; %bb.652:
	global_load_sbyte v3, v[0:1], off
	s_mov_b64 s[0:1], 0
	s_waitcnt vmcnt(0)
	v_cvt_f16_i16_e32 v3, v3
	s_branch .LBB66_654
.LBB66_653:
	s_mov_b64 s[0:1], -1
                                        ; implicit-def: $vgpr3
.LBB66_654:
	s_andn2_b64 vcc, exec, s[0:1]
	s_cbranch_vccnz .LBB66_656
; %bb.655:
	global_load_ubyte v0, v[0:1], off
	s_waitcnt vmcnt(0)
	v_cvt_f16_u16_e32 v3, v0
.LBB66_656:
	s_mov_b64 s[0:1], -1
.LBB66_657:
	s_andn2_b64 vcc, exec, s[0:1]
	s_cbranch_vccnz .LBB66_671
; %bb.658:
	s_waitcnt vmcnt(0)
	v_cvt_f32_f16_e32 v0, v3
	v_cmp_gt_f16_e32 vcc, 0.5, v3
	v_mov_b32_e32 v3, 0
	v_mov_b32_e32 v1, 1.0
	s_and_saveexec_b64 s[34:35], vcc
	s_cbranch_execz .LBB66_664
; %bb.659:
	v_mul_f32_e32 v1, 0x40490fdb, v0
	s_brev_b32 s0, 18
	v_and_b32_e32 v3, 0x7fffffff, v1
	v_cmp_nlt_f32_e64 s[0:1], |v1|, s0
                                        ; implicit-def: $vgpr4
                                        ; implicit-def: $vgpr5
	s_and_saveexec_b64 s[2:3], s[0:1]
	s_xor_b64 s[36:37], exec, s[2:3]
	s_cbranch_execz .LBB66_661
; %bb.660:
	v_and_b32_e32 v4, 0x7fffff, v3
	v_or_b32_e32 v13, 0x800000, v4
	s_mov_b32 s0, 0xfe5163ab
	v_mad_u64_u32 v[4:5], s[0:1], v13, s0, 0
	v_mov_b32_e32 v6, 0
	s_mov_b32 s0, 0x3c439041
	v_mad_u64_u32 v[7:8], s[0:1], v13, s0, v[5:6]
	s_mov_b32 s0, 0xdb629599
	v_not_b32_e32 v12, 63
	v_mov_b32_e32 v5, v8
	v_mad_u64_u32 v[8:9], s[0:1], v13, s0, v[5:6]
	s_mov_b32 s0, 0xf534ddc0
	v_not_b32_e32 v15, 31
	v_mov_b32_e32 v5, v9
	v_mad_u64_u32 v[9:10], s[0:1], v13, s0, v[5:6]
	v_lshrrev_b32_e32 v5, 23, v3
	v_add_u32_e32 v14, 0xffffff88, v5
	v_mov_b32_e32 v5, v10
	s_mov_b32 s0, 0xfc2757d1
	v_mad_u64_u32 v[10:11], s[0:1], v13, s0, v[5:6]
	v_cmp_lt_u32_e32 vcc, 63, v14
	v_cndmask_b32_e32 v5, 0, v12, vcc
	v_add_u32_e32 v14, v5, v14
	v_mov_b32_e32 v5, v11
	s_mov_b32 s0, 0x4e441529
	v_mad_u64_u32 v[11:12], s[0:1], v13, s0, v[5:6]
	v_cmp_lt_u32_e64 s[0:1], 31, v14
	v_cndmask_b32_e64 v5, 0, v15, s[0:1]
	v_add_u32_e32 v14, v5, v14
	v_mov_b32_e32 v5, v12
	s_mov_b32 s2, 0xa2f9836e
	v_mad_u64_u32 v[5:6], s[2:3], v13, s2, v[5:6]
	v_cmp_lt_u32_e64 s[2:3], 31, v14
	v_cndmask_b32_e64 v12, 0, v15, s[2:3]
	v_cndmask_b32_e32 v13, v11, v9, vcc
	v_cndmask_b32_e32 v5, v5, v10, vcc
	;; [unrolled: 1-line block ×3, first 2 shown]
	v_add_u32_e32 v12, v12, v14
	v_cndmask_b32_e64 v14, v5, v13, s[0:1]
	v_cndmask_b32_e64 v5, v6, v5, s[0:1]
	v_cndmask_b32_e32 v6, v10, v8, vcc
	v_cndmask_b32_e64 v10, v13, v6, s[0:1]
	v_cndmask_b32_e64 v5, v5, v14, s[2:3]
	;; [unrolled: 1-line block ×3, first 2 shown]
	v_sub_u32_e32 v13, 32, v12
	v_alignbit_b32 v14, v5, v11, v13
	v_cmp_eq_u32_e64 s[4:5], 0, v12
	v_cndmask_b32_e64 v12, v14, v5, s[4:5]
	v_cndmask_b32_e32 v5, v9, v7, vcc
	v_cndmask_b32_e64 v6, v6, v5, s[0:1]
	v_cndmask_b32_e64 v7, v10, v6, s[2:3]
	v_alignbit_b32 v9, v11, v7, v13
	v_cndmask_b32_e32 v4, v8, v4, vcc
	v_cndmask_b32_e64 v9, v9, v11, s[4:5]
	v_bfe_u32 v14, v12, 29, 1
	v_cndmask_b32_e64 v4, v5, v4, s[0:1]
	v_alignbit_b32 v10, v12, v9, 30
	v_sub_u32_e32 v15, 0, v14
	v_cndmask_b32_e64 v4, v6, v4, s[2:3]
	v_xor_b32_e32 v10, v10, v15
	v_alignbit_b32 v5, v7, v4, v13
	v_cndmask_b32_e64 v5, v5, v7, s[4:5]
	v_ffbh_u32_e32 v7, v10
	v_alignbit_b32 v6, v9, v5, 30
	v_min_u32_e32 v7, 32, v7
	v_alignbit_b32 v4, v5, v4, 30
	v_xor_b32_e32 v6, v6, v15
	v_sub_u32_e32 v8, 31, v7
	v_xor_b32_e32 v4, v4, v15
	v_alignbit_b32 v9, v10, v6, v8
	v_alignbit_b32 v4, v6, v4, v8
	;; [unrolled: 1-line block ×3, first 2 shown]
	v_ffbh_u32_e32 v6, v5
	v_min_u32_e32 v6, 32, v6
	v_lshrrev_b32_e32 v11, 29, v12
	v_not_b32_e32 v8, v6
	v_alignbit_b32 v4, v5, v4, v8
	v_lshlrev_b32_e32 v5, 31, v11
	v_or_b32_e32 v8, 0x33000000, v5
	v_add_lshl_u32 v6, v6, v7, 23
	v_lshrrev_b32_e32 v4, 9, v4
	v_sub_u32_e32 v6, v8, v6
	v_or_b32_e32 v5, 0.5, v5
	v_lshlrev_b32_e32 v7, 23, v7
	v_or_b32_e32 v4, v6, v4
	v_lshrrev_b32_e32 v6, 9, v9
	v_sub_u32_e32 v5, v5, v7
	v_or_b32_e32 v5, v6, v5
	s_mov_b32 s0, 0x3fc90fda
	v_mul_f32_e32 v6, 0x3fc90fda, v5
	v_fma_f32 v7, v5, s0, -v6
	v_fmac_f32_e32 v7, 0x33a22168, v5
	v_fmac_f32_e32 v7, 0x3fc90fda, v4
	v_lshrrev_b32_e32 v4, 30, v12
	v_add_f32_e32 v5, v6, v7
	v_add_u32_e32 v4, v14, v4
.LBB66_661:
	s_andn2_saveexec_b64 s[0:1], s[36:37]
	s_cbranch_execz .LBB66_663
; %bb.662:
	s_mov_b32 s2, 0x3f22f983
	v_mul_f32_e64 v4, |v1|, s2
	v_rndne_f32_e32 v6, v4
	s_mov_b32 s2, 0xbfc90fda
	v_cvt_i32_f32_e32 v4, v6
	v_fma_f32 v5, v6, s2, |v1|
	v_fmac_f32_e32 v5, 0xb3a22168, v6
	v_fmac_f32_e32 v5, 0xa7c234c4, v6
.LBB66_663:
	s_or_b64 exec, exec, s[0:1]
	v_mul_f32_e32 v6, v5, v5
	v_mov_b32_e32 v7, 0x3c0881c4
	v_fmac_f32_e32 v7, 0xb94c1982, v6
	v_mov_b32_e32 v8, 0xbe2aaa9d
	v_fmac_f32_e32 v8, v6, v7
	v_mul_f32_e32 v7, v6, v8
	v_fmac_f32_e32 v5, v5, v7
	v_mov_b32_e32 v7, 0xbab64f3b
	v_fmac_f32_e32 v7, 0x37d75334, v6
	v_mov_b32_e32 v8, 0x3d2aabf7
	;; [unrolled: 2-line block ×3, first 2 shown]
	v_fmac_f32_e32 v7, v6, v8
	v_fma_f32 v6, v6, v7, 1.0
	v_and_b32_e32 v7, 1, v4
	v_lshlrev_b32_e32 v4, 30, v4
	v_cmp_eq_u32_e32 vcc, 0, v7
	v_and_b32_e32 v4, 0x80000000, v4
	v_xor_b32_e32 v3, v3, v1
	v_cndmask_b32_e32 v5, v6, v5, vcc
	v_xor_b32_e32 v3, v3, v4
	s_movk_i32 s0, 0x1f8
	v_xor_b32_e32 v3, v3, v5
	v_mov_b32_e32 v4, 0x7fc00000
	v_cmp_class_f32_e64 vcc, v1, s0
	v_cndmask_b32_e32 v1, v4, v3, vcc
	v_mul_f32_e32 v1, v1, v1
	s_mov_b32 s2, 0xc11de9e7
	v_div_scale_f32 v3, s[0:1], v1, v1, s2
	v_div_scale_f32 v4, vcc, s2, v1, s2
	v_sub_f32_e32 v0, 1.0, v0
	v_rcp_f32_e32 v5, v3
	v_fma_f32 v6, -v3, v5, 1.0
	v_fmac_f32_e32 v5, v6, v5
	v_mul_f32_e32 v6, v4, v5
	v_fma_f32 v7, -v3, v6, v4
	v_fmac_f32_e32 v6, v7, v5
	v_fma_f32 v3, -v3, v6, v4
	v_div_fmas_f32 v3, v3, v5, v6
	v_div_fixup_f32 v1, v3, v1, s2
	v_add_f32_e32 v3, 0, v1
	v_mov_b32_e32 v1, -1.0
.LBB66_664:
	s_or_b64 exec, exec, s[34:35]
	v_mul_f32_e32 v4, v0, v0
	v_div_scale_f32 v6, s[0:1], v4, v4, 1.0
	v_add_f32_e32 v5, 1.0, v0
	v_mul_f32_e32 v0, v5, v5
	v_div_scale_f32 v8, s[0:1], v0, v0, 1.0
	v_div_scale_f32 v7, vcc, 1.0, v4, 1.0
	v_div_scale_f32 v9, s[0:1], 1.0, v0, 1.0
	v_add_f32_e32 v10, 1.0, v5
	v_mul_f32_e32 v5, v10, v10
	v_div_scale_f32 v13, s[2:3], v5, v5, 1.0
	v_add_f32_e32 v10, 1.0, v10
	v_add_f32_e32 v18, 1.0, v10
	v_rcp_f32_e32 v11, v6
	s_and_b32 s36, s33, 0xff
	s_cmp_lt_i32 s36, 11
	v_rcp_f32_e32 v12, v8
	v_fma_f32 v14, -v6, v11, 1.0
	v_fmac_f32_e32 v11, v14, v11
	v_mul_f32_e32 v15, v7, v11
	v_fma_f32 v14, -v8, v12, 1.0
	v_fmac_f32_e32 v12, v14, v12
	v_fma_f32 v14, -v6, v15, v7
	v_fmac_f32_e32 v15, v14, v11
	v_fma_f32 v6, -v6, v15, v7
	v_mul_f32_e32 v16, v9, v12
	v_div_fmas_f32 v6, v6, v11, v15
	v_div_scale_f32 v11, s[2:3], 1.0, v5, 1.0
	v_fma_f32 v7, -v8, v16, v9
	v_fmac_f32_e32 v16, v7, v12
	v_mul_f32_e32 v7, v10, v10
	v_div_scale_f32 v14, s[4:5], v7, v7, 1.0
	v_div_scale_f32 v17, s[4:5], 1.0, v7, 1.0
	v_rcp_f32_e32 v15, v13
	v_fma_f32 v9, -v8, v16, v9
	v_mul_f32_e32 v8, v18, v18
	v_div_scale_f32 v19, s[34:35], v8, v8, 1.0
	v_fma_f32 v10, -v13, v15, 1.0
	v_fmac_f32_e32 v15, v10, v15
	s_mov_b64 vcc, s[0:1]
	v_mul_f32_e32 v10, v11, v15
	v_div_fmas_f32 v9, v9, v12, v16
	v_fma_f32 v12, -v13, v10, v11
	v_fmac_f32_e32 v10, v12, v15
	v_rcp_f32_e32 v12, v14
	v_fma_f32 v11, -v13, v10, v11
	s_mov_b64 vcc, s[2:3]
	v_div_fmas_f32 v10, v11, v15, v10
	v_div_scale_f32 v15, s[0:1], 1.0, v8, 1.0
	v_add_f32_e32 v16, 1.0, v18
	v_mul_f32_e32 v18, v16, v16
	v_fma_f32 v11, -v14, v12, 1.0
	v_div_scale_f32 v20, s[2:3], v18, v18, 1.0
	v_fmac_f32_e32 v12, v11, v12
	v_mul_f32_e32 v11, v17, v12
	v_fma_f32 v13, -v14, v11, v17
	v_fmac_f32_e32 v11, v13, v12
	v_fma_f32 v14, -v14, v11, v17
	s_mov_b64 vcc, s[4:5]
	v_div_fmas_f32 v11, v14, v12, v11
	v_div_scale_f32 v14, s[2:3], 1.0, v18, 1.0
	v_rcp_f32_e32 v13, v19
	v_add_f32_e32 v16, 1.0, v16
	v_mul_f32_e32 v17, v16, v16
	v_div_scale_f32 v21, s[4:5], v17, v17, 1.0
	v_fma_f32 v12, -v19, v13, 1.0
	v_fmac_f32_e32 v13, v12, v13
	v_mul_f32_e32 v12, v15, v13
	v_fma_f32 v22, -v19, v12, v15
	v_fmac_f32_e32 v12, v22, v13
	v_div_scale_f32 v22, s[4:5], 1.0, v17, 1.0
	v_fma_f32 v15, -v19, v12, v15
	v_rcp_f32_e32 v19, v20
	s_mov_b64 vcc, s[0:1]
	v_div_fmas_f32 v12, v15, v13, v12
	s_mov_b64 vcc, s[2:3]
	v_fma_f32 v13, -v20, v19, 1.0
	v_fmac_f32_e32 v19, v13, v19
	v_mul_f32_e32 v13, v14, v19
	v_fma_f32 v15, -v20, v13, v14
	v_fmac_f32_e32 v13, v15, v19
	v_rcp_f32_e32 v15, v21
	v_fma_f32 v14, -v20, v13, v14
	v_div_fmas_f32 v13, v14, v19, v13
	v_add_f32_e32 v19, v16, v16
	v_div_scale_f32 v20, s[0:1], v19, v19, 1.0
	v_fma_f32 v14, -v21, v15, 1.0
	v_fmac_f32_e32 v15, v14, v15
	v_mul_f32_e32 v14, v22, v15
	v_fma_f32 v23, -v21, v14, v22
	v_fmac_f32_e32 v14, v23, v15
	v_div_scale_f32 v23, s[0:1], 1.0, v19, 1.0
	v_fma_f32 v21, -v21, v14, v22
	s_mov_b64 vcc, s[4:5]
	v_div_fmas_f32 v14, v21, v15, v14
	s_mov_b64 vcc, s[0:1]
	s_mov_b32 s0, 0x3e2aaaab
	v_div_fixup_f32 v4, v6, v4, 1.0
	v_add_f32_e32 v3, v3, v4
	v_rcp_f32_e32 v22, v20
	v_div_fixup_f32 v0, v9, v0, 1.0
	v_add_f32_e32 v0, v3, v0
	v_div_fixup_f32 v3, v10, v5, 1.0
	v_fma_f32 v15, -v20, v22, 1.0
	v_fmac_f32_e32 v22, v15, v22
	v_add_f32_e32 v0, v0, v3
	v_mul_f32_e32 v15, v23, v22
	v_fma_f32 v21, -v20, v15, v23
	v_fmac_f32_e32 v15, v21, v22
	v_fma_f32 v20, -v20, v15, v23
	v_div_fmas_f32 v15, v20, v22, v15
	v_div_fixup_f32 v14, v14, v17, 1.0
	v_mov_b32_e32 v17, 0x3d088889
	v_fmac_f32_e32 v17, 0xbcc30c31, v14
	v_fma_f32 v17, -v14, v17, s0
	v_div_fixup_f32 v3, v11, v7, 1.0
	v_add_f32_e32 v0, v0, v3
	v_div_fixup_f32 v3, v12, v8, 1.0
	v_mul_lo_u32 v4, v2, s12
	v_add_f32_e32 v0, v0, v3
	v_div_fixup_f32 v3, v13, v18, 1.0
	v_add_f32_e32 v0, v0, v3
	v_mov_b32_e32 v5, s9
	v_div_fixup_f32 v15, v15, v19, 1.0
	v_add_f32_e32 v15, 1.0, v15
	v_fmac_f32_e32 v15, v14, v17
	v_div_scale_f32 v14, s[0:1], v16, v16, v15
	v_div_scale_f32 v17, vcc, v15, v16, v15
	v_rcp_f32_e32 v19, v14
	v_fma_f32 v20, -v14, v19, 1.0
	v_fmac_f32_e32 v19, v20, v19
	v_mul_f32_e32 v20, v17, v19
	v_fma_f32 v21, -v14, v20, v17
	v_fmac_f32_e32 v20, v21, v19
	v_fma_f32 v14, -v14, v20, v17
	v_div_fmas_f32 v14, v14, v19, v20
	v_div_fixup_f32 v3, v14, v16, v15
	v_add_f32_e32 v0, v0, v3
	v_fma_mixlo_f16 v3, v1, v0, 0
	v_ashrrev_i32_e32 v1, 31, v4
	v_add_co_u32_e32 v0, vcc, s8, v4
	v_addc_co_u32_e32 v1, vcc, v5, v1, vcc
	s_cbranch_scc1 .LBB66_672
; %bb.665:
	s_and_b32 s37, 0xffff, s36
	s_cmp_gt_i32 s37, 25
	s_cbranch_scc0 .LBB66_673
; %bb.666:
	s_cmp_gt_i32 s37, 28
	s_cbranch_scc0 .LBB66_674
; %bb.667:
	;; [unrolled: 3-line block ×4, first 2 shown]
	s_mov_b64 s[4:5], 0
	s_mov_b64 s[0:1], -1
	s_cmp_eq_u32 s37, 46
	s_mov_b64 s[2:3], 0
	s_cbranch_scc0 .LBB66_677
; %bb.670:
	v_cvt_f32_f16_e32 v4, v3
	s_movk_i32 s0, 0x7fff
	v_cmp_o_f16_e32 vcc, v3, v3
	v_mov_b32_e32 v5, 0x7fc0
	v_bfe_u32 v6, v4, 16, 1
	v_add3_u32 v4, v4, v6, s0
	v_cndmask_b32_sdwa v4, v5, v4, vcc dst_sel:DWORD dst_unused:UNUSED_PAD src0_sel:DWORD src1_sel:WORD_1
	global_store_dword v[0:1], v4, off
	s_mov_b64 s[2:3], -1
	s_mov_b64 s[0:1], 0
	s_branch .LBB66_677
.LBB66_671:
	s_mov_b64 s[4:5], 0
                                        ; implicit-def: $vgpr2
	s_mov_b64 s[0:1], s[24:25]
	s_branch .LBB66_788
.LBB66_672:
	s_mov_b64 s[4:5], -1
	s_mov_b64 s[2:3], 0
	s_mov_b64 s[0:1], s[24:25]
	s_branch .LBB66_746
.LBB66_673:
	s_mov_b64 s[4:5], -1
	s_mov_b64 s[2:3], 0
	s_mov_b64 s[0:1], s[24:25]
	s_branch .LBB66_704
.LBB66_674:
	s_mov_b64 s[4:5], -1
	s_mov_b64 s[2:3], 0
	s_mov_b64 s[0:1], s[24:25]
	s_branch .LBB66_687
.LBB66_675:
	s_mov_b64 s[4:5], -1
	s_mov_b64 s[2:3], 0
	s_mov_b64 s[0:1], s[24:25]
	s_branch .LBB66_683
.LBB66_676:
	s_mov_b64 s[4:5], -1
	s_mov_b64 s[2:3], 0
	s_mov_b64 s[0:1], s[24:25]
.LBB66_677:
	s_and_b64 vcc, exec, s[4:5]
	s_cbranch_vccz .LBB66_682
; %bb.678:
	s_cmp_eq_u32 s37, 44
	s_mov_b64 s[0:1], -1
	s_cbranch_scc0 .LBB66_682
; %bb.679:
	v_cvt_f32_f16_e32 v4, v3
	s_movk_i32 s0, 0xff
	v_mov_b32_e32 v6, 0xff
	v_bfe_u32 v5, v4, 23, 8
	v_cmp_ne_u32_e32 vcc, s0, v5
	s_and_saveexec_b64 s[2:3], vcc
; %bb.680:
	s_mov_b32 s0, 0x3fffff
	v_lshrrev_b32_e32 v6, 23, v4
	v_and_b32_e32 v7, 0x400000, v4
	v_and_or_b32 v4, v4, s0, v5
	v_cmp_ne_u32_e32 vcc, 0, v7
	v_cmp_ne_u32_e64 s[0:1], 0, v4
	s_and_b64 s[0:1], vcc, s[0:1]
	v_cndmask_b32_e64 v4, 0, 1, s[0:1]
	v_add_u32_e32 v6, v6, v4
; %bb.681:
	s_or_b64 exec, exec, s[2:3]
	s_mov_b64 s[2:3], -1
	s_mov_b64 s[0:1], 0
	global_store_byte v[0:1], v6, off
.LBB66_682:
	s_mov_b64 s[4:5], 0
.LBB66_683:
	s_and_b64 vcc, exec, s[4:5]
	s_cbranch_vccz .LBB66_686
; %bb.684:
	s_cmp_eq_u32 s37, 29
	s_mov_b64 s[0:1], -1
	s_cbranch_scc0 .LBB66_686
; %bb.685:
	v_cvt_f32_f16_e32 v4, v3
	v_mov_b32_e32 v5, 0
	s_mov_b64 s[2:3], -1
	s_mov_b64 s[0:1], 0
	v_cvt_u32_f32_e32 v4, v4
	s_mov_b64 s[4:5], 0
	global_store_dwordx2 v[0:1], v[4:5], off
	s_branch .LBB66_687
.LBB66_686:
	s_mov_b64 s[4:5], 0
.LBB66_687:
	s_and_b64 vcc, exec, s[4:5]
	s_cbranch_vccz .LBB66_703
; %bb.688:
	s_cmp_lt_i32 s37, 27
	s_mov_b64 s[2:3], -1
	s_cbranch_scc1 .LBB66_694
; %bb.689:
	s_cmp_gt_i32 s37, 27
	s_cbranch_scc0 .LBB66_691
; %bb.690:
	v_cvt_f32_f16_e32 v4, v3
	s_mov_b64 s[2:3], 0
	v_cvt_u32_f32_e32 v4, v4
	global_store_dword v[0:1], v4, off
.LBB66_691:
	s_andn2_b64 vcc, exec, s[2:3]
	s_cbranch_vccnz .LBB66_693
; %bb.692:
	v_cvt_u16_f16_e32 v4, v3
	global_store_short v[0:1], v4, off
.LBB66_693:
	s_mov_b64 s[2:3], 0
.LBB66_694:
	s_andn2_b64 vcc, exec, s[2:3]
	s_cbranch_vccnz .LBB66_702
; %bb.695:
	v_cvt_f32_f16_e32 v4, v3
	s_mov_b32 s2, 0x43800000
	v_mov_b32_e32 v6, 0x80
	v_and_b32_e32 v5, 0x7fffffff, v4
	v_cmp_gt_u32_e32 vcc, s2, v5
	s_and_saveexec_b64 s[2:3], vcc
	s_cbranch_execz .LBB66_701
; %bb.696:
	s_mov_b32 s4, 0x3bffffff
	v_cmp_lt_u32_e32 vcc, s4, v5
	s_mov_b64 s[4:5], 0
                                        ; implicit-def: $vgpr5
	s_and_saveexec_b64 s[34:35], vcc
	s_xor_b64 s[34:35], exec, s[34:35]
	s_cbranch_execz .LBB66_802
; %bb.697:
	v_bfe_u32 v5, v4, 20, 1
	s_mov_b32 s39, 0x487ffff
	v_add3_u32 v5, v4, v5, s39
	s_mov_b64 s[4:5], exec
	v_lshrrev_b32_e32 v5, 20, v5
	s_andn2_saveexec_b64 s[34:35], s[34:35]
	s_cbranch_execnz .LBB66_803
.LBB66_698:
	s_or_b64 exec, exec, s[34:35]
	v_mov_b32_e32 v6, 0
	s_and_saveexec_b64 s[34:35], s[4:5]
.LBB66_699:
	v_lshrrev_b32_e32 v4, 24, v4
	s_movk_i32 s4, 0x80
	v_and_or_b32 v6, v4, s4, v5
.LBB66_700:
	s_or_b64 exec, exec, s[34:35]
.LBB66_701:
	s_or_b64 exec, exec, s[2:3]
	global_store_byte v[0:1], v6, off
.LBB66_702:
	s_mov_b64 s[2:3], -1
.LBB66_703:
	s_mov_b64 s[4:5], 0
.LBB66_704:
	s_and_b64 vcc, exec, s[4:5]
	s_cbranch_vccz .LBB66_745
; %bb.705:
	s_cmp_gt_i32 s37, 22
	s_mov_b64 s[4:5], -1
	s_cbranch_scc0 .LBB66_737
; %bb.706:
	s_cmp_lt_i32 s37, 24
	s_mov_b64 s[2:3], -1
	s_cbranch_scc1 .LBB66_726
; %bb.707:
	s_cmp_gt_i32 s37, 24
	s_cbranch_scc0 .LBB66_715
; %bb.708:
	v_cvt_f32_f16_e32 v4, v3
	s_mov_b32 s2, 0x47800000
	v_mov_b32_e32 v6, 0x80
	v_and_b32_e32 v5, 0x7fffffff, v4
	v_cmp_gt_u32_e32 vcc, s2, v5
	s_and_saveexec_b64 s[2:3], vcc
	s_cbranch_execz .LBB66_714
; %bb.709:
	s_mov_b32 s4, 0x37ffffff
	v_cmp_lt_u32_e32 vcc, s4, v5
	s_mov_b64 s[4:5], 0
                                        ; implicit-def: $vgpr5
	s_and_saveexec_b64 s[34:35], vcc
	s_xor_b64 s[34:35], exec, s[34:35]
	s_cbranch_execz .LBB66_805
; %bb.710:
	v_bfe_u32 v5, v4, 21, 1
	s_mov_b32 s39, 0x88fffff
	v_add3_u32 v5, v4, v5, s39
	s_mov_b64 s[4:5], exec
	v_lshrrev_b32_e32 v5, 21, v5
	s_andn2_saveexec_b64 s[34:35], s[34:35]
	s_cbranch_execnz .LBB66_806
.LBB66_711:
	s_or_b64 exec, exec, s[34:35]
	v_mov_b32_e32 v6, 0
	s_and_saveexec_b64 s[34:35], s[4:5]
.LBB66_712:
	v_lshrrev_b32_e32 v4, 24, v4
	s_movk_i32 s4, 0x80
	v_and_or_b32 v6, v4, s4, v5
.LBB66_713:
	s_or_b64 exec, exec, s[34:35]
.LBB66_714:
	s_or_b64 exec, exec, s[2:3]
	s_mov_b64 s[2:3], 0
	global_store_byte v[0:1], v6, off
.LBB66_715:
	s_and_b64 vcc, exec, s[2:3]
	s_cbranch_vccz .LBB66_725
; %bb.716:
	v_cvt_f32_f16_e32 v4, v3
	s_mov_b32 s2, 0x43f00000
                                        ; implicit-def: $vgpr5
	v_and_b32_e32 v6, 0x7fffffff, v4
	v_cmp_gt_u32_e32 vcc, s2, v6
	s_and_saveexec_b64 s[2:3], vcc
	s_xor_b64 s[2:3], exec, s[2:3]
	s_cbranch_execz .LBB66_722
; %bb.717:
	s_mov_b32 s4, 0x3c7fffff
	v_cmp_lt_u32_e32 vcc, s4, v6
                                        ; implicit-def: $vgpr5
	s_and_saveexec_b64 s[4:5], vcc
	s_xor_b64 s[4:5], exec, s[4:5]
; %bb.718:
	v_bfe_u32 v5, v4, 20, 1
	s_mov_b32 s34, 0x407ffff
	v_add3_u32 v5, v4, v5, s34
	v_lshrrev_b32_e32 v6, 20, v5
	v_and_b32_e32 v5, 0xff00000, v5
	s_mov_b32 s34, 0x7f00000
	v_mov_b32_e32 v7, 0x7e
	v_cmp_ne_u32_e32 vcc, s34, v5
	v_cndmask_b32_e32 v5, v7, v6, vcc
; %bb.719:
	s_andn2_saveexec_b64 s[4:5], s[4:5]
; %bb.720:
	s_mov_b32 s34, 0x46800000
	v_add_f32_e64 v5, |v4|, s34
; %bb.721:
	s_or_b64 exec, exec, s[4:5]
                                        ; implicit-def: $vgpr6
.LBB66_722:
	s_andn2_saveexec_b64 s[2:3], s[2:3]
; %bb.723:
	s_mov_b32 s4, 0x7f800000
	v_mov_b32_e32 v5, 0x7e
	v_mov_b32_e32 v7, 0x7f
	v_cmp_lt_u32_e32 vcc, s4, v6
	v_cndmask_b32_e32 v5, v5, v7, vcc
; %bb.724:
	s_or_b64 exec, exec, s[2:3]
	v_lshrrev_b32_e32 v4, 24, v4
	s_movk_i32 s2, 0x80
	v_and_or_b32 v4, v4, s2, v5
	global_store_byte v[0:1], v4, off
.LBB66_725:
	s_mov_b64 s[2:3], 0
.LBB66_726:
	s_andn2_b64 vcc, exec, s[2:3]
	s_cbranch_vccnz .LBB66_736
; %bb.727:
	v_cvt_f32_f16_e32 v4, v3
	s_mov_b32 s2, 0x47800000
                                        ; implicit-def: $vgpr5
	v_and_b32_e32 v6, 0x7fffffff, v4
	v_cmp_gt_u32_e32 vcc, s2, v6
	s_and_saveexec_b64 s[2:3], vcc
	s_xor_b64 s[2:3], exec, s[2:3]
	s_cbranch_execz .LBB66_733
; %bb.728:
	s_mov_b32 s4, 0x387fffff
	v_cmp_lt_u32_e32 vcc, s4, v6
                                        ; implicit-def: $vgpr5
	s_and_saveexec_b64 s[4:5], vcc
	s_xor_b64 s[4:5], exec, s[4:5]
; %bb.729:
	v_bfe_u32 v5, v4, 21, 1
	s_mov_b32 s34, 0x80fffff
	v_add3_u32 v5, v4, v5, s34
	v_lshrrev_b32_e32 v5, 21, v5
; %bb.730:
	s_andn2_saveexec_b64 s[4:5], s[4:5]
; %bb.731:
	s_mov_b32 s34, 0x43000000
	v_add_f32_e64 v5, |v4|, s34
; %bb.732:
	s_or_b64 exec, exec, s[4:5]
                                        ; implicit-def: $vgpr6
.LBB66_733:
	s_andn2_saveexec_b64 s[2:3], s[2:3]
; %bb.734:
	s_mov_b32 s4, 0x7f800000
	v_mov_b32_e32 v5, 0x7c
	v_mov_b32_e32 v7, 0x7f
	v_cmp_lt_u32_e32 vcc, s4, v6
	v_cndmask_b32_e32 v5, v5, v7, vcc
; %bb.735:
	s_or_b64 exec, exec, s[2:3]
	v_lshrrev_b32_e32 v4, 24, v4
	s_movk_i32 s2, 0x80
	v_and_or_b32 v4, v4, s2, v5
	global_store_byte v[0:1], v4, off
.LBB66_736:
	s_mov_b64 s[4:5], 0
	s_mov_b64 s[2:3], -1
.LBB66_737:
	s_andn2_b64 vcc, exec, s[4:5]
	s_cbranch_vccnz .LBB66_745
; %bb.738:
	s_cmp_gt_i32 s37, 14
	s_mov_b64 s[4:5], -1
	s_cbranch_scc0 .LBB66_742
; %bb.739:
	s_cmp_eq_u32 s37, 15
	s_mov_b64 s[0:1], -1
	s_cbranch_scc0 .LBB66_741
; %bb.740:
	v_cvt_f32_f16_e32 v4, v3
	s_movk_i32 s0, 0x7fff
	v_cmp_o_f16_e32 vcc, v3, v3
	v_mov_b32_e32 v5, 0x7fc0
	v_bfe_u32 v6, v4, 16, 1
	v_add3_u32 v4, v4, v6, s0
	v_cndmask_b32_sdwa v4, v5, v4, vcc dst_sel:DWORD dst_unused:UNUSED_PAD src0_sel:DWORD src1_sel:WORD_1
	global_store_short v[0:1], v4, off
	s_mov_b64 s[2:3], -1
	s_mov_b64 s[0:1], 0
.LBB66_741:
	s_mov_b64 s[4:5], 0
.LBB66_742:
	s_and_b64 vcc, exec, s[4:5]
	s_cbranch_vccz .LBB66_745
; %bb.743:
	s_cmp_eq_u32 s37, 11
	s_mov_b64 s[0:1], -1
	s_cbranch_scc0 .LBB66_745
; %bb.744:
	v_cmp_neq_f16_e32 vcc, 0, v3
	v_cndmask_b32_e64 v4, 0, 1, vcc
	s_mov_b64 s[2:3], -1
	s_mov_b64 s[0:1], 0
	global_store_byte v[0:1], v4, off
.LBB66_745:
	s_mov_b64 s[4:5], 0
.LBB66_746:
	s_and_b64 vcc, exec, s[4:5]
	s_cbranch_vccz .LBB66_785
; %bb.747:
	s_and_b32 s4, 0xffff, s36
	s_cmp_lt_i32 s4, 5
	s_mov_b64 s[2:3], -1
	s_cbranch_scc1 .LBB66_768
; %bb.748:
	s_cmp_lt_i32 s4, 8
	s_cbranch_scc1 .LBB66_758
; %bb.749:
	s_cmp_lt_i32 s4, 9
	s_cbranch_scc1 .LBB66_755
; %bb.750:
	s_cmp_gt_i32 s4, 9
	s_cbranch_scc0 .LBB66_752
; %bb.751:
	v_cvt_f32_f16_e32 v4, v3
	v_mov_b32_e32 v6, 0
	v_mov_b32_e32 v7, v6
	s_mov_b64 s[2:3], 0
	v_cvt_f64_f32_e32 v[4:5], v4
	global_store_dwordx4 v[0:1], v[4:7], off
.LBB66_752:
	s_andn2_b64 vcc, exec, s[2:3]
	s_cbranch_vccnz .LBB66_754
; %bb.753:
	v_cvt_f32_f16_e32 v4, v3
	v_mov_b32_e32 v5, 0
	global_store_dwordx2 v[0:1], v[4:5], off
.LBB66_754:
	s_mov_b64 s[2:3], 0
.LBB66_755:
	s_andn2_b64 vcc, exec, s[2:3]
	s_cbranch_vccnz .LBB66_757
; %bb.756:
	v_and_b32_e32 v4, 0xffff, v3
	global_store_dword v[0:1], v4, off
.LBB66_757:
	s_mov_b64 s[2:3], 0
.LBB66_758:
	s_andn2_b64 vcc, exec, s[2:3]
	s_cbranch_vccnz .LBB66_767
; %bb.759:
	s_cmp_lt_i32 s4, 6
	s_mov_b64 s[2:3], -1
	s_cbranch_scc1 .LBB66_765
; %bb.760:
	s_cmp_gt_i32 s4, 6
	s_cbranch_scc0 .LBB66_762
; %bb.761:
	v_cvt_f32_f16_e32 v4, v3
	s_mov_b64 s[2:3], 0
	v_cvt_f64_f32_e32 v[4:5], v4
	global_store_dwordx2 v[0:1], v[4:5], off
.LBB66_762:
	s_andn2_b64 vcc, exec, s[2:3]
	s_cbranch_vccnz .LBB66_764
; %bb.763:
	v_cvt_f32_f16_e32 v4, v3
	global_store_dword v[0:1], v4, off
.LBB66_764:
	s_mov_b64 s[2:3], 0
.LBB66_765:
	s_andn2_b64 vcc, exec, s[2:3]
	s_cbranch_vccnz .LBB66_767
; %bb.766:
	global_store_short v[0:1], v3, off
.LBB66_767:
	s_mov_b64 s[2:3], 0
.LBB66_768:
	s_andn2_b64 vcc, exec, s[2:3]
	s_cbranch_vccnz .LBB66_784
; %bb.769:
	s_cmp_lt_i32 s4, 2
	s_mov_b64 s[2:3], -1
	s_cbranch_scc1 .LBB66_779
; %bb.770:
	s_cmp_lt_i32 s4, 3
	s_cbranch_scc1 .LBB66_776
; %bb.771:
	s_cmp_gt_i32 s4, 3
	s_cbranch_scc0 .LBB66_773
; %bb.772:
	v_cvt_f32_f16_e32 v4, v3
	s_mov_b64 s[2:3], 0
	v_cvt_i32_f32_e32 v4, v4
	v_ashrrev_i32_e32 v5, 31, v4
	global_store_dwordx2 v[0:1], v[4:5], off
.LBB66_773:
	s_andn2_b64 vcc, exec, s[2:3]
	s_cbranch_vccnz .LBB66_775
; %bb.774:
	v_cvt_f32_f16_e32 v4, v3
	v_cvt_i32_f32_e32 v4, v4
	global_store_dword v[0:1], v4, off
.LBB66_775:
	s_mov_b64 s[2:3], 0
.LBB66_776:
	s_andn2_b64 vcc, exec, s[2:3]
	s_cbranch_vccnz .LBB66_778
; %bb.777:
	v_cvt_i16_f16_e32 v4, v3
	global_store_short v[0:1], v4, off
.LBB66_778:
	s_mov_b64 s[2:3], 0
.LBB66_779:
	s_andn2_b64 vcc, exec, s[2:3]
	s_cbranch_vccnz .LBB66_784
; %bb.780:
	s_cmp_gt_i32 s4, 0
	s_mov_b64 s[2:3], -1
	s_cbranch_scc0 .LBB66_782
; %bb.781:
	v_cvt_i16_f16_e32 v4, v3
	s_mov_b64 s[2:3], 0
	global_store_byte v[0:1], v4, off
.LBB66_782:
	s_andn2_b64 vcc, exec, s[2:3]
	s_cbranch_vccnz .LBB66_784
; %bb.783:
	v_cvt_f32_f16_e32 v3, v3
	v_cvt_i32_f32_e32 v3, v3
	global_store_byte v[0:1], v3, off
.LBB66_784:
	s_mov_b64 s[2:3], -1
.LBB66_785:
	s_andn2_b64 vcc, exec, s[2:3]
	s_cbranch_vccnz .LBB66_787
; %bb.786:
	v_add_u32_e32 v2, 0x80, v2
	s_mov_b64 s[4:5], -1
	s_branch .LBB66_788
.LBB66_787:
	s_mov_b64 s[4:5], 0
                                        ; implicit-def: $vgpr2
.LBB66_788:
	s_andn2_b64 s[2:3], s[24:25], exec
	s_and_b64 s[0:1], s[0:1], exec
	s_or_b64 s[2:3], s[2:3], s[0:1]
	s_andn2_b64 s[0:1], s[22:23], exec
	s_and_b64 s[30:31], s[30:31], exec
	s_or_b64 s[0:1], s[0:1], s[30:31]
	s_orn2_b64 s[34:35], s[4:5], exec
.LBB66_789:
	s_or_b64 exec, exec, s[28:29]
	s_mov_b64 s[30:31], 0
	s_mov_b64 s[36:37], 0
	;; [unrolled: 1-line block ×3, first 2 shown]
                                        ; implicit-def: $vgpr0_vgpr1
                                        ; implicit-def: $vgpr4
	s_and_saveexec_b64 s[4:5], s[34:35]
	s_cbranch_execz .LBB66_874
; %bb.790:
	v_cmp_gt_i32_e32 vcc, s38, v2
	s_mov_b64 s[34:35], 0
	s_mov_b64 s[38:39], s[0:1]
	;; [unrolled: 1-line block ×3, first 2 shown]
                                        ; implicit-def: $vgpr0_vgpr1
                                        ; implicit-def: $vgpr4
	s_and_saveexec_b64 s[28:29], vcc
	s_cbranch_execz .LBB66_873
; %bb.791:
	v_mul_lo_u32 v0, v2, s13
	v_mov_b32_e32 v1, s11
	s_and_b32 s43, 0xffff, s42
	s_cmp_lt_i32 s43, 11
	s_waitcnt vmcnt(0)
	v_ashrrev_i32_e32 v3, 31, v0
	v_add_co_u32_e32 v0, vcc, s10, v0
	v_addc_co_u32_e32 v1, vcc, v1, v3, vcc
	s_cbranch_scc1 .LBB66_798
; %bb.792:
	s_cmp_gt_i32 s43, 25
	s_cbranch_scc0 .LBB66_799
; %bb.793:
	s_cmp_gt_i32 s43, 28
	s_cbranch_scc0 .LBB66_800
	;; [unrolled: 3-line block ×4, first 2 shown]
; %bb.796:
	s_cmp_eq_u32 s43, 46
	s_mov_b64 s[38:39], 0
	s_cbranch_scc0 .LBB66_807
; %bb.797:
	global_load_dword v3, v[0:1], off
	s_mov_b64 s[36:37], -1
	s_waitcnt vmcnt(0)
	v_lshlrev_b32_e32 v3, 16, v3
	v_cvt_f16_f32_e32 v4, v3
	s_branch .LBB66_809
.LBB66_798:
	s_mov_b64 s[38:39], -1
                                        ; implicit-def: $vgpr4
	s_mov_b64 s[30:31], s[0:1]
	s_branch .LBB66_872
.LBB66_799:
	s_mov_b64 s[38:39], -1
	s_mov_b64 s[30:31], s[0:1]
                                        ; implicit-def: $vgpr4
	s_branch .LBB66_838
.LBB66_800:
	s_mov_b64 s[38:39], -1
	s_mov_b64 s[30:31], s[0:1]
                                        ; implicit-def: $vgpr4
	s_branch .LBB66_819
.LBB66_801:
	s_mov_b64 s[38:39], -1
	s_mov_b64 s[30:31], s[0:1]
                                        ; implicit-def: $vgpr4
	s_branch .LBB66_814
.LBB66_802:
	s_andn2_saveexec_b64 s[34:35], s[34:35]
	s_cbranch_execz .LBB66_698
.LBB66_803:
	s_mov_b32 s39, 0x46000000
	v_add_f32_e64 v5, |v4|, s39
	v_and_b32_e32 v5, 0xff, v5
	v_cmp_ne_u32_e32 vcc, 0, v5
	s_andn2_b64 s[4:5], s[4:5], exec
	s_and_b64 s[40:41], vcc, exec
	s_or_b64 s[4:5], s[4:5], s[40:41]
	s_or_b64 exec, exec, s[34:35]
	v_mov_b32_e32 v6, 0
	s_and_saveexec_b64 s[34:35], s[4:5]
	s_cbranch_execnz .LBB66_699
	s_branch .LBB66_700
.LBB66_804:
	s_mov_b64 s[38:39], -1
	s_mov_b64 s[30:31], s[0:1]
	s_branch .LBB66_808
.LBB66_805:
	s_andn2_saveexec_b64 s[34:35], s[34:35]
	s_cbranch_execz .LBB66_711
.LBB66_806:
	s_mov_b32 s39, 0x42800000
	v_add_f32_e64 v5, |v4|, s39
	v_and_b32_e32 v5, 0xff, v5
	v_cmp_ne_u32_e32 vcc, 0, v5
	s_andn2_b64 s[4:5], s[4:5], exec
	s_and_b64 s[40:41], vcc, exec
	s_or_b64 s[4:5], s[4:5], s[40:41]
	s_or_b64 exec, exec, s[34:35]
	v_mov_b32_e32 v6, 0
	s_and_saveexec_b64 s[34:35], s[4:5]
	s_cbranch_execnz .LBB66_712
	s_branch .LBB66_713
.LBB66_807:
	s_mov_b64 s[30:31], -1
.LBB66_808:
                                        ; implicit-def: $vgpr4
.LBB66_809:
	s_and_b64 vcc, exec, s[38:39]
	s_cbranch_vccz .LBB66_813
; %bb.810:
	s_cmp_eq_u32 s43, 44
	s_cbranch_scc0 .LBB66_812
; %bb.811:
	global_load_ubyte v3, v[0:1], off
	s_movk_i32 s36, 0xff
	v_mov_b32_e32 v5, 0x7e00
	s_mov_b64 s[30:31], 0
	s_waitcnt vmcnt(0)
	v_lshlrev_b32_e32 v4, 23, v3
	v_cvt_f16_f32_e32 v4, v4
	v_cmp_ne_u32_e32 vcc, s36, v3
	s_mov_b64 s[36:37], -1
	v_cndmask_b32_e32 v4, v5, v4, vcc
	v_cmp_ne_u32_e32 vcc, 0, v3
	v_cndmask_b32_e32 v4, 0, v4, vcc
	s_branch .LBB66_813
.LBB66_812:
	s_mov_b64 s[30:31], -1
                                        ; implicit-def: $vgpr4
.LBB66_813:
	s_mov_b64 s[38:39], 0
.LBB66_814:
	s_and_b64 vcc, exec, s[38:39]
	s_cbranch_vccz .LBB66_818
; %bb.815:
	s_cmp_eq_u32 s43, 29
	s_cbranch_scc0 .LBB66_817
; %bb.816:
	global_load_dwordx2 v[3:4], v[0:1], off
	s_mov_b64 s[30:31], 0
	s_mov_b64 s[36:37], -1
	s_mov_b64 s[38:39], 0
	s_waitcnt vmcnt(0)
	v_ffbh_u32_e32 v5, v4
	v_min_u32_e32 v5, 32, v5
	v_lshlrev_b64 v[3:4], v5, v[3:4]
	v_min_u32_e32 v3, 1, v3
	v_or_b32_e32 v3, v4, v3
	v_cvt_f32_u32_e32 v3, v3
	v_sub_u32_e32 v4, 32, v5
	v_ldexp_f32 v3, v3, v4
	v_cvt_f16_f32_e32 v4, v3
	s_branch .LBB66_819
.LBB66_817:
	s_mov_b64 s[30:31], -1
                                        ; implicit-def: $vgpr4
.LBB66_818:
	s_mov_b64 s[38:39], 0
.LBB66_819:
	s_and_b64 vcc, exec, s[38:39]
	s_cbranch_vccz .LBB66_837
; %bb.820:
	s_cmp_lt_i32 s43, 27
	s_cbranch_scc1 .LBB66_823
; %bb.821:
	s_cmp_gt_i32 s43, 27
	s_cbranch_scc0 .LBB66_824
; %bb.822:
	global_load_dword v3, v[0:1], off
	s_mov_b64 s[36:37], 0
	s_waitcnt vmcnt(0)
	v_cvt_f32_u32_e32 v3, v3
	v_cvt_f16_f32_e32 v4, v3
	s_branch .LBB66_825
.LBB66_823:
	s_mov_b64 s[36:37], -1
                                        ; implicit-def: $vgpr4
	s_branch .LBB66_828
.LBB66_824:
	s_mov_b64 s[36:37], -1
                                        ; implicit-def: $vgpr4
.LBB66_825:
	s_andn2_b64 vcc, exec, s[36:37]
	s_cbranch_vccnz .LBB66_827
; %bb.826:
	global_load_ushort v3, v[0:1], off
	s_waitcnt vmcnt(0)
	v_cvt_f16_u16_e32 v4, v3
.LBB66_827:
	s_mov_b64 s[36:37], 0
.LBB66_828:
	s_andn2_b64 vcc, exec, s[36:37]
	s_cbranch_vccnz .LBB66_836
; %bb.829:
	global_load_ubyte v3, v[0:1], off
	s_movk_i32 s36, 0x7f
	s_waitcnt vmcnt(0)
	v_cmp_lt_i16_e32 vcc, s36, v3
	s_mov_b64 s[36:37], 0
	s_and_saveexec_b64 s[38:39], vcc
	s_xor_b64 s[38:39], exec, s[38:39]
	s_cbranch_execz .LBB66_850
; %bb.830:
	s_movk_i32 s36, 0x80
	v_cmp_eq_u16_e32 vcc, s36, v3
	s_mov_b64 s[36:37], -1
	s_and_saveexec_b64 s[40:41], vcc
; %bb.831:
	s_xor_b64 s[36:37], exec, -1
; %bb.832:
	s_or_b64 exec, exec, s[40:41]
	s_and_b64 s[36:37], s[36:37], exec
	s_or_saveexec_b64 s[38:39], s[38:39]
	v_mov_b32_e32 v4, 0x7e00
	s_xor_b64 exec, exec, s[38:39]
	s_cbranch_execnz .LBB66_851
.LBB66_833:
	s_or_b64 exec, exec, s[38:39]
	s_and_saveexec_b64 s[38:39], s[36:37]
	s_cbranch_execz .LBB66_835
.LBB66_834:
	v_lshlrev_b32_e32 v4, 24, v3
	v_and_b32_e32 v3, 0xffff, v3
	v_and_b32_e32 v5, 7, v3
	v_ffbh_u32_e32 v7, v5
	v_min_u32_e32 v7, 32, v7
	v_subrev_u32_e32 v8, 28, v7
	v_bfe_u32 v6, v3, 3, 4
	v_lshlrev_b32_e32 v3, v8, v3
	v_sub_u32_e32 v7, 29, v7
	v_and_b32_e32 v3, 7, v3
	v_cmp_eq_u32_e32 vcc, 0, v6
	v_cndmask_b32_e32 v6, v6, v7, vcc
	v_cndmask_b32_e32 v3, v5, v3, vcc
	v_mov_b32_e32 v5, 0x3b800000
	v_lshlrev_b32_e32 v3, 20, v3
	v_and_b32_e32 v4, 0x80000000, v4
	v_lshl_add_u32 v5, v6, 23, v5
	v_or3_b32 v3, v4, v5, v3
	v_cvt_f16_f32_e32 v4, v3
.LBB66_835:
	s_or_b64 exec, exec, s[38:39]
.LBB66_836:
	s_mov_b64 s[36:37], -1
.LBB66_837:
	s_mov_b64 s[38:39], 0
.LBB66_838:
	s_and_b64 vcc, exec, s[38:39]
	s_cbranch_vccz .LBB66_871
; %bb.839:
	s_cmp_gt_i32 s43, 22
	s_cbranch_scc0 .LBB66_849
; %bb.840:
	s_cmp_lt_i32 s43, 24
	s_cbranch_scc1 .LBB66_852
; %bb.841:
	s_cmp_gt_i32 s43, 24
	s_cbranch_scc0 .LBB66_853
; %bb.842:
	global_load_ubyte v3, v[0:1], off
	s_movk_i32 s34, 0x7f
	s_waitcnt vmcnt(0)
	v_cmp_lt_i16_e32 vcc, s34, v3
	s_mov_b64 s[34:35], 0
	s_and_saveexec_b64 s[36:37], vcc
	s_xor_b64 s[36:37], exec, s[36:37]
	s_cbranch_execz .LBB66_865
; %bb.843:
	s_movk_i32 s34, 0x80
	v_cmp_eq_u16_e32 vcc, s34, v3
	s_mov_b64 s[34:35], -1
	s_and_saveexec_b64 s[38:39], vcc
; %bb.844:
	s_xor_b64 s[34:35], exec, -1
; %bb.845:
	s_or_b64 exec, exec, s[38:39]
	s_and_b64 s[34:35], s[34:35], exec
	s_or_saveexec_b64 s[36:37], s[36:37]
	v_mov_b32_e32 v4, 0x7e00
	s_xor_b64 exec, exec, s[36:37]
	s_cbranch_execnz .LBB66_866
.LBB66_846:
	s_or_b64 exec, exec, s[36:37]
	s_and_saveexec_b64 s[36:37], s[34:35]
	s_cbranch_execz .LBB66_848
.LBB66_847:
	v_lshlrev_b32_e32 v4, 24, v3
	v_and_b32_e32 v3, 0xffff, v3
	v_and_b32_e32 v5, 3, v3
	v_ffbh_u32_e32 v7, v5
	v_min_u32_e32 v7, 32, v7
	v_subrev_u32_e32 v8, 29, v7
	v_bfe_u32 v6, v3, 2, 5
	v_lshlrev_b32_e32 v3, v8, v3
	v_sub_u32_e32 v7, 30, v7
	v_and_b32_e32 v3, 3, v3
	v_cmp_eq_u32_e32 vcc, 0, v6
	v_cndmask_b32_e32 v6, v6, v7, vcc
	v_cndmask_b32_e32 v3, v5, v3, vcc
	v_mov_b32_e32 v5, 0x37800000
	v_lshlrev_b32_e32 v3, 21, v3
	v_and_b32_e32 v4, 0x80000000, v4
	v_lshl_add_u32 v5, v6, 23, v5
	v_or3_b32 v3, v4, v5, v3
	v_cvt_f16_f32_e32 v4, v3
.LBB66_848:
	s_or_b64 exec, exec, s[36:37]
	s_mov_b64 s[34:35], 0
	s_branch .LBB66_854
.LBB66_849:
	s_mov_b64 s[34:35], -1
                                        ; implicit-def: $vgpr4
	s_branch .LBB66_860
.LBB66_850:
	s_or_saveexec_b64 s[38:39], s[38:39]
	v_mov_b32_e32 v4, 0x7e00
	s_xor_b64 exec, exec, s[38:39]
	s_cbranch_execz .LBB66_833
.LBB66_851:
	v_cmp_ne_u16_e32 vcc, 0, v3
	s_andn2_b64 s[36:37], s[36:37], exec
	s_and_b64 s[40:41], vcc, exec
	s_or_b64 s[36:37], s[36:37], s[40:41]
	v_mov_b32_e32 v4, v3
	s_or_b64 exec, exec, s[38:39]
	s_and_saveexec_b64 s[38:39], s[36:37]
	s_cbranch_execnz .LBB66_834
	s_branch .LBB66_835
.LBB66_852:
	s_mov_b64 s[34:35], -1
                                        ; implicit-def: $vgpr4
	s_branch .LBB66_857
.LBB66_853:
	s_mov_b64 s[34:35], -1
                                        ; implicit-def: $vgpr4
.LBB66_854:
	s_and_b64 vcc, exec, s[34:35]
	s_cbranch_vccz .LBB66_856
; %bb.855:
	global_load_ubyte v3, v[0:1], off
	s_mov_b32 s34, 0x7f800000
	s_waitcnt vmcnt(0)
	v_lshlrev_b32_e32 v3, 24, v3
	v_and_b32_e32 v4, 0x7f000000, v3
	v_ffbh_u32_e32 v5, v4
	v_min_u32_e32 v5, 32, v5
	v_sub_u32_e64 v5, v5, 4 clamp
	v_lshlrev_b32_e32 v7, v5, v4
	v_lshlrev_b32_e32 v5, 23, v5
	v_lshrrev_b32_e32 v7, 4, v7
	v_add_u32_e32 v6, 0x1000000, v4
	v_sub_u32_e32 v5, v7, v5
	v_ashrrev_i32_e32 v6, 8, v6
	v_add_u32_e32 v5, 0x3c000000, v5
	v_and_or_b32 v5, v6, s34, v5
	v_cmp_ne_u32_e32 vcc, 0, v4
	v_cndmask_b32_e32 v4, 0, v5, vcc
	s_brev_b32 s34, 1
	v_and_or_b32 v3, v3, s34, v4
	v_cvt_f16_f32_e32 v4, v3
.LBB66_856:
	s_mov_b64 s[34:35], 0
.LBB66_857:
	s_andn2_b64 vcc, exec, s[34:35]
	s_cbranch_vccnz .LBB66_859
; %bb.858:
	global_load_ubyte v3, v[0:1], off
	s_movk_i32 s34, 0x7f00
	s_brev_b32 s35, 16
	s_waitcnt vmcnt(0)
	v_lshlrev_b16_e32 v4, 8, v3
	v_lshlrev_b32_e32 v3, 25, v3
	v_lshrrev_b32_e32 v5, 4, v3
	v_and_or_b32 v6, v4, s34, 0.5
	v_or_b32_e32 v5, 0x70000000, v5
	v_add_f32_e32 v6, -0.5, v6
	v_mul_f32_e32 v5, 0x7800000, v5
	v_cmp_gt_u32_e32 vcc, s35, v3
	v_bfe_i32 v4, v4, 0, 16
	v_cndmask_b32_e32 v3, v5, v6, vcc
	s_brev_b32 s34, 1
	v_and_or_b32 v3, v4, s34, v3
	v_cvt_f16_f32_e32 v4, v3
.LBB66_859:
	s_mov_b64 s[34:35], 0
	s_mov_b64 s[36:37], -1
.LBB66_860:
	s_andn2_b64 vcc, exec, s[34:35]
	s_mov_b64 s[34:35], 0
	s_cbranch_vccnz .LBB66_871
; %bb.861:
	s_cmp_gt_i32 s43, 14
	s_cbranch_scc0 .LBB66_864
; %bb.862:
	s_cmp_eq_u32 s43, 15
	s_cbranch_scc0 .LBB66_867
; %bb.863:
	global_load_ushort v3, v[0:1], off
	s_mov_b64 s[30:31], 0
	s_mov_b64 s[36:37], -1
	s_waitcnt vmcnt(0)
	v_lshlrev_b32_e32 v3, 16, v3
	v_cvt_f16_f32_e32 v4, v3
	s_branch .LBB66_868
.LBB66_864:
	s_mov_b64 s[38:39], -1
                                        ; implicit-def: $vgpr4
	s_branch .LBB66_869
.LBB66_865:
	s_or_saveexec_b64 s[36:37], s[36:37]
	v_mov_b32_e32 v4, 0x7e00
	s_xor_b64 exec, exec, s[36:37]
	s_cbranch_execz .LBB66_846
.LBB66_866:
	v_cmp_ne_u16_e32 vcc, 0, v3
	s_andn2_b64 s[34:35], s[34:35], exec
	s_and_b64 s[38:39], vcc, exec
	s_or_b64 s[34:35], s[34:35], s[38:39]
	v_mov_b32_e32 v4, v3
	s_or_b64 exec, exec, s[36:37]
	s_and_saveexec_b64 s[36:37], s[34:35]
	s_cbranch_execnz .LBB66_847
	s_branch .LBB66_848
.LBB66_867:
	s_mov_b64 s[30:31], -1
                                        ; implicit-def: $vgpr4
.LBB66_868:
	s_mov_b64 s[38:39], 0
.LBB66_869:
	s_and_b64 vcc, exec, s[38:39]
	s_cbranch_vccz .LBB66_871
; %bb.870:
	s_cmp_lg_u32 s43, 11
	s_cselect_b64 s[38:39], -1, 0
	s_andn2_b64 s[30:31], s[30:31], exec
	s_and_b64 s[38:39], s[38:39], exec
	s_mov_b64 s[34:35], -1
	s_or_b64 s[30:31], s[30:31], s[38:39]
.LBB66_871:
	s_mov_b64 s[38:39], 0
.LBB66_872:
	s_and_b64 s[40:41], s[36:37], exec
	s_and_b64 s[36:37], s[38:39], exec
	s_andn2_b64 s[38:39], s[0:1], exec
	s_and_b64 s[30:31], s[30:31], exec
	s_and_b64 s[34:35], s[34:35], exec
	s_or_b64 s[38:39], s[38:39], s[30:31]
.LBB66_873:
	s_or_b64 exec, exec, s[28:29]
	s_and_b64 s[30:31], s[34:35], exec
	s_andn2_b64 s[0:1], s[0:1], exec
	s_and_b64 s[34:35], s[38:39], exec
	s_and_b64 s[28:29], s[40:41], exec
	;; [unrolled: 1-line block ×3, first 2 shown]
	s_or_b64 s[0:1], s[0:1], s[34:35]
.LBB66_874:
	s_or_b64 exec, exec, s[4:5]
	s_andn2_b64 s[4:5], s[24:25], exec
	s_and_b64 s[2:3], s[2:3], exec
	s_andn2_b64 s[22:23], s[22:23], exec
	s_and_b64 s[0:1], s[0:1], exec
	s_or_b64 s[24:25], s[4:5], s[2:3]
	s_and_b64 s[28:29], s[28:29], exec
	s_and_b64 s[4:5], s[36:37], exec
	;; [unrolled: 1-line block ×3, first 2 shown]
	s_or_b64 s[22:23], s[22:23], s[0:1]
.LBB66_875:
	s_or_b64 exec, exec, s[26:27]
	s_andn2_b64 s[0:1], s[6:7], exec
	s_and_b64 s[6:7], s[24:25], exec
	s_and_b64 s[24:25], s[2:3], exec
	s_andn2_b64 s[2:3], s[18:19], exec
	s_and_b64 s[18:19], s[22:23], exec
	s_or_b64 s[6:7], s[0:1], s[6:7]
	s_and_b64 s[0:1], s[28:29], exec
	s_and_b64 s[4:5], s[4:5], exec
	s_or_b64 s[18:19], s[2:3], s[18:19]
	s_or_b64 exec, exec, s[20:21]
	s_mov_b64 s[20:21], 0
	s_and_saveexec_b64 s[2:3], s[18:19]
	s_cbranch_execz .LBB66_267
.LBB66_876:
	s_mov_b64 s[20:21], exec
	s_andn2_b64 s[24:25], s[24:25], exec
	s_trap 2
	s_or_b64 exec, exec, s[2:3]
	s_and_saveexec_b64 s[2:3], s[24:25]
	s_xor_b64 s[2:3], exec, s[2:3]
	s_cbranch_execnz .LBB66_268
.LBB66_877:
	s_or_b64 exec, exec, s[2:3]
	s_and_saveexec_b64 s[2:3], s[4:5]
	s_cbranch_execz .LBB66_923
.LBB66_878:
	s_sext_i32_i16 s4, s42
	s_cmp_lt_i32 s4, 5
	s_cbranch_scc1 .LBB66_883
; %bb.879:
	s_cmp_lt_i32 s4, 8
	s_cbranch_scc1 .LBB66_884
; %bb.880:
	s_cmp_lt_i32 s4, 9
	s_cbranch_scc1 .LBB66_885
; %bb.881:
	s_cmp_gt_i32 s4, 9
	s_cbranch_scc0 .LBB66_886
; %bb.882:
	global_load_dwordx2 v[3:4], v[0:1], off
	s_movk_i32 s4, 0x1ff
	s_movk_i32 s5, 0xffe
	v_mov_b32_e32 v5, 0x7c00
	v_mov_b32_e32 v6, 0x7e00
	s_movk_i32 s18, 0x40f
	s_mov_b32 s19, 0x8000
	s_waitcnt vmcnt(0)
	v_and_or_b32 v3, v4, s4, v3
	v_cmp_ne_u32_e32 vcc, 0, v3
	v_lshrrev_b32_e32 v7, 8, v4
	v_bfe_u32 v8, v4, 20, 11
	v_cndmask_b32_e64 v3, 0, 1, vcc
	v_sub_u32_e32 v9, 0x3f1, v8
	v_and_or_b32 v3, v7, s5, v3
	v_add_u32_e32 v8, 0xfffffc10, v8
	v_med3_i32 v7, v9, 0, 13
	v_or_b32_e32 v9, 0x1000, v3
	v_cmp_ne_u32_e32 vcc, 0, v3
	v_lshl_or_b32 v10, v8, 12, v3
	v_cndmask_b32_e32 v3, v5, v6, vcc
	v_lshrrev_b32_e32 v6, v7, v9
	v_lshlrev_b32_e32 v7, v7, v6
	v_cmp_ne_u32_e32 vcc, v7, v9
	v_cndmask_b32_e64 v7, 0, 1, vcc
	v_or_b32_e32 v6, v6, v7
	v_cmp_gt_i32_e32 vcc, 1, v8
	v_cndmask_b32_e32 v6, v10, v6, vcc
	v_and_b32_e32 v7, 7, v6
	v_cmp_lt_i32_e32 vcc, 5, v7
	v_cndmask_b32_e64 v9, 0, 1, vcc
	v_cmp_eq_u32_e32 vcc, 3, v7
	v_cndmask_b32_e64 v7, 0, 1, vcc
	v_lshrrev_b32_e32 v6, 2, v6
	v_or_b32_e32 v7, v7, v9
	v_add_u32_e32 v6, v6, v7
	v_cmp_gt_i32_e32 vcc, 31, v8
	v_cndmask_b32_e32 v5, v5, v6, vcc
	v_cmp_eq_u32_e32 vcc, s18, v8
	v_lshrrev_b32_e32 v4, 16, v4
	v_cndmask_b32_e32 v3, v5, v3, vcc
	v_and_or_b32 v4, v4, s19, v3
	s_mov_b64 s[4:5], 0
	s_branch .LBB66_887
.LBB66_883:
                                        ; implicit-def: $vgpr4
	s_branch .LBB66_904
.LBB66_884:
                                        ; implicit-def: $vgpr4
	s_branch .LBB66_893
.LBB66_885:
	s_mov_b64 s[4:5], -1
                                        ; implicit-def: $vgpr4
	s_branch .LBB66_890
.LBB66_886:
	s_mov_b64 s[4:5], -1
                                        ; implicit-def: $vgpr4
.LBB66_887:
	s_andn2_b64 vcc, exec, s[4:5]
	s_cbranch_vccnz .LBB66_889
; %bb.888:
	global_load_dword v3, v[0:1], off
	s_waitcnt vmcnt(0)
	v_cvt_f16_f32_e32 v4, v3
.LBB66_889:
	s_mov_b64 s[4:5], 0
.LBB66_890:
	s_andn2_b64 vcc, exec, s[4:5]
	s_cbranch_vccnz .LBB66_892
; %bb.891:
	global_load_dword v4, v[0:1], off
.LBB66_892:
	s_cbranch_execnz .LBB66_903
.LBB66_893:
	s_sext_i32_i16 s4, s42
	s_cmp_lt_i32 s4, 6
	s_cbranch_scc1 .LBB66_896
; %bb.894:
	s_cmp_gt_i32 s4, 6
	s_cbranch_scc0 .LBB66_897
; %bb.895:
	global_load_dwordx2 v[3:4], v[0:1], off
	s_movk_i32 s4, 0x1ff
	s_movk_i32 s5, 0xffe
	v_mov_b32_e32 v5, 0x7c00
	v_mov_b32_e32 v6, 0x7e00
	s_movk_i32 s18, 0x40f
	s_mov_b32 s19, 0x8000
	s_waitcnt vmcnt(0)
	v_and_or_b32 v3, v4, s4, v3
	v_cmp_ne_u32_e32 vcc, 0, v3
	v_lshrrev_b32_e32 v7, 8, v4
	v_bfe_u32 v8, v4, 20, 11
	v_cndmask_b32_e64 v3, 0, 1, vcc
	v_sub_u32_e32 v9, 0x3f1, v8
	v_and_or_b32 v3, v7, s5, v3
	v_add_u32_e32 v8, 0xfffffc10, v8
	v_med3_i32 v7, v9, 0, 13
	v_or_b32_e32 v9, 0x1000, v3
	v_cmp_ne_u32_e32 vcc, 0, v3
	v_lshl_or_b32 v10, v8, 12, v3
	v_cndmask_b32_e32 v3, v5, v6, vcc
	v_lshrrev_b32_e32 v6, v7, v9
	v_lshlrev_b32_e32 v7, v7, v6
	v_cmp_ne_u32_e32 vcc, v7, v9
	v_cndmask_b32_e64 v7, 0, 1, vcc
	v_or_b32_e32 v6, v6, v7
	v_cmp_gt_i32_e32 vcc, 1, v8
	v_cndmask_b32_e32 v6, v10, v6, vcc
	v_and_b32_e32 v7, 7, v6
	v_cmp_lt_i32_e32 vcc, 5, v7
	v_cndmask_b32_e64 v9, 0, 1, vcc
	v_cmp_eq_u32_e32 vcc, 3, v7
	v_cndmask_b32_e64 v7, 0, 1, vcc
	v_lshrrev_b32_e32 v6, 2, v6
	v_or_b32_e32 v7, v7, v9
	v_add_u32_e32 v6, v6, v7
	v_cmp_gt_i32_e32 vcc, 31, v8
	v_cndmask_b32_e32 v5, v5, v6, vcc
	v_cmp_eq_u32_e32 vcc, s18, v8
	v_lshrrev_b32_e32 v4, 16, v4
	v_cndmask_b32_e32 v3, v5, v3, vcc
	v_and_or_b32 v4, v4, s19, v3
	s_mov_b64 s[4:5], 0
	s_branch .LBB66_898
.LBB66_896:
	s_mov_b64 s[4:5], -1
                                        ; implicit-def: $vgpr4
	s_branch .LBB66_901
.LBB66_897:
	s_mov_b64 s[4:5], -1
                                        ; implicit-def: $vgpr4
.LBB66_898:
	s_andn2_b64 vcc, exec, s[4:5]
	s_cbranch_vccnz .LBB66_900
; %bb.899:
	global_load_dword v3, v[0:1], off
	s_waitcnt vmcnt(0)
	v_cvt_f16_f32_e32 v4, v3
.LBB66_900:
	s_mov_b64 s[4:5], 0
.LBB66_901:
	s_andn2_b64 vcc, exec, s[4:5]
	s_cbranch_vccnz .LBB66_903
; %bb.902:
	global_load_ushort v4, v[0:1], off
.LBB66_903:
	s_cbranch_execnz .LBB66_922
.LBB66_904:
	s_sext_i32_i16 s4, s42
	s_cmp_lt_i32 s4, 2
	s_cbranch_scc1 .LBB66_908
; %bb.905:
	s_cmp_lt_i32 s4, 3
	s_cbranch_scc1 .LBB66_909
; %bb.906:
	s_cmp_gt_i32 s4, 3
	s_cbranch_scc0 .LBB66_910
; %bb.907:
	global_load_dwordx2 v[3:4], v[0:1], off
	s_mov_b64 s[4:5], 0
	s_waitcnt vmcnt(0)
	v_xor_b32_e32 v6, v3, v4
	v_ffbh_i32_e32 v5, v4
	v_ashrrev_i32_e32 v6, 31, v6
	v_add_u32_e32 v5, -1, v5
	v_add_u32_e32 v6, 32, v6
	v_min_u32_e32 v5, v5, v6
	v_lshlrev_b64 v[3:4], v5, v[3:4]
	v_min_u32_e32 v3, 1, v3
	v_or_b32_e32 v3, v4, v3
	v_cvt_f32_i32_e32 v3, v3
	v_sub_u32_e32 v4, 32, v5
	v_ldexp_f32 v3, v3, v4
	v_cvt_f16_f32_e32 v4, v3
	s_branch .LBB66_911
.LBB66_908:
                                        ; implicit-def: $vgpr4
	s_branch .LBB66_917
.LBB66_909:
	s_mov_b64 s[4:5], -1
                                        ; implicit-def: $vgpr4
	s_branch .LBB66_914
.LBB66_910:
	s_mov_b64 s[4:5], -1
                                        ; implicit-def: $vgpr4
.LBB66_911:
	s_andn2_b64 vcc, exec, s[4:5]
	s_cbranch_vccnz .LBB66_913
; %bb.912:
	global_load_dword v3, v[0:1], off
	s_waitcnt vmcnt(0)
	v_cvt_f32_i32_e32 v3, v3
	v_cvt_f16_f32_e32 v4, v3
.LBB66_913:
	s_mov_b64 s[4:5], 0
.LBB66_914:
	s_andn2_b64 vcc, exec, s[4:5]
	s_cbranch_vccnz .LBB66_916
; %bb.915:
	global_load_ushort v3, v[0:1], off
	s_waitcnt vmcnt(0)
	v_cvt_f16_i16_e32 v4, v3
.LBB66_916:
	s_cbranch_execnz .LBB66_922
.LBB66_917:
	s_sext_i32_i16 s4, s42
	s_cmp_gt_i32 s4, 0
	s_cbranch_scc0 .LBB66_919
; %bb.918:
	global_load_sbyte v3, v[0:1], off
	s_mov_b64 s[4:5], 0
	s_waitcnt vmcnt(0)
	v_cvt_f16_i16_e32 v4, v3
	s_branch .LBB66_920
.LBB66_919:
	s_mov_b64 s[4:5], -1
                                        ; implicit-def: $vgpr4
.LBB66_920:
	s_andn2_b64 vcc, exec, s[4:5]
	s_cbranch_vccnz .LBB66_922
; %bb.921:
	global_load_ubyte v0, v[0:1], off
	s_waitcnt vmcnt(0)
	v_cvt_f16_u16_e32 v4, v0
.LBB66_922:
	s_or_b64 s[0:1], s[0:1], exec
.LBB66_923:
	s_or_b64 exec, exec, s[2:3]
	s_mov_b64 s[4:5], 0
	s_mov_b64 s[2:3], 0
                                        ; implicit-def: $sgpr26
                                        ; implicit-def: $vgpr0_vgpr1
                                        ; implicit-def: $vgpr3
	s_and_saveexec_b64 s[18:19], s[0:1]
	s_cbranch_execz .LBB66_947
; %bb.924:
	s_waitcnt vmcnt(0)
	v_cvt_f32_f16_e32 v0, v4
	v_cmp_gt_f16_e32 vcc, 0.5, v4
	v_mov_b32_e32 v3, 0
	v_mov_b32_e32 v1, 1.0
	s_and_saveexec_b64 s[22:23], vcc
	s_cbranch_execz .LBB66_930
; %bb.925:
	v_mul_f32_e32 v1, 0x40490fdb, v0
	s_brev_b32 s0, 18
	v_and_b32_e32 v3, 0x7fffffff, v1
	v_cmp_nlt_f32_e64 s[0:1], |v1|, s0
                                        ; implicit-def: $vgpr4
                                        ; implicit-def: $vgpr5
	s_and_saveexec_b64 s[2:3], s[0:1]
	s_xor_b64 s[24:25], exec, s[2:3]
	s_cbranch_execz .LBB66_927
; %bb.926:
	v_and_b32_e32 v4, 0x7fffff, v3
	v_or_b32_e32 v13, 0x800000, v4
	s_mov_b32 s0, 0xfe5163ab
	v_mad_u64_u32 v[4:5], s[0:1], v13, s0, 0
	v_mov_b32_e32 v6, 0
	s_mov_b32 s0, 0x3c439041
	v_mad_u64_u32 v[7:8], s[0:1], v13, s0, v[5:6]
	s_mov_b32 s0, 0xdb629599
	v_not_b32_e32 v12, 63
	v_mov_b32_e32 v5, v8
	v_mad_u64_u32 v[8:9], s[0:1], v13, s0, v[5:6]
	s_mov_b32 s0, 0xf534ddc0
	v_not_b32_e32 v15, 31
	v_mov_b32_e32 v5, v9
	v_mad_u64_u32 v[9:10], s[0:1], v13, s0, v[5:6]
	v_lshrrev_b32_e32 v5, 23, v3
	v_add_u32_e32 v14, 0xffffff88, v5
	v_mov_b32_e32 v5, v10
	s_mov_b32 s0, 0xfc2757d1
	v_mad_u64_u32 v[10:11], s[0:1], v13, s0, v[5:6]
	v_cmp_lt_u32_e32 vcc, 63, v14
	v_cndmask_b32_e32 v5, 0, v12, vcc
	v_add_u32_e32 v14, v5, v14
	v_mov_b32_e32 v5, v11
	s_mov_b32 s0, 0x4e441529
	v_mad_u64_u32 v[11:12], s[0:1], v13, s0, v[5:6]
	v_cmp_lt_u32_e64 s[0:1], 31, v14
	v_cndmask_b32_e64 v5, 0, v15, s[0:1]
	v_add_u32_e32 v14, v5, v14
	v_mov_b32_e32 v5, v12
	s_mov_b32 s2, 0xa2f9836e
	v_mad_u64_u32 v[5:6], s[2:3], v13, s2, v[5:6]
	v_cmp_lt_u32_e64 s[2:3], 31, v14
	v_cndmask_b32_e64 v12, 0, v15, s[2:3]
	v_cndmask_b32_e32 v13, v11, v9, vcc
	v_cndmask_b32_e32 v5, v5, v10, vcc
	;; [unrolled: 1-line block ×3, first 2 shown]
	v_add_u32_e32 v12, v12, v14
	v_cndmask_b32_e64 v14, v5, v13, s[0:1]
	v_cndmask_b32_e64 v5, v6, v5, s[0:1]
	v_cndmask_b32_e32 v6, v10, v8, vcc
	v_cndmask_b32_e64 v10, v13, v6, s[0:1]
	v_cndmask_b32_e64 v5, v5, v14, s[2:3]
	;; [unrolled: 1-line block ×3, first 2 shown]
	v_sub_u32_e32 v13, 32, v12
	v_alignbit_b32 v14, v5, v11, v13
	v_cmp_eq_u32_e64 s[4:5], 0, v12
	v_cndmask_b32_e64 v12, v14, v5, s[4:5]
	v_cndmask_b32_e32 v5, v9, v7, vcc
	v_cndmask_b32_e64 v6, v6, v5, s[0:1]
	v_cndmask_b32_e64 v7, v10, v6, s[2:3]
	v_alignbit_b32 v9, v11, v7, v13
	v_cndmask_b32_e32 v4, v8, v4, vcc
	v_cndmask_b32_e64 v9, v9, v11, s[4:5]
	v_bfe_u32 v14, v12, 29, 1
	v_cndmask_b32_e64 v4, v5, v4, s[0:1]
	v_alignbit_b32 v10, v12, v9, 30
	v_sub_u32_e32 v15, 0, v14
	v_cndmask_b32_e64 v4, v6, v4, s[2:3]
	v_xor_b32_e32 v10, v10, v15
	v_alignbit_b32 v5, v7, v4, v13
	v_cndmask_b32_e64 v5, v5, v7, s[4:5]
	v_ffbh_u32_e32 v7, v10
	v_alignbit_b32 v6, v9, v5, 30
	v_min_u32_e32 v7, 32, v7
	v_alignbit_b32 v4, v5, v4, 30
	v_xor_b32_e32 v6, v6, v15
	v_sub_u32_e32 v8, 31, v7
	v_xor_b32_e32 v4, v4, v15
	v_alignbit_b32 v9, v10, v6, v8
	v_alignbit_b32 v4, v6, v4, v8
	;; [unrolled: 1-line block ×3, first 2 shown]
	v_ffbh_u32_e32 v6, v5
	v_min_u32_e32 v6, 32, v6
	v_lshrrev_b32_e32 v11, 29, v12
	v_not_b32_e32 v8, v6
	v_alignbit_b32 v4, v5, v4, v8
	v_lshlrev_b32_e32 v5, 31, v11
	v_or_b32_e32 v8, 0x33000000, v5
	v_add_lshl_u32 v6, v6, v7, 23
	v_lshrrev_b32_e32 v4, 9, v4
	v_sub_u32_e32 v6, v8, v6
	v_or_b32_e32 v5, 0.5, v5
	v_lshlrev_b32_e32 v7, 23, v7
	v_or_b32_e32 v4, v6, v4
	v_lshrrev_b32_e32 v6, 9, v9
	v_sub_u32_e32 v5, v5, v7
	v_or_b32_e32 v5, v6, v5
	s_mov_b32 s0, 0x3fc90fda
	v_mul_f32_e32 v6, 0x3fc90fda, v5
	v_fma_f32 v7, v5, s0, -v6
	v_fmac_f32_e32 v7, 0x33a22168, v5
	v_fmac_f32_e32 v7, 0x3fc90fda, v4
	v_lshrrev_b32_e32 v4, 30, v12
	v_add_f32_e32 v5, v6, v7
	v_add_u32_e32 v4, v14, v4
.LBB66_927:
	s_andn2_saveexec_b64 s[0:1], s[24:25]
	s_cbranch_execz .LBB66_929
; %bb.928:
	s_mov_b32 s2, 0x3f22f983
	v_mul_f32_e64 v4, |v1|, s2
	v_rndne_f32_e32 v6, v4
	s_mov_b32 s2, 0xbfc90fda
	v_cvt_i32_f32_e32 v4, v6
	v_fma_f32 v5, v6, s2, |v1|
	v_fmac_f32_e32 v5, 0xb3a22168, v6
	v_fmac_f32_e32 v5, 0xa7c234c4, v6
.LBB66_929:
	s_or_b64 exec, exec, s[0:1]
	v_mul_f32_e32 v6, v5, v5
	v_mov_b32_e32 v7, 0x3c0881c4
	v_fmac_f32_e32 v7, 0xb94c1982, v6
	v_mov_b32_e32 v8, 0xbe2aaa9d
	v_fmac_f32_e32 v8, v6, v7
	v_mul_f32_e32 v7, v6, v8
	v_fmac_f32_e32 v5, v5, v7
	v_mov_b32_e32 v7, 0xbab64f3b
	v_fmac_f32_e32 v7, 0x37d75334, v6
	v_mov_b32_e32 v8, 0x3d2aabf7
	;; [unrolled: 2-line block ×3, first 2 shown]
	v_fmac_f32_e32 v7, v6, v8
	v_fma_f32 v6, v6, v7, 1.0
	v_and_b32_e32 v7, 1, v4
	v_lshlrev_b32_e32 v4, 30, v4
	v_cmp_eq_u32_e32 vcc, 0, v7
	v_and_b32_e32 v4, 0x80000000, v4
	v_xor_b32_e32 v3, v3, v1
	v_cndmask_b32_e32 v5, v6, v5, vcc
	v_xor_b32_e32 v3, v3, v4
	s_movk_i32 s0, 0x1f8
	v_xor_b32_e32 v3, v3, v5
	v_mov_b32_e32 v4, 0x7fc00000
	v_cmp_class_f32_e64 vcc, v1, s0
	v_cndmask_b32_e32 v1, v4, v3, vcc
	v_mul_f32_e32 v1, v1, v1
	s_mov_b32 s2, 0xc11de9e7
	v_div_scale_f32 v3, s[0:1], v1, v1, s2
	v_div_scale_f32 v4, vcc, s2, v1, s2
	v_sub_f32_e32 v0, 1.0, v0
	v_rcp_f32_e32 v5, v3
	v_fma_f32 v6, -v3, v5, 1.0
	v_fmac_f32_e32 v5, v6, v5
	v_mul_f32_e32 v6, v4, v5
	v_fma_f32 v7, -v3, v6, v4
	v_fmac_f32_e32 v6, v7, v5
	v_fma_f32 v3, -v3, v6, v4
	v_div_fmas_f32 v3, v3, v5, v6
	v_div_fixup_f32 v1, v3, v1, s2
	v_add_f32_e32 v3, 0, v1
	v_mov_b32_e32 v1, -1.0
.LBB66_930:
	s_or_b64 exec, exec, s[22:23]
	v_mul_f32_e32 v4, v0, v0
	v_div_scale_f32 v6, s[0:1], v4, v4, 1.0
	v_add_f32_e32 v5, 1.0, v0
	v_mul_f32_e32 v0, v5, v5
	v_div_scale_f32 v8, s[0:1], v0, v0, 1.0
	v_div_scale_f32 v7, vcc, 1.0, v4, 1.0
	v_div_scale_f32 v9, s[0:1], 1.0, v0, 1.0
	v_add_f32_e32 v10, 1.0, v5
	v_mul_f32_e32 v5, v10, v10
	v_div_scale_f32 v13, s[2:3], v5, v5, 1.0
	v_add_f32_e32 v10, 1.0, v10
	v_add_f32_e32 v18, 1.0, v10
	v_rcp_f32_e32 v11, v6
	v_mul_lo_u32 v2, v2, s12
	s_and_b32 s26, s33, 0xff
	s_cmp_lt_i32 s26, 11
	v_rcp_f32_e32 v12, v8
	v_fma_f32 v14, -v6, v11, 1.0
	v_fmac_f32_e32 v11, v14, v11
	v_mul_f32_e32 v15, v7, v11
	v_fma_f32 v14, -v8, v12, 1.0
	v_fmac_f32_e32 v12, v14, v12
	v_fma_f32 v14, -v6, v15, v7
	v_fmac_f32_e32 v15, v14, v11
	v_fma_f32 v6, -v6, v15, v7
	v_mul_f32_e32 v16, v9, v12
	v_div_fmas_f32 v6, v6, v11, v15
	v_div_scale_f32 v11, s[2:3], 1.0, v5, 1.0
	v_fma_f32 v7, -v8, v16, v9
	v_fmac_f32_e32 v16, v7, v12
	v_mul_f32_e32 v7, v10, v10
	v_div_scale_f32 v14, s[4:5], v7, v7, 1.0
	v_div_scale_f32 v17, s[4:5], 1.0, v7, 1.0
	v_rcp_f32_e32 v15, v13
	v_fma_f32 v9, -v8, v16, v9
	v_mul_f32_e32 v8, v18, v18
	v_div_scale_f32 v19, s[22:23], v8, v8, 1.0
	v_fma_f32 v10, -v13, v15, 1.0
	v_fmac_f32_e32 v15, v10, v15
	s_mov_b64 vcc, s[0:1]
	v_mul_f32_e32 v10, v11, v15
	v_div_fmas_f32 v9, v9, v12, v16
	v_fma_f32 v12, -v13, v10, v11
	v_fmac_f32_e32 v10, v12, v15
	v_rcp_f32_e32 v12, v14
	v_fma_f32 v11, -v13, v10, v11
	s_mov_b64 vcc, s[2:3]
	v_div_fmas_f32 v10, v11, v15, v10
	v_div_scale_f32 v15, s[0:1], 1.0, v8, 1.0
	v_add_f32_e32 v16, 1.0, v18
	v_mul_f32_e32 v18, v16, v16
	v_fma_f32 v11, -v14, v12, 1.0
	v_div_scale_f32 v20, s[2:3], v18, v18, 1.0
	v_fmac_f32_e32 v12, v11, v12
	v_mul_f32_e32 v11, v17, v12
	v_fma_f32 v13, -v14, v11, v17
	v_fmac_f32_e32 v11, v13, v12
	v_fma_f32 v14, -v14, v11, v17
	s_mov_b64 vcc, s[4:5]
	v_div_fmas_f32 v11, v14, v12, v11
	v_div_scale_f32 v14, s[2:3], 1.0, v18, 1.0
	v_rcp_f32_e32 v13, v19
	v_add_f32_e32 v16, 1.0, v16
	v_mul_f32_e32 v17, v16, v16
	v_div_scale_f32 v21, s[4:5], v17, v17, 1.0
	v_fma_f32 v12, -v19, v13, 1.0
	v_fmac_f32_e32 v13, v12, v13
	v_mul_f32_e32 v12, v15, v13
	v_fma_f32 v22, -v19, v12, v15
	v_fmac_f32_e32 v12, v22, v13
	v_div_scale_f32 v22, s[4:5], 1.0, v17, 1.0
	v_fma_f32 v15, -v19, v12, v15
	v_rcp_f32_e32 v19, v20
	s_mov_b64 vcc, s[0:1]
	v_div_fmas_f32 v12, v15, v13, v12
	s_mov_b64 vcc, s[2:3]
	v_fma_f32 v13, -v20, v19, 1.0
	v_fmac_f32_e32 v19, v13, v19
	v_mul_f32_e32 v13, v14, v19
	v_fma_f32 v15, -v20, v13, v14
	v_fmac_f32_e32 v13, v15, v19
	v_rcp_f32_e32 v15, v21
	v_fma_f32 v14, -v20, v13, v14
	v_div_fmas_f32 v13, v14, v19, v13
	v_add_f32_e32 v19, v16, v16
	v_div_scale_f32 v20, s[0:1], v19, v19, 1.0
	v_fma_f32 v14, -v21, v15, 1.0
	v_fmac_f32_e32 v15, v14, v15
	v_mul_f32_e32 v14, v22, v15
	v_fma_f32 v23, -v21, v14, v22
	v_fmac_f32_e32 v14, v23, v15
	v_div_scale_f32 v23, s[0:1], 1.0, v19, 1.0
	v_fma_f32 v21, -v21, v14, v22
	s_mov_b64 vcc, s[4:5]
	v_div_fmas_f32 v14, v21, v15, v14
	s_mov_b64 vcc, s[0:1]
	s_mov_b32 s0, 0x3e2aaaab
	v_div_fixup_f32 v4, v6, v4, 1.0
	v_add_f32_e32 v3, v3, v4
	v_rcp_f32_e32 v22, v20
	v_div_fixup_f32 v0, v9, v0, 1.0
	v_add_f32_e32 v0, v3, v0
	v_div_fixup_f32 v3, v10, v5, 1.0
	v_fma_f32 v15, -v20, v22, 1.0
	v_fmac_f32_e32 v22, v15, v22
	v_add_f32_e32 v0, v0, v3
	v_mul_f32_e32 v15, v23, v22
	v_fma_f32 v21, -v20, v15, v23
	v_fmac_f32_e32 v15, v21, v22
	v_fma_f32 v20, -v20, v15, v23
	v_div_fmas_f32 v15, v20, v22, v15
	v_div_fixup_f32 v14, v14, v17, 1.0
	v_mov_b32_e32 v17, 0x3d088889
	v_fmac_f32_e32 v17, 0xbcc30c31, v14
	v_fma_f32 v17, -v14, v17, s0
	v_div_fixup_f32 v3, v11, v7, 1.0
	v_add_f32_e32 v0, v0, v3
	v_div_fixup_f32 v3, v12, v8, 1.0
	v_add_f32_e32 v0, v0, v3
	;; [unrolled: 2-line block ×3, first 2 shown]
	v_mov_b32_e32 v4, s9
	v_div_fixup_f32 v15, v15, v19, 1.0
	v_add_f32_e32 v15, 1.0, v15
	v_fmac_f32_e32 v15, v14, v17
	v_div_scale_f32 v14, s[0:1], v16, v16, v15
	v_div_scale_f32 v17, vcc, v15, v16, v15
	v_rcp_f32_e32 v19, v14
	v_fma_f32 v20, -v14, v19, 1.0
	v_fmac_f32_e32 v19, v20, v19
	v_mul_f32_e32 v20, v17, v19
	v_fma_f32 v21, -v14, v20, v17
	v_fmac_f32_e32 v20, v21, v19
	v_fma_f32 v14, -v14, v20, v17
	v_div_fmas_f32 v14, v14, v19, v20
	v_div_fixup_f32 v3, v14, v16, v15
	v_add_f32_e32 v0, v0, v3
	v_fma_mixlo_f16 v3, v1, v0, 0
	v_ashrrev_i32_e32 v1, 31, v2
	v_add_co_u32_e32 v0, vcc, s8, v2
	v_addc_co_u32_e32 v1, vcc, v4, v1, vcc
	s_cbranch_scc1 .LBB66_950
; %bb.931:
	s_and_b32 s27, 0xffff, s26
	s_mov_b64 s[4:5], -1
	s_cmp_gt_i32 s27, 25
	s_mov_b64 s[0:1], s[6:7]
	s_cbranch_scc0 .LBB66_968
; %bb.932:
	s_mov_b64 s[2:3], -1
	s_cmp_gt_i32 s27, 28
	s_mov_b64 s[0:1], s[6:7]
	s_cbranch_scc0 .LBB66_952
; %bb.933:
	s_cmp_gt_i32 s27, 43
	s_mov_b64 s[0:1], s[6:7]
	s_cbranch_scc0 .LBB66_944
; %bb.934:
	;; [unrolled: 4-line block ×3, first 2 shown]
	s_cmp_eq_u32 s27, 46
	s_mov_b64 s[0:1], -1
	s_cbranch_scc0 .LBB66_937
; %bb.936:
	v_cvt_f32_f16_e32 v2, v3
	s_movk_i32 s0, 0x7fff
	v_cmp_o_f16_e32 vcc, v3, v3
	v_mov_b32_e32 v4, 0x7fc0
	v_bfe_u32 v5, v2, 16, 1
	v_add3_u32 v2, v2, v5, s0
	v_cndmask_b32_sdwa v2, v4, v2, vcc dst_sel:DWORD dst_unused:UNUSED_PAD src0_sel:DWORD src1_sel:WORD_1
	global_store_dword v[0:1], v2, off
	s_mov_b64 s[0:1], 0
.LBB66_937:
	s_mov_b64 s[2:3], 0
.LBB66_938:
	s_and_b64 vcc, exec, s[2:3]
	s_cbranch_vccz .LBB66_943
; %bb.939:
	s_cmp_eq_u32 s27, 44
	s_mov_b64 s[0:1], -1
	s_cbranch_scc0 .LBB66_943
; %bb.940:
	v_cvt_f32_f16_e32 v2, v3
	s_movk_i32 s0, 0xff
	v_mov_b32_e32 v5, 0xff
	v_bfe_u32 v4, v2, 23, 8
	v_cmp_ne_u32_e32 vcc, s0, v4
	s_and_saveexec_b64 s[2:3], vcc
; %bb.941:
	s_mov_b32 s0, 0x3fffff
	v_lshrrev_b32_e32 v5, 23, v2
	v_and_b32_e32 v6, 0x400000, v2
	v_and_or_b32 v2, v2, s0, v4
	v_cmp_ne_u32_e32 vcc, 0, v6
	v_cmp_ne_u32_e64 s[0:1], 0, v2
	s_and_b64 s[0:1], vcc, s[0:1]
	v_cndmask_b32_e64 v2, 0, 1, s[0:1]
	v_add_u32_e32 v5, v5, v2
; %bb.942:
	s_or_b64 exec, exec, s[2:3]
	s_mov_b64 s[0:1], 0
	global_store_byte v[0:1], v5, off
.LBB66_943:
	s_mov_b64 s[2:3], 0
.LBB66_944:
	s_and_b64 vcc, exec, s[2:3]
	s_cbranch_vccz .LBB66_951
; %bb.945:
	s_cmp_eq_u32 s27, 29
	s_mov_b64 s[0:1], -1
	s_cbranch_scc0 .LBB66_951
; %bb.946:
	v_cvt_f32_f16_e32 v2, v3
	v_mov_b32_e32 v5, 0
	s_mov_b64 s[0:1], 0
	s_mov_b64 s[2:3], 0
	v_cvt_u32_f32_e32 v4, v2
	global_store_dwordx2 v[0:1], v[4:5], off
	s_branch .LBB66_952
.LBB66_947:
	s_or_b64 exec, exec, s[18:19]
	s_and_saveexec_b64 s[0:1], s[6:7]
	s_cbranch_execnz .LBB66_1010
.LBB66_948:
	s_or_b64 exec, exec, s[0:1]
	s_and_saveexec_b64 s[0:1], s[4:5]
	s_xor_b64 s[0:1], exec, s[0:1]
	s_cbranch_execz .LBB66_1011
.LBB66_949:
	s_waitcnt vmcnt(0)
	v_cmp_neq_f16_e32 vcc, 0, v3
	v_cndmask_b32_e64 v2, 0, 1, vcc
	global_store_byte v[0:1], v2, off
	s_or_b64 exec, exec, s[0:1]
	s_and_saveexec_b64 s[0:1], s[2:3]
	s_xor_b64 s[0:1], exec, s[0:1]
	s_cbranch_execz .LBB66_1049
	s_branch .LBB66_1012
.LBB66_950:
	s_mov_b64 s[4:5], 0
	s_mov_b64 s[2:3], -1
	s_mov_b64 s[0:1], s[6:7]
	s_branch .LBB66_1009
.LBB66_951:
	s_mov_b64 s[2:3], 0
.LBB66_952:
	s_and_b64 vcc, exec, s[2:3]
	s_cbranch_vccz .LBB66_967
; %bb.953:
	s_cmp_lt_i32 s27, 27
	s_mov_b64 s[2:3], -1
	s_cbranch_scc1 .LBB66_959
; %bb.954:
	s_cmp_gt_i32 s27, 27
	s_cbranch_scc0 .LBB66_956
; %bb.955:
	v_cvt_f32_f16_e32 v2, v3
	s_mov_b64 s[2:3], 0
	v_cvt_u32_f32_e32 v2, v2
	global_store_dword v[0:1], v2, off
.LBB66_956:
	s_andn2_b64 vcc, exec, s[2:3]
	s_cbranch_vccnz .LBB66_958
; %bb.957:
	v_cvt_u16_f16_e32 v2, v3
	global_store_short v[0:1], v2, off
.LBB66_958:
	s_mov_b64 s[2:3], 0
.LBB66_959:
	s_andn2_b64 vcc, exec, s[2:3]
	s_cbranch_vccnz .LBB66_967
; %bb.960:
	v_cvt_f32_f16_e32 v2, v3
	s_mov_b32 s2, 0x43800000
	v_mov_b32_e32 v5, 0x80
	v_and_b32_e32 v4, 0x7fffffff, v2
	v_cmp_gt_u32_e32 vcc, s2, v4
	s_and_saveexec_b64 s[2:3], vcc
	s_cbranch_execz .LBB66_966
; %bb.961:
	s_mov_b32 s4, 0x3bffffff
	v_cmp_lt_u32_e32 vcc, s4, v4
	s_mov_b64 s[4:5], 0
                                        ; implicit-def: $vgpr4
	s_and_saveexec_b64 s[22:23], vcc
	s_xor_b64 s[22:23], exec, s[22:23]
	s_cbranch_execz .LBB66_1064
; %bb.962:
	v_bfe_u32 v4, v2, 20, 1
	s_mov_b32 s24, 0x487ffff
	v_add3_u32 v4, v2, v4, s24
	s_mov_b64 s[4:5], exec
	v_lshrrev_b32_e32 v4, 20, v4
	s_andn2_saveexec_b64 s[22:23], s[22:23]
	s_cbranch_execnz .LBB66_1065
.LBB66_963:
	s_or_b64 exec, exec, s[22:23]
	v_mov_b32_e32 v5, 0
	s_and_saveexec_b64 s[22:23], s[4:5]
.LBB66_964:
	v_lshrrev_b32_e32 v2, 24, v2
	s_movk_i32 s4, 0x80
	v_and_or_b32 v5, v2, s4, v4
.LBB66_965:
	s_or_b64 exec, exec, s[22:23]
.LBB66_966:
	s_or_b64 exec, exec, s[2:3]
	global_store_byte v[0:1], v5, off
.LBB66_967:
	s_mov_b64 s[4:5], 0
.LBB66_968:
	s_mov_b64 s[2:3], 0
	s_and_b64 vcc, exec, s[4:5]
	s_cbranch_vccz .LBB66_1008
; %bb.969:
	s_cmp_gt_i32 s27, 22
	s_mov_b64 s[4:5], -1
	s_cbranch_scc0 .LBB66_1001
; %bb.970:
	s_cmp_lt_i32 s27, 24
	s_cbranch_scc1 .LBB66_990
; %bb.971:
	s_cmp_gt_i32 s27, 24
	s_cbranch_scc0 .LBB66_979
; %bb.972:
	v_cvt_f32_f16_e32 v2, v3
	s_mov_b32 s4, 0x47800000
	v_mov_b32_e32 v5, 0x80
	v_and_b32_e32 v4, 0x7fffffff, v2
	v_cmp_gt_u32_e32 vcc, s4, v4
	s_and_saveexec_b64 s[4:5], vcc
	s_cbranch_execz .LBB66_978
; %bb.973:
	s_mov_b32 s22, 0x37ffffff
	v_cmp_lt_u32_e32 vcc, s22, v4
	s_mov_b64 s[22:23], 0
                                        ; implicit-def: $vgpr4
	s_and_saveexec_b64 s[24:25], vcc
	s_xor_b64 s[24:25], exec, s[24:25]
	s_cbranch_execz .LBB66_1195
; %bb.974:
	v_bfe_u32 v4, v2, 21, 1
	s_mov_b32 s28, 0x88fffff
	v_add3_u32 v4, v2, v4, s28
	s_mov_b64 s[22:23], exec
	v_lshrrev_b32_e32 v4, 21, v4
	s_andn2_saveexec_b64 s[24:25], s[24:25]
	s_cbranch_execnz .LBB66_1196
.LBB66_975:
	s_or_b64 exec, exec, s[24:25]
	v_mov_b32_e32 v5, 0
	s_and_saveexec_b64 s[24:25], s[22:23]
.LBB66_976:
	v_lshrrev_b32_e32 v2, 24, v2
	s_movk_i32 s22, 0x80
	v_and_or_b32 v5, v2, s22, v4
.LBB66_977:
	s_or_b64 exec, exec, s[24:25]
.LBB66_978:
	s_or_b64 exec, exec, s[4:5]
	s_mov_b64 s[4:5], 0
	global_store_byte v[0:1], v5, off
.LBB66_979:
	s_and_b64 vcc, exec, s[4:5]
	s_cbranch_vccz .LBB66_989
; %bb.980:
	v_cvt_f32_f16_e32 v2, v3
	s_mov_b32 s4, 0x43f00000
                                        ; implicit-def: $vgpr4
	v_and_b32_e32 v5, 0x7fffffff, v2
	v_cmp_gt_u32_e32 vcc, s4, v5
	s_and_saveexec_b64 s[4:5], vcc
	s_xor_b64 s[4:5], exec, s[4:5]
	s_cbranch_execz .LBB66_986
; %bb.981:
	s_mov_b32 s22, 0x3c7fffff
	v_cmp_lt_u32_e32 vcc, s22, v5
                                        ; implicit-def: $vgpr4
	s_and_saveexec_b64 s[22:23], vcc
	s_xor_b64 s[22:23], exec, s[22:23]
; %bb.982:
	v_bfe_u32 v4, v2, 20, 1
	s_mov_b32 s24, 0x407ffff
	v_add3_u32 v4, v2, v4, s24
	v_lshrrev_b32_e32 v5, 20, v4
	v_and_b32_e32 v4, 0xff00000, v4
	s_mov_b32 s24, 0x7f00000
	v_mov_b32_e32 v6, 0x7e
	v_cmp_ne_u32_e32 vcc, s24, v4
	v_cndmask_b32_e32 v4, v6, v5, vcc
; %bb.983:
	s_andn2_saveexec_b64 s[22:23], s[22:23]
; %bb.984:
	s_mov_b32 s24, 0x46800000
	v_add_f32_e64 v4, |v2|, s24
; %bb.985:
	s_or_b64 exec, exec, s[22:23]
                                        ; implicit-def: $vgpr5
.LBB66_986:
	s_andn2_saveexec_b64 s[4:5], s[4:5]
; %bb.987:
	s_mov_b32 s22, 0x7f800000
	v_mov_b32_e32 v4, 0x7e
	v_mov_b32_e32 v6, 0x7f
	v_cmp_lt_u32_e32 vcc, s22, v5
	v_cndmask_b32_e32 v4, v4, v6, vcc
; %bb.988:
	s_or_b64 exec, exec, s[4:5]
	v_lshrrev_b32_e32 v2, 24, v2
	s_movk_i32 s4, 0x80
	v_and_or_b32 v2, v2, s4, v4
	global_store_byte v[0:1], v2, off
.LBB66_989:
	s_mov_b64 s[4:5], 0
.LBB66_990:
	s_andn2_b64 vcc, exec, s[4:5]
	s_cbranch_vccnz .LBB66_1000
; %bb.991:
	v_cvt_f32_f16_e32 v2, v3
	s_mov_b32 s4, 0x47800000
                                        ; implicit-def: $vgpr4
	v_and_b32_e32 v5, 0x7fffffff, v2
	v_cmp_gt_u32_e32 vcc, s4, v5
	s_and_saveexec_b64 s[4:5], vcc
	s_xor_b64 s[4:5], exec, s[4:5]
	s_cbranch_execz .LBB66_997
; %bb.992:
	s_mov_b32 s22, 0x387fffff
	v_cmp_lt_u32_e32 vcc, s22, v5
                                        ; implicit-def: $vgpr4
	s_and_saveexec_b64 s[22:23], vcc
	s_xor_b64 s[22:23], exec, s[22:23]
; %bb.993:
	v_bfe_u32 v4, v2, 21, 1
	s_mov_b32 s24, 0x80fffff
	v_add3_u32 v4, v2, v4, s24
	v_lshrrev_b32_e32 v4, 21, v4
; %bb.994:
	s_andn2_saveexec_b64 s[22:23], s[22:23]
; %bb.995:
	s_mov_b32 s24, 0x43000000
	v_add_f32_e64 v4, |v2|, s24
; %bb.996:
	s_or_b64 exec, exec, s[22:23]
                                        ; implicit-def: $vgpr5
.LBB66_997:
	s_andn2_saveexec_b64 s[4:5], s[4:5]
; %bb.998:
	s_mov_b32 s22, 0x7f800000
	v_mov_b32_e32 v4, 0x7c
	v_mov_b32_e32 v6, 0x7f
	v_cmp_lt_u32_e32 vcc, s22, v5
	v_cndmask_b32_e32 v4, v4, v6, vcc
; %bb.999:
	s_or_b64 exec, exec, s[4:5]
	v_lshrrev_b32_e32 v2, 24, v2
	s_movk_i32 s4, 0x80
	v_and_or_b32 v2, v2, s4, v4
	global_store_byte v[0:1], v2, off
.LBB66_1000:
	s_mov_b64 s[4:5], 0
.LBB66_1001:
	s_andn2_b64 vcc, exec, s[4:5]
	s_mov_b64 s[4:5], 0
	s_cbranch_vccnz .LBB66_1009
; %bb.1002:
	s_cmp_gt_i32 s27, 14
	s_mov_b64 s[22:23], -1
	s_cbranch_scc0 .LBB66_1006
; %bb.1003:
	s_cmp_eq_u32 s27, 15
	s_mov_b64 s[0:1], -1
	s_cbranch_scc0 .LBB66_1005
; %bb.1004:
	v_cvt_f32_f16_e32 v2, v3
	s_movk_i32 s0, 0x7fff
	v_cmp_o_f16_e32 vcc, v3, v3
	v_mov_b32_e32 v4, 0x7fc0
	v_bfe_u32 v5, v2, 16, 1
	v_add3_u32 v2, v2, v5, s0
	v_cndmask_b32_sdwa v2, v4, v2, vcc dst_sel:DWORD dst_unused:UNUSED_PAD src0_sel:DWORD src1_sel:WORD_1
	global_store_short v[0:1], v2, off
	s_mov_b64 s[0:1], 0
.LBB66_1005:
	s_mov_b64 s[22:23], 0
.LBB66_1006:
	s_and_b64 vcc, exec, s[22:23]
	s_cbranch_vccz .LBB66_1009
; %bb.1007:
	s_cmp_lg_u32 s27, 11
	s_cselect_b64 s[22:23], -1, 0
	s_andn2_b64 s[0:1], s[0:1], exec
	s_and_b64 s[22:23], s[22:23], exec
	s_mov_b64 s[4:5], -1
	s_or_b64 s[0:1], s[0:1], s[22:23]
	s_branch .LBB66_1009
.LBB66_1008:
	s_mov_b64 s[4:5], 0
.LBB66_1009:
	s_andn2_b64 s[6:7], s[6:7], exec
	s_and_b64 s[0:1], s[0:1], exec
	s_and_b64 s[2:3], s[2:3], exec
	;; [unrolled: 1-line block ×3, first 2 shown]
	s_or_b64 s[6:7], s[6:7], s[0:1]
	s_or_b64 exec, exec, s[18:19]
	s_and_saveexec_b64 s[0:1], s[6:7]
	s_cbranch_execz .LBB66_948
.LBB66_1010:
	s_or_b64 s[20:21], s[20:21], exec
	s_andn2_b64 s[4:5], s[4:5], exec
	s_trap 2
	s_or_b64 exec, exec, s[0:1]
	s_and_saveexec_b64 s[0:1], s[4:5]
	s_xor_b64 s[0:1], exec, s[0:1]
	s_cbranch_execnz .LBB66_949
.LBB66_1011:
	s_or_b64 exec, exec, s[0:1]
	s_and_saveexec_b64 s[0:1], s[2:3]
	s_xor_b64 s[0:1], exec, s[0:1]
	s_cbranch_execz .LBB66_1049
.LBB66_1012:
	s_sext_i32_i16 s4, s26
	s_cmp_lt_i32 s4, 5
	s_mov_b64 s[2:3], -1
	s_cbranch_scc1 .LBB66_1033
; %bb.1013:
	s_cmp_lt_i32 s4, 8
	s_cbranch_scc1 .LBB66_1023
; %bb.1014:
	s_cmp_lt_i32 s4, 9
	s_cbranch_scc1 .LBB66_1020
; %bb.1015:
	s_cmp_gt_i32 s4, 9
	s_cbranch_scc0 .LBB66_1017
; %bb.1016:
	s_waitcnt vmcnt(0)
	v_cvt_f32_f16_e32 v2, v3
	v_mov_b32_e32 v6, 0
	v_mov_b32_e32 v7, v6
	s_mov_b64 s[2:3], 0
	v_cvt_f64_f32_e32 v[4:5], v2
	global_store_dwordx4 v[0:1], v[4:7], off
.LBB66_1017:
	s_andn2_b64 vcc, exec, s[2:3]
	s_cbranch_vccnz .LBB66_1019
; %bb.1018:
	s_waitcnt vmcnt(0)
	v_cvt_f32_f16_e32 v4, v3
	v_mov_b32_e32 v5, 0
	global_store_dwordx2 v[0:1], v[4:5], off
.LBB66_1019:
	s_mov_b64 s[2:3], 0
.LBB66_1020:
	s_andn2_b64 vcc, exec, s[2:3]
	s_cbranch_vccnz .LBB66_1022
; %bb.1021:
	s_waitcnt vmcnt(0)
	v_and_b32_e32 v2, 0xffff, v3
	global_store_dword v[0:1], v2, off
.LBB66_1022:
	s_mov_b64 s[2:3], 0
.LBB66_1023:
	s_andn2_b64 vcc, exec, s[2:3]
	s_cbranch_vccnz .LBB66_1032
; %bb.1024:
	s_sext_i32_i16 s4, s26
	s_cmp_lt_i32 s4, 6
	s_mov_b64 s[2:3], -1
	s_cbranch_scc1 .LBB66_1030
; %bb.1025:
	s_cmp_gt_i32 s4, 6
	s_cbranch_scc0 .LBB66_1027
; %bb.1026:
	s_waitcnt vmcnt(0)
	v_cvt_f32_f16_e32 v2, v3
	s_mov_b64 s[2:3], 0
	v_cvt_f64_f32_e32 v[4:5], v2
	global_store_dwordx2 v[0:1], v[4:5], off
.LBB66_1027:
	s_andn2_b64 vcc, exec, s[2:3]
	s_cbranch_vccnz .LBB66_1029
; %bb.1028:
	s_waitcnt vmcnt(0)
	v_cvt_f32_f16_e32 v2, v3
	global_store_dword v[0:1], v2, off
.LBB66_1029:
	s_mov_b64 s[2:3], 0
.LBB66_1030:
	s_andn2_b64 vcc, exec, s[2:3]
	s_cbranch_vccnz .LBB66_1032
; %bb.1031:
	s_waitcnt vmcnt(0)
	global_store_short v[0:1], v3, off
.LBB66_1032:
	s_mov_b64 s[2:3], 0
.LBB66_1033:
	s_andn2_b64 vcc, exec, s[2:3]
	s_cbranch_vccnz .LBB66_1049
; %bb.1034:
	s_sext_i32_i16 s4, s26
	s_cmp_lt_i32 s4, 2
	s_mov_b64 s[2:3], -1
	s_cbranch_scc1 .LBB66_1044
; %bb.1035:
	s_cmp_lt_i32 s4, 3
	s_cbranch_scc1 .LBB66_1041
; %bb.1036:
	s_cmp_gt_i32 s4, 3
	s_cbranch_scc0 .LBB66_1038
; %bb.1037:
	s_waitcnt vmcnt(0)
	v_cvt_f32_f16_e32 v2, v3
	s_mov_b64 s[2:3], 0
	v_cvt_i32_f32_e32 v4, v2
	v_ashrrev_i32_e32 v5, 31, v4
	global_store_dwordx2 v[0:1], v[4:5], off
.LBB66_1038:
	s_andn2_b64 vcc, exec, s[2:3]
	s_cbranch_vccnz .LBB66_1040
; %bb.1039:
	s_waitcnt vmcnt(0)
	v_cvt_f32_f16_e32 v2, v3
	v_cvt_i32_f32_e32 v2, v2
	global_store_dword v[0:1], v2, off
.LBB66_1040:
	s_mov_b64 s[2:3], 0
.LBB66_1041:
	s_andn2_b64 vcc, exec, s[2:3]
	s_cbranch_vccnz .LBB66_1043
; %bb.1042:
	s_waitcnt vmcnt(0)
	v_cvt_i16_f16_e32 v2, v3
	global_store_short v[0:1], v2, off
.LBB66_1043:
	s_mov_b64 s[2:3], 0
.LBB66_1044:
	s_andn2_b64 vcc, exec, s[2:3]
	s_cbranch_vccnz .LBB66_1049
; %bb.1045:
	s_sext_i32_i16 s2, s26
	s_cmp_gt_i32 s2, 0
	s_mov_b64 s[2:3], -1
	s_cbranch_scc0 .LBB66_1047
; %bb.1046:
	s_waitcnt vmcnt(0)
	v_cvt_i16_f16_e32 v2, v3
	s_mov_b64 s[2:3], 0
	global_store_byte v[0:1], v2, off
.LBB66_1047:
	s_andn2_b64 vcc, exec, s[2:3]
	s_cbranch_vccnz .LBB66_1049
; %bb.1048:
	s_waitcnt vmcnt(0)
	v_cvt_f32_f16_e32 v2, v3
	v_cvt_i32_f32_e32 v2, v2
	global_store_byte v[0:1], v2, off
.LBB66_1049:
	s_or_b64 exec, exec, s[0:1]
	s_and_b64 s[6:7], s[20:21], exec
                                        ; implicit-def: $vgpr2
.LBB66_1050:
	s_or_saveexec_b64 s[14:15], s[14:15]
	s_mov_b64 s[0:1], 0
                                        ; implicit-def: $sgpr20
                                        ; implicit-def: $vgpr0_vgpr1
                                        ; implicit-def: $vgpr3
	s_xor_b64 exec, exec, s[14:15]
	s_cbranch_execz .LBB66_2022
; %bb.1051:
	s_waitcnt vmcnt(0)
	v_mul_lo_u32 v3, s13, v2
	v_mov_b32_e32 v1, s11
	s_and_b32 s22, 0xffff, s42
	s_cmp_lt_i32 s22, 11
	v_ashrrev_i32_e32 v4, 31, v3
	v_add_co_u32_e32 v0, vcc, s10, v3
	v_addc_co_u32_e32 v1, vcc, v1, v4, vcc
	s_cbranch_scc1 .LBB66_1058
; %bb.1052:
	s_cmp_gt_i32 s22, 25
	s_mov_b64 s[2:3], 0
	s_cbranch_scc0 .LBB66_1060
; %bb.1053:
	s_cmp_gt_i32 s22, 28
	s_cbranch_scc0 .LBB66_1061
; %bb.1054:
	s_cmp_gt_i32 s22, 43
	s_cbranch_scc0 .LBB66_1062
; %bb.1055:
	s_cmp_gt_i32 s22, 45
	s_cbranch_scc0 .LBB66_1063
; %bb.1056:
	s_cmp_eq_u32 s22, 46
	s_cbranch_scc0 .LBB66_1066
; %bb.1057:
	global_load_dword v4, v[0:1], off
	s_mov_b64 s[4:5], -1
	s_waitcnt vmcnt(0)
	v_lshlrev_b32_e32 v4, 16, v4
	v_cvt_f16_f32_e32 v4, v4
	s_branch .LBB66_1067
.LBB66_1058:
	s_mov_b64 s[4:5], 0
                                        ; implicit-def: $vgpr4
	s_mov_b64 s[18:19], s[6:7]
	s_cbranch_execnz .LBB66_1130
.LBB66_1059:
	s_andn2_b64 vcc, exec, s[4:5]
	s_cbranch_vccz .LBB66_1175
	s_branch .LBB66_2020
.LBB66_1060:
	s_mov_b64 s[4:5], 0
                                        ; implicit-def: $vgpr4
	s_cbranch_execnz .LBB66_1095
	s_branch .LBB66_1126
.LBB66_1061:
	s_mov_b64 s[16:17], -1
	s_mov_b64 s[4:5], 0
                                        ; implicit-def: $vgpr4
	s_branch .LBB66_1076
.LBB66_1062:
	s_mov_b64 s[4:5], 0
                                        ; implicit-def: $vgpr4
	s_cbranch_execnz .LBB66_1072
	s_branch .LBB66_1075
.LBB66_1063:
	s_mov_b64 s[16:17], -1
	s_mov_b64 s[4:5], 0
                                        ; implicit-def: $vgpr4
	s_branch .LBB66_1067
.LBB66_1064:
	s_andn2_saveexec_b64 s[22:23], s[22:23]
	s_cbranch_execz .LBB66_963
.LBB66_1065:
	s_mov_b32 s24, 0x46000000
	v_add_f32_e64 v4, |v2|, s24
	v_and_b32_e32 v4, 0xff, v4
	v_cmp_ne_u32_e32 vcc, 0, v4
	s_andn2_b64 s[4:5], s[4:5], exec
	s_and_b64 s[24:25], vcc, exec
	s_or_b64 s[4:5], s[4:5], s[24:25]
	s_or_b64 exec, exec, s[22:23]
	v_mov_b32_e32 v5, 0
	s_and_saveexec_b64 s[22:23], s[4:5]
	s_cbranch_execnz .LBB66_964
	s_branch .LBB66_965
.LBB66_1066:
	s_mov_b64 s[0:1], -1
                                        ; implicit-def: $vgpr4
	s_mov_b64 s[4:5], 0
.LBB66_1067:
	s_and_b64 vcc, exec, s[16:17]
	s_cbranch_vccz .LBB66_1070
; %bb.1068:
	s_cmp_eq_u32 s22, 44
	s_cbranch_scc0 .LBB66_1071
; %bb.1069:
	global_load_ubyte v4, v[0:1], off
	s_movk_i32 s4, 0xff
	v_mov_b32_e32 v6, 0x7e00
	s_mov_b64 s[0:1], 0
	s_waitcnt vmcnt(0)
	v_lshlrev_b32_e32 v5, 23, v4
	v_cvt_f16_f32_e32 v5, v5
	v_cmp_ne_u32_e32 vcc, s4, v4
	s_mov_b64 s[4:5], -1
	v_cndmask_b32_e32 v5, v6, v5, vcc
	v_cmp_ne_u32_e32 vcc, 0, v4
	v_cndmask_b32_e32 v4, 0, v5, vcc
.LBB66_1070:
	s_branch .LBB66_1075
.LBB66_1071:
	s_mov_b64 s[0:1], -1
                                        ; implicit-def: $vgpr4
	s_branch .LBB66_1075
.LBB66_1072:
	s_cmp_eq_u32 s22, 29
	s_cbranch_scc0 .LBB66_1074
; %bb.1073:
	global_load_dwordx2 v[4:5], v[0:1], off
	s_mov_b64 s[0:1], 0
	s_mov_b64 s[4:5], -1
	s_mov_b64 s[16:17], 0
	s_waitcnt vmcnt(0)
	v_ffbh_u32_e32 v6, v5
	v_min_u32_e32 v6, 32, v6
	v_lshlrev_b64 v[4:5], v6, v[4:5]
	v_min_u32_e32 v4, 1, v4
	v_or_b32_e32 v4, v5, v4
	v_cvt_f32_u32_e32 v4, v4
	v_sub_u32_e32 v5, 32, v6
	v_ldexp_f32 v4, v4, v5
	v_cvt_f16_f32_e32 v4, v4
	s_branch .LBB66_1076
.LBB66_1074:
	s_mov_b64 s[0:1], -1
                                        ; implicit-def: $vgpr4
.LBB66_1075:
	s_mov_b64 s[16:17], 0
.LBB66_1076:
	s_and_b64 vcc, exec, s[16:17]
	s_cbranch_vccz .LBB66_1094
; %bb.1077:
	s_cmp_lt_i32 s22, 27
	s_cbranch_scc1 .LBB66_1080
; %bb.1078:
	s_cmp_gt_i32 s22, 27
	s_cbranch_scc0 .LBB66_1081
; %bb.1079:
	global_load_dword v4, v[0:1], off
	s_mov_b64 s[4:5], 0
	s_waitcnt vmcnt(0)
	v_cvt_f32_u32_e32 v4, v4
	v_cvt_f16_f32_e32 v4, v4
	s_branch .LBB66_1082
.LBB66_1080:
	s_mov_b64 s[4:5], -1
                                        ; implicit-def: $vgpr4
	s_branch .LBB66_1085
.LBB66_1081:
	s_mov_b64 s[4:5], -1
                                        ; implicit-def: $vgpr4
.LBB66_1082:
	s_andn2_b64 vcc, exec, s[4:5]
	s_cbranch_vccnz .LBB66_1084
; %bb.1083:
	global_load_ushort v4, v[0:1], off
	s_waitcnt vmcnt(0)
	v_cvt_f16_u16_e32 v4, v4
.LBB66_1084:
	s_mov_b64 s[4:5], 0
.LBB66_1085:
	s_andn2_b64 vcc, exec, s[4:5]
	s_cbranch_vccnz .LBB66_1093
; %bb.1086:
	global_load_ubyte v5, v[0:1], off
	s_movk_i32 s4, 0x7f
	s_waitcnt vmcnt(0)
	v_cmp_lt_i16_e32 vcc, s4, v5
	s_mov_b64 s[4:5], 0
	s_and_saveexec_b64 s[16:17], vcc
	s_xor_b64 s[16:17], exec, s[16:17]
	s_cbranch_execz .LBB66_1106
; %bb.1087:
	s_movk_i32 s4, 0x80
	v_cmp_eq_u16_e32 vcc, s4, v5
	s_mov_b64 s[4:5], -1
	s_and_saveexec_b64 s[18:19], vcc
; %bb.1088:
	s_xor_b64 s[4:5], exec, -1
; %bb.1089:
	s_or_b64 exec, exec, s[18:19]
	s_and_b64 s[4:5], s[4:5], exec
	s_or_saveexec_b64 s[16:17], s[16:17]
	v_mov_b32_e32 v4, 0x7e00
	s_xor_b64 exec, exec, s[16:17]
	s_cbranch_execnz .LBB66_1107
.LBB66_1090:
	s_or_b64 exec, exec, s[16:17]
	s_and_saveexec_b64 s[16:17], s[4:5]
	s_cbranch_execz .LBB66_1092
.LBB66_1091:
	v_lshlrev_b32_e32 v4, 24, v5
	v_and_b32_e32 v5, 0xffff, v5
	v_and_b32_e32 v6, 7, v5
	v_ffbh_u32_e32 v8, v6
	v_min_u32_e32 v8, 32, v8
	v_subrev_u32_e32 v9, 28, v8
	v_bfe_u32 v7, v5, 3, 4
	v_lshlrev_b32_e32 v5, v9, v5
	v_sub_u32_e32 v8, 29, v8
	v_and_b32_e32 v5, 7, v5
	v_cmp_eq_u32_e32 vcc, 0, v7
	v_cndmask_b32_e32 v7, v7, v8, vcc
	v_cndmask_b32_e32 v5, v6, v5, vcc
	v_mov_b32_e32 v6, 0x3b800000
	v_lshlrev_b32_e32 v5, 20, v5
	v_and_b32_e32 v4, 0x80000000, v4
	v_lshl_add_u32 v6, v7, 23, v6
	v_or3_b32 v4, v4, v6, v5
	v_cvt_f16_f32_e32 v4, v4
.LBB66_1092:
	s_or_b64 exec, exec, s[16:17]
.LBB66_1093:
	s_mov_b64 s[4:5], -1
.LBB66_1094:
	s_branch .LBB66_1126
.LBB66_1095:
	s_cmp_gt_i32 s22, 22
	s_cbranch_scc0 .LBB66_1105
; %bb.1096:
	s_cmp_lt_i32 s22, 24
	s_cbranch_scc1 .LBB66_1108
; %bb.1097:
	s_cmp_gt_i32 s22, 24
	s_cbranch_scc0 .LBB66_1109
; %bb.1098:
	global_load_ubyte v5, v[0:1], off
	s_movk_i32 s2, 0x7f
	s_waitcnt vmcnt(0)
	v_cmp_lt_i16_e32 vcc, s2, v5
	s_mov_b64 s[2:3], 0
	s_and_saveexec_b64 s[4:5], vcc
	s_xor_b64 s[4:5], exec, s[4:5]
	s_cbranch_execz .LBB66_1120
; %bb.1099:
	s_movk_i32 s2, 0x80
	v_cmp_eq_u16_e32 vcc, s2, v5
	s_mov_b64 s[2:3], -1
	s_and_saveexec_b64 s[16:17], vcc
; %bb.1100:
	s_xor_b64 s[2:3], exec, -1
; %bb.1101:
	s_or_b64 exec, exec, s[16:17]
	s_and_b64 s[2:3], s[2:3], exec
	s_or_saveexec_b64 s[4:5], s[4:5]
	v_mov_b32_e32 v4, 0x7e00
	s_xor_b64 exec, exec, s[4:5]
	s_cbranch_execnz .LBB66_1121
.LBB66_1102:
	s_or_b64 exec, exec, s[4:5]
	s_and_saveexec_b64 s[4:5], s[2:3]
	s_cbranch_execz .LBB66_1104
.LBB66_1103:
	v_lshlrev_b32_e32 v4, 24, v5
	v_and_b32_e32 v5, 0xffff, v5
	v_and_b32_e32 v6, 3, v5
	v_ffbh_u32_e32 v8, v6
	v_min_u32_e32 v8, 32, v8
	v_subrev_u32_e32 v9, 29, v8
	v_bfe_u32 v7, v5, 2, 5
	v_lshlrev_b32_e32 v5, v9, v5
	v_sub_u32_e32 v8, 30, v8
	v_and_b32_e32 v5, 3, v5
	v_cmp_eq_u32_e32 vcc, 0, v7
	v_cndmask_b32_e32 v7, v7, v8, vcc
	v_cndmask_b32_e32 v5, v6, v5, vcc
	v_mov_b32_e32 v6, 0x37800000
	v_lshlrev_b32_e32 v5, 21, v5
	v_and_b32_e32 v4, 0x80000000, v4
	v_lshl_add_u32 v6, v7, 23, v6
	v_or3_b32 v4, v4, v6, v5
	v_cvt_f16_f32_e32 v4, v4
.LBB66_1104:
	s_or_b64 exec, exec, s[4:5]
	s_mov_b64 s[2:3], 0
	s_branch .LBB66_1110
.LBB66_1105:
                                        ; implicit-def: $vgpr4
	s_mov_b64 s[2:3], 0
	s_branch .LBB66_1116
.LBB66_1106:
	s_or_saveexec_b64 s[16:17], s[16:17]
	v_mov_b32_e32 v4, 0x7e00
	s_xor_b64 exec, exec, s[16:17]
	s_cbranch_execz .LBB66_1090
.LBB66_1107:
	v_cmp_ne_u16_e32 vcc, 0, v5
	s_andn2_b64 s[4:5], s[4:5], exec
	s_and_b64 s[18:19], vcc, exec
	s_or_b64 s[4:5], s[4:5], s[18:19]
	v_mov_b32_e32 v4, v5
	s_or_b64 exec, exec, s[16:17]
	s_and_saveexec_b64 s[16:17], s[4:5]
	s_cbranch_execnz .LBB66_1091
	s_branch .LBB66_1092
.LBB66_1108:
	s_mov_b64 s[2:3], -1
                                        ; implicit-def: $vgpr4
	s_branch .LBB66_1113
.LBB66_1109:
	s_mov_b64 s[2:3], -1
                                        ; implicit-def: $vgpr4
.LBB66_1110:
	s_and_b64 vcc, exec, s[2:3]
	s_cbranch_vccz .LBB66_1112
; %bb.1111:
	global_load_ubyte v4, v[0:1], off
	s_mov_b32 s2, 0x7f800000
	s_waitcnt vmcnt(0)
	v_lshlrev_b32_e32 v4, 24, v4
	v_and_b32_e32 v5, 0x7f000000, v4
	v_ffbh_u32_e32 v6, v5
	v_min_u32_e32 v6, 32, v6
	v_sub_u32_e64 v6, v6, 4 clamp
	v_lshlrev_b32_e32 v8, v6, v5
	v_lshlrev_b32_e32 v6, 23, v6
	v_lshrrev_b32_e32 v8, 4, v8
	v_add_u32_e32 v7, 0x1000000, v5
	v_sub_u32_e32 v6, v8, v6
	v_ashrrev_i32_e32 v7, 8, v7
	v_add_u32_e32 v6, 0x3c000000, v6
	v_and_or_b32 v6, v7, s2, v6
	v_cmp_ne_u32_e32 vcc, 0, v5
	v_cndmask_b32_e32 v5, 0, v6, vcc
	s_brev_b32 s2, 1
	v_and_or_b32 v4, v4, s2, v5
	v_cvt_f16_f32_e32 v4, v4
.LBB66_1112:
	s_mov_b64 s[2:3], 0
.LBB66_1113:
	s_andn2_b64 vcc, exec, s[2:3]
	s_cbranch_vccnz .LBB66_1115
; %bb.1114:
	global_load_ubyte v4, v[0:1], off
	s_movk_i32 s2, 0x7f00
	s_brev_b32 s3, 16
	s_waitcnt vmcnt(0)
	v_lshlrev_b16_e32 v5, 8, v4
	v_lshlrev_b32_e32 v4, 25, v4
	v_lshrrev_b32_e32 v6, 4, v4
	v_and_or_b32 v7, v5, s2, 0.5
	v_or_b32_e32 v6, 0x70000000, v6
	v_add_f32_e32 v7, -0.5, v7
	v_mul_f32_e32 v6, 0x7800000, v6
	v_cmp_gt_u32_e32 vcc, s3, v4
	v_bfe_i32 v5, v5, 0, 16
	v_cndmask_b32_e32 v4, v6, v7, vcc
	s_brev_b32 s2, 1
	v_and_or_b32 v4, v5, s2, v4
	v_cvt_f16_f32_e32 v4, v4
.LBB66_1115:
	s_mov_b64 s[4:5], -1
	s_mov_b64 s[2:3], 0
	s_cbranch_execnz .LBB66_1126
.LBB66_1116:
	s_cmp_gt_i32 s22, 14
	s_cbranch_scc0 .LBB66_1119
; %bb.1117:
	s_cmp_eq_u32 s22, 15
	s_cbranch_scc0 .LBB66_1122
; %bb.1118:
	global_load_ushort v4, v[0:1], off
	s_mov_b64 s[0:1], 0
	s_mov_b64 s[4:5], -1
	s_waitcnt vmcnt(0)
	v_lshlrev_b32_e32 v4, 16, v4
	v_cvt_f16_f32_e32 v4, v4
	s_branch .LBB66_1123
.LBB66_1119:
	s_mov_b64 s[16:17], -1
                                        ; implicit-def: $vgpr4
	s_branch .LBB66_1124
.LBB66_1120:
	s_or_saveexec_b64 s[4:5], s[4:5]
	v_mov_b32_e32 v4, 0x7e00
	s_xor_b64 exec, exec, s[4:5]
	s_cbranch_execz .LBB66_1102
.LBB66_1121:
	v_cmp_ne_u16_e32 vcc, 0, v5
	s_andn2_b64 s[2:3], s[2:3], exec
	s_and_b64 s[16:17], vcc, exec
	s_or_b64 s[2:3], s[2:3], s[16:17]
	v_mov_b32_e32 v4, v5
	s_or_b64 exec, exec, s[4:5]
	s_and_saveexec_b64 s[4:5], s[2:3]
	s_cbranch_execnz .LBB66_1103
	s_branch .LBB66_1104
.LBB66_1122:
	s_mov_b64 s[0:1], -1
                                        ; implicit-def: $vgpr4
.LBB66_1123:
	s_mov_b64 s[16:17], 0
.LBB66_1124:
	s_and_b64 vcc, exec, s[16:17]
	s_cbranch_vccz .LBB66_1126
; %bb.1125:
	s_cmp_lg_u32 s22, 11
	s_mov_b64 s[2:3], -1
	s_cselect_b64 s[0:1], -1, 0
.LBB66_1126:
	s_and_b64 vcc, exec, s[0:1]
	s_mov_b64 s[18:19], s[6:7]
	s_cbranch_vccnz .LBB66_1193
; %bb.1127:
	s_andn2_b64 vcc, exec, s[2:3]
	s_cbranch_vccnz .LBB66_1129
.LBB66_1128:
	global_load_ubyte v4, v[0:1], off
	v_mov_b32_e32 v5, 0x3c00
	s_mov_b64 s[4:5], -1
	s_waitcnt vmcnt(0)
	v_cmp_ne_u16_e32 vcc, 0, v4
	v_cndmask_b32_e32 v4, 0, v5, vcc
.LBB66_1129:
	s_branch .LBB66_1059
.LBB66_1130:
	s_cmp_lt_i32 s22, 5
	s_cbranch_scc1 .LBB66_1135
; %bb.1131:
	s_cmp_lt_i32 s22, 8
	s_cbranch_scc1 .LBB66_1136
; %bb.1132:
	;; [unrolled: 3-line block ×3, first 2 shown]
	s_cmp_gt_i32 s22, 9
	s_cbranch_scc0 .LBB66_1138
; %bb.1134:
	global_load_dwordx2 v[4:5], v[0:1], off
	s_movk_i32 s0, 0x1ff
	s_movk_i32 s1, 0xffe
	v_mov_b32_e32 v6, 0x7c00
	v_mov_b32_e32 v7, 0x7e00
	s_movk_i32 s2, 0x40f
	s_mov_b32 s3, 0x8000
	s_waitcnt vmcnt(0)
	v_and_or_b32 v4, v5, s0, v4
	v_cmp_ne_u32_e32 vcc, 0, v4
	v_lshrrev_b32_e32 v8, 8, v5
	v_bfe_u32 v9, v5, 20, 11
	v_cndmask_b32_e64 v4, 0, 1, vcc
	v_sub_u32_e32 v10, 0x3f1, v9
	v_and_or_b32 v4, v8, s1, v4
	v_add_u32_e32 v9, 0xfffffc10, v9
	v_med3_i32 v8, v10, 0, 13
	v_or_b32_e32 v10, 0x1000, v4
	v_cmp_ne_u32_e32 vcc, 0, v4
	v_lshl_or_b32 v11, v9, 12, v4
	v_cndmask_b32_e32 v4, v6, v7, vcc
	v_lshrrev_b32_e32 v7, v8, v10
	v_lshlrev_b32_e32 v8, v8, v7
	v_cmp_ne_u32_e32 vcc, v8, v10
	v_cndmask_b32_e64 v8, 0, 1, vcc
	v_or_b32_e32 v7, v7, v8
	v_cmp_gt_i32_e32 vcc, 1, v9
	v_cndmask_b32_e32 v7, v11, v7, vcc
	v_and_b32_e32 v8, 7, v7
	v_cmp_lt_i32_e32 vcc, 5, v8
	v_cndmask_b32_e64 v10, 0, 1, vcc
	v_cmp_eq_u32_e32 vcc, 3, v8
	v_cndmask_b32_e64 v8, 0, 1, vcc
	v_lshrrev_b32_e32 v7, 2, v7
	v_or_b32_e32 v8, v8, v10
	v_add_u32_e32 v7, v7, v8
	v_cmp_gt_i32_e32 vcc, 31, v9
	v_cndmask_b32_e32 v6, v6, v7, vcc
	v_cmp_eq_u32_e32 vcc, s2, v9
	v_lshrrev_b32_e32 v5, 16, v5
	v_cndmask_b32_e32 v4, v6, v4, vcc
	v_and_or_b32 v4, v5, s3, v4
	s_mov_b64 s[0:1], 0
	s_branch .LBB66_1139
.LBB66_1135:
                                        ; implicit-def: $vgpr4
	s_branch .LBB66_1156
.LBB66_1136:
                                        ; implicit-def: $vgpr4
	s_branch .LBB66_1145
.LBB66_1137:
	s_mov_b64 s[0:1], -1
                                        ; implicit-def: $vgpr4
	s_branch .LBB66_1142
.LBB66_1138:
	s_mov_b64 s[0:1], -1
                                        ; implicit-def: $vgpr4
.LBB66_1139:
	s_andn2_b64 vcc, exec, s[0:1]
	s_cbranch_vccnz .LBB66_1141
; %bb.1140:
	global_load_dword v4, v[0:1], off
	s_waitcnt vmcnt(0)
	v_cvt_f16_f32_e32 v4, v4
.LBB66_1141:
	s_mov_b64 s[0:1], 0
.LBB66_1142:
	s_andn2_b64 vcc, exec, s[0:1]
	s_cbranch_vccnz .LBB66_1144
; %bb.1143:
	global_load_dword v4, v[0:1], off
.LBB66_1144:
	s_cbranch_execnz .LBB66_1155
.LBB66_1145:
	s_cmp_lt_i32 s22, 6
	s_cbranch_scc1 .LBB66_1148
; %bb.1146:
	s_cmp_gt_i32 s22, 6
	s_cbranch_scc0 .LBB66_1149
; %bb.1147:
	global_load_dwordx2 v[4:5], v[0:1], off
	s_movk_i32 s0, 0x1ff
	s_movk_i32 s1, 0xffe
	v_mov_b32_e32 v6, 0x7c00
	v_mov_b32_e32 v7, 0x7e00
	s_movk_i32 s2, 0x40f
	s_mov_b32 s3, 0x8000
	s_waitcnt vmcnt(0)
	v_and_or_b32 v4, v5, s0, v4
	v_cmp_ne_u32_e32 vcc, 0, v4
	v_lshrrev_b32_e32 v8, 8, v5
	v_bfe_u32 v9, v5, 20, 11
	v_cndmask_b32_e64 v4, 0, 1, vcc
	v_sub_u32_e32 v10, 0x3f1, v9
	v_and_or_b32 v4, v8, s1, v4
	v_add_u32_e32 v9, 0xfffffc10, v9
	v_med3_i32 v8, v10, 0, 13
	v_or_b32_e32 v10, 0x1000, v4
	v_cmp_ne_u32_e32 vcc, 0, v4
	v_lshl_or_b32 v11, v9, 12, v4
	v_cndmask_b32_e32 v4, v6, v7, vcc
	v_lshrrev_b32_e32 v7, v8, v10
	v_lshlrev_b32_e32 v8, v8, v7
	v_cmp_ne_u32_e32 vcc, v8, v10
	v_cndmask_b32_e64 v8, 0, 1, vcc
	v_or_b32_e32 v7, v7, v8
	v_cmp_gt_i32_e32 vcc, 1, v9
	v_cndmask_b32_e32 v7, v11, v7, vcc
	v_and_b32_e32 v8, 7, v7
	v_cmp_lt_i32_e32 vcc, 5, v8
	v_cndmask_b32_e64 v10, 0, 1, vcc
	v_cmp_eq_u32_e32 vcc, 3, v8
	v_cndmask_b32_e64 v8, 0, 1, vcc
	v_lshrrev_b32_e32 v7, 2, v7
	v_or_b32_e32 v8, v8, v10
	v_add_u32_e32 v7, v7, v8
	v_cmp_gt_i32_e32 vcc, 31, v9
	v_cndmask_b32_e32 v6, v6, v7, vcc
	v_cmp_eq_u32_e32 vcc, s2, v9
	v_lshrrev_b32_e32 v5, 16, v5
	v_cndmask_b32_e32 v4, v6, v4, vcc
	v_and_or_b32 v4, v5, s3, v4
	s_mov_b64 s[0:1], 0
	s_branch .LBB66_1150
.LBB66_1148:
	s_mov_b64 s[0:1], -1
                                        ; implicit-def: $vgpr4
	s_branch .LBB66_1153
.LBB66_1149:
	s_mov_b64 s[0:1], -1
                                        ; implicit-def: $vgpr4
.LBB66_1150:
	s_andn2_b64 vcc, exec, s[0:1]
	s_cbranch_vccnz .LBB66_1152
; %bb.1151:
	global_load_dword v4, v[0:1], off
	s_waitcnt vmcnt(0)
	v_cvt_f16_f32_e32 v4, v4
.LBB66_1152:
	s_mov_b64 s[0:1], 0
.LBB66_1153:
	s_andn2_b64 vcc, exec, s[0:1]
	s_cbranch_vccnz .LBB66_1155
; %bb.1154:
	global_load_ushort v4, v[0:1], off
.LBB66_1155:
	s_cbranch_execnz .LBB66_1174
.LBB66_1156:
	s_cmp_lt_i32 s22, 2
	s_cbranch_scc1 .LBB66_1160
; %bb.1157:
	s_cmp_lt_i32 s22, 3
	s_cbranch_scc1 .LBB66_1161
; %bb.1158:
	s_cmp_gt_i32 s22, 3
	s_cbranch_scc0 .LBB66_1162
; %bb.1159:
	global_load_dwordx2 v[4:5], v[0:1], off
	s_mov_b64 s[0:1], 0
	s_waitcnt vmcnt(0)
	v_xor_b32_e32 v7, v4, v5
	v_ffbh_i32_e32 v6, v5
	v_ashrrev_i32_e32 v7, 31, v7
	v_add_u32_e32 v6, -1, v6
	v_add_u32_e32 v7, 32, v7
	v_min_u32_e32 v6, v6, v7
	v_lshlrev_b64 v[4:5], v6, v[4:5]
	v_min_u32_e32 v4, 1, v4
	v_or_b32_e32 v4, v5, v4
	v_cvt_f32_i32_e32 v4, v4
	v_sub_u32_e32 v5, 32, v6
	v_ldexp_f32 v4, v4, v5
	v_cvt_f16_f32_e32 v4, v4
	s_branch .LBB66_1163
.LBB66_1160:
                                        ; implicit-def: $vgpr4
	s_branch .LBB66_1169
.LBB66_1161:
	s_mov_b64 s[0:1], -1
                                        ; implicit-def: $vgpr4
	s_branch .LBB66_1166
.LBB66_1162:
	s_mov_b64 s[0:1], -1
                                        ; implicit-def: $vgpr4
.LBB66_1163:
	s_andn2_b64 vcc, exec, s[0:1]
	s_cbranch_vccnz .LBB66_1165
; %bb.1164:
	global_load_dword v4, v[0:1], off
	s_waitcnt vmcnt(0)
	v_cvt_f32_i32_e32 v4, v4
	v_cvt_f16_f32_e32 v4, v4
.LBB66_1165:
	s_mov_b64 s[0:1], 0
.LBB66_1166:
	s_andn2_b64 vcc, exec, s[0:1]
	s_cbranch_vccnz .LBB66_1168
; %bb.1167:
	global_load_ushort v4, v[0:1], off
	s_waitcnt vmcnt(0)
	v_cvt_f16_i16_e32 v4, v4
.LBB66_1168:
	s_cbranch_execnz .LBB66_1174
.LBB66_1169:
	s_cmp_gt_i32 s22, 0
	s_cbranch_scc0 .LBB66_1171
; %bb.1170:
	global_load_sbyte v4, v[0:1], off
	s_mov_b64 s[0:1], 0
	s_waitcnt vmcnt(0)
	v_cvt_f16_i16_e32 v4, v4
	s_branch .LBB66_1172
.LBB66_1171:
	s_mov_b64 s[0:1], -1
                                        ; implicit-def: $vgpr4
.LBB66_1172:
	s_andn2_b64 vcc, exec, s[0:1]
	s_cbranch_vccnz .LBB66_1174
; %bb.1173:
	global_load_ubyte v0, v[0:1], off
	s_waitcnt vmcnt(0)
	v_cvt_f16_u16_e32 v4, v0
.LBB66_1174:
.LBB66_1175:
	s_waitcnt vmcnt(0)
	v_cvt_f32_f16_e32 v9, v4
	v_cmp_gt_f16_e32 vcc, 0.5, v4
	v_mov_b32_e32 v14, 0
	v_mov_b32_e32 v4, 1.0
	s_and_saveexec_b64 s[16:17], vcc
	s_cbranch_execz .LBB66_1181
; %bb.1176:
	v_mul_f32_e32 v0, 0x40490fdb, v9
	s_brev_b32 s0, 18
	v_and_b32_e32 v1, 0x7fffffff, v0
	v_cmp_nlt_f32_e64 s[0:1], |v0|, s0
                                        ; implicit-def: $vgpr4
                                        ; implicit-def: $vgpr5
	s_and_saveexec_b64 s[2:3], s[0:1]
	s_xor_b64 s[20:21], exec, s[2:3]
	s_cbranch_execz .LBB66_1178
; %bb.1177:
	v_and_b32_e32 v4, 0x7fffff, v1
	v_or_b32_e32 v15, 0x800000, v4
	s_mov_b32 s0, 0xfe5163ab
	v_mad_u64_u32 v[4:5], s[0:1], v15, s0, 0
	v_mov_b32_e32 v6, 0
	s_mov_b32 s0, 0x3c439041
	v_mad_u64_u32 v[7:8], s[0:1], v15, s0, v[5:6]
	s_mov_b32 s0, 0xdb629599
	v_not_b32_e32 v16, 31
	v_mov_b32_e32 v5, v8
	v_mad_u64_u32 v[10:11], s[0:1], v15, s0, v[5:6]
	s_mov_b32 s0, 0xf534ddc0
	v_not_b32_e32 v8, 63
	v_mov_b32_e32 v5, v11
	v_mad_u64_u32 v[11:12], s[0:1], v15, s0, v[5:6]
	v_lshrrev_b32_e32 v5, 23, v1
	v_add_u32_e32 v14, 0xffffff88, v5
	v_mov_b32_e32 v5, v12
	s_mov_b32 s0, 0xfc2757d1
	v_mad_u64_u32 v[12:13], s[0:1], v15, s0, v[5:6]
	v_cmp_lt_u32_e32 vcc, 63, v14
	v_cndmask_b32_e32 v5, 0, v8, vcc
	v_add_u32_e32 v8, v5, v14
	v_mov_b32_e32 v5, v13
	s_mov_b32 s0, 0x4e441529
	v_mad_u64_u32 v[13:14], s[0:1], v15, s0, v[5:6]
	v_cmp_lt_u32_e64 s[0:1], 31, v8
	v_cndmask_b32_e64 v5, 0, v16, s[0:1]
	v_add_u32_e32 v8, v5, v8
	v_mov_b32_e32 v5, v14
	s_mov_b32 s2, 0xa2f9836e
	v_mad_u64_u32 v[5:6], s[2:3], v15, s2, v[5:6]
	v_cmp_lt_u32_e64 s[2:3], 31, v8
	v_cndmask_b32_e64 v14, 0, v16, s[2:3]
	v_add_u32_e32 v8, v14, v8
	v_cndmask_b32_e32 v14, v13, v11, vcc
	v_cndmask_b32_e32 v5, v5, v12, vcc
	;; [unrolled: 1-line block ×3, first 2 shown]
	v_cndmask_b32_e64 v15, v5, v14, s[0:1]
	v_cndmask_b32_e64 v5, v6, v5, s[0:1]
	v_cndmask_b32_e32 v6, v12, v10, vcc
	v_cndmask_b32_e64 v12, v14, v6, s[0:1]
	v_cndmask_b32_e64 v5, v5, v15, s[2:3]
	;; [unrolled: 1-line block ×3, first 2 shown]
	v_sub_u32_e32 v14, 32, v8
	v_alignbit_b32 v15, v5, v13, v14
	v_cmp_eq_u32_e64 s[4:5], 0, v8
	v_cndmask_b32_e64 v8, v15, v5, s[4:5]
	v_cndmask_b32_e32 v5, v11, v7, vcc
	v_cndmask_b32_e64 v6, v6, v5, s[0:1]
	v_cndmask_b32_e64 v7, v12, v6, s[2:3]
	v_alignbit_b32 v11, v13, v7, v14
	v_cndmask_b32_e32 v4, v10, v4, vcc
	v_cndmask_b32_e64 v11, v11, v13, s[4:5]
	v_bfe_u32 v15, v8, 29, 1
	v_cndmask_b32_e64 v4, v5, v4, s[0:1]
	v_alignbit_b32 v12, v8, v11, 30
	v_sub_u32_e32 v16, 0, v15
	v_cndmask_b32_e64 v4, v6, v4, s[2:3]
	v_xor_b32_e32 v12, v12, v16
	v_alignbit_b32 v5, v7, v4, v14
	v_cndmask_b32_e64 v5, v5, v7, s[4:5]
	v_ffbh_u32_e32 v7, v12
	v_alignbit_b32 v6, v11, v5, 30
	v_min_u32_e32 v7, 32, v7
	v_alignbit_b32 v4, v5, v4, 30
	v_xor_b32_e32 v6, v6, v16
	v_sub_u32_e32 v10, 31, v7
	v_xor_b32_e32 v4, v4, v16
	v_alignbit_b32 v11, v12, v6, v10
	v_alignbit_b32 v4, v6, v4, v10
	;; [unrolled: 1-line block ×3, first 2 shown]
	v_ffbh_u32_e32 v6, v5
	v_min_u32_e32 v6, 32, v6
	v_lshrrev_b32_e32 v13, 29, v8
	v_not_b32_e32 v10, v6
	v_alignbit_b32 v4, v5, v4, v10
	v_lshlrev_b32_e32 v5, 31, v13
	v_or_b32_e32 v10, 0x33000000, v5
	v_add_lshl_u32 v6, v6, v7, 23
	v_lshrrev_b32_e32 v4, 9, v4
	v_sub_u32_e32 v6, v10, v6
	v_or_b32_e32 v5, 0.5, v5
	v_lshlrev_b32_e32 v7, 23, v7
	v_or_b32_e32 v4, v6, v4
	v_lshrrev_b32_e32 v6, 9, v11
	v_sub_u32_e32 v5, v5, v7
	v_or_b32_e32 v5, v6, v5
	s_mov_b32 s0, 0x3fc90fda
	v_mul_f32_e32 v6, 0x3fc90fda, v5
	v_fma_f32 v7, v5, s0, -v6
	v_fmac_f32_e32 v7, 0x33a22168, v5
	v_fmac_f32_e32 v7, 0x3fc90fda, v4
	v_lshrrev_b32_e32 v4, 30, v8
	v_add_f32_e32 v5, v6, v7
	v_add_u32_e32 v4, v15, v4
.LBB66_1178:
	s_andn2_saveexec_b64 s[0:1], s[20:21]
	s_cbranch_execz .LBB66_1180
; %bb.1179:
	s_mov_b32 s2, 0x3f22f983
	v_mul_f32_e64 v4, |v0|, s2
	v_rndne_f32_e32 v6, v4
	s_mov_b32 s2, 0xbfc90fda
	v_cvt_i32_f32_e32 v4, v6
	v_fma_f32 v5, v6, s2, |v0|
	v_fmac_f32_e32 v5, 0xb3a22168, v6
	v_fmac_f32_e32 v5, 0xa7c234c4, v6
.LBB66_1180:
	s_or_b64 exec, exec, s[0:1]
	v_mul_f32_e32 v6, v5, v5
	v_mov_b32_e32 v7, 0x3c0881c4
	v_fmac_f32_e32 v7, 0xb94c1982, v6
	v_mov_b32_e32 v8, 0xbe2aaa9d
	v_fmac_f32_e32 v8, v6, v7
	v_mul_f32_e32 v7, v6, v8
	v_fmac_f32_e32 v5, v5, v7
	v_mov_b32_e32 v7, 0xbab64f3b
	v_fmac_f32_e32 v7, 0x37d75334, v6
	v_mov_b32_e32 v8, 0x3d2aabf7
	;; [unrolled: 2-line block ×3, first 2 shown]
	v_fmac_f32_e32 v7, v6, v8
	v_fma_f32 v6, v6, v7, 1.0
	v_and_b32_e32 v7, 1, v4
	v_lshlrev_b32_e32 v4, 30, v4
	v_cmp_eq_u32_e32 vcc, 0, v7
	v_and_b32_e32 v4, 0x80000000, v4
	v_xor_b32_e32 v1, v1, v0
	v_cndmask_b32_e32 v5, v6, v5, vcc
	v_xor_b32_e32 v1, v1, v4
	s_movk_i32 s0, 0x1f8
	v_xor_b32_e32 v1, v1, v5
	v_mov_b32_e32 v4, 0x7fc00000
	v_cmp_class_f32_e64 vcc, v0, s0
	v_cndmask_b32_e32 v0, v4, v1, vcc
	v_mul_f32_e32 v0, v0, v0
	s_mov_b32 s2, 0xc11de9e7
	v_div_scale_f32 v1, s[0:1], v0, v0, s2
	v_div_scale_f32 v4, vcc, s2, v0, s2
	v_sub_f32_e32 v9, 1.0, v9
	v_rcp_f32_e32 v5, v1
	v_fma_f32 v6, -v1, v5, 1.0
	v_fmac_f32_e32 v5, v6, v5
	v_mul_f32_e32 v6, v4, v5
	v_fma_f32 v7, -v1, v6, v4
	v_fmac_f32_e32 v6, v7, v5
	v_fma_f32 v1, -v1, v6, v4
	v_div_fmas_f32 v1, v1, v5, v6
	v_mov_b32_e32 v4, -1.0
	v_div_fixup_f32 v0, v1, v0, s2
	v_add_f32_e32 v14, 0, v0
.LBB66_1181:
	s_or_b64 exec, exec, s[16:17]
	s_lshl_b32 s13, s13, 7
	v_add_u32_e32 v5, s13, v3
	v_ashrrev_i32_e32 v1, 31, v5
	v_mov_b32_e32 v3, s11
	v_add_co_u32_e32 v0, vcc, s10, v5
	s_cmp_lt_i32 s22, 11
	v_addc_co_u32_e32 v1, vcc, v3, v1, vcc
	s_cbranch_scc1 .LBB66_1188
; %bb.1182:
	s_cmp_gt_i32 s22, 25
	s_mov_b64 s[2:3], 0
	s_cbranch_scc0 .LBB66_1190
; %bb.1183:
	s_cmp_gt_i32 s22, 28
	s_cbranch_scc0 .LBB66_1191
; %bb.1184:
	s_cmp_gt_i32 s22, 43
	;; [unrolled: 3-line block ×3, first 2 shown]
	s_cbranch_scc0 .LBB66_1194
; %bb.1186:
	s_cmp_eq_u32 s22, 46
	s_mov_b64 s[16:17], 0
	s_cbranch_scc0 .LBB66_1197
; %bb.1187:
	global_load_dword v3, v[0:1], off
	s_mov_b64 s[0:1], 0
	s_mov_b64 s[4:5], -1
	s_waitcnt vmcnt(0)
	v_lshlrev_b32_e32 v3, 16, v3
	v_cvt_f16_f32_e32 v3, v3
	s_branch .LBB66_1198
.LBB66_1188:
	s_mov_b64 s[4:5], 0
                                        ; implicit-def: $vgpr3
	s_cbranch_execnz .LBB66_1263
.LBB66_1189:
	s_andn2_b64 vcc, exec, s[4:5]
	s_cbranch_vccnz .LBB66_2020
	s_branch .LBB66_1310
.LBB66_1190:
	s_mov_b64 s[4:5], 0
	s_mov_b64 s[0:1], 0
                                        ; implicit-def: $vgpr3
	s_cbranch_execnz .LBB66_1227
	s_branch .LBB66_1259
.LBB66_1191:
	s_mov_b64 s[16:17], -1
	s_mov_b64 s[4:5], 0
	s_mov_b64 s[0:1], 0
                                        ; implicit-def: $vgpr3
	s_branch .LBB66_1208
.LBB66_1192:
	s_mov_b64 s[16:17], -1
	s_mov_b64 s[4:5], 0
	s_mov_b64 s[0:1], 0
                                        ; implicit-def: $vgpr3
	s_branch .LBB66_1203
.LBB66_1193:
	s_or_b64 s[18:19], s[6:7], exec
	s_trap 2
	s_cbranch_execz .LBB66_1128
	s_branch .LBB66_1129
.LBB66_1194:
	s_mov_b64 s[16:17], -1
	s_mov_b64 s[4:5], 0
	s_mov_b64 s[0:1], 0
                                        ; implicit-def: $vgpr3
	s_branch .LBB66_1198
.LBB66_1195:
	s_andn2_saveexec_b64 s[24:25], s[24:25]
	s_cbranch_execz .LBB66_975
.LBB66_1196:
	s_mov_b32 s28, 0x42800000
	v_add_f32_e64 v4, |v2|, s28
	v_and_b32_e32 v4, 0xff, v4
	v_cmp_ne_u32_e32 vcc, 0, v4
	s_andn2_b64 s[22:23], s[22:23], exec
	s_and_b64 s[28:29], vcc, exec
	s_or_b64 s[22:23], s[22:23], s[28:29]
	s_or_b64 exec, exec, s[24:25]
	v_mov_b32_e32 v5, 0
	s_and_saveexec_b64 s[24:25], s[22:23]
	s_cbranch_execnz .LBB66_976
	s_branch .LBB66_977
.LBB66_1197:
	s_mov_b64 s[0:1], -1
                                        ; implicit-def: $vgpr3
	s_mov_b64 s[4:5], 0
.LBB66_1198:
	s_and_b64 vcc, exec, s[16:17]
	s_cbranch_vccz .LBB66_1202
; %bb.1199:
	s_cmp_eq_u32 s22, 44
	s_cbranch_scc0 .LBB66_1201
; %bb.1200:
	global_load_ubyte v3, v[0:1], off
	s_movk_i32 s4, 0xff
	v_mov_b32_e32 v7, 0x7e00
	s_mov_b64 s[0:1], 0
	s_waitcnt vmcnt(0)
	v_lshlrev_b32_e32 v6, 23, v3
	v_cvt_f16_f32_e32 v6, v6
	v_cmp_ne_u32_e32 vcc, s4, v3
	s_mov_b64 s[4:5], -1
	v_cndmask_b32_e32 v6, v7, v6, vcc
	v_cmp_ne_u32_e32 vcc, 0, v3
	v_cndmask_b32_e32 v3, 0, v6, vcc
	s_branch .LBB66_1202
.LBB66_1201:
	s_mov_b64 s[0:1], -1
                                        ; implicit-def: $vgpr3
.LBB66_1202:
	s_mov_b64 s[16:17], 0
.LBB66_1203:
	s_and_b64 vcc, exec, s[16:17]
	s_cbranch_vccz .LBB66_1207
; %bb.1204:
	s_cmp_eq_u32 s22, 29
	s_cbranch_scc0 .LBB66_1206
; %bb.1205:
	global_load_dwordx2 v[6:7], v[0:1], off
	s_mov_b64 s[0:1], 0
	s_mov_b64 s[4:5], -1
	s_mov_b64 s[16:17], 0
	s_waitcnt vmcnt(0)
	v_ffbh_u32_e32 v3, v7
	v_min_u32_e32 v3, 32, v3
	v_lshlrev_b64 v[6:7], v3, v[6:7]
	v_sub_u32_e32 v3, 32, v3
	v_min_u32_e32 v6, 1, v6
	v_or_b32_e32 v6, v7, v6
	v_cvt_f32_u32_e32 v6, v6
	v_ldexp_f32 v3, v6, v3
	v_cvt_f16_f32_e32 v3, v3
	s_branch .LBB66_1208
.LBB66_1206:
	s_mov_b64 s[0:1], -1
                                        ; implicit-def: $vgpr3
.LBB66_1207:
	s_mov_b64 s[16:17], 0
.LBB66_1208:
	s_and_b64 vcc, exec, s[16:17]
	s_cbranch_vccz .LBB66_1226
; %bb.1209:
	s_cmp_lt_i32 s22, 27
	s_cbranch_scc1 .LBB66_1212
; %bb.1210:
	s_cmp_gt_i32 s22, 27
	s_cbranch_scc0 .LBB66_1213
; %bb.1211:
	global_load_dword v3, v[0:1], off
	s_mov_b64 s[4:5], 0
	s_waitcnt vmcnt(0)
	v_cvt_f32_u32_e32 v3, v3
	v_cvt_f16_f32_e32 v3, v3
	s_branch .LBB66_1214
.LBB66_1212:
	s_mov_b64 s[4:5], -1
                                        ; implicit-def: $vgpr3
	s_branch .LBB66_1217
.LBB66_1213:
	s_mov_b64 s[4:5], -1
                                        ; implicit-def: $vgpr3
.LBB66_1214:
	s_andn2_b64 vcc, exec, s[4:5]
	s_cbranch_vccnz .LBB66_1216
; %bb.1215:
	global_load_ushort v3, v[0:1], off
	s_waitcnt vmcnt(0)
	v_cvt_f16_u16_e32 v3, v3
.LBB66_1216:
	s_mov_b64 s[4:5], 0
.LBB66_1217:
	s_andn2_b64 vcc, exec, s[4:5]
	s_cbranch_vccnz .LBB66_1225
; %bb.1218:
	global_load_ubyte v6, v[0:1], off
	s_movk_i32 s4, 0x7f
	s_waitcnt vmcnt(0)
	v_cmp_lt_i16_e32 vcc, s4, v6
	s_mov_b64 s[4:5], 0
	s_and_saveexec_b64 s[16:17], vcc
	s_xor_b64 s[16:17], exec, s[16:17]
	s_cbranch_execz .LBB66_1238
; %bb.1219:
	s_movk_i32 s4, 0x80
	v_cmp_eq_u16_e32 vcc, s4, v6
	s_mov_b64 s[4:5], -1
	s_and_saveexec_b64 s[20:21], vcc
; %bb.1220:
	s_xor_b64 s[4:5], exec, -1
; %bb.1221:
	s_or_b64 exec, exec, s[20:21]
	s_and_b64 s[4:5], s[4:5], exec
	s_or_saveexec_b64 s[16:17], s[16:17]
	v_mov_b32_e32 v3, 0x7e00
	s_xor_b64 exec, exec, s[16:17]
	s_cbranch_execnz .LBB66_1239
.LBB66_1222:
	s_or_b64 exec, exec, s[16:17]
	s_and_saveexec_b64 s[16:17], s[4:5]
	s_cbranch_execz .LBB66_1224
.LBB66_1223:
	v_lshlrev_b32_e32 v3, 24, v6
	v_and_b32_e32 v6, 0xffff, v6
	v_and_b32_e32 v7, 7, v6
	v_ffbh_u32_e32 v10, v7
	v_min_u32_e32 v10, 32, v10
	v_subrev_u32_e32 v11, 28, v10
	v_bfe_u32 v8, v6, 3, 4
	v_lshlrev_b32_e32 v6, v11, v6
	v_sub_u32_e32 v10, 29, v10
	v_and_b32_e32 v6, 7, v6
	v_cmp_eq_u32_e32 vcc, 0, v8
	v_cndmask_b32_e32 v8, v8, v10, vcc
	v_cndmask_b32_e32 v6, v7, v6, vcc
	v_mov_b32_e32 v7, 0x3b800000
	v_lshlrev_b32_e32 v6, 20, v6
	v_and_b32_e32 v3, 0x80000000, v3
	v_lshl_add_u32 v7, v8, 23, v7
	v_or3_b32 v3, v3, v7, v6
	v_cvt_f16_f32_e32 v3, v3
.LBB66_1224:
	s_or_b64 exec, exec, s[16:17]
.LBB66_1225:
	s_mov_b64 s[4:5], -1
.LBB66_1226:
	s_branch .LBB66_1259
.LBB66_1227:
	s_cmp_gt_i32 s22, 22
	s_cbranch_scc0 .LBB66_1237
; %bb.1228:
	s_cmp_lt_i32 s22, 24
	s_cbranch_scc1 .LBB66_1240
; %bb.1229:
	s_cmp_gt_i32 s22, 24
	s_cbranch_scc0 .LBB66_1241
; %bb.1230:
	global_load_ubyte v6, v[0:1], off
	s_movk_i32 s2, 0x7f
	s_waitcnt vmcnt(0)
	v_cmp_lt_i16_e32 vcc, s2, v6
	s_mov_b64 s[2:3], 0
	s_and_saveexec_b64 s[4:5], vcc
	s_xor_b64 s[4:5], exec, s[4:5]
	s_cbranch_execz .LBB66_1253
; %bb.1231:
	s_movk_i32 s2, 0x80
	v_cmp_eq_u16_e32 vcc, s2, v6
	s_mov_b64 s[2:3], -1
	s_and_saveexec_b64 s[16:17], vcc
; %bb.1232:
	s_xor_b64 s[2:3], exec, -1
; %bb.1233:
	s_or_b64 exec, exec, s[16:17]
	s_and_b64 s[2:3], s[2:3], exec
	s_or_saveexec_b64 s[4:5], s[4:5]
	v_mov_b32_e32 v3, 0x7e00
	s_xor_b64 exec, exec, s[4:5]
	s_cbranch_execnz .LBB66_1254
.LBB66_1234:
	s_or_b64 exec, exec, s[4:5]
	s_and_saveexec_b64 s[4:5], s[2:3]
	s_cbranch_execz .LBB66_1236
.LBB66_1235:
	v_lshlrev_b32_e32 v3, 24, v6
	v_and_b32_e32 v6, 0xffff, v6
	v_and_b32_e32 v7, 3, v6
	v_ffbh_u32_e32 v10, v7
	v_min_u32_e32 v10, 32, v10
	v_subrev_u32_e32 v11, 29, v10
	v_bfe_u32 v8, v6, 2, 5
	v_lshlrev_b32_e32 v6, v11, v6
	v_sub_u32_e32 v10, 30, v10
	v_and_b32_e32 v6, 3, v6
	v_cmp_eq_u32_e32 vcc, 0, v8
	v_cndmask_b32_e32 v8, v8, v10, vcc
	v_cndmask_b32_e32 v6, v7, v6, vcc
	v_mov_b32_e32 v7, 0x37800000
	v_lshlrev_b32_e32 v6, 21, v6
	v_and_b32_e32 v3, 0x80000000, v3
	v_lshl_add_u32 v7, v8, 23, v7
	v_or3_b32 v3, v3, v7, v6
	v_cvt_f16_f32_e32 v3, v3
.LBB66_1236:
	s_or_b64 exec, exec, s[4:5]
	s_mov_b64 s[2:3], 0
	s_branch .LBB66_1242
.LBB66_1237:
	s_mov_b64 s[2:3], -1
                                        ; implicit-def: $vgpr3
	s_branch .LBB66_1248
.LBB66_1238:
	s_or_saveexec_b64 s[16:17], s[16:17]
	v_mov_b32_e32 v3, 0x7e00
	s_xor_b64 exec, exec, s[16:17]
	s_cbranch_execz .LBB66_1222
.LBB66_1239:
	v_cmp_ne_u16_e32 vcc, 0, v6
	s_andn2_b64 s[4:5], s[4:5], exec
	s_and_b64 s[20:21], vcc, exec
	s_or_b64 s[4:5], s[4:5], s[20:21]
	v_mov_b32_e32 v3, v6
	s_or_b64 exec, exec, s[16:17]
	s_and_saveexec_b64 s[16:17], s[4:5]
	s_cbranch_execnz .LBB66_1223
	s_branch .LBB66_1224
.LBB66_1240:
	s_mov_b64 s[2:3], -1
                                        ; implicit-def: $vgpr3
	s_branch .LBB66_1245
.LBB66_1241:
	s_mov_b64 s[2:3], -1
                                        ; implicit-def: $vgpr3
.LBB66_1242:
	s_and_b64 vcc, exec, s[2:3]
	s_cbranch_vccz .LBB66_1244
; %bb.1243:
	global_load_ubyte v3, v[0:1], off
	s_mov_b32 s2, 0x7f800000
	s_waitcnt vmcnt(0)
	v_lshlrev_b32_e32 v3, 24, v3
	v_and_b32_e32 v6, 0x7f000000, v3
	v_ffbh_u32_e32 v7, v6
	v_min_u32_e32 v7, 32, v7
	v_sub_u32_e64 v7, v7, 4 clamp
	v_lshlrev_b32_e32 v10, v7, v6
	v_lshlrev_b32_e32 v7, 23, v7
	v_lshrrev_b32_e32 v10, 4, v10
	v_add_u32_e32 v8, 0x1000000, v6
	v_sub_u32_e32 v7, v10, v7
	v_ashrrev_i32_e32 v8, 8, v8
	v_add_u32_e32 v7, 0x3c000000, v7
	v_and_or_b32 v7, v8, s2, v7
	v_cmp_ne_u32_e32 vcc, 0, v6
	v_cndmask_b32_e32 v6, 0, v7, vcc
	s_brev_b32 s2, 1
	v_and_or_b32 v3, v3, s2, v6
	v_cvt_f16_f32_e32 v3, v3
.LBB66_1244:
	s_mov_b64 s[2:3], 0
.LBB66_1245:
	s_andn2_b64 vcc, exec, s[2:3]
	s_cbranch_vccnz .LBB66_1247
; %bb.1246:
	global_load_ubyte v3, v[0:1], off
	s_movk_i32 s2, 0x7f00
	s_brev_b32 s3, 16
	s_waitcnt vmcnt(0)
	v_lshlrev_b16_e32 v6, 8, v3
	v_lshlrev_b32_e32 v3, 25, v3
	v_lshrrev_b32_e32 v7, 4, v3
	v_and_or_b32 v8, v6, s2, 0.5
	v_or_b32_e32 v7, 0x70000000, v7
	v_add_f32_e32 v8, -0.5, v8
	v_mul_f32_e32 v7, 0x7800000, v7
	v_cmp_gt_u32_e32 vcc, s3, v3
	v_bfe_i32 v6, v6, 0, 16
	v_cndmask_b32_e32 v3, v7, v8, vcc
	s_brev_b32 s2, 1
	v_and_or_b32 v3, v6, s2, v3
	v_cvt_f16_f32_e32 v3, v3
.LBB66_1247:
	s_mov_b64 s[2:3], 0
	s_mov_b64 s[4:5], -1
.LBB66_1248:
	s_andn2_b64 vcc, exec, s[2:3]
	s_mov_b64 s[2:3], 0
	s_cbranch_vccnz .LBB66_1259
; %bb.1249:
	s_cmp_gt_i32 s22, 14
	s_cbranch_scc0 .LBB66_1252
; %bb.1250:
	s_cmp_eq_u32 s22, 15
	s_cbranch_scc0 .LBB66_1255
; %bb.1251:
	global_load_ushort v3, v[0:1], off
	s_mov_b64 s[0:1], 0
	s_mov_b64 s[4:5], -1
	s_waitcnt vmcnt(0)
	v_lshlrev_b32_e32 v3, 16, v3
	v_cvt_f16_f32_e32 v3, v3
	s_branch .LBB66_1256
.LBB66_1252:
	s_mov_b64 s[16:17], -1
                                        ; implicit-def: $vgpr3
	s_branch .LBB66_1257
.LBB66_1253:
	s_or_saveexec_b64 s[4:5], s[4:5]
	v_mov_b32_e32 v3, 0x7e00
	s_xor_b64 exec, exec, s[4:5]
	s_cbranch_execz .LBB66_1234
.LBB66_1254:
	v_cmp_ne_u16_e32 vcc, 0, v6
	s_andn2_b64 s[2:3], s[2:3], exec
	s_and_b64 s[16:17], vcc, exec
	s_or_b64 s[2:3], s[2:3], s[16:17]
	v_mov_b32_e32 v3, v6
	s_or_b64 exec, exec, s[4:5]
	s_and_saveexec_b64 s[4:5], s[2:3]
	s_cbranch_execnz .LBB66_1235
	s_branch .LBB66_1236
.LBB66_1255:
	s_mov_b64 s[0:1], -1
                                        ; implicit-def: $vgpr3
.LBB66_1256:
	s_mov_b64 s[16:17], 0
.LBB66_1257:
	s_and_b64 vcc, exec, s[16:17]
	s_cbranch_vccz .LBB66_1259
; %bb.1258:
	s_cmp_lg_u32 s22, 11
	s_mov_b64 s[2:3], -1
	s_cselect_b64 s[0:1], -1, 0
.LBB66_1259:
	s_and_b64 vcc, exec, s[0:1]
	s_cbranch_vccnz .LBB66_1328
; %bb.1260:
	s_andn2_b64 vcc, exec, s[2:3]
	s_cbranch_vccnz .LBB66_1262
.LBB66_1261:
	global_load_ubyte v3, v[0:1], off
	v_mov_b32_e32 v6, 0x3c00
	s_mov_b64 s[4:5], -1
	s_waitcnt vmcnt(0)
	v_cmp_ne_u16_e32 vcc, 0, v3
	v_cndmask_b32_e32 v3, 0, v6, vcc
.LBB66_1262:
	s_branch .LBB66_1189
.LBB66_1263:
	s_cmp_lt_i32 s22, 5
	s_cbranch_scc1 .LBB66_1268
; %bb.1264:
	s_cmp_lt_i32 s22, 8
	s_cbranch_scc1 .LBB66_1269
; %bb.1265:
	s_cmp_lt_i32 s22, 9
	s_cbranch_scc1 .LBB66_1270
; %bb.1266:
	s_cmp_gt_i32 s22, 9
	s_cbranch_scc0 .LBB66_1271
; %bb.1267:
	global_load_dwordx2 v[6:7], v[0:1], off
	s_movk_i32 s0, 0x1ff
	s_movk_i32 s1, 0xffe
	v_mov_b32_e32 v3, 0x7c00
	v_mov_b32_e32 v8, 0x7e00
	s_movk_i32 s2, 0x40f
	s_mov_b32 s3, 0x8000
	s_waitcnt vmcnt(0)
	v_and_or_b32 v6, v7, s0, v6
	v_cmp_ne_u32_e32 vcc, 0, v6
	v_lshrrev_b32_e32 v10, 8, v7
	v_bfe_u32 v11, v7, 20, 11
	v_cndmask_b32_e64 v6, 0, 1, vcc
	v_sub_u32_e32 v12, 0x3f1, v11
	v_and_or_b32 v6, v10, s1, v6
	v_add_u32_e32 v11, 0xfffffc10, v11
	v_med3_i32 v10, v12, 0, 13
	v_or_b32_e32 v12, 0x1000, v6
	v_cmp_ne_u32_e32 vcc, 0, v6
	v_lshl_or_b32 v13, v11, 12, v6
	v_cndmask_b32_e32 v6, v3, v8, vcc
	v_lshrrev_b32_e32 v8, v10, v12
	v_lshlrev_b32_e32 v10, v10, v8
	v_cmp_ne_u32_e32 vcc, v10, v12
	v_cndmask_b32_e64 v10, 0, 1, vcc
	v_or_b32_e32 v8, v8, v10
	v_cmp_gt_i32_e32 vcc, 1, v11
	v_cndmask_b32_e32 v8, v13, v8, vcc
	v_and_b32_e32 v10, 7, v8
	v_cmp_lt_i32_e32 vcc, 5, v10
	v_cndmask_b32_e64 v12, 0, 1, vcc
	v_cmp_eq_u32_e32 vcc, 3, v10
	v_cndmask_b32_e64 v10, 0, 1, vcc
	v_lshrrev_b32_e32 v8, 2, v8
	v_or_b32_e32 v10, v10, v12
	v_add_u32_e32 v8, v8, v10
	v_cmp_gt_i32_e32 vcc, 31, v11
	v_cndmask_b32_e32 v3, v3, v8, vcc
	v_cmp_eq_u32_e32 vcc, s2, v11
	v_lshrrev_b32_e32 v7, 16, v7
	v_cndmask_b32_e32 v3, v3, v6, vcc
	v_and_or_b32 v3, v7, s3, v3
	s_mov_b64 s[0:1], 0
	s_branch .LBB66_1272
.LBB66_1268:
                                        ; implicit-def: $vgpr3
	s_branch .LBB66_1290
.LBB66_1269:
	s_mov_b64 s[0:1], -1
                                        ; implicit-def: $vgpr3
	s_branch .LBB66_1278
.LBB66_1270:
	s_mov_b64 s[0:1], -1
                                        ; implicit-def: $vgpr3
	s_branch .LBB66_1275
.LBB66_1271:
	s_mov_b64 s[0:1], -1
                                        ; implicit-def: $vgpr3
.LBB66_1272:
	s_andn2_b64 vcc, exec, s[0:1]
	s_cbranch_vccnz .LBB66_1274
; %bb.1273:
	global_load_dword v3, v[0:1], off
	s_waitcnt vmcnt(0)
	v_cvt_f16_f32_e32 v3, v3
.LBB66_1274:
	s_mov_b64 s[0:1], 0
.LBB66_1275:
	s_andn2_b64 vcc, exec, s[0:1]
	s_cbranch_vccnz .LBB66_1277
; %bb.1276:
	global_load_dword v3, v[0:1], off
.LBB66_1277:
	s_mov_b64 s[0:1], 0
.LBB66_1278:
	s_andn2_b64 vcc, exec, s[0:1]
	s_cbranch_vccnz .LBB66_1289
; %bb.1279:
	s_cmp_lt_i32 s22, 6
	s_cbranch_scc1 .LBB66_1282
; %bb.1280:
	s_cmp_gt_i32 s22, 6
	s_cbranch_scc0 .LBB66_1283
; %bb.1281:
	global_load_dwordx2 v[6:7], v[0:1], off
	s_movk_i32 s0, 0x1ff
	s_movk_i32 s1, 0xffe
	s_waitcnt vmcnt(1)
	v_mov_b32_e32 v3, 0x7c00
	v_mov_b32_e32 v8, 0x7e00
	s_movk_i32 s2, 0x40f
	s_mov_b32 s3, 0x8000
	s_waitcnt vmcnt(0)
	v_and_or_b32 v6, v7, s0, v6
	v_cmp_ne_u32_e32 vcc, 0, v6
	v_lshrrev_b32_e32 v10, 8, v7
	v_bfe_u32 v11, v7, 20, 11
	v_cndmask_b32_e64 v6, 0, 1, vcc
	v_sub_u32_e32 v12, 0x3f1, v11
	v_and_or_b32 v6, v10, s1, v6
	v_add_u32_e32 v11, 0xfffffc10, v11
	v_med3_i32 v10, v12, 0, 13
	v_or_b32_e32 v12, 0x1000, v6
	v_cmp_ne_u32_e32 vcc, 0, v6
	v_lshl_or_b32 v13, v11, 12, v6
	v_cndmask_b32_e32 v6, v3, v8, vcc
	v_lshrrev_b32_e32 v8, v10, v12
	v_lshlrev_b32_e32 v10, v10, v8
	v_cmp_ne_u32_e32 vcc, v10, v12
	v_cndmask_b32_e64 v10, 0, 1, vcc
	v_or_b32_e32 v8, v8, v10
	v_cmp_gt_i32_e32 vcc, 1, v11
	v_cndmask_b32_e32 v8, v13, v8, vcc
	v_and_b32_e32 v10, 7, v8
	v_cmp_lt_i32_e32 vcc, 5, v10
	v_cndmask_b32_e64 v12, 0, 1, vcc
	v_cmp_eq_u32_e32 vcc, 3, v10
	v_cndmask_b32_e64 v10, 0, 1, vcc
	v_lshrrev_b32_e32 v8, 2, v8
	v_or_b32_e32 v10, v10, v12
	v_add_u32_e32 v8, v8, v10
	v_cmp_gt_i32_e32 vcc, 31, v11
	v_cndmask_b32_e32 v3, v3, v8, vcc
	v_cmp_eq_u32_e32 vcc, s2, v11
	v_lshrrev_b32_e32 v7, 16, v7
	v_cndmask_b32_e32 v3, v3, v6, vcc
	v_and_or_b32 v3, v7, s3, v3
	s_mov_b64 s[0:1], 0
	s_branch .LBB66_1284
.LBB66_1282:
	s_mov_b64 s[0:1], -1
                                        ; implicit-def: $vgpr3
	s_branch .LBB66_1287
.LBB66_1283:
	s_mov_b64 s[0:1], -1
                                        ; implicit-def: $vgpr3
.LBB66_1284:
	s_andn2_b64 vcc, exec, s[0:1]
	s_cbranch_vccnz .LBB66_1286
; %bb.1285:
	global_load_dword v3, v[0:1], off
	s_waitcnt vmcnt(0)
	v_cvt_f16_f32_e32 v3, v3
.LBB66_1286:
	s_mov_b64 s[0:1], 0
.LBB66_1287:
	s_andn2_b64 vcc, exec, s[0:1]
	s_cbranch_vccnz .LBB66_1289
; %bb.1288:
	global_load_ushort v3, v[0:1], off
.LBB66_1289:
	s_cbranch_execnz .LBB66_1309
.LBB66_1290:
	s_cmp_lt_i32 s22, 2
	s_cbranch_scc1 .LBB66_1294
; %bb.1291:
	s_cmp_lt_i32 s22, 3
	s_cbranch_scc1 .LBB66_1295
; %bb.1292:
	s_cmp_gt_i32 s22, 3
	s_cbranch_scc0 .LBB66_1296
; %bb.1293:
	global_load_dwordx2 v[6:7], v[0:1], off
	s_mov_b64 s[0:1], 0
	s_waitcnt vmcnt(0)
	v_xor_b32_e32 v8, v6, v7
	v_ffbh_i32_e32 v3, v7
	v_ashrrev_i32_e32 v8, 31, v8
	v_add_u32_e32 v3, -1, v3
	v_add_u32_e32 v8, 32, v8
	v_min_u32_e32 v3, v3, v8
	v_lshlrev_b64 v[6:7], v3, v[6:7]
	v_sub_u32_e32 v3, 32, v3
	v_min_u32_e32 v6, 1, v6
	v_or_b32_e32 v6, v7, v6
	v_cvt_f32_i32_e32 v6, v6
	v_ldexp_f32 v3, v6, v3
	v_cvt_f16_f32_e32 v3, v3
	s_branch .LBB66_1297
.LBB66_1294:
	s_mov_b64 s[0:1], -1
                                        ; implicit-def: $vgpr3
	s_branch .LBB66_1303
.LBB66_1295:
	s_mov_b64 s[0:1], -1
                                        ; implicit-def: $vgpr3
	s_branch .LBB66_1300
.LBB66_1296:
	s_mov_b64 s[0:1], -1
                                        ; implicit-def: $vgpr3
.LBB66_1297:
	s_andn2_b64 vcc, exec, s[0:1]
	s_cbranch_vccnz .LBB66_1299
; %bb.1298:
	global_load_dword v3, v[0:1], off
	s_waitcnt vmcnt(0)
	v_cvt_f32_i32_e32 v3, v3
	v_cvt_f16_f32_e32 v3, v3
.LBB66_1299:
	s_mov_b64 s[0:1], 0
.LBB66_1300:
	s_andn2_b64 vcc, exec, s[0:1]
	s_cbranch_vccnz .LBB66_1302
; %bb.1301:
	global_load_ushort v3, v[0:1], off
	s_waitcnt vmcnt(0)
	v_cvt_f16_i16_e32 v3, v3
.LBB66_1302:
	s_mov_b64 s[0:1], 0
.LBB66_1303:
	s_andn2_b64 vcc, exec, s[0:1]
	s_cbranch_vccnz .LBB66_1309
; %bb.1304:
	s_cmp_gt_i32 s22, 0
	s_cbranch_scc0 .LBB66_1306
; %bb.1305:
	global_load_sbyte v3, v[0:1], off
	s_mov_b64 s[0:1], 0
	s_waitcnt vmcnt(0)
	v_cvt_f16_i16_e32 v3, v3
	s_branch .LBB66_1307
.LBB66_1306:
	s_mov_b64 s[0:1], -1
                                        ; implicit-def: $vgpr3
.LBB66_1307:
	s_andn2_b64 vcc, exec, s[0:1]
	s_cbranch_vccnz .LBB66_1309
; %bb.1308:
	global_load_ubyte v0, v[0:1], off
	s_waitcnt vmcnt(0)
	v_cvt_f16_u16_e32 v3, v0
.LBB66_1309:
.LBB66_1310:
	s_waitcnt vmcnt(0)
	v_cvt_f32_f16_e32 v8, v3
	v_cmp_gt_f16_e32 vcc, 0.5, v3
	v_mov_b32_e32 v13, 0
	v_mov_b32_e32 v3, 1.0
	s_and_saveexec_b64 s[16:17], vcc
	s_cbranch_execz .LBB66_1316
; %bb.1311:
	v_mul_f32_e32 v0, 0x40490fdb, v8
	s_brev_b32 s0, 18
	v_and_b32_e32 v1, 0x7fffffff, v0
	v_cmp_nlt_f32_e64 s[0:1], |v0|, s0
                                        ; implicit-def: $vgpr3
                                        ; implicit-def: $vgpr6
	s_and_saveexec_b64 s[2:3], s[0:1]
	s_xor_b64 s[20:21], exec, s[2:3]
	s_cbranch_execz .LBB66_1313
; %bb.1312:
	v_and_b32_e32 v3, 0x7fffff, v1
	v_or_b32_e32 v3, 0x800000, v3
	s_mov_b32 s0, 0xfe5163ab
	v_mad_u64_u32 v[6:7], s[0:1], v3, s0, 0
	v_mov_b32_e32 v11, 0
	s_mov_b32 s0, 0x3c439041
	v_mov_b32_e32 v10, v7
	v_mad_u64_u32 v[12:13], s[0:1], v3, s0, v[10:11]
	s_mov_b32 s0, 0xdb629599
	v_lshrrev_b32_e32 v7, 23, v1
	v_mov_b32_e32 v10, v13
	v_mad_u64_u32 v[15:16], s[0:1], v3, s0, v[10:11]
	s_mov_b32 s0, 0xf534ddc0
	v_add_u32_e32 v7, 0xffffff88, v7
	v_mov_b32_e32 v10, v16
	v_mad_u64_u32 v[16:17], s[0:1], v3, s0, v[10:11]
	s_mov_b32 s0, 0xfc2757d1
	v_not_b32_e32 v13, 63
	v_mov_b32_e32 v10, v17
	v_mad_u64_u32 v[17:18], s[0:1], v3, s0, v[10:11]
	v_cmp_lt_u32_e32 vcc, 63, v7
	v_cndmask_b32_e32 v10, 0, v13, vcc
	v_add_u32_e32 v7, v10, v7
	v_mov_b32_e32 v10, v18
	s_mov_b32 s0, 0x4e441529
	v_mad_u64_u32 v[18:19], s[0:1], v3, s0, v[10:11]
	v_not_b32_e32 v13, 31
	v_cmp_lt_u32_e64 s[0:1], 31, v7
	v_cndmask_b32_e64 v10, 0, v13, s[0:1]
	v_add_u32_e32 v7, v10, v7
	v_mov_b32_e32 v10, v19
	s_mov_b32 s2, 0xa2f9836e
	v_mad_u64_u32 v[10:11], s[2:3], v3, s2, v[10:11]
	v_cmp_lt_u32_e64 s[2:3], 31, v7
	v_cndmask_b32_e64 v3, 0, v13, s[2:3]
	v_add_u32_e32 v3, v3, v7
	v_cndmask_b32_e32 v7, v18, v16, vcc
	v_cndmask_b32_e32 v10, v10, v17, vcc
	;; [unrolled: 1-line block ×3, first 2 shown]
	v_cndmask_b32_e64 v13, v10, v7, s[0:1]
	v_cndmask_b32_e64 v10, v11, v10, s[0:1]
	v_cndmask_b32_e32 v11, v17, v15, vcc
	v_cndmask_b32_e64 v7, v7, v11, s[0:1]
	v_cndmask_b32_e64 v10, v10, v13, s[2:3]
	;; [unrolled: 1-line block ×3, first 2 shown]
	v_sub_u32_e32 v17, 32, v3
	v_alignbit_b32 v18, v10, v13, v17
	v_cmp_eq_u32_e64 s[4:5], 0, v3
	v_cndmask_b32_e64 v3, v18, v10, s[4:5]
	v_cndmask_b32_e32 v10, v16, v12, vcc
	v_cndmask_b32_e64 v11, v11, v10, s[0:1]
	v_cndmask_b32_e64 v7, v7, v11, s[2:3]
	v_alignbit_b32 v12, v13, v7, v17
	v_cndmask_b32_e32 v6, v15, v6, vcc
	v_cndmask_b32_e64 v12, v12, v13, s[4:5]
	v_bfe_u32 v18, v3, 29, 1
	v_cndmask_b32_e64 v6, v10, v6, s[0:1]
	v_alignbit_b32 v13, v3, v12, 30
	v_sub_u32_e32 v19, 0, v18
	v_cndmask_b32_e64 v6, v11, v6, s[2:3]
	v_xor_b32_e32 v13, v13, v19
	v_alignbit_b32 v10, v7, v6, v17
	v_cndmask_b32_e64 v7, v10, v7, s[4:5]
	v_ffbh_u32_e32 v11, v13
	v_alignbit_b32 v10, v12, v7, 30
	v_min_u32_e32 v11, 32, v11
	v_alignbit_b32 v6, v7, v6, 30
	v_xor_b32_e32 v10, v10, v19
	v_sub_u32_e32 v12, 31, v11
	v_xor_b32_e32 v6, v6, v19
	v_alignbit_b32 v13, v13, v10, v12
	v_alignbit_b32 v6, v10, v6, v12
	;; [unrolled: 1-line block ×3, first 2 shown]
	v_ffbh_u32_e32 v10, v7
	v_min_u32_e32 v10, 32, v10
	v_lshrrev_b32_e32 v16, 29, v3
	v_not_b32_e32 v12, v10
	v_alignbit_b32 v6, v7, v6, v12
	v_lshlrev_b32_e32 v7, 31, v16
	v_or_b32_e32 v12, 0x33000000, v7
	v_add_lshl_u32 v10, v10, v11, 23
	v_lshrrev_b32_e32 v6, 9, v6
	v_sub_u32_e32 v10, v12, v10
	v_or_b32_e32 v7, 0.5, v7
	v_lshlrev_b32_e32 v11, 23, v11
	v_or_b32_e32 v6, v10, v6
	v_lshrrev_b32_e32 v10, 9, v13
	v_sub_u32_e32 v7, v7, v11
	v_or_b32_e32 v7, v10, v7
	s_mov_b32 s0, 0x3fc90fda
	v_mul_f32_e32 v10, 0x3fc90fda, v7
	v_fma_f32 v11, v7, s0, -v10
	v_fmac_f32_e32 v11, 0x33a22168, v7
	v_fmac_f32_e32 v11, 0x3fc90fda, v6
	v_lshrrev_b32_e32 v3, 30, v3
	v_add_f32_e32 v6, v10, v11
	v_add_u32_e32 v3, v18, v3
.LBB66_1313:
	s_andn2_saveexec_b64 s[0:1], s[20:21]
	s_cbranch_execz .LBB66_1315
; %bb.1314:
	s_mov_b32 s2, 0x3f22f983
	v_mul_f32_e64 v3, |v0|, s2
	v_rndne_f32_e32 v7, v3
	s_mov_b32 s2, 0xbfc90fda
	v_cvt_i32_f32_e32 v3, v7
	v_fma_f32 v6, v7, s2, |v0|
	v_fmac_f32_e32 v6, 0xb3a22168, v7
	v_fmac_f32_e32 v6, 0xa7c234c4, v7
.LBB66_1315:
	s_or_b64 exec, exec, s[0:1]
	v_mul_f32_e32 v7, v6, v6
	v_mov_b32_e32 v10, 0x3c0881c4
	v_fmac_f32_e32 v10, 0xb94c1982, v7
	v_mov_b32_e32 v11, 0xbe2aaa9d
	v_fmac_f32_e32 v11, v7, v10
	v_mul_f32_e32 v10, v7, v11
	v_fmac_f32_e32 v6, v6, v10
	v_mov_b32_e32 v10, 0xbab64f3b
	v_fmac_f32_e32 v10, 0x37d75334, v7
	v_mov_b32_e32 v11, 0x3d2aabf7
	;; [unrolled: 2-line block ×3, first 2 shown]
	v_fmac_f32_e32 v10, v7, v11
	v_fma_f32 v7, v7, v10, 1.0
	v_and_b32_e32 v10, 1, v3
	v_lshlrev_b32_e32 v3, 30, v3
	v_cmp_eq_u32_e32 vcc, 0, v10
	v_and_b32_e32 v3, 0x80000000, v3
	v_xor_b32_e32 v1, v1, v0
	v_cndmask_b32_e32 v6, v7, v6, vcc
	v_xor_b32_e32 v1, v1, v3
	s_movk_i32 s0, 0x1f8
	v_xor_b32_e32 v1, v1, v6
	v_mov_b32_e32 v3, 0x7fc00000
	v_cmp_class_f32_e64 vcc, v0, s0
	v_cndmask_b32_e32 v0, v3, v1, vcc
	v_mul_f32_e32 v0, v0, v0
	s_mov_b32 s2, 0xc11de9e7
	v_div_scale_f32 v1, s[0:1], v0, v0, s2
	v_div_scale_f32 v3, vcc, s2, v0, s2
	v_sub_f32_e32 v8, 1.0, v8
	v_rcp_f32_e32 v6, v1
	v_fma_f32 v7, -v1, v6, 1.0
	v_fmac_f32_e32 v6, v7, v6
	v_mul_f32_e32 v7, v3, v6
	v_fma_f32 v10, -v1, v7, v3
	v_fmac_f32_e32 v7, v10, v6
	v_fma_f32 v1, -v1, v7, v3
	v_div_fmas_f32 v1, v1, v6, v7
	v_mov_b32_e32 v3, -1.0
	v_div_fixup_f32 v0, v1, v0, s2
	v_add_f32_e32 v13, 0, v0
.LBB66_1316:
	s_or_b64 exec, exec, s[16:17]
	v_add_u32_e32 v10, s13, v5
	v_ashrrev_i32_e32 v1, 31, v10
	v_mov_b32_e32 v5, s11
	v_add_co_u32_e32 v0, vcc, s10, v10
	s_cmp_lt_i32 s22, 11
	v_addc_co_u32_e32 v1, vcc, v5, v1, vcc
	s_cbranch_scc1 .LBB66_1323
; %bb.1317:
	s_cmp_gt_i32 s22, 25
	s_mov_b64 s[2:3], 0
	s_cbranch_scc0 .LBB66_1325
; %bb.1318:
	s_cmp_gt_i32 s22, 28
	s_cbranch_scc0 .LBB66_1326
; %bb.1319:
	s_cmp_gt_i32 s22, 43
	;; [unrolled: 3-line block ×3, first 2 shown]
	s_cbranch_scc0 .LBB66_1329
; %bb.1321:
	s_cmp_eq_u32 s22, 46
	s_mov_b64 s[16:17], 0
	s_cbranch_scc0 .LBB66_1330
; %bb.1322:
	global_load_dword v5, v[0:1], off
	s_mov_b64 s[0:1], 0
	s_mov_b64 s[4:5], -1
	s_waitcnt vmcnt(0)
	v_lshlrev_b32_e32 v5, 16, v5
	v_cvt_f16_f32_e32 v6, v5
	s_branch .LBB66_1331
.LBB66_1323:
	s_mov_b64 s[4:5], 0
                                        ; implicit-def: $vgpr6
	s_cbranch_execnz .LBB66_1397
.LBB66_1324:
	s_andn2_b64 vcc, exec, s[4:5]
	s_cbranch_vccnz .LBB66_2020
	s_branch .LBB66_1445
.LBB66_1325:
	s_mov_b64 s[16:17], -1
	s_mov_b64 s[4:5], 0
	s_mov_b64 s[0:1], 0
                                        ; implicit-def: $vgpr6
	s_branch .LBB66_1360
.LBB66_1326:
	s_mov_b64 s[16:17], -1
	s_mov_b64 s[4:5], 0
	s_mov_b64 s[0:1], 0
                                        ; implicit-def: $vgpr6
	s_branch .LBB66_1341
.LBB66_1327:
	s_mov_b64 s[16:17], -1
	s_mov_b64 s[4:5], 0
	s_mov_b64 s[0:1], 0
                                        ; implicit-def: $vgpr6
	s_branch .LBB66_1336
.LBB66_1328:
	s_trap 2
	s_or_b64 s[18:19], s[18:19], exec
	s_cbranch_execz .LBB66_1261
	s_branch .LBB66_1262
.LBB66_1329:
	s_mov_b64 s[16:17], -1
	s_mov_b64 s[4:5], 0
	s_mov_b64 s[0:1], 0
                                        ; implicit-def: $vgpr6
	s_branch .LBB66_1331
.LBB66_1330:
	s_mov_b64 s[0:1], -1
                                        ; implicit-def: $vgpr6
	s_mov_b64 s[4:5], 0
.LBB66_1331:
	s_and_b64 vcc, exec, s[16:17]
	s_cbranch_vccz .LBB66_1335
; %bb.1332:
	s_cmp_eq_u32 s22, 44
	s_cbranch_scc0 .LBB66_1334
; %bb.1333:
	global_load_ubyte v5, v[0:1], off
	s_movk_i32 s4, 0xff
	v_mov_b32_e32 v7, 0x7e00
	s_mov_b64 s[0:1], 0
	s_waitcnt vmcnt(0)
	v_lshlrev_b32_e32 v6, 23, v5
	v_cvt_f16_f32_e32 v6, v6
	v_cmp_ne_u32_e32 vcc, s4, v5
	s_mov_b64 s[4:5], -1
	v_cndmask_b32_e32 v6, v7, v6, vcc
	v_cmp_ne_u32_e32 vcc, 0, v5
	v_cndmask_b32_e32 v6, 0, v6, vcc
	s_branch .LBB66_1335
.LBB66_1334:
	s_mov_b64 s[0:1], -1
                                        ; implicit-def: $vgpr6
.LBB66_1335:
	s_mov_b64 s[16:17], 0
.LBB66_1336:
	s_and_b64 vcc, exec, s[16:17]
	s_cbranch_vccz .LBB66_1340
; %bb.1337:
	s_cmp_eq_u32 s22, 29
	s_cbranch_scc0 .LBB66_1339
; %bb.1338:
	global_load_dwordx2 v[5:6], v[0:1], off
	s_mov_b64 s[0:1], 0
	s_mov_b64 s[4:5], -1
	s_mov_b64 s[16:17], 0
	s_waitcnt vmcnt(0)
	v_ffbh_u32_e32 v7, v6
	v_min_u32_e32 v7, 32, v7
	v_lshlrev_b64 v[5:6], v7, v[5:6]
	v_min_u32_e32 v5, 1, v5
	v_or_b32_e32 v5, v6, v5
	v_cvt_f32_u32_e32 v5, v5
	v_sub_u32_e32 v6, 32, v7
	v_ldexp_f32 v5, v5, v6
	v_cvt_f16_f32_e32 v6, v5
	s_branch .LBB66_1341
.LBB66_1339:
	s_mov_b64 s[0:1], -1
                                        ; implicit-def: $vgpr6
.LBB66_1340:
	s_mov_b64 s[16:17], 0
.LBB66_1341:
	s_and_b64 vcc, exec, s[16:17]
	s_cbranch_vccz .LBB66_1359
; %bb.1342:
	s_cmp_lt_i32 s22, 27
	s_cbranch_scc1 .LBB66_1345
; %bb.1343:
	s_cmp_gt_i32 s22, 27
	s_cbranch_scc0 .LBB66_1346
; %bb.1344:
	global_load_dword v5, v[0:1], off
	s_mov_b64 s[4:5], 0
	s_waitcnt vmcnt(0)
	v_cvt_f32_u32_e32 v5, v5
	v_cvt_f16_f32_e32 v6, v5
	s_branch .LBB66_1347
.LBB66_1345:
	s_mov_b64 s[4:5], -1
                                        ; implicit-def: $vgpr6
	s_branch .LBB66_1350
.LBB66_1346:
	s_mov_b64 s[4:5], -1
                                        ; implicit-def: $vgpr6
.LBB66_1347:
	s_andn2_b64 vcc, exec, s[4:5]
	s_cbranch_vccnz .LBB66_1349
; %bb.1348:
	global_load_ushort v5, v[0:1], off
	s_waitcnt vmcnt(0)
	v_cvt_f16_u16_e32 v6, v5
.LBB66_1349:
	s_mov_b64 s[4:5], 0
.LBB66_1350:
	s_andn2_b64 vcc, exec, s[4:5]
	s_cbranch_vccnz .LBB66_1358
; %bb.1351:
	global_load_ubyte v5, v[0:1], off
	s_movk_i32 s4, 0x7f
	s_waitcnt vmcnt(0)
	v_cmp_lt_i16_e32 vcc, s4, v5
	s_mov_b64 s[4:5], 0
	s_and_saveexec_b64 s[16:17], vcc
	s_xor_b64 s[16:17], exec, s[16:17]
	s_cbranch_execz .LBB66_1372
; %bb.1352:
	s_movk_i32 s4, 0x80
	v_cmp_eq_u16_e32 vcc, s4, v5
	s_mov_b64 s[4:5], -1
	s_and_saveexec_b64 s[20:21], vcc
; %bb.1353:
	s_xor_b64 s[4:5], exec, -1
; %bb.1354:
	s_or_b64 exec, exec, s[20:21]
	s_and_b64 s[4:5], s[4:5], exec
	s_or_saveexec_b64 s[16:17], s[16:17]
	v_mov_b32_e32 v6, 0x7e00
	s_xor_b64 exec, exec, s[16:17]
	s_cbranch_execnz .LBB66_1373
.LBB66_1355:
	s_or_b64 exec, exec, s[16:17]
	s_and_saveexec_b64 s[16:17], s[4:5]
	s_cbranch_execz .LBB66_1357
.LBB66_1356:
	v_lshlrev_b32_e32 v6, 24, v5
	v_and_b32_e32 v5, 0xffff, v5
	v_and_b32_e32 v7, 7, v5
	v_ffbh_u32_e32 v12, v7
	v_min_u32_e32 v12, 32, v12
	v_subrev_u32_e32 v15, 28, v12
	v_bfe_u32 v11, v5, 3, 4
	v_lshlrev_b32_e32 v5, v15, v5
	v_sub_u32_e32 v12, 29, v12
	v_and_b32_e32 v5, 7, v5
	v_cmp_eq_u32_e32 vcc, 0, v11
	v_cndmask_b32_e32 v11, v11, v12, vcc
	v_cndmask_b32_e32 v5, v7, v5, vcc
	v_mov_b32_e32 v7, 0x3b800000
	v_lshlrev_b32_e32 v5, 20, v5
	v_and_b32_e32 v6, 0x80000000, v6
	v_lshl_add_u32 v7, v11, 23, v7
	v_or3_b32 v5, v6, v7, v5
	v_cvt_f16_f32_e32 v6, v5
.LBB66_1357:
	s_or_b64 exec, exec, s[16:17]
.LBB66_1358:
	s_mov_b64 s[4:5], -1
.LBB66_1359:
	s_mov_b64 s[16:17], 0
.LBB66_1360:
	s_and_b64 vcc, exec, s[16:17]
	s_cbranch_vccz .LBB66_1393
; %bb.1361:
	s_cmp_gt_i32 s22, 22
	s_cbranch_scc0 .LBB66_1371
; %bb.1362:
	s_cmp_lt_i32 s22, 24
	s_cbranch_scc1 .LBB66_1374
; %bb.1363:
	s_cmp_gt_i32 s22, 24
	s_cbranch_scc0 .LBB66_1375
; %bb.1364:
	global_load_ubyte v5, v[0:1], off
	s_movk_i32 s2, 0x7f
	s_waitcnt vmcnt(0)
	v_cmp_lt_i16_e32 vcc, s2, v5
	s_mov_b64 s[2:3], 0
	s_and_saveexec_b64 s[4:5], vcc
	s_xor_b64 s[4:5], exec, s[4:5]
	s_cbranch_execz .LBB66_1387
; %bb.1365:
	s_movk_i32 s2, 0x80
	v_cmp_eq_u16_e32 vcc, s2, v5
	s_mov_b64 s[2:3], -1
	s_and_saveexec_b64 s[16:17], vcc
; %bb.1366:
	s_xor_b64 s[2:3], exec, -1
; %bb.1367:
	s_or_b64 exec, exec, s[16:17]
	s_and_b64 s[2:3], s[2:3], exec
	s_or_saveexec_b64 s[4:5], s[4:5]
	v_mov_b32_e32 v6, 0x7e00
	s_xor_b64 exec, exec, s[4:5]
	s_cbranch_execnz .LBB66_1388
.LBB66_1368:
	s_or_b64 exec, exec, s[4:5]
	s_and_saveexec_b64 s[4:5], s[2:3]
	s_cbranch_execz .LBB66_1370
.LBB66_1369:
	v_lshlrev_b32_e32 v6, 24, v5
	v_and_b32_e32 v5, 0xffff, v5
	v_and_b32_e32 v7, 3, v5
	v_ffbh_u32_e32 v12, v7
	v_min_u32_e32 v12, 32, v12
	v_subrev_u32_e32 v15, 29, v12
	v_bfe_u32 v11, v5, 2, 5
	v_lshlrev_b32_e32 v5, v15, v5
	v_sub_u32_e32 v12, 30, v12
	v_and_b32_e32 v5, 3, v5
	v_cmp_eq_u32_e32 vcc, 0, v11
	v_cndmask_b32_e32 v11, v11, v12, vcc
	v_cndmask_b32_e32 v5, v7, v5, vcc
	v_mov_b32_e32 v7, 0x37800000
	v_lshlrev_b32_e32 v5, 21, v5
	v_and_b32_e32 v6, 0x80000000, v6
	v_lshl_add_u32 v7, v11, 23, v7
	v_or3_b32 v5, v6, v7, v5
	v_cvt_f16_f32_e32 v6, v5
.LBB66_1370:
	s_or_b64 exec, exec, s[4:5]
	s_mov_b64 s[2:3], 0
	s_branch .LBB66_1376
.LBB66_1371:
	s_mov_b64 s[2:3], -1
                                        ; implicit-def: $vgpr6
	s_branch .LBB66_1382
.LBB66_1372:
	s_or_saveexec_b64 s[16:17], s[16:17]
	v_mov_b32_e32 v6, 0x7e00
	s_xor_b64 exec, exec, s[16:17]
	s_cbranch_execz .LBB66_1355
.LBB66_1373:
	v_cmp_ne_u16_e32 vcc, 0, v5
	s_andn2_b64 s[4:5], s[4:5], exec
	s_and_b64 s[20:21], vcc, exec
	s_or_b64 s[4:5], s[4:5], s[20:21]
	v_mov_b32_e32 v6, v5
	s_or_b64 exec, exec, s[16:17]
	s_and_saveexec_b64 s[16:17], s[4:5]
	s_cbranch_execnz .LBB66_1356
	s_branch .LBB66_1357
.LBB66_1374:
	s_mov_b64 s[2:3], -1
                                        ; implicit-def: $vgpr6
	s_branch .LBB66_1379
.LBB66_1375:
	s_mov_b64 s[2:3], -1
                                        ; implicit-def: $vgpr6
.LBB66_1376:
	s_and_b64 vcc, exec, s[2:3]
	s_cbranch_vccz .LBB66_1378
; %bb.1377:
	global_load_ubyte v5, v[0:1], off
	s_mov_b32 s2, 0x7f800000
	s_waitcnt vmcnt(0)
	v_lshlrev_b32_e32 v5, 24, v5
	v_and_b32_e32 v6, 0x7f000000, v5
	v_ffbh_u32_e32 v7, v6
	v_min_u32_e32 v7, 32, v7
	v_sub_u32_e64 v7, v7, 4 clamp
	v_lshlrev_b32_e32 v12, v7, v6
	v_lshlrev_b32_e32 v7, 23, v7
	v_lshrrev_b32_e32 v12, 4, v12
	v_add_u32_e32 v11, 0x1000000, v6
	v_sub_u32_e32 v7, v12, v7
	v_ashrrev_i32_e32 v11, 8, v11
	v_add_u32_e32 v7, 0x3c000000, v7
	v_and_or_b32 v7, v11, s2, v7
	v_cmp_ne_u32_e32 vcc, 0, v6
	v_cndmask_b32_e32 v6, 0, v7, vcc
	s_brev_b32 s2, 1
	v_and_or_b32 v5, v5, s2, v6
	v_cvt_f16_f32_e32 v6, v5
.LBB66_1378:
	s_mov_b64 s[2:3], 0
.LBB66_1379:
	s_andn2_b64 vcc, exec, s[2:3]
	s_cbranch_vccnz .LBB66_1381
; %bb.1380:
	global_load_ubyte v5, v[0:1], off
	s_movk_i32 s2, 0x7f00
	s_brev_b32 s3, 16
	s_waitcnt vmcnt(0)
	v_lshlrev_b16_e32 v6, 8, v5
	v_lshlrev_b32_e32 v5, 25, v5
	v_lshrrev_b32_e32 v7, 4, v5
	v_and_or_b32 v11, v6, s2, 0.5
	v_or_b32_e32 v7, 0x70000000, v7
	v_add_f32_e32 v11, -0.5, v11
	v_mul_f32_e32 v7, 0x7800000, v7
	v_cmp_gt_u32_e32 vcc, s3, v5
	v_bfe_i32 v6, v6, 0, 16
	v_cndmask_b32_e32 v5, v7, v11, vcc
	s_brev_b32 s2, 1
	v_and_or_b32 v5, v6, s2, v5
	v_cvt_f16_f32_e32 v6, v5
.LBB66_1381:
	s_mov_b64 s[2:3], 0
	s_mov_b64 s[4:5], -1
.LBB66_1382:
	s_andn2_b64 vcc, exec, s[2:3]
	s_mov_b64 s[2:3], 0
	s_cbranch_vccnz .LBB66_1393
; %bb.1383:
	s_cmp_gt_i32 s22, 14
	s_cbranch_scc0 .LBB66_1386
; %bb.1384:
	s_cmp_eq_u32 s22, 15
	s_cbranch_scc0 .LBB66_1389
; %bb.1385:
	global_load_ushort v5, v[0:1], off
	s_mov_b64 s[0:1], 0
	s_mov_b64 s[4:5], -1
	s_waitcnt vmcnt(0)
	v_lshlrev_b32_e32 v5, 16, v5
	v_cvt_f16_f32_e32 v6, v5
	s_branch .LBB66_1390
.LBB66_1386:
	s_mov_b64 s[16:17], -1
                                        ; implicit-def: $vgpr6
	s_branch .LBB66_1391
.LBB66_1387:
	s_or_saveexec_b64 s[4:5], s[4:5]
	v_mov_b32_e32 v6, 0x7e00
	s_xor_b64 exec, exec, s[4:5]
	s_cbranch_execz .LBB66_1368
.LBB66_1388:
	v_cmp_ne_u16_e32 vcc, 0, v5
	s_andn2_b64 s[2:3], s[2:3], exec
	s_and_b64 s[16:17], vcc, exec
	s_or_b64 s[2:3], s[2:3], s[16:17]
	v_mov_b32_e32 v6, v5
	s_or_b64 exec, exec, s[4:5]
	s_and_saveexec_b64 s[4:5], s[2:3]
	s_cbranch_execnz .LBB66_1369
	s_branch .LBB66_1370
.LBB66_1389:
	s_mov_b64 s[0:1], -1
                                        ; implicit-def: $vgpr6
.LBB66_1390:
	s_mov_b64 s[16:17], 0
.LBB66_1391:
	s_and_b64 vcc, exec, s[16:17]
	s_cbranch_vccz .LBB66_1393
; %bb.1392:
	s_cmp_lg_u32 s22, 11
	s_mov_b64 s[2:3], -1
	s_cselect_b64 s[0:1], -1, 0
.LBB66_1393:
	s_and_b64 vcc, exec, s[0:1]
	s_cbranch_vccnz .LBB66_1462
; %bb.1394:
	s_andn2_b64 vcc, exec, s[2:3]
	s_cbranch_vccnz .LBB66_1396
.LBB66_1395:
	global_load_ubyte v5, v[0:1], off
	v_mov_b32_e32 v6, 0x3c00
	s_mov_b64 s[4:5], -1
	s_waitcnt vmcnt(0)
	v_cmp_ne_u16_e32 vcc, 0, v5
	v_cndmask_b32_e32 v6, 0, v6, vcc
.LBB66_1396:
	s_branch .LBB66_1324
.LBB66_1397:
	s_cmp_lt_i32 s22, 5
	s_cbranch_scc1 .LBB66_1402
; %bb.1398:
	s_cmp_lt_i32 s22, 8
	s_cbranch_scc1 .LBB66_1403
; %bb.1399:
	s_cmp_lt_i32 s22, 9
	s_cbranch_scc1 .LBB66_1404
; %bb.1400:
	s_cmp_gt_i32 s22, 9
	s_cbranch_scc0 .LBB66_1405
; %bb.1401:
	global_load_dwordx2 v[5:6], v[0:1], off
	s_movk_i32 s0, 0x1ff
	s_movk_i32 s1, 0xffe
	v_mov_b32_e32 v7, 0x7c00
	v_mov_b32_e32 v11, 0x7e00
	s_movk_i32 s2, 0x40f
	s_mov_b32 s3, 0x8000
	s_waitcnt vmcnt(0)
	v_and_or_b32 v5, v6, s0, v5
	v_cmp_ne_u32_e32 vcc, 0, v5
	v_lshrrev_b32_e32 v12, 8, v6
	v_bfe_u32 v15, v6, 20, 11
	v_cndmask_b32_e64 v5, 0, 1, vcc
	v_sub_u32_e32 v16, 0x3f1, v15
	v_and_or_b32 v5, v12, s1, v5
	v_add_u32_e32 v15, 0xfffffc10, v15
	v_med3_i32 v12, v16, 0, 13
	v_or_b32_e32 v16, 0x1000, v5
	v_cmp_ne_u32_e32 vcc, 0, v5
	v_lshl_or_b32 v17, v15, 12, v5
	v_cndmask_b32_e32 v5, v7, v11, vcc
	v_lshrrev_b32_e32 v11, v12, v16
	v_lshlrev_b32_e32 v12, v12, v11
	v_cmp_ne_u32_e32 vcc, v12, v16
	v_cndmask_b32_e64 v12, 0, 1, vcc
	v_or_b32_e32 v11, v11, v12
	v_cmp_gt_i32_e32 vcc, 1, v15
	v_cndmask_b32_e32 v11, v17, v11, vcc
	v_and_b32_e32 v12, 7, v11
	v_cmp_lt_i32_e32 vcc, 5, v12
	v_cndmask_b32_e64 v16, 0, 1, vcc
	v_cmp_eq_u32_e32 vcc, 3, v12
	v_cndmask_b32_e64 v12, 0, 1, vcc
	v_lshrrev_b32_e32 v11, 2, v11
	v_or_b32_e32 v12, v12, v16
	v_add_u32_e32 v11, v11, v12
	v_cmp_gt_i32_e32 vcc, 31, v15
	v_cndmask_b32_e32 v7, v7, v11, vcc
	v_cmp_eq_u32_e32 vcc, s2, v15
	v_lshrrev_b32_e32 v6, 16, v6
	v_cndmask_b32_e32 v5, v7, v5, vcc
	v_and_or_b32 v6, v6, s3, v5
	s_mov_b64 s[0:1], 0
	s_branch .LBB66_1406
.LBB66_1402:
	s_mov_b64 s[0:1], -1
                                        ; implicit-def: $vgpr6
	s_branch .LBB66_1424
.LBB66_1403:
	s_mov_b64 s[0:1], -1
                                        ; implicit-def: $vgpr6
	s_branch .LBB66_1412
.LBB66_1404:
	s_mov_b64 s[0:1], -1
                                        ; implicit-def: $vgpr6
	s_branch .LBB66_1409
.LBB66_1405:
	s_mov_b64 s[0:1], -1
                                        ; implicit-def: $vgpr6
.LBB66_1406:
	s_andn2_b64 vcc, exec, s[0:1]
	s_cbranch_vccnz .LBB66_1408
; %bb.1407:
	global_load_dword v5, v[0:1], off
	s_waitcnt vmcnt(0)
	v_cvt_f16_f32_e32 v6, v5
.LBB66_1408:
	s_mov_b64 s[0:1], 0
.LBB66_1409:
	s_andn2_b64 vcc, exec, s[0:1]
	s_cbranch_vccnz .LBB66_1411
; %bb.1410:
	global_load_dword v6, v[0:1], off
.LBB66_1411:
	s_mov_b64 s[0:1], 0
.LBB66_1412:
	s_andn2_b64 vcc, exec, s[0:1]
	s_cbranch_vccnz .LBB66_1423
; %bb.1413:
	s_cmp_lt_i32 s22, 6
	s_cbranch_scc1 .LBB66_1416
; %bb.1414:
	s_cmp_gt_i32 s22, 6
	s_cbranch_scc0 .LBB66_1417
; %bb.1415:
	global_load_dwordx2 v[5:6], v[0:1], off
	s_movk_i32 s0, 0x1ff
	s_movk_i32 s1, 0xffe
	v_mov_b32_e32 v7, 0x7c00
	v_mov_b32_e32 v11, 0x7e00
	s_movk_i32 s2, 0x40f
	s_mov_b32 s3, 0x8000
	s_waitcnt vmcnt(0)
	v_and_or_b32 v5, v6, s0, v5
	v_cmp_ne_u32_e32 vcc, 0, v5
	v_lshrrev_b32_e32 v12, 8, v6
	v_bfe_u32 v15, v6, 20, 11
	v_cndmask_b32_e64 v5, 0, 1, vcc
	v_sub_u32_e32 v16, 0x3f1, v15
	v_and_or_b32 v5, v12, s1, v5
	v_add_u32_e32 v15, 0xfffffc10, v15
	v_med3_i32 v12, v16, 0, 13
	v_or_b32_e32 v16, 0x1000, v5
	v_cmp_ne_u32_e32 vcc, 0, v5
	v_lshl_or_b32 v17, v15, 12, v5
	v_cndmask_b32_e32 v5, v7, v11, vcc
	v_lshrrev_b32_e32 v11, v12, v16
	v_lshlrev_b32_e32 v12, v12, v11
	v_cmp_ne_u32_e32 vcc, v12, v16
	v_cndmask_b32_e64 v12, 0, 1, vcc
	v_or_b32_e32 v11, v11, v12
	v_cmp_gt_i32_e32 vcc, 1, v15
	v_cndmask_b32_e32 v11, v17, v11, vcc
	v_and_b32_e32 v12, 7, v11
	v_cmp_lt_i32_e32 vcc, 5, v12
	v_cndmask_b32_e64 v16, 0, 1, vcc
	v_cmp_eq_u32_e32 vcc, 3, v12
	v_cndmask_b32_e64 v12, 0, 1, vcc
	v_lshrrev_b32_e32 v11, 2, v11
	v_or_b32_e32 v12, v12, v16
	v_add_u32_e32 v11, v11, v12
	v_cmp_gt_i32_e32 vcc, 31, v15
	v_cndmask_b32_e32 v7, v7, v11, vcc
	v_cmp_eq_u32_e32 vcc, s2, v15
	v_lshrrev_b32_e32 v6, 16, v6
	v_cndmask_b32_e32 v5, v7, v5, vcc
	v_and_or_b32 v6, v6, s3, v5
	s_mov_b64 s[0:1], 0
	s_branch .LBB66_1418
.LBB66_1416:
	s_mov_b64 s[0:1], -1
                                        ; implicit-def: $vgpr6
	s_branch .LBB66_1421
.LBB66_1417:
	s_mov_b64 s[0:1], -1
                                        ; implicit-def: $vgpr6
.LBB66_1418:
	s_andn2_b64 vcc, exec, s[0:1]
	s_cbranch_vccnz .LBB66_1420
; %bb.1419:
	global_load_dword v5, v[0:1], off
	s_waitcnt vmcnt(0)
	v_cvt_f16_f32_e32 v6, v5
.LBB66_1420:
	s_mov_b64 s[0:1], 0
.LBB66_1421:
	s_andn2_b64 vcc, exec, s[0:1]
	s_cbranch_vccnz .LBB66_1423
; %bb.1422:
	global_load_ushort v6, v[0:1], off
.LBB66_1423:
	s_mov_b64 s[0:1], 0
.LBB66_1424:
	s_andn2_b64 vcc, exec, s[0:1]
	s_cbranch_vccnz .LBB66_1444
; %bb.1425:
	s_cmp_lt_i32 s22, 2
	s_cbranch_scc1 .LBB66_1429
; %bb.1426:
	s_cmp_lt_i32 s22, 3
	s_cbranch_scc1 .LBB66_1430
; %bb.1427:
	s_cmp_gt_i32 s22, 3
	s_cbranch_scc0 .LBB66_1431
; %bb.1428:
	global_load_dwordx2 v[5:6], v[0:1], off
	s_mov_b64 s[0:1], 0
	s_waitcnt vmcnt(0)
	v_xor_b32_e32 v11, v5, v6
	v_ffbh_i32_e32 v7, v6
	v_ashrrev_i32_e32 v11, 31, v11
	v_add_u32_e32 v7, -1, v7
	v_add_u32_e32 v11, 32, v11
	v_min_u32_e32 v7, v7, v11
	v_lshlrev_b64 v[5:6], v7, v[5:6]
	v_min_u32_e32 v5, 1, v5
	v_or_b32_e32 v5, v6, v5
	v_cvt_f32_i32_e32 v5, v5
	v_sub_u32_e32 v6, 32, v7
	v_ldexp_f32 v5, v5, v6
	v_cvt_f16_f32_e32 v6, v5
	s_branch .LBB66_1432
.LBB66_1429:
	s_mov_b64 s[0:1], -1
                                        ; implicit-def: $vgpr6
	s_branch .LBB66_1438
.LBB66_1430:
	s_mov_b64 s[0:1], -1
                                        ; implicit-def: $vgpr6
	s_branch .LBB66_1435
.LBB66_1431:
	s_mov_b64 s[0:1], -1
                                        ; implicit-def: $vgpr6
.LBB66_1432:
	s_andn2_b64 vcc, exec, s[0:1]
	s_cbranch_vccnz .LBB66_1434
; %bb.1433:
	global_load_dword v5, v[0:1], off
	s_waitcnt vmcnt(0)
	v_cvt_f32_i32_e32 v5, v5
	v_cvt_f16_f32_e32 v6, v5
.LBB66_1434:
	s_mov_b64 s[0:1], 0
.LBB66_1435:
	s_andn2_b64 vcc, exec, s[0:1]
	s_cbranch_vccnz .LBB66_1437
; %bb.1436:
	global_load_ushort v5, v[0:1], off
	s_waitcnt vmcnt(0)
	v_cvt_f16_i16_e32 v6, v5
.LBB66_1437:
	s_mov_b64 s[0:1], 0
.LBB66_1438:
	s_andn2_b64 vcc, exec, s[0:1]
	s_cbranch_vccnz .LBB66_1444
; %bb.1439:
	s_cmp_gt_i32 s22, 0
	s_cbranch_scc0 .LBB66_1441
; %bb.1440:
	global_load_sbyte v5, v[0:1], off
	s_mov_b64 s[0:1], 0
	s_waitcnt vmcnt(0)
	v_cvt_f16_i16_e32 v6, v5
	s_branch .LBB66_1442
.LBB66_1441:
	s_mov_b64 s[0:1], -1
                                        ; implicit-def: $vgpr6
.LBB66_1442:
	s_andn2_b64 vcc, exec, s[0:1]
	s_cbranch_vccnz .LBB66_1444
; %bb.1443:
	global_load_ubyte v0, v[0:1], off
	s_waitcnt vmcnt(0)
	v_cvt_f16_u16_e32 v6, v0
.LBB66_1444:
.LBB66_1445:
	s_waitcnt vmcnt(0)
	v_cvt_f32_f16_e32 v5, v6
	v_cmp_gt_f16_e32 vcc, 0.5, v6
	v_mov_b32_e32 v7, 0
	v_mov_b32_e32 v6, 1.0
	s_and_saveexec_b64 s[16:17], vcc
	s_cbranch_execz .LBB66_1451
; %bb.1446:
	v_mul_f32_e32 v0, 0x40490fdb, v5
	s_brev_b32 s0, 18
	v_and_b32_e32 v1, 0x7fffffff, v0
	v_cmp_nlt_f32_e64 s[0:1], |v0|, s0
                                        ; implicit-def: $vgpr6
                                        ; implicit-def: $vgpr7
	s_and_saveexec_b64 s[2:3], s[0:1]
	s_xor_b64 s[20:21], exec, s[2:3]
	s_cbranch_execz .LBB66_1448
; %bb.1447:
	v_and_b32_e32 v6, 0x7fffff, v1
	v_or_b32_e32 v21, 0x800000, v6
	s_mov_b32 s0, 0xfe5163ab
	v_mad_u64_u32 v[6:7], s[0:1], v21, s0, 0
	v_mov_b32_e32 v12, 0
	s_mov_b32 s0, 0x3c439041
	v_mov_b32_e32 v11, v7
	v_mad_u64_u32 v[15:16], s[0:1], v21, s0, v[11:12]
	s_mov_b32 s0, 0xdb629599
	v_lshrrev_b32_e32 v7, 23, v1
	v_mov_b32_e32 v11, v16
	v_mad_u64_u32 v[16:17], s[0:1], v21, s0, v[11:12]
	s_mov_b32 s0, 0xf534ddc0
	v_add_u32_e32 v7, 0xffffff88, v7
	v_mov_b32_e32 v11, v17
	v_mad_u64_u32 v[17:18], s[0:1], v21, s0, v[11:12]
	s_mov_b32 s0, 0xfc2757d1
	v_not_b32_e32 v20, 63
	v_mov_b32_e32 v11, v18
	v_mad_u64_u32 v[18:19], s[0:1], v21, s0, v[11:12]
	v_cmp_lt_u32_e32 vcc, 63, v7
	v_cndmask_b32_e32 v11, 0, v20, vcc
	v_add_u32_e32 v7, v11, v7
	v_mov_b32_e32 v11, v19
	s_mov_b32 s0, 0x4e441529
	v_mad_u64_u32 v[19:20], s[0:1], v21, s0, v[11:12]
	v_not_b32_e32 v22, 31
	v_cmp_lt_u32_e64 s[0:1], 31, v7
	v_cndmask_b32_e64 v11, 0, v22, s[0:1]
	v_add_u32_e32 v7, v11, v7
	v_mov_b32_e32 v11, v20
	s_mov_b32 s2, 0xa2f9836e
	v_mad_u64_u32 v[11:12], s[2:3], v21, s2, v[11:12]
	v_cmp_lt_u32_e64 s[2:3], 31, v7
	v_cndmask_b32_e64 v20, 0, v22, s[2:3]
	v_add_u32_e32 v7, v20, v7
	v_cndmask_b32_e32 v20, v19, v17, vcc
	v_cndmask_b32_e32 v11, v11, v18, vcc
	;; [unrolled: 1-line block ×3, first 2 shown]
	v_cndmask_b32_e64 v21, v11, v20, s[0:1]
	v_cndmask_b32_e64 v11, v12, v11, s[0:1]
	v_cndmask_b32_e32 v12, v18, v16, vcc
	v_cndmask_b32_e64 v18, v20, v12, s[0:1]
	v_sub_u32_e32 v20, 32, v7
	v_cmp_eq_u32_e64 s[4:5], 0, v7
	v_cndmask_b32_e32 v7, v17, v15, vcc
	v_cndmask_b32_e64 v11, v11, v21, s[2:3]
	v_cndmask_b32_e64 v19, v21, v18, s[2:3]
	;; [unrolled: 1-line block ×3, first 2 shown]
	v_alignbit_b32 v21, v11, v19, v20
	v_cndmask_b32_e64 v15, v18, v12, s[2:3]
	v_cndmask_b32_e64 v11, v21, v11, s[4:5]
	v_alignbit_b32 v17, v19, v15, v20
	v_cndmask_b32_e32 v6, v16, v6, vcc
	v_cndmask_b32_e64 v17, v17, v19, s[4:5]
	v_bfe_u32 v21, v11, 29, 1
	v_cndmask_b32_e64 v6, v7, v6, s[0:1]
	v_alignbit_b32 v18, v11, v17, 30
	v_sub_u32_e32 v22, 0, v21
	v_cndmask_b32_e64 v6, v12, v6, s[2:3]
	v_xor_b32_e32 v18, v18, v22
	v_alignbit_b32 v7, v15, v6, v20
	v_cndmask_b32_e64 v7, v7, v15, s[4:5]
	v_ffbh_u32_e32 v15, v18
	v_alignbit_b32 v12, v17, v7, 30
	v_min_u32_e32 v15, 32, v15
	v_alignbit_b32 v6, v7, v6, 30
	v_xor_b32_e32 v12, v12, v22
	v_sub_u32_e32 v16, 31, v15
	v_xor_b32_e32 v6, v6, v22
	v_alignbit_b32 v17, v18, v12, v16
	v_alignbit_b32 v6, v12, v6, v16
	;; [unrolled: 1-line block ×3, first 2 shown]
	v_ffbh_u32_e32 v12, v7
	v_min_u32_e32 v12, 32, v12
	v_lshrrev_b32_e32 v19, 29, v11
	v_not_b32_e32 v16, v12
	v_alignbit_b32 v6, v7, v6, v16
	v_lshlrev_b32_e32 v7, 31, v19
	v_or_b32_e32 v16, 0x33000000, v7
	v_add_lshl_u32 v12, v12, v15, 23
	v_lshrrev_b32_e32 v6, 9, v6
	v_sub_u32_e32 v12, v16, v12
	v_or_b32_e32 v7, 0.5, v7
	v_lshlrev_b32_e32 v15, 23, v15
	v_or_b32_e32 v6, v12, v6
	v_lshrrev_b32_e32 v12, 9, v17
	v_sub_u32_e32 v7, v7, v15
	v_or_b32_e32 v7, v12, v7
	s_mov_b32 s0, 0x3fc90fda
	v_mul_f32_e32 v12, 0x3fc90fda, v7
	v_fma_f32 v15, v7, s0, -v12
	v_fmac_f32_e32 v15, 0x33a22168, v7
	v_fmac_f32_e32 v15, 0x3fc90fda, v6
	v_lshrrev_b32_e32 v6, 30, v11
	v_add_f32_e32 v7, v12, v15
	v_add_u32_e32 v6, v21, v6
.LBB66_1448:
	s_andn2_saveexec_b64 s[0:1], s[20:21]
	s_cbranch_execz .LBB66_1450
; %bb.1449:
	s_mov_b32 s2, 0x3f22f983
	v_mul_f32_e64 v6, |v0|, s2
	v_rndne_f32_e32 v11, v6
	s_mov_b32 s2, 0xbfc90fda
	v_cvt_i32_f32_e32 v6, v11
	v_fma_f32 v7, v11, s2, |v0|
	v_fmac_f32_e32 v7, 0xb3a22168, v11
	v_fmac_f32_e32 v7, 0xa7c234c4, v11
.LBB66_1450:
	s_or_b64 exec, exec, s[0:1]
	v_mul_f32_e32 v11, v7, v7
	v_mov_b32_e32 v12, 0x3c0881c4
	v_fmac_f32_e32 v12, 0xb94c1982, v11
	v_mov_b32_e32 v15, 0xbe2aaa9d
	v_fmac_f32_e32 v15, v11, v12
	v_mul_f32_e32 v12, v11, v15
	v_fmac_f32_e32 v7, v7, v12
	v_mov_b32_e32 v12, 0xbab64f3b
	v_fmac_f32_e32 v12, 0x37d75334, v11
	v_mov_b32_e32 v15, 0x3d2aabf7
	;; [unrolled: 2-line block ×3, first 2 shown]
	v_fmac_f32_e32 v12, v11, v15
	v_fma_f32 v11, v11, v12, 1.0
	v_and_b32_e32 v12, 1, v6
	v_lshlrev_b32_e32 v6, 30, v6
	v_cmp_eq_u32_e32 vcc, 0, v12
	v_and_b32_e32 v6, 0x80000000, v6
	v_xor_b32_e32 v1, v1, v0
	v_cndmask_b32_e32 v7, v11, v7, vcc
	v_xor_b32_e32 v1, v1, v6
	s_movk_i32 s0, 0x1f8
	v_xor_b32_e32 v1, v1, v7
	v_mov_b32_e32 v6, 0x7fc00000
	v_cmp_class_f32_e64 vcc, v0, s0
	v_cndmask_b32_e32 v0, v6, v1, vcc
	v_mul_f32_e32 v0, v0, v0
	s_mov_b32 s2, 0xc11de9e7
	v_div_scale_f32 v1, s[0:1], v0, v0, s2
	v_div_scale_f32 v6, vcc, s2, v0, s2
	v_sub_f32_e32 v5, 1.0, v5
	v_rcp_f32_e32 v7, v1
	v_fma_f32 v11, -v1, v7, 1.0
	v_fmac_f32_e32 v7, v11, v7
	v_mul_f32_e32 v11, v6, v7
	v_fma_f32 v12, -v1, v11, v6
	v_fmac_f32_e32 v11, v12, v7
	v_fma_f32 v1, -v1, v11, v6
	v_div_fmas_f32 v1, v1, v7, v11
	v_mov_b32_e32 v6, -1.0
	v_div_fixup_f32 v0, v1, v0, s2
	v_add_f32_e32 v7, 0, v0
.LBB66_1451:
	s_or_b64 exec, exec, s[16:17]
	v_add_u32_e32 v0, s13, v10
	v_ashrrev_i32_e32 v1, 31, v0
	v_mov_b32_e32 v10, s11
	v_add_co_u32_e32 v0, vcc, s10, v0
	s_cmp_lt_i32 s22, 11
	v_addc_co_u32_e32 v1, vcc, v10, v1, vcc
	s_cbranch_scc1 .LBB66_1458
; %bb.1452:
	s_cmp_gt_i32 s22, 25
	s_mov_b64 s[2:3], 0
	s_cbranch_scc0 .LBB66_1459
; %bb.1453:
	s_cmp_gt_i32 s22, 28
	s_cbranch_scc0 .LBB66_1460
; %bb.1454:
	s_cmp_gt_i32 s22, 43
	;; [unrolled: 3-line block ×3, first 2 shown]
	s_cbranch_scc0 .LBB66_1463
; %bb.1456:
	s_cmp_eq_u32 s22, 46
	s_mov_b64 s[10:11], 0
	s_cbranch_scc0 .LBB66_1464
; %bb.1457:
	global_load_dword v10, v[0:1], off
	s_mov_b64 s[0:1], 0
	s_mov_b64 s[4:5], -1
	s_waitcnt vmcnt(0)
	v_lshlrev_b32_e32 v10, 16, v10
	v_cvt_f16_f32_e32 v11, v10
	s_branch .LBB66_1465
.LBB66_1458:
	s_mov_b64 s[0:1], -1
	s_mov_b64 s[4:5], 0
                                        ; implicit-def: $vgpr11
	s_branch .LBB66_1531
.LBB66_1459:
	s_mov_b64 s[10:11], -1
	s_mov_b64 s[4:5], 0
	s_mov_b64 s[0:1], 0
                                        ; implicit-def: $vgpr11
	s_branch .LBB66_1494
.LBB66_1460:
	s_mov_b64 s[10:11], -1
	s_mov_b64 s[4:5], 0
	s_mov_b64 s[0:1], 0
                                        ; implicit-def: $vgpr11
	s_branch .LBB66_1475
.LBB66_1461:
	s_mov_b64 s[10:11], -1
	s_mov_b64 s[4:5], 0
	s_mov_b64 s[0:1], 0
                                        ; implicit-def: $vgpr11
	s_branch .LBB66_1470
.LBB66_1462:
	s_trap 2
	s_or_b64 s[18:19], s[18:19], exec
	s_cbranch_execz .LBB66_1395
	s_branch .LBB66_1396
.LBB66_1463:
	s_mov_b64 s[10:11], -1
	s_mov_b64 s[4:5], 0
	s_mov_b64 s[0:1], 0
                                        ; implicit-def: $vgpr11
	s_branch .LBB66_1465
.LBB66_1464:
	s_mov_b64 s[0:1], -1
                                        ; implicit-def: $vgpr11
	s_mov_b64 s[4:5], 0
.LBB66_1465:
	s_and_b64 vcc, exec, s[10:11]
	s_cbranch_vccz .LBB66_1469
; %bb.1466:
	s_cmp_eq_u32 s22, 44
	s_cbranch_scc0 .LBB66_1468
; %bb.1467:
	global_load_ubyte v10, v[0:1], off
	s_movk_i32 s4, 0xff
	v_mov_b32_e32 v12, 0x7e00
	s_mov_b64 s[0:1], 0
	s_waitcnt vmcnt(0)
	v_lshlrev_b32_e32 v11, 23, v10
	v_cvt_f16_f32_e32 v11, v11
	v_cmp_ne_u32_e32 vcc, s4, v10
	s_mov_b64 s[4:5], -1
	v_cndmask_b32_e32 v11, v12, v11, vcc
	v_cmp_ne_u32_e32 vcc, 0, v10
	v_cndmask_b32_e32 v11, 0, v11, vcc
	s_branch .LBB66_1469
.LBB66_1468:
	s_mov_b64 s[0:1], -1
                                        ; implicit-def: $vgpr11
.LBB66_1469:
	s_mov_b64 s[10:11], 0
.LBB66_1470:
	s_and_b64 vcc, exec, s[10:11]
	s_cbranch_vccz .LBB66_1474
; %bb.1471:
	s_cmp_eq_u32 s22, 29
	s_cbranch_scc0 .LBB66_1473
; %bb.1472:
	global_load_dwordx2 v[10:11], v[0:1], off
	s_mov_b64 s[0:1], 0
	s_mov_b64 s[4:5], -1
	s_mov_b64 s[10:11], 0
	s_waitcnt vmcnt(0)
	v_ffbh_u32_e32 v12, v11
	v_min_u32_e32 v12, 32, v12
	v_lshlrev_b64 v[10:11], v12, v[10:11]
	v_min_u32_e32 v10, 1, v10
	v_or_b32_e32 v10, v11, v10
	v_cvt_f32_u32_e32 v10, v10
	v_sub_u32_e32 v11, 32, v12
	v_ldexp_f32 v10, v10, v11
	v_cvt_f16_f32_e32 v11, v10
	s_branch .LBB66_1475
.LBB66_1473:
	s_mov_b64 s[0:1], -1
                                        ; implicit-def: $vgpr11
.LBB66_1474:
	s_mov_b64 s[10:11], 0
.LBB66_1475:
	s_and_b64 vcc, exec, s[10:11]
	s_cbranch_vccz .LBB66_1493
; %bb.1476:
	s_cmp_lt_i32 s22, 27
	s_cbranch_scc1 .LBB66_1479
; %bb.1477:
	s_cmp_gt_i32 s22, 27
	s_cbranch_scc0 .LBB66_1480
; %bb.1478:
	global_load_dword v10, v[0:1], off
	s_mov_b64 s[4:5], 0
	s_waitcnt vmcnt(0)
	v_cvt_f32_u32_e32 v10, v10
	v_cvt_f16_f32_e32 v11, v10
	s_branch .LBB66_1481
.LBB66_1479:
	s_mov_b64 s[4:5], -1
                                        ; implicit-def: $vgpr11
	s_branch .LBB66_1484
.LBB66_1480:
	s_mov_b64 s[4:5], -1
                                        ; implicit-def: $vgpr11
.LBB66_1481:
	s_andn2_b64 vcc, exec, s[4:5]
	s_cbranch_vccnz .LBB66_1483
; %bb.1482:
	global_load_ushort v10, v[0:1], off
	s_waitcnt vmcnt(0)
	v_cvt_f16_u16_e32 v11, v10
.LBB66_1483:
	s_mov_b64 s[4:5], 0
.LBB66_1484:
	s_andn2_b64 vcc, exec, s[4:5]
	s_cbranch_vccnz .LBB66_1492
; %bb.1485:
	global_load_ubyte v10, v[0:1], off
	s_movk_i32 s4, 0x7f
	s_waitcnt vmcnt(0)
	v_cmp_lt_i16_e32 vcc, s4, v10
	s_mov_b64 s[4:5], 0
	s_and_saveexec_b64 s[10:11], vcc
	s_xor_b64 s[10:11], exec, s[10:11]
	s_cbranch_execz .LBB66_1506
; %bb.1486:
	s_movk_i32 s4, 0x80
	v_cmp_eq_u16_e32 vcc, s4, v10
	s_mov_b64 s[4:5], -1
	s_and_saveexec_b64 s[16:17], vcc
; %bb.1487:
	s_xor_b64 s[4:5], exec, -1
; %bb.1488:
	s_or_b64 exec, exec, s[16:17]
	s_and_b64 s[4:5], s[4:5], exec
	s_or_saveexec_b64 s[10:11], s[10:11]
	v_mov_b32_e32 v11, 0x7e00
	s_xor_b64 exec, exec, s[10:11]
	s_cbranch_execnz .LBB66_1507
.LBB66_1489:
	s_or_b64 exec, exec, s[10:11]
	s_and_saveexec_b64 s[10:11], s[4:5]
	s_cbranch_execz .LBB66_1491
.LBB66_1490:
	v_lshlrev_b32_e32 v11, 24, v10
	v_and_b32_e32 v10, 0xffff, v10
	v_and_b32_e32 v12, 7, v10
	v_ffbh_u32_e32 v16, v12
	v_min_u32_e32 v16, 32, v16
	v_subrev_u32_e32 v17, 28, v16
	v_bfe_u32 v15, v10, 3, 4
	v_lshlrev_b32_e32 v10, v17, v10
	v_sub_u32_e32 v16, 29, v16
	v_and_b32_e32 v10, 7, v10
	v_cmp_eq_u32_e32 vcc, 0, v15
	v_cndmask_b32_e32 v15, v15, v16, vcc
	v_cndmask_b32_e32 v10, v12, v10, vcc
	v_mov_b32_e32 v12, 0x3b800000
	v_lshlrev_b32_e32 v10, 20, v10
	v_and_b32_e32 v11, 0x80000000, v11
	v_lshl_add_u32 v12, v15, 23, v12
	v_or3_b32 v10, v11, v12, v10
	v_cvt_f16_f32_e32 v11, v10
.LBB66_1491:
	s_or_b64 exec, exec, s[10:11]
.LBB66_1492:
	s_mov_b64 s[4:5], -1
.LBB66_1493:
	s_mov_b64 s[10:11], 0
.LBB66_1494:
	s_and_b64 vcc, exec, s[10:11]
	s_cbranch_vccz .LBB66_1527
; %bb.1495:
	s_cmp_gt_i32 s22, 22
	s_cbranch_scc0 .LBB66_1505
; %bb.1496:
	s_cmp_lt_i32 s22, 24
	s_cbranch_scc1 .LBB66_1508
; %bb.1497:
	s_cmp_gt_i32 s22, 24
	s_cbranch_scc0 .LBB66_1509
; %bb.1498:
	global_load_ubyte v10, v[0:1], off
	s_movk_i32 s2, 0x7f
	s_waitcnt vmcnt(0)
	v_cmp_lt_i16_e32 vcc, s2, v10
	s_mov_b64 s[2:3], 0
	s_and_saveexec_b64 s[4:5], vcc
	s_xor_b64 s[4:5], exec, s[4:5]
	s_cbranch_execz .LBB66_1521
; %bb.1499:
	s_movk_i32 s2, 0x80
	v_cmp_eq_u16_e32 vcc, s2, v10
	s_mov_b64 s[2:3], -1
	s_and_saveexec_b64 s[10:11], vcc
; %bb.1500:
	s_xor_b64 s[2:3], exec, -1
; %bb.1501:
	s_or_b64 exec, exec, s[10:11]
	s_and_b64 s[2:3], s[2:3], exec
	s_or_saveexec_b64 s[4:5], s[4:5]
	v_mov_b32_e32 v11, 0x7e00
	s_xor_b64 exec, exec, s[4:5]
	s_cbranch_execnz .LBB66_1522
.LBB66_1502:
	s_or_b64 exec, exec, s[4:5]
	s_and_saveexec_b64 s[4:5], s[2:3]
	s_cbranch_execz .LBB66_1504
.LBB66_1503:
	v_lshlrev_b32_e32 v11, 24, v10
	v_and_b32_e32 v10, 0xffff, v10
	v_and_b32_e32 v12, 3, v10
	v_ffbh_u32_e32 v16, v12
	v_min_u32_e32 v16, 32, v16
	v_subrev_u32_e32 v17, 29, v16
	v_bfe_u32 v15, v10, 2, 5
	v_lshlrev_b32_e32 v10, v17, v10
	v_sub_u32_e32 v16, 30, v16
	v_and_b32_e32 v10, 3, v10
	v_cmp_eq_u32_e32 vcc, 0, v15
	v_cndmask_b32_e32 v15, v15, v16, vcc
	v_cndmask_b32_e32 v10, v12, v10, vcc
	v_mov_b32_e32 v12, 0x37800000
	v_lshlrev_b32_e32 v10, 21, v10
	v_and_b32_e32 v11, 0x80000000, v11
	v_lshl_add_u32 v12, v15, 23, v12
	v_or3_b32 v10, v11, v12, v10
	v_cvt_f16_f32_e32 v11, v10
.LBB66_1504:
	s_or_b64 exec, exec, s[4:5]
	s_mov_b64 s[2:3], 0
	s_branch .LBB66_1510
.LBB66_1505:
	s_mov_b64 s[2:3], -1
                                        ; implicit-def: $vgpr11
	s_branch .LBB66_1516
.LBB66_1506:
	s_or_saveexec_b64 s[10:11], s[10:11]
	v_mov_b32_e32 v11, 0x7e00
	s_xor_b64 exec, exec, s[10:11]
	s_cbranch_execz .LBB66_1489
.LBB66_1507:
	v_cmp_ne_u16_e32 vcc, 0, v10
	s_andn2_b64 s[4:5], s[4:5], exec
	s_and_b64 s[16:17], vcc, exec
	s_or_b64 s[4:5], s[4:5], s[16:17]
	v_mov_b32_e32 v11, v10
	s_or_b64 exec, exec, s[10:11]
	s_and_saveexec_b64 s[10:11], s[4:5]
	s_cbranch_execnz .LBB66_1490
	s_branch .LBB66_1491
.LBB66_1508:
	s_mov_b64 s[2:3], -1
                                        ; implicit-def: $vgpr11
	s_branch .LBB66_1513
.LBB66_1509:
	s_mov_b64 s[2:3], -1
                                        ; implicit-def: $vgpr11
.LBB66_1510:
	s_and_b64 vcc, exec, s[2:3]
	s_cbranch_vccz .LBB66_1512
; %bb.1511:
	global_load_ubyte v10, v[0:1], off
	s_mov_b32 s2, 0x7f800000
	s_waitcnt vmcnt(0)
	v_lshlrev_b32_e32 v10, 24, v10
	v_and_b32_e32 v11, 0x7f000000, v10
	v_ffbh_u32_e32 v12, v11
	v_min_u32_e32 v12, 32, v12
	v_sub_u32_e64 v12, v12, 4 clamp
	v_lshlrev_b32_e32 v16, v12, v11
	v_lshlrev_b32_e32 v12, 23, v12
	v_lshrrev_b32_e32 v16, 4, v16
	v_add_u32_e32 v15, 0x1000000, v11
	v_sub_u32_e32 v12, v16, v12
	v_ashrrev_i32_e32 v15, 8, v15
	v_add_u32_e32 v12, 0x3c000000, v12
	v_and_or_b32 v12, v15, s2, v12
	v_cmp_ne_u32_e32 vcc, 0, v11
	v_cndmask_b32_e32 v11, 0, v12, vcc
	s_brev_b32 s2, 1
	v_and_or_b32 v10, v10, s2, v11
	v_cvt_f16_f32_e32 v11, v10
.LBB66_1512:
	s_mov_b64 s[2:3], 0
.LBB66_1513:
	s_andn2_b64 vcc, exec, s[2:3]
	s_cbranch_vccnz .LBB66_1515
; %bb.1514:
	global_load_ubyte v10, v[0:1], off
	s_movk_i32 s2, 0x7f00
	s_brev_b32 s3, 16
	s_waitcnt vmcnt(0)
	v_lshlrev_b16_e32 v11, 8, v10
	v_lshlrev_b32_e32 v10, 25, v10
	v_lshrrev_b32_e32 v12, 4, v10
	v_and_or_b32 v15, v11, s2, 0.5
	v_or_b32_e32 v12, 0x70000000, v12
	v_add_f32_e32 v15, -0.5, v15
	v_mul_f32_e32 v12, 0x7800000, v12
	v_cmp_gt_u32_e32 vcc, s3, v10
	v_bfe_i32 v11, v11, 0, 16
	v_cndmask_b32_e32 v10, v12, v15, vcc
	s_brev_b32 s2, 1
	v_and_or_b32 v10, v11, s2, v10
	v_cvt_f16_f32_e32 v11, v10
.LBB66_1515:
	s_mov_b64 s[2:3], 0
	s_mov_b64 s[4:5], -1
.LBB66_1516:
	s_andn2_b64 vcc, exec, s[2:3]
	s_mov_b64 s[2:3], 0
	s_cbranch_vccnz .LBB66_1527
; %bb.1517:
	s_cmp_gt_i32 s22, 14
	s_cbranch_scc0 .LBB66_1520
; %bb.1518:
	s_cmp_eq_u32 s22, 15
	s_cbranch_scc0 .LBB66_1523
; %bb.1519:
	global_load_ushort v10, v[0:1], off
	s_mov_b64 s[0:1], 0
	s_mov_b64 s[4:5], -1
	s_waitcnt vmcnt(0)
	v_lshlrev_b32_e32 v10, 16, v10
	v_cvt_f16_f32_e32 v11, v10
	s_branch .LBB66_1524
.LBB66_1520:
	s_mov_b64 s[10:11], -1
                                        ; implicit-def: $vgpr11
	s_branch .LBB66_1525
.LBB66_1521:
	s_or_saveexec_b64 s[4:5], s[4:5]
	v_mov_b32_e32 v11, 0x7e00
	s_xor_b64 exec, exec, s[4:5]
	s_cbranch_execz .LBB66_1502
.LBB66_1522:
	v_cmp_ne_u16_e32 vcc, 0, v10
	s_andn2_b64 s[2:3], s[2:3], exec
	s_and_b64 s[10:11], vcc, exec
	s_or_b64 s[2:3], s[2:3], s[10:11]
	v_mov_b32_e32 v11, v10
	s_or_b64 exec, exec, s[4:5]
	s_and_saveexec_b64 s[4:5], s[2:3]
	s_cbranch_execnz .LBB66_1503
	s_branch .LBB66_1504
.LBB66_1523:
	s_mov_b64 s[0:1], -1
                                        ; implicit-def: $vgpr11
.LBB66_1524:
	s_mov_b64 s[10:11], 0
.LBB66_1525:
	s_and_b64 vcc, exec, s[10:11]
	s_cbranch_vccz .LBB66_1527
; %bb.1526:
	s_cmp_lg_u32 s22, 11
	s_mov_b64 s[2:3], -1
	s_cselect_b64 s[0:1], -1, 0
.LBB66_1527:
	s_and_b64 vcc, exec, s[0:1]
	s_cbranch_vccnz .LBB66_2066
; %bb.1528:
	s_andn2_b64 vcc, exec, s[2:3]
	s_cbranch_vccnz .LBB66_1530
.LBB66_1529:
	global_load_ubyte v10, v[0:1], off
	v_mov_b32_e32 v11, 0x3c00
	s_mov_b64 s[4:5], -1
	s_waitcnt vmcnt(0)
	v_cmp_ne_u16_e32 vcc, 0, v10
	v_cndmask_b32_e32 v11, 0, v11, vcc
.LBB66_1530:
	s_mov_b64 s[0:1], 0
.LBB66_1531:
	s_and_b64 vcc, exec, s[0:1]
	s_cbranch_vccz .LBB66_1580
; %bb.1532:
	s_cmp_lt_i32 s22, 5
	s_cbranch_scc1 .LBB66_1537
; %bb.1533:
	s_cmp_lt_i32 s22, 8
	s_cbranch_scc1 .LBB66_1538
	;; [unrolled: 3-line block ×3, first 2 shown]
; %bb.1535:
	s_cmp_gt_i32 s22, 9
	s_cbranch_scc0 .LBB66_1540
; %bb.1536:
	global_load_dwordx2 v[10:11], v[0:1], off
	s_movk_i32 s0, 0x1ff
	s_movk_i32 s1, 0xffe
	v_mov_b32_e32 v12, 0x7c00
	v_mov_b32_e32 v15, 0x7e00
	s_movk_i32 s2, 0x40f
	s_mov_b32 s3, 0x8000
	s_waitcnt vmcnt(0)
	v_and_or_b32 v10, v11, s0, v10
	v_cmp_ne_u32_e32 vcc, 0, v10
	v_lshrrev_b32_e32 v16, 8, v11
	v_bfe_u32 v17, v11, 20, 11
	v_cndmask_b32_e64 v10, 0, 1, vcc
	v_sub_u32_e32 v18, 0x3f1, v17
	v_and_or_b32 v10, v16, s1, v10
	v_add_u32_e32 v17, 0xfffffc10, v17
	v_med3_i32 v16, v18, 0, 13
	v_or_b32_e32 v18, 0x1000, v10
	v_cmp_ne_u32_e32 vcc, 0, v10
	v_lshl_or_b32 v19, v17, 12, v10
	v_cndmask_b32_e32 v10, v12, v15, vcc
	v_lshrrev_b32_e32 v15, v16, v18
	v_lshlrev_b32_e32 v16, v16, v15
	v_cmp_ne_u32_e32 vcc, v16, v18
	v_cndmask_b32_e64 v16, 0, 1, vcc
	v_or_b32_e32 v15, v15, v16
	v_cmp_gt_i32_e32 vcc, 1, v17
	v_cndmask_b32_e32 v15, v19, v15, vcc
	v_and_b32_e32 v16, 7, v15
	v_cmp_lt_i32_e32 vcc, 5, v16
	v_cndmask_b32_e64 v18, 0, 1, vcc
	v_cmp_eq_u32_e32 vcc, 3, v16
	v_cndmask_b32_e64 v16, 0, 1, vcc
	v_lshrrev_b32_e32 v15, 2, v15
	v_or_b32_e32 v16, v16, v18
	v_add_u32_e32 v15, v15, v16
	v_cmp_gt_i32_e32 vcc, 31, v17
	v_cndmask_b32_e32 v12, v12, v15, vcc
	v_cmp_eq_u32_e32 vcc, s2, v17
	v_lshrrev_b32_e32 v11, 16, v11
	v_cndmask_b32_e32 v10, v12, v10, vcc
	v_and_or_b32 v11, v11, s3, v10
	s_mov_b64 s[0:1], 0
	s_branch .LBB66_1541
.LBB66_1537:
	s_mov_b64 s[0:1], -1
                                        ; implicit-def: $vgpr11
	s_branch .LBB66_1559
.LBB66_1538:
	s_mov_b64 s[0:1], -1
                                        ; implicit-def: $vgpr11
	s_branch .LBB66_1547
.LBB66_1539:
	s_mov_b64 s[0:1], -1
                                        ; implicit-def: $vgpr11
	s_branch .LBB66_1544
.LBB66_1540:
	s_mov_b64 s[0:1], -1
                                        ; implicit-def: $vgpr11
.LBB66_1541:
	s_andn2_b64 vcc, exec, s[0:1]
	s_cbranch_vccnz .LBB66_1543
; %bb.1542:
	global_load_dword v10, v[0:1], off
	s_waitcnt vmcnt(0)
	v_cvt_f16_f32_e32 v11, v10
.LBB66_1543:
	s_mov_b64 s[0:1], 0
.LBB66_1544:
	s_andn2_b64 vcc, exec, s[0:1]
	s_cbranch_vccnz .LBB66_1546
; %bb.1545:
	global_load_dword v11, v[0:1], off
.LBB66_1546:
	s_mov_b64 s[0:1], 0
.LBB66_1547:
	s_andn2_b64 vcc, exec, s[0:1]
	s_cbranch_vccnz .LBB66_1558
; %bb.1548:
	s_cmp_lt_i32 s22, 6
	s_cbranch_scc1 .LBB66_1551
; %bb.1549:
	s_cmp_gt_i32 s22, 6
	s_cbranch_scc0 .LBB66_1552
; %bb.1550:
	global_load_dwordx2 v[10:11], v[0:1], off
	s_movk_i32 s0, 0x1ff
	s_movk_i32 s1, 0xffe
	v_mov_b32_e32 v12, 0x7c00
	v_mov_b32_e32 v15, 0x7e00
	s_movk_i32 s2, 0x40f
	s_mov_b32 s3, 0x8000
	s_waitcnt vmcnt(0)
	v_and_or_b32 v10, v11, s0, v10
	v_cmp_ne_u32_e32 vcc, 0, v10
	v_lshrrev_b32_e32 v16, 8, v11
	v_bfe_u32 v17, v11, 20, 11
	v_cndmask_b32_e64 v10, 0, 1, vcc
	v_sub_u32_e32 v18, 0x3f1, v17
	v_and_or_b32 v10, v16, s1, v10
	v_add_u32_e32 v17, 0xfffffc10, v17
	v_med3_i32 v16, v18, 0, 13
	v_or_b32_e32 v18, 0x1000, v10
	v_cmp_ne_u32_e32 vcc, 0, v10
	v_lshl_or_b32 v19, v17, 12, v10
	v_cndmask_b32_e32 v10, v12, v15, vcc
	v_lshrrev_b32_e32 v15, v16, v18
	v_lshlrev_b32_e32 v16, v16, v15
	v_cmp_ne_u32_e32 vcc, v16, v18
	v_cndmask_b32_e64 v16, 0, 1, vcc
	v_or_b32_e32 v15, v15, v16
	v_cmp_gt_i32_e32 vcc, 1, v17
	v_cndmask_b32_e32 v15, v19, v15, vcc
	v_and_b32_e32 v16, 7, v15
	v_cmp_lt_i32_e32 vcc, 5, v16
	v_cndmask_b32_e64 v18, 0, 1, vcc
	v_cmp_eq_u32_e32 vcc, 3, v16
	v_cndmask_b32_e64 v16, 0, 1, vcc
	v_lshrrev_b32_e32 v15, 2, v15
	v_or_b32_e32 v16, v16, v18
	v_add_u32_e32 v15, v15, v16
	v_cmp_gt_i32_e32 vcc, 31, v17
	v_cndmask_b32_e32 v12, v12, v15, vcc
	v_cmp_eq_u32_e32 vcc, s2, v17
	v_lshrrev_b32_e32 v11, 16, v11
	v_cndmask_b32_e32 v10, v12, v10, vcc
	v_and_or_b32 v11, v11, s3, v10
	s_mov_b64 s[0:1], 0
	s_branch .LBB66_1553
.LBB66_1551:
	s_mov_b64 s[0:1], -1
                                        ; implicit-def: $vgpr11
	s_branch .LBB66_1556
.LBB66_1552:
	s_mov_b64 s[0:1], -1
                                        ; implicit-def: $vgpr11
.LBB66_1553:
	s_andn2_b64 vcc, exec, s[0:1]
	s_cbranch_vccnz .LBB66_1555
; %bb.1554:
	global_load_dword v10, v[0:1], off
	s_waitcnt vmcnt(0)
	v_cvt_f16_f32_e32 v11, v10
.LBB66_1555:
	s_mov_b64 s[0:1], 0
.LBB66_1556:
	s_andn2_b64 vcc, exec, s[0:1]
	s_cbranch_vccnz .LBB66_1558
; %bb.1557:
	global_load_ushort v11, v[0:1], off
.LBB66_1558:
	s_mov_b64 s[0:1], 0
.LBB66_1559:
	s_andn2_b64 vcc, exec, s[0:1]
	s_cbranch_vccnz .LBB66_1579
; %bb.1560:
	s_cmp_lt_i32 s22, 2
	s_cbranch_scc1 .LBB66_1564
; %bb.1561:
	s_cmp_lt_i32 s22, 3
	s_cbranch_scc1 .LBB66_1565
; %bb.1562:
	s_cmp_gt_i32 s22, 3
	s_cbranch_scc0 .LBB66_1566
; %bb.1563:
	global_load_dwordx2 v[10:11], v[0:1], off
	s_mov_b64 s[0:1], 0
	s_waitcnt vmcnt(0)
	v_xor_b32_e32 v15, v10, v11
	v_ffbh_i32_e32 v12, v11
	v_ashrrev_i32_e32 v15, 31, v15
	v_add_u32_e32 v12, -1, v12
	v_add_u32_e32 v15, 32, v15
	v_min_u32_e32 v12, v12, v15
	v_lshlrev_b64 v[10:11], v12, v[10:11]
	v_min_u32_e32 v10, 1, v10
	v_or_b32_e32 v10, v11, v10
	v_cvt_f32_i32_e32 v10, v10
	v_sub_u32_e32 v11, 32, v12
	v_ldexp_f32 v10, v10, v11
	v_cvt_f16_f32_e32 v11, v10
	s_branch .LBB66_1567
.LBB66_1564:
	s_mov_b64 s[0:1], -1
                                        ; implicit-def: $vgpr11
	s_branch .LBB66_1573
.LBB66_1565:
	s_mov_b64 s[0:1], -1
                                        ; implicit-def: $vgpr11
	s_branch .LBB66_1570
.LBB66_1566:
	s_mov_b64 s[0:1], -1
                                        ; implicit-def: $vgpr11
.LBB66_1567:
	s_andn2_b64 vcc, exec, s[0:1]
	s_cbranch_vccnz .LBB66_1569
; %bb.1568:
	global_load_dword v10, v[0:1], off
	s_waitcnt vmcnt(0)
	v_cvt_f32_i32_e32 v10, v10
	v_cvt_f16_f32_e32 v11, v10
.LBB66_1569:
	s_mov_b64 s[0:1], 0
.LBB66_1570:
	s_andn2_b64 vcc, exec, s[0:1]
	s_cbranch_vccnz .LBB66_1572
; %bb.1571:
	global_load_ushort v10, v[0:1], off
	s_waitcnt vmcnt(0)
	v_cvt_f16_i16_e32 v11, v10
.LBB66_1572:
	s_mov_b64 s[0:1], 0
.LBB66_1573:
	s_andn2_b64 vcc, exec, s[0:1]
	s_cbranch_vccnz .LBB66_1579
; %bb.1574:
	s_cmp_gt_i32 s22, 0
	s_cbranch_scc0 .LBB66_1576
; %bb.1575:
	global_load_sbyte v10, v[0:1], off
	s_mov_b64 s[0:1], 0
	s_waitcnt vmcnt(0)
	v_cvt_f16_i16_e32 v11, v10
	s_branch .LBB66_1577
.LBB66_1576:
	s_mov_b64 s[0:1], -1
                                        ; implicit-def: $vgpr11
.LBB66_1577:
	s_andn2_b64 vcc, exec, s[0:1]
	s_cbranch_vccnz .LBB66_1579
; %bb.1578:
	global_load_ubyte v0, v[0:1], off
	s_waitcnt vmcnt(0)
	v_cvt_f16_u16_e32 v11, v0
.LBB66_1579:
	s_mov_b64 s[4:5], -1
.LBB66_1580:
	s_andn2_b64 vcc, exec, s[4:5]
	s_cbranch_vccnz .LBB66_2020
; %bb.1581:
	s_waitcnt vmcnt(0)
	v_cvt_f32_f16_e32 v10, v11
	v_cmp_gt_f16_e32 vcc, 0.5, v11
	v_mov_b32_e32 v12, 0
	v_mov_b32_e32 v11, 1.0
	s_and_saveexec_b64 s[10:11], vcc
	s_cbranch_execz .LBB66_1587
; %bb.1582:
	v_mul_f32_e32 v0, 0x40490fdb, v10
	s_brev_b32 s0, 18
	v_and_b32_e32 v1, 0x7fffffff, v0
	v_cmp_nlt_f32_e64 s[0:1], |v0|, s0
                                        ; implicit-def: $vgpr11
                                        ; implicit-def: $vgpr12
	s_and_saveexec_b64 s[2:3], s[0:1]
	s_xor_b64 s[16:17], exec, s[2:3]
	s_cbranch_execz .LBB66_1584
; %bb.1583:
	v_and_b32_e32 v11, 0x7fffff, v1
	v_or_b32_e32 v23, 0x800000, v11
	s_mov_b32 s0, 0xfe5163ab
	v_mad_u64_u32 v[11:12], s[0:1], v23, s0, 0
	v_mov_b32_e32 v16, 0
	s_mov_b32 s0, 0x3c439041
	v_mov_b32_e32 v15, v12
	v_mad_u64_u32 v[17:18], s[0:1], v23, s0, v[15:16]
	s_mov_b32 s0, 0xdb629599
	v_lshrrev_b32_e32 v12, 23, v1
	v_mov_b32_e32 v15, v18
	v_mad_u64_u32 v[18:19], s[0:1], v23, s0, v[15:16]
	s_mov_b32 s0, 0xf534ddc0
	v_add_u32_e32 v12, 0xffffff88, v12
	v_mov_b32_e32 v15, v19
	v_mad_u64_u32 v[19:20], s[0:1], v23, s0, v[15:16]
	s_mov_b32 s0, 0xfc2757d1
	v_not_b32_e32 v22, 63
	v_mov_b32_e32 v15, v20
	v_mad_u64_u32 v[20:21], s[0:1], v23, s0, v[15:16]
	v_cmp_lt_u32_e32 vcc, 63, v12
	v_cndmask_b32_e32 v15, 0, v22, vcc
	v_add_u32_e32 v12, v15, v12
	v_mov_b32_e32 v15, v21
	s_mov_b32 s0, 0x4e441529
	v_mad_u64_u32 v[21:22], s[0:1], v23, s0, v[15:16]
	v_not_b32_e32 v24, 31
	v_cmp_lt_u32_e64 s[0:1], 31, v12
	v_cndmask_b32_e64 v15, 0, v24, s[0:1]
	v_add_u32_e32 v12, v15, v12
	v_mov_b32_e32 v15, v22
	s_mov_b32 s2, 0xa2f9836e
	v_mad_u64_u32 v[15:16], s[2:3], v23, s2, v[15:16]
	v_cmp_lt_u32_e64 s[2:3], 31, v12
	v_cndmask_b32_e32 v17, v19, v17, vcc
	v_cndmask_b32_e32 v19, v21, v19, vcc
	;; [unrolled: 1-line block ×4, first 2 shown]
	v_cndmask_b32_e64 v22, 0, v24, s[2:3]
	v_cndmask_b32_e64 v21, v15, v19, s[0:1]
	;; [unrolled: 1-line block ×3, first 2 shown]
	v_cndmask_b32_e32 v16, v20, v18, vcc
	v_add_u32_e32 v12, v22, v12
	v_cndmask_b32_e64 v19, v19, v16, s[0:1]
	v_cndmask_b32_e64 v15, v15, v21, s[2:3]
	;; [unrolled: 1-line block ×3, first 2 shown]
	v_sub_u32_e32 v21, 32, v12
	v_cmp_eq_u32_e64 s[4:5], 0, v12
	v_cndmask_b32_e64 v12, v16, v17, s[0:1]
	v_alignbit_b32 v22, v15, v20, v21
	v_cndmask_b32_e64 v16, v19, v12, s[2:3]
	v_cndmask_b32_e64 v15, v22, v15, s[4:5]
	v_alignbit_b32 v19, v20, v16, v21
	v_cndmask_b32_e32 v11, v18, v11, vcc
	v_cndmask_b32_e64 v19, v19, v20, s[4:5]
	v_bfe_u32 v18, v15, 29, 1
	v_cndmask_b32_e64 v11, v17, v11, s[0:1]
	v_alignbit_b32 v20, v15, v19, 30
	v_sub_u32_e32 v23, 0, v18
	v_cndmask_b32_e64 v11, v12, v11, s[2:3]
	v_xor_b32_e32 v20, v20, v23
	v_alignbit_b32 v12, v16, v11, v21
	v_cndmask_b32_e64 v12, v12, v16, s[4:5]
	v_ffbh_u32_e32 v17, v20
	v_alignbit_b32 v16, v19, v12, 30
	v_min_u32_e32 v17, 32, v17
	v_alignbit_b32 v11, v12, v11, 30
	v_xor_b32_e32 v16, v16, v23
	v_sub_u32_e32 v19, 31, v17
	v_xor_b32_e32 v11, v11, v23
	v_alignbit_b32 v20, v20, v16, v19
	v_alignbit_b32 v11, v16, v11, v19
	;; [unrolled: 1-line block ×3, first 2 shown]
	v_ffbh_u32_e32 v16, v12
	v_min_u32_e32 v16, 32, v16
	v_lshrrev_b32_e32 v22, 29, v15
	v_not_b32_e32 v19, v16
	v_alignbit_b32 v11, v12, v11, v19
	v_lshlrev_b32_e32 v12, 31, v22
	v_or_b32_e32 v19, 0x33000000, v12
	v_add_lshl_u32 v16, v16, v17, 23
	v_lshrrev_b32_e32 v11, 9, v11
	v_sub_u32_e32 v16, v19, v16
	v_or_b32_e32 v12, 0.5, v12
	v_lshlrev_b32_e32 v17, 23, v17
	v_or_b32_e32 v11, v16, v11
	v_lshrrev_b32_e32 v16, 9, v20
	v_sub_u32_e32 v12, v12, v17
	v_or_b32_e32 v12, v16, v12
	s_mov_b32 s0, 0x3fc90fda
	v_mul_f32_e32 v16, 0x3fc90fda, v12
	v_fma_f32 v17, v12, s0, -v16
	v_fmac_f32_e32 v17, 0x33a22168, v12
	v_fmac_f32_e32 v17, 0x3fc90fda, v11
	v_lshrrev_b32_e32 v11, 30, v15
	v_add_f32_e32 v12, v16, v17
	v_add_u32_e32 v11, v18, v11
.LBB66_1584:
	s_andn2_saveexec_b64 s[0:1], s[16:17]
	s_cbranch_execz .LBB66_1586
; %bb.1585:
	s_mov_b32 s2, 0x3f22f983
	v_mul_f32_e64 v11, |v0|, s2
	v_rndne_f32_e32 v15, v11
	s_mov_b32 s2, 0xbfc90fda
	v_cvt_i32_f32_e32 v11, v15
	v_fma_f32 v12, v15, s2, |v0|
	v_fmac_f32_e32 v12, 0xb3a22168, v15
	v_fmac_f32_e32 v12, 0xa7c234c4, v15
.LBB66_1586:
	s_or_b64 exec, exec, s[0:1]
	v_mul_f32_e32 v15, v12, v12
	v_mov_b32_e32 v16, 0x3c0881c4
	v_fmac_f32_e32 v16, 0xb94c1982, v15
	v_mov_b32_e32 v17, 0xbe2aaa9d
	v_fmac_f32_e32 v17, v15, v16
	v_mul_f32_e32 v16, v15, v17
	v_fmac_f32_e32 v12, v12, v16
	v_mov_b32_e32 v16, 0xbab64f3b
	v_fmac_f32_e32 v16, 0x37d75334, v15
	v_mov_b32_e32 v17, 0x3d2aabf7
	;; [unrolled: 2-line block ×3, first 2 shown]
	v_fmac_f32_e32 v16, v15, v17
	v_fma_f32 v15, v15, v16, 1.0
	v_and_b32_e32 v16, 1, v11
	v_lshlrev_b32_e32 v11, 30, v11
	v_cmp_eq_u32_e32 vcc, 0, v16
	v_and_b32_e32 v11, 0x80000000, v11
	v_xor_b32_e32 v1, v1, v0
	v_cndmask_b32_e32 v12, v15, v12, vcc
	v_xor_b32_e32 v1, v1, v11
	s_movk_i32 s0, 0x1f8
	v_xor_b32_e32 v1, v1, v12
	v_mov_b32_e32 v11, 0x7fc00000
	v_cmp_class_f32_e64 vcc, v0, s0
	v_cndmask_b32_e32 v0, v11, v1, vcc
	v_mul_f32_e32 v0, v0, v0
	s_mov_b32 s2, 0xc11de9e7
	v_div_scale_f32 v1, s[0:1], v0, v0, s2
	v_div_scale_f32 v11, vcc, s2, v0, s2
	v_sub_f32_e32 v10, 1.0, v10
	v_rcp_f32_e32 v12, v1
	v_fma_f32 v15, -v1, v12, 1.0
	v_fmac_f32_e32 v12, v15, v12
	v_mul_f32_e32 v15, v11, v12
	v_fma_f32 v16, -v1, v15, v11
	v_fmac_f32_e32 v15, v16, v12
	v_fma_f32 v1, -v1, v15, v11
	v_div_fmas_f32 v1, v1, v12, v15
	v_mov_b32_e32 v11, -1.0
	v_div_fixup_f32 v0, v1, v0, s2
	v_add_f32_e32 v12, 0, v0
.LBB66_1587:
	s_or_b64 exec, exec, s[10:11]
	v_mul_f32_e32 v0, v9, v9
	v_div_scale_f32 v1, s[0:1], v0, v0, 1.0
	v_mul_lo_u32 v2, s12, v2
	s_and_b32 s20, s33, 0xff
	s_cmp_lt_i32 s20, 11
	v_rcp_f32_e32 v15, v1
	v_fma_f32 v16, -v1, v15, 1.0
	v_fmac_f32_e32 v15, v16, v15
	v_div_scale_f32 v16, vcc, 1.0, v0, 1.0
	v_mul_f32_e32 v17, v16, v15
	v_fma_f32 v18, -v1, v17, v16
	v_fmac_f32_e32 v17, v18, v15
	v_fma_f32 v1, -v1, v17, v16
	v_div_fmas_f32 v1, v1, v15, v17
	v_div_fixup_f32 v0, v1, v0, 1.0
	v_add_f32_e32 v1, 1.0, v9
	v_mul_f32_e32 v9, v1, v1
	v_add_f32_e32 v0, v14, v0
	v_div_scale_f32 v14, s[0:1], v9, v9, 1.0
	v_add_f32_e32 v1, 1.0, v1
	v_rcp_f32_e32 v15, v14
	v_fma_f32 v16, -v14, v15, 1.0
	v_fmac_f32_e32 v15, v16, v15
	v_div_scale_f32 v16, vcc, 1.0, v9, 1.0
	v_mul_f32_e32 v17, v16, v15
	v_fma_f32 v18, -v14, v17, v16
	v_fmac_f32_e32 v17, v18, v15
	v_fma_f32 v14, -v14, v17, v16
	v_div_fmas_f32 v14, v14, v15, v17
	v_div_fixup_f32 v9, v14, v9, 1.0
	v_add_f32_e32 v0, v0, v9
	v_mul_f32_e32 v9, v1, v1
	v_div_scale_f32 v14, s[0:1], v9, v9, 1.0
	v_add_f32_e32 v1, 1.0, v1
	v_rcp_f32_e32 v15, v14
	v_fma_f32 v16, -v14, v15, 1.0
	v_fmac_f32_e32 v15, v16, v15
	v_div_scale_f32 v16, vcc, 1.0, v9, 1.0
	v_mul_f32_e32 v17, v16, v15
	v_fma_f32 v18, -v14, v17, v16
	v_fmac_f32_e32 v17, v18, v15
	v_fma_f32 v14, -v14, v17, v16
	v_div_fmas_f32 v14, v14, v15, v17
	v_div_fixup_f32 v9, v14, v9, 1.0
	v_add_f32_e32 v0, v0, v9
	v_mul_f32_e32 v9, v1, v1
	v_div_scale_f32 v14, s[0:1], v9, v9, 1.0
	v_add_f32_e32 v1, 1.0, v1
	v_rcp_f32_e32 v15, v14
	v_fma_f32 v16, -v14, v15, 1.0
	v_fmac_f32_e32 v15, v16, v15
	v_div_scale_f32 v16, vcc, 1.0, v9, 1.0
	v_mul_f32_e32 v17, v16, v15
	v_fma_f32 v18, -v14, v17, v16
	v_fmac_f32_e32 v17, v18, v15
	v_fma_f32 v14, -v14, v17, v16
	v_div_fmas_f32 v14, v14, v15, v17
	v_div_fixup_f32 v9, v14, v9, 1.0
	v_add_f32_e32 v0, v0, v9
	v_mul_f32_e32 v9, v1, v1
	v_div_scale_f32 v14, s[0:1], v9, v9, 1.0
	v_add_f32_e32 v1, 1.0, v1
	v_rcp_f32_e32 v15, v14
	v_fma_f32 v16, -v14, v15, 1.0
	v_fmac_f32_e32 v15, v16, v15
	v_div_scale_f32 v16, vcc, 1.0, v9, 1.0
	v_mul_f32_e32 v17, v16, v15
	v_fma_f32 v18, -v14, v17, v16
	v_fmac_f32_e32 v17, v18, v15
	v_fma_f32 v14, -v14, v17, v16
	v_div_fmas_f32 v14, v14, v15, v17
	v_div_fixup_f32 v9, v14, v9, 1.0
	v_add_f32_e32 v0, v0, v9
	v_mul_f32_e32 v9, v1, v1
	v_div_scale_f32 v14, s[0:1], v9, v9, 1.0
	v_add_f32_e32 v1, 1.0, v1
	v_rcp_f32_e32 v15, v14
	v_fma_f32 v16, -v14, v15, 1.0
	v_fmac_f32_e32 v15, v16, v15
	v_div_scale_f32 v16, vcc, 1.0, v9, 1.0
	v_mul_f32_e32 v17, v16, v15
	v_fma_f32 v18, -v14, v17, v16
	v_fmac_f32_e32 v17, v18, v15
	v_fma_f32 v14, -v14, v17, v16
	v_div_fmas_f32 v14, v14, v15, v17
	v_div_fixup_f32 v9, v14, v9, 1.0
	v_add_f32_e32 v0, v0, v9
	v_mul_f32_e32 v9, v1, v1
	v_div_scale_f32 v14, s[0:1], v9, v9, 1.0
	v_rcp_f32_e32 v15, v14
	v_fma_f32 v16, -v14, v15, 1.0
	v_fmac_f32_e32 v15, v16, v15
	v_div_scale_f32 v16, vcc, 1.0, v9, 1.0
	v_mul_f32_e32 v17, v16, v15
	v_fma_f32 v18, -v14, v17, v16
	v_fmac_f32_e32 v17, v18, v15
	v_fma_f32 v14, -v14, v17, v16
	v_div_fmas_f32 v14, v14, v15, v17
	v_div_fixup_f32 v9, v14, v9, 1.0
	v_add_f32_e32 v14, v1, v1
	v_div_scale_f32 v15, s[0:1], v14, v14, 1.0
	s_mov_b32 s0, 0x3e2aaaab
	v_rcp_f32_e32 v16, v15
	v_fma_f32 v17, -v15, v16, 1.0
	v_fmac_f32_e32 v16, v17, v16
	v_div_scale_f32 v17, vcc, 1.0, v14, 1.0
	v_mul_f32_e32 v18, v17, v16
	v_fma_f32 v19, -v15, v18, v17
	v_fmac_f32_e32 v18, v19, v16
	v_fma_f32 v15, -v15, v18, v17
	v_div_fmas_f32 v15, v15, v16, v18
	v_div_fixup_f32 v14, v15, v14, 1.0
	v_mov_b32_e32 v15, 0x3d088889
	v_fmac_f32_e32 v15, 0xbcc30c31, v9
	v_add_f32_e32 v14, 1.0, v14
	v_fma_f32 v15, -v9, v15, s0
	v_fmac_f32_e32 v14, v9, v15
	v_div_scale_f32 v9, s[0:1], v1, v1, v14
	v_rcp_f32_e32 v15, v9
	v_fma_f32 v16, -v9, v15, 1.0
	v_fmac_f32_e32 v15, v16, v15
	v_div_scale_f32 v16, vcc, v14, v1, v14
	v_mul_f32_e32 v17, v16, v15
	v_fma_f32 v18, -v9, v17, v16
	v_fmac_f32_e32 v17, v18, v15
	v_fma_f32 v9, -v9, v17, v16
	v_div_fmas_f32 v9, v9, v15, v17
	v_div_fixup_f32 v1, v9, v1, v14
	v_add_f32_e32 v0, v0, v1
	v_fma_mixlo_f16 v4, v4, v0, 0
	v_ashrrev_i32_e32 v1, 31, v2
	v_add_co_u32_e32 v0, vcc, s8, v2
	v_mov_b32_e32 v9, s9
	v_addc_co_u32_e32 v1, vcc, v9, v1, vcc
	s_cbranch_scc1 .LBB66_1665
; %bb.1588:
	s_and_b32 s13, 0xffff, s20
	s_mov_b64 s[10:11], -1
	s_mov_b64 s[2:3], 0
	s_cmp_gt_i32 s13, 25
	s_mov_b64 s[4:5], 0
	s_mov_b64 s[0:1], 0
	s_cbranch_scc0 .LBB66_1621
; %bb.1589:
	s_cmp_gt_i32 s13, 28
	s_cbranch_scc0 .LBB66_1604
; %bb.1590:
	s_cmp_gt_i32 s13, 43
	;; [unrolled: 3-line block ×3, first 2 shown]
	s_cbranch_scc0 .LBB66_1594
; %bb.1592:
	s_mov_b64 s[0:1], -1
	s_mov_b64 s[10:11], 0
	s_cmp_eq_u32 s13, 46
	s_cbranch_scc0 .LBB66_1594
; %bb.1593:
	v_cvt_f32_f16_e32 v9, v4
	s_movk_i32 s0, 0x7fff
	v_cmp_o_f16_e32 vcc, v4, v4
	v_mov_b32_e32 v14, 0x7fc0
	v_bfe_u32 v15, v9, 16, 1
	v_add3_u32 v9, v9, v15, s0
	v_cndmask_b32_sdwa v9, v14, v9, vcc dst_sel:DWORD dst_unused:UNUSED_PAD src0_sel:DWORD src1_sel:WORD_1
	global_store_dword v[0:1], v9, off
	s_mov_b64 s[0:1], 0
	s_mov_b64 s[4:5], -1
.LBB66_1594:
	s_and_b64 vcc, exec, s[10:11]
	s_cbranch_vccz .LBB66_1599
; %bb.1595:
	s_cmp_eq_u32 s13, 44
	s_mov_b64 s[0:1], -1
	s_cbranch_scc0 .LBB66_1599
; %bb.1596:
	v_cvt_f32_f16_e32 v9, v4
	s_movk_i32 s0, 0xff
	v_mov_b32_e32 v15, 0xff
	v_bfe_u32 v14, v9, 23, 8
	v_cmp_ne_u32_e32 vcc, s0, v14
	s_and_saveexec_b64 s[4:5], vcc
; %bb.1597:
	s_mov_b32 s0, 0x3fffff
	v_lshrrev_b32_e32 v15, 23, v9
	v_and_b32_e32 v16, 0x400000, v9
	v_and_or_b32 v9, v9, s0, v14
	v_cmp_ne_u32_e32 vcc, 0, v16
	v_cmp_ne_u32_e64 s[0:1], 0, v9
	s_and_b64 s[0:1], vcc, s[0:1]
	v_cndmask_b32_e64 v9, 0, 1, s[0:1]
	v_add_u32_e32 v15, v15, v9
; %bb.1598:
	s_or_b64 exec, exec, s[4:5]
	s_mov_b64 s[0:1], 0
	s_mov_b64 s[4:5], -1
	global_store_byte v[0:1], v15, off
.LBB66_1599:
	s_mov_b64 s[10:11], 0
.LBB66_1600:
	s_and_b64 vcc, exec, s[10:11]
	s_cbranch_vccz .LBB66_1603
; %bb.1601:
	s_cmp_eq_u32 s13, 29
	s_mov_b64 s[0:1], -1
	s_cbranch_scc0 .LBB66_1603
; %bb.1602:
	v_cvt_f32_f16_e32 v9, v4
	v_mov_b32_e32 v15, 0
	s_mov_b64 s[0:1], 0
	s_mov_b64 s[4:5], -1
	v_cvt_u32_f32_e32 v14, v9
	global_store_dwordx2 v[0:1], v[14:15], off
.LBB66_1603:
	s_mov_b64 s[10:11], 0
.LBB66_1604:
	s_and_b64 vcc, exec, s[10:11]
	s_cbranch_vccz .LBB66_1620
; %bb.1605:
	s_cmp_lt_i32 s13, 27
	s_mov_b64 s[4:5], -1
	s_cbranch_scc1 .LBB66_1611
; %bb.1606:
	s_cmp_gt_i32 s13, 27
	s_cbranch_scc0 .LBB66_1608
; %bb.1607:
	v_cvt_f32_f16_e32 v9, v4
	s_mov_b64 s[4:5], 0
	v_cvt_u32_f32_e32 v9, v9
	global_store_dword v[0:1], v9, off
.LBB66_1608:
	s_andn2_b64 vcc, exec, s[4:5]
	s_cbranch_vccnz .LBB66_1610
; %bb.1609:
	v_cvt_u16_f16_e32 v9, v4
	global_store_short v[0:1], v9, off
.LBB66_1610:
	s_mov_b64 s[4:5], 0
.LBB66_1611:
	s_andn2_b64 vcc, exec, s[4:5]
	s_cbranch_vccnz .LBB66_1619
; %bb.1612:
	v_cvt_f32_f16_e32 v9, v4
	s_mov_b32 s4, 0x43800000
	v_mov_b32_e32 v15, 0x80
	v_and_b32_e32 v14, 0x7fffffff, v9
	v_cmp_gt_u32_e32 vcc, s4, v14
	s_and_saveexec_b64 s[4:5], vcc
	s_cbranch_execz .LBB66_1618
; %bb.1613:
	s_mov_b32 s10, 0x3bffffff
	v_cmp_lt_u32_e32 vcc, s10, v14
	s_mov_b64 s[10:11], 0
                                        ; implicit-def: $vgpr14
	s_and_saveexec_b64 s[16:17], vcc
	s_xor_b64 s[16:17], exec, s[16:17]
	s_cbranch_execz .LBB66_2067
; %bb.1614:
	v_bfe_u32 v14, v9, 20, 1
	s_mov_b32 s21, 0x487ffff
	v_add3_u32 v14, v9, v14, s21
	s_mov_b64 s[10:11], exec
	v_lshrrev_b32_e32 v14, 20, v14
	s_andn2_saveexec_b64 s[16:17], s[16:17]
	s_cbranch_execnz .LBB66_2068
.LBB66_1615:
	s_or_b64 exec, exec, s[16:17]
	v_mov_b32_e32 v15, 0
	s_and_saveexec_b64 s[16:17], s[10:11]
.LBB66_1616:
	v_lshrrev_b32_e32 v9, 24, v9
	s_movk_i32 s10, 0x80
	v_and_or_b32 v15, v9, s10, v14
.LBB66_1617:
	s_or_b64 exec, exec, s[16:17]
.LBB66_1618:
	s_or_b64 exec, exec, s[4:5]
	global_store_byte v[0:1], v15, off
.LBB66_1619:
	s_mov_b64 s[4:5], -1
.LBB66_1620:
	s_mov_b64 s[10:11], 0
.LBB66_1621:
	s_and_b64 vcc, exec, s[10:11]
	s_cbranch_vccz .LBB66_1661
; %bb.1622:
	s_cmp_gt_i32 s13, 22
	s_mov_b64 s[2:3], -1
	s_cbranch_scc0 .LBB66_1654
; %bb.1623:
	s_cmp_lt_i32 s13, 24
	s_cbranch_scc1 .LBB66_1643
; %bb.1624:
	s_cmp_gt_i32 s13, 24
	s_cbranch_scc0 .LBB66_1632
; %bb.1625:
	v_cvt_f32_f16_e32 v9, v4
	s_mov_b32 s2, 0x47800000
	v_mov_b32_e32 v15, 0x80
	v_and_b32_e32 v14, 0x7fffffff, v9
	v_cmp_gt_u32_e32 vcc, s2, v14
	s_and_saveexec_b64 s[2:3], vcc
	s_cbranch_execz .LBB66_1631
; %bb.1626:
	s_mov_b32 s4, 0x37ffffff
	v_cmp_lt_u32_e32 vcc, s4, v14
	s_mov_b64 s[4:5], 0
                                        ; implicit-def: $vgpr14
	s_and_saveexec_b64 s[10:11], vcc
	s_xor_b64 s[10:11], exec, s[10:11]
	s_cbranch_execz .LBB66_2070
; %bb.1627:
	v_bfe_u32 v14, v9, 21, 1
	s_mov_b32 s16, 0x88fffff
	v_add3_u32 v14, v9, v14, s16
	s_mov_b64 s[4:5], exec
	v_lshrrev_b32_e32 v14, 21, v14
	s_andn2_saveexec_b64 s[10:11], s[10:11]
	s_cbranch_execnz .LBB66_2071
.LBB66_1628:
	s_or_b64 exec, exec, s[10:11]
	v_mov_b32_e32 v15, 0
	s_and_saveexec_b64 s[10:11], s[4:5]
.LBB66_1629:
	v_lshrrev_b32_e32 v9, 24, v9
	s_movk_i32 s4, 0x80
	v_and_or_b32 v15, v9, s4, v14
.LBB66_1630:
	s_or_b64 exec, exec, s[10:11]
.LBB66_1631:
	s_or_b64 exec, exec, s[2:3]
	s_mov_b64 s[2:3], 0
	global_store_byte v[0:1], v15, off
.LBB66_1632:
	s_and_b64 vcc, exec, s[2:3]
	s_cbranch_vccz .LBB66_1642
; %bb.1633:
	v_cvt_f32_f16_e32 v9, v4
	s_mov_b32 s2, 0x43f00000
                                        ; implicit-def: $vgpr14
	v_and_b32_e32 v15, 0x7fffffff, v9
	v_cmp_gt_u32_e32 vcc, s2, v15
	s_and_saveexec_b64 s[2:3], vcc
	s_xor_b64 s[2:3], exec, s[2:3]
	s_cbranch_execz .LBB66_1639
; %bb.1634:
	s_mov_b32 s4, 0x3c7fffff
	v_cmp_lt_u32_e32 vcc, s4, v15
                                        ; implicit-def: $vgpr14
	s_and_saveexec_b64 s[4:5], vcc
	s_xor_b64 s[4:5], exec, s[4:5]
; %bb.1635:
	v_bfe_u32 v14, v9, 20, 1
	s_mov_b32 s10, 0x407ffff
	v_add3_u32 v14, v9, v14, s10
	v_lshrrev_b32_e32 v15, 20, v14
	v_and_b32_e32 v14, 0xff00000, v14
	s_mov_b32 s10, 0x7f00000
	v_mov_b32_e32 v16, 0x7e
	v_cmp_ne_u32_e32 vcc, s10, v14
	v_cndmask_b32_e32 v14, v16, v15, vcc
; %bb.1636:
	s_andn2_saveexec_b64 s[4:5], s[4:5]
; %bb.1637:
	s_mov_b32 s10, 0x46800000
	v_add_f32_e64 v14, |v9|, s10
; %bb.1638:
	s_or_b64 exec, exec, s[4:5]
                                        ; implicit-def: $vgpr15
.LBB66_1639:
	s_andn2_saveexec_b64 s[2:3], s[2:3]
; %bb.1640:
	s_mov_b32 s4, 0x7f800000
	v_mov_b32_e32 v14, 0x7e
	v_mov_b32_e32 v16, 0x7f
	v_cmp_lt_u32_e32 vcc, s4, v15
	v_cndmask_b32_e32 v14, v14, v16, vcc
; %bb.1641:
	s_or_b64 exec, exec, s[2:3]
	v_lshrrev_b32_e32 v9, 24, v9
	s_movk_i32 s2, 0x80
	v_and_or_b32 v9, v9, s2, v14
	global_store_byte v[0:1], v9, off
.LBB66_1642:
	s_mov_b64 s[2:3], 0
.LBB66_1643:
	s_andn2_b64 vcc, exec, s[2:3]
	s_cbranch_vccnz .LBB66_1653
; %bb.1644:
	v_cvt_f32_f16_e32 v9, v4
	s_mov_b32 s2, 0x47800000
                                        ; implicit-def: $vgpr14
	v_and_b32_e32 v15, 0x7fffffff, v9
	v_cmp_gt_u32_e32 vcc, s2, v15
	s_and_saveexec_b64 s[2:3], vcc
	s_xor_b64 s[2:3], exec, s[2:3]
	s_cbranch_execz .LBB66_1650
; %bb.1645:
	s_mov_b32 s4, 0x387fffff
	v_cmp_lt_u32_e32 vcc, s4, v15
                                        ; implicit-def: $vgpr14
	s_and_saveexec_b64 s[4:5], vcc
	s_xor_b64 s[4:5], exec, s[4:5]
; %bb.1646:
	v_bfe_u32 v14, v9, 21, 1
	s_mov_b32 s10, 0x80fffff
	v_add3_u32 v14, v9, v14, s10
	v_lshrrev_b32_e32 v14, 21, v14
; %bb.1647:
	s_andn2_saveexec_b64 s[4:5], s[4:5]
; %bb.1648:
	s_mov_b32 s10, 0x43000000
	v_add_f32_e64 v14, |v9|, s10
; %bb.1649:
	s_or_b64 exec, exec, s[4:5]
                                        ; implicit-def: $vgpr15
.LBB66_1650:
	s_andn2_saveexec_b64 s[2:3], s[2:3]
; %bb.1651:
	s_mov_b32 s4, 0x7f800000
	v_mov_b32_e32 v14, 0x7c
	v_mov_b32_e32 v16, 0x7f
	v_cmp_lt_u32_e32 vcc, s4, v15
	v_cndmask_b32_e32 v14, v14, v16, vcc
; %bb.1652:
	s_or_b64 exec, exec, s[2:3]
	v_lshrrev_b32_e32 v9, 24, v9
	s_movk_i32 s2, 0x80
	v_and_or_b32 v9, v9, s2, v14
	global_store_byte v[0:1], v9, off
.LBB66_1653:
	s_mov_b64 s[2:3], 0
	s_mov_b64 s[4:5], -1
.LBB66_1654:
	s_andn2_b64 vcc, exec, s[2:3]
	s_mov_b64 s[2:3], 0
	s_cbranch_vccnz .LBB66_1661
; %bb.1655:
	s_cmp_gt_i32 s13, 14
	s_mov_b64 s[10:11], -1
	s_cbranch_scc0 .LBB66_1659
; %bb.1656:
	s_cmp_eq_u32 s13, 15
	s_mov_b64 s[0:1], -1
	s_cbranch_scc0 .LBB66_1658
; %bb.1657:
	v_cvt_f32_f16_e32 v9, v4
	s_movk_i32 s0, 0x7fff
	v_cmp_o_f16_e32 vcc, v4, v4
	v_mov_b32_e32 v14, 0x7fc0
	v_bfe_u32 v15, v9, 16, 1
	v_add3_u32 v9, v9, v15, s0
	v_cndmask_b32_sdwa v9, v14, v9, vcc dst_sel:DWORD dst_unused:UNUSED_PAD src0_sel:DWORD src1_sel:WORD_1
	global_store_short v[0:1], v9, off
	s_mov_b64 s[0:1], 0
	s_mov_b64 s[4:5], -1
.LBB66_1658:
	s_mov_b64 s[10:11], 0
.LBB66_1659:
	s_and_b64 vcc, exec, s[10:11]
	s_cbranch_vccz .LBB66_1661
; %bb.1660:
	s_cmp_lg_u32 s13, 11
	s_mov_b64 s[2:3], -1
	s_cselect_b64 s[0:1], -1, 0
.LBB66_1661:
	s_and_b64 vcc, exec, s[0:1]
	s_cbranch_vccnz .LBB66_2069
; %bb.1662:
	s_andn2_b64 vcc, exec, s[2:3]
	s_cbranch_vccnz .LBB66_1664
.LBB66_1663:
	v_cmp_neq_f16_e32 vcc, 0, v4
	v_cndmask_b32_e64 v9, 0, 1, vcc
	s_mov_b64 s[4:5], -1
	global_store_byte v[0:1], v9, off
.LBB66_1664:
	s_mov_b64 s[0:1], 0
	s_branch .LBB66_1666
.LBB66_1665:
	s_mov_b64 s[0:1], -1
	s_mov_b64 s[4:5], 0
.LBB66_1666:
	s_and_b64 vcc, exec, s[0:1]
	s_cbranch_vccz .LBB66_1705
; %bb.1667:
	s_and_b32 s2, 0xffff, s20
	s_cmp_lt_i32 s2, 5
	s_mov_b64 s[0:1], -1
	s_cbranch_scc1 .LBB66_1688
; %bb.1668:
	s_cmp_lt_i32 s2, 8
	s_cbranch_scc1 .LBB66_1678
; %bb.1669:
	s_cmp_lt_i32 s2, 9
	s_cbranch_scc1 .LBB66_1675
; %bb.1670:
	s_cmp_gt_i32 s2, 9
	s_cbranch_scc0 .LBB66_1672
; %bb.1671:
	v_cvt_f32_f16_e32 v9, v4
	v_mov_b32_e32 v16, 0
	v_mov_b32_e32 v17, v16
	s_mov_b64 s[0:1], 0
	v_cvt_f64_f32_e32 v[14:15], v9
	global_store_dwordx4 v[0:1], v[14:17], off
.LBB66_1672:
	s_andn2_b64 vcc, exec, s[0:1]
	s_cbranch_vccnz .LBB66_1674
; %bb.1673:
	v_cvt_f32_f16_e32 v14, v4
	v_mov_b32_e32 v15, 0
	global_store_dwordx2 v[0:1], v[14:15], off
.LBB66_1674:
	s_mov_b64 s[0:1], 0
.LBB66_1675:
	s_andn2_b64 vcc, exec, s[0:1]
	s_cbranch_vccnz .LBB66_1677
; %bb.1676:
	v_and_b32_e32 v9, 0xffff, v4
	global_store_dword v[0:1], v9, off
.LBB66_1677:
	s_mov_b64 s[0:1], 0
.LBB66_1678:
	s_andn2_b64 vcc, exec, s[0:1]
	s_cbranch_vccnz .LBB66_1687
; %bb.1679:
	s_cmp_lt_i32 s2, 6
	s_mov_b64 s[0:1], -1
	s_cbranch_scc1 .LBB66_1685
; %bb.1680:
	s_cmp_gt_i32 s2, 6
	s_cbranch_scc0 .LBB66_1682
; %bb.1681:
	v_cvt_f32_f16_e32 v9, v4
	s_mov_b64 s[0:1], 0
	v_cvt_f64_f32_e32 v[14:15], v9
	global_store_dwordx2 v[0:1], v[14:15], off
.LBB66_1682:
	s_andn2_b64 vcc, exec, s[0:1]
	s_cbranch_vccnz .LBB66_1684
; %bb.1683:
	v_cvt_f32_f16_e32 v9, v4
	global_store_dword v[0:1], v9, off
.LBB66_1684:
	s_mov_b64 s[0:1], 0
.LBB66_1685:
	s_andn2_b64 vcc, exec, s[0:1]
	s_cbranch_vccnz .LBB66_1687
; %bb.1686:
	global_store_short v[0:1], v4, off
.LBB66_1687:
	s_mov_b64 s[0:1], 0
.LBB66_1688:
	s_andn2_b64 vcc, exec, s[0:1]
	s_cbranch_vccnz .LBB66_1704
; %bb.1689:
	s_cmp_lt_i32 s2, 2
	s_mov_b64 s[0:1], -1
	s_cbranch_scc1 .LBB66_1699
; %bb.1690:
	s_cmp_lt_i32 s2, 3
	s_cbranch_scc1 .LBB66_1696
; %bb.1691:
	s_cmp_gt_i32 s2, 3
	s_cbranch_scc0 .LBB66_1693
; %bb.1692:
	v_cvt_f32_f16_e32 v9, v4
	s_mov_b64 s[0:1], 0
	v_cvt_i32_f32_e32 v14, v9
	v_ashrrev_i32_e32 v15, 31, v14
	global_store_dwordx2 v[0:1], v[14:15], off
.LBB66_1693:
	s_andn2_b64 vcc, exec, s[0:1]
	s_cbranch_vccnz .LBB66_1695
; %bb.1694:
	v_cvt_f32_f16_e32 v9, v4
	v_cvt_i32_f32_e32 v9, v9
	global_store_dword v[0:1], v9, off
.LBB66_1695:
	s_mov_b64 s[0:1], 0
.LBB66_1696:
	s_andn2_b64 vcc, exec, s[0:1]
	s_cbranch_vccnz .LBB66_1698
; %bb.1697:
	v_cvt_i16_f16_e32 v9, v4
	global_store_short v[0:1], v9, off
.LBB66_1698:
	s_mov_b64 s[0:1], 0
.LBB66_1699:
	s_andn2_b64 vcc, exec, s[0:1]
	s_cbranch_vccnz .LBB66_1704
; %bb.1700:
	s_cmp_gt_i32 s2, 0
	s_mov_b64 s[0:1], -1
	s_cbranch_scc0 .LBB66_1702
; %bb.1701:
	v_cvt_i16_f16_e32 v9, v4
	global_store_byte v[0:1], v9, off
	s_mov_b64 s[0:1], 0
.LBB66_1702:
	s_andn2_b64 vcc, exec, s[0:1]
	s_cbranch_vccnz .LBB66_1704
; %bb.1703:
	v_cvt_f32_f16_e32 v4, v4
	v_cvt_i32_f32_e32 v4, v4
	global_store_byte v[0:1], v4, off
.LBB66_1704:
	s_mov_b64 s[4:5], -1
.LBB66_1705:
	s_andn2_b64 vcc, exec, s[4:5]
	s_cbranch_vccnz .LBB66_2020
; %bb.1706:
	v_mul_f32_e32 v0, v8, v8
	v_div_scale_f32 v1, s[0:1], v0, v0, 1.0
	s_lshl_b32 s16, s12, 7
	v_add_u32_e32 v2, s16, v2
	s_cmp_lt_i32 s20, 11
	v_rcp_f32_e32 v4, v1
	v_fma_f32 v9, -v1, v4, 1.0
	v_fmac_f32_e32 v4, v9, v4
	v_div_scale_f32 v9, vcc, 1.0, v0, 1.0
	v_mul_f32_e32 v14, v9, v4
	v_fma_f32 v15, -v1, v14, v9
	v_fmac_f32_e32 v14, v15, v4
	v_fma_f32 v1, -v1, v14, v9
	v_div_fmas_f32 v1, v1, v4, v14
	v_div_fixup_f32 v0, v1, v0, 1.0
	v_add_f32_e32 v1, 1.0, v8
	v_mul_f32_e32 v4, v1, v1
	v_div_scale_f32 v8, s[0:1], v4, v4, 1.0
	v_add_f32_e32 v0, v13, v0
	v_add_f32_e32 v1, 1.0, v1
	v_rcp_f32_e32 v9, v8
	v_fma_f32 v13, -v8, v9, 1.0
	v_fmac_f32_e32 v9, v13, v9
	v_div_scale_f32 v13, vcc, 1.0, v4, 1.0
	v_mul_f32_e32 v14, v13, v9
	v_fma_f32 v15, -v8, v14, v13
	v_fmac_f32_e32 v14, v15, v9
	v_fma_f32 v8, -v8, v14, v13
	v_div_fmas_f32 v8, v8, v9, v14
	v_div_fixup_f32 v4, v8, v4, 1.0
	v_add_f32_e32 v0, v0, v4
	v_mul_f32_e32 v4, v1, v1
	v_div_scale_f32 v8, s[0:1], v4, v4, 1.0
	v_add_f32_e32 v1, 1.0, v1
	v_rcp_f32_e32 v9, v8
	v_fma_f32 v13, -v8, v9, 1.0
	v_fmac_f32_e32 v9, v13, v9
	v_div_scale_f32 v13, vcc, 1.0, v4, 1.0
	v_mul_f32_e32 v14, v13, v9
	v_fma_f32 v15, -v8, v14, v13
	v_fmac_f32_e32 v14, v15, v9
	v_fma_f32 v8, -v8, v14, v13
	v_div_fmas_f32 v8, v8, v9, v14
	v_div_fixup_f32 v4, v8, v4, 1.0
	v_add_f32_e32 v0, v0, v4
	v_mul_f32_e32 v4, v1, v1
	v_div_scale_f32 v8, s[0:1], v4, v4, 1.0
	v_add_f32_e32 v1, 1.0, v1
	v_rcp_f32_e32 v9, v8
	v_fma_f32 v13, -v8, v9, 1.0
	v_fmac_f32_e32 v9, v13, v9
	v_div_scale_f32 v13, vcc, 1.0, v4, 1.0
	v_mul_f32_e32 v14, v13, v9
	v_fma_f32 v15, -v8, v14, v13
	v_fmac_f32_e32 v14, v15, v9
	v_fma_f32 v8, -v8, v14, v13
	v_div_fmas_f32 v8, v8, v9, v14
	v_div_fixup_f32 v4, v8, v4, 1.0
	v_add_f32_e32 v0, v0, v4
	v_mul_f32_e32 v4, v1, v1
	v_div_scale_f32 v8, s[0:1], v4, v4, 1.0
	v_add_f32_e32 v1, 1.0, v1
	v_rcp_f32_e32 v9, v8
	v_fma_f32 v13, -v8, v9, 1.0
	v_fmac_f32_e32 v9, v13, v9
	v_div_scale_f32 v13, vcc, 1.0, v4, 1.0
	v_mul_f32_e32 v14, v13, v9
	v_fma_f32 v15, -v8, v14, v13
	v_fmac_f32_e32 v14, v15, v9
	v_fma_f32 v8, -v8, v14, v13
	v_div_fmas_f32 v8, v8, v9, v14
	v_div_fixup_f32 v4, v8, v4, 1.0
	v_add_f32_e32 v0, v0, v4
	v_mul_f32_e32 v4, v1, v1
	v_div_scale_f32 v8, s[0:1], v4, v4, 1.0
	v_add_f32_e32 v1, 1.0, v1
	v_rcp_f32_e32 v9, v8
	v_fma_f32 v13, -v8, v9, 1.0
	v_fmac_f32_e32 v9, v13, v9
	v_div_scale_f32 v13, vcc, 1.0, v4, 1.0
	v_mul_f32_e32 v14, v13, v9
	v_fma_f32 v15, -v8, v14, v13
	v_fmac_f32_e32 v14, v15, v9
	v_fma_f32 v8, -v8, v14, v13
	v_div_fmas_f32 v8, v8, v9, v14
	v_div_fixup_f32 v4, v8, v4, 1.0
	v_add_f32_e32 v0, v0, v4
	v_mul_f32_e32 v4, v1, v1
	v_div_scale_f32 v8, s[0:1], v4, v4, 1.0
	v_rcp_f32_e32 v9, v8
	v_fma_f32 v13, -v8, v9, 1.0
	v_fmac_f32_e32 v9, v13, v9
	v_div_scale_f32 v13, vcc, 1.0, v4, 1.0
	v_mul_f32_e32 v14, v13, v9
	v_fma_f32 v15, -v8, v14, v13
	v_fmac_f32_e32 v14, v15, v9
	v_fma_f32 v8, -v8, v14, v13
	v_div_fmas_f32 v8, v8, v9, v14
	v_div_fixup_f32 v4, v8, v4, 1.0
	v_add_f32_e32 v8, v1, v1
	v_div_scale_f32 v9, s[0:1], v8, v8, 1.0
	s_mov_b32 s0, 0x3e2aaaab
	v_rcp_f32_e32 v13, v9
	v_fma_f32 v14, -v9, v13, 1.0
	v_fmac_f32_e32 v13, v14, v13
	v_div_scale_f32 v14, vcc, 1.0, v8, 1.0
	v_mul_f32_e32 v15, v14, v13
	v_fma_f32 v16, -v9, v15, v14
	v_fmac_f32_e32 v15, v16, v13
	v_fma_f32 v9, -v9, v15, v14
	v_div_fmas_f32 v9, v9, v13, v15
	v_div_fixup_f32 v8, v9, v8, 1.0
	v_mov_b32_e32 v9, 0x3d088889
	v_fmac_f32_e32 v9, 0xbcc30c31, v4
	v_add_f32_e32 v8, 1.0, v8
	v_fma_f32 v9, -v4, v9, s0
	v_fmac_f32_e32 v8, v4, v9
	v_div_scale_f32 v4, s[0:1], v1, v1, v8
	v_rcp_f32_e32 v9, v4
	v_fma_f32 v13, -v4, v9, 1.0
	v_fmac_f32_e32 v9, v13, v9
	v_div_scale_f32 v13, vcc, v8, v1, v8
	v_mul_f32_e32 v14, v13, v9
	v_fma_f32 v15, -v4, v14, v13
	v_fmac_f32_e32 v14, v15, v9
	v_fma_f32 v4, -v4, v14, v13
	v_div_fmas_f32 v4, v4, v9, v14
	v_div_fixup_f32 v1, v4, v1, v8
	v_add_f32_e32 v0, v0, v1
	v_fma_mixlo_f16 v3, v3, v0, 0
	v_ashrrev_i32_e32 v1, 31, v2
	v_add_co_u32_e32 v0, vcc, s8, v2
	v_mov_b32_e32 v4, s9
	v_addc_co_u32_e32 v1, vcc, v4, v1, vcc
	s_cbranch_scc1 .LBB66_1784
; %bb.1707:
	s_and_b32 s17, 0xffff, s20
	s_mov_b64 s[10:11], -1
	s_mov_b64 s[2:3], 0
	s_cmp_gt_i32 s17, 25
	s_mov_b64 s[4:5], 0
	s_mov_b64 s[0:1], 0
	s_cbranch_scc0 .LBB66_1740
; %bb.1708:
	s_cmp_gt_i32 s17, 28
	s_cbranch_scc0 .LBB66_1723
; %bb.1709:
	s_cmp_gt_i32 s17, 43
	;; [unrolled: 3-line block ×3, first 2 shown]
	s_cbranch_scc0 .LBB66_1713
; %bb.1711:
	s_mov_b64 s[0:1], -1
	s_mov_b64 s[10:11], 0
	s_cmp_eq_u32 s17, 46
	s_cbranch_scc0 .LBB66_1713
; %bb.1712:
	v_cvt_f32_f16_e32 v4, v3
	s_movk_i32 s0, 0x7fff
	v_cmp_o_f16_e32 vcc, v3, v3
	v_mov_b32_e32 v8, 0x7fc0
	v_bfe_u32 v9, v4, 16, 1
	v_add3_u32 v4, v4, v9, s0
	v_cndmask_b32_sdwa v4, v8, v4, vcc dst_sel:DWORD dst_unused:UNUSED_PAD src0_sel:DWORD src1_sel:WORD_1
	global_store_dword v[0:1], v4, off
	s_mov_b64 s[0:1], 0
	s_mov_b64 s[4:5], -1
.LBB66_1713:
	s_and_b64 vcc, exec, s[10:11]
	s_cbranch_vccz .LBB66_1718
; %bb.1714:
	s_cmp_eq_u32 s17, 44
	s_mov_b64 s[0:1], -1
	s_cbranch_scc0 .LBB66_1718
; %bb.1715:
	v_cvt_f32_f16_e32 v4, v3
	s_movk_i32 s0, 0xff
	v_mov_b32_e32 v9, 0xff
	v_bfe_u32 v8, v4, 23, 8
	v_cmp_ne_u32_e32 vcc, s0, v8
	s_and_saveexec_b64 s[4:5], vcc
; %bb.1716:
	s_mov_b32 s0, 0x3fffff
	v_lshrrev_b32_e32 v9, 23, v4
	v_and_b32_e32 v13, 0x400000, v4
	v_and_or_b32 v4, v4, s0, v8
	v_cmp_ne_u32_e32 vcc, 0, v13
	v_cmp_ne_u32_e64 s[0:1], 0, v4
	s_and_b64 s[0:1], vcc, s[0:1]
	v_cndmask_b32_e64 v4, 0, 1, s[0:1]
	v_add_u32_e32 v9, v9, v4
; %bb.1717:
	s_or_b64 exec, exec, s[4:5]
	s_mov_b64 s[0:1], 0
	s_mov_b64 s[4:5], -1
	global_store_byte v[0:1], v9, off
.LBB66_1718:
	s_mov_b64 s[10:11], 0
.LBB66_1719:
	s_and_b64 vcc, exec, s[10:11]
	s_cbranch_vccz .LBB66_1722
; %bb.1720:
	s_cmp_eq_u32 s17, 29
	s_mov_b64 s[0:1], -1
	s_cbranch_scc0 .LBB66_1722
; %bb.1721:
	v_cvt_f32_f16_e32 v4, v3
	v_mov_b32_e32 v9, 0
	s_mov_b64 s[0:1], 0
	s_mov_b64 s[4:5], -1
	v_cvt_u32_f32_e32 v8, v4
	global_store_dwordx2 v[0:1], v[8:9], off
.LBB66_1722:
	s_mov_b64 s[10:11], 0
.LBB66_1723:
	s_and_b64 vcc, exec, s[10:11]
	s_cbranch_vccz .LBB66_1739
; %bb.1724:
	s_cmp_lt_i32 s17, 27
	s_mov_b64 s[4:5], -1
	s_cbranch_scc1 .LBB66_1730
; %bb.1725:
	s_cmp_gt_i32 s17, 27
	s_cbranch_scc0 .LBB66_1727
; %bb.1726:
	v_cvt_f32_f16_e32 v4, v3
	s_mov_b64 s[4:5], 0
	v_cvt_u32_f32_e32 v4, v4
	global_store_dword v[0:1], v4, off
.LBB66_1727:
	s_andn2_b64 vcc, exec, s[4:5]
	s_cbranch_vccnz .LBB66_1729
; %bb.1728:
	v_cvt_u16_f16_e32 v4, v3
	global_store_short v[0:1], v4, off
.LBB66_1729:
	s_mov_b64 s[4:5], 0
.LBB66_1730:
	s_andn2_b64 vcc, exec, s[4:5]
	s_cbranch_vccnz .LBB66_1738
; %bb.1731:
	v_cvt_f32_f16_e32 v4, v3
	s_mov_b32 s4, 0x43800000
	v_mov_b32_e32 v9, 0x80
	v_and_b32_e32 v8, 0x7fffffff, v4
	v_cmp_gt_u32_e32 vcc, s4, v8
	s_and_saveexec_b64 s[4:5], vcc
	s_cbranch_execz .LBB66_1737
; %bb.1732:
	s_mov_b32 s10, 0x3bffffff
	v_cmp_lt_u32_e32 vcc, s10, v8
	s_mov_b64 s[10:11], 0
                                        ; implicit-def: $vgpr8
	s_and_saveexec_b64 s[12:13], vcc
	s_xor_b64 s[12:13], exec, s[12:13]
	s_cbranch_execz .LBB66_2072
; %bb.1733:
	v_bfe_u32 v8, v4, 20, 1
	s_mov_b32 s21, 0x487ffff
	v_add3_u32 v8, v4, v8, s21
	s_mov_b64 s[10:11], exec
	v_lshrrev_b32_e32 v8, 20, v8
	s_andn2_saveexec_b64 s[12:13], s[12:13]
	s_cbranch_execnz .LBB66_2073
.LBB66_1734:
	s_or_b64 exec, exec, s[12:13]
	v_mov_b32_e32 v9, 0
	s_and_saveexec_b64 s[12:13], s[10:11]
.LBB66_1735:
	v_lshrrev_b32_e32 v4, 24, v4
	s_movk_i32 s10, 0x80
	v_and_or_b32 v9, v4, s10, v8
.LBB66_1736:
	s_or_b64 exec, exec, s[12:13]
.LBB66_1737:
	s_or_b64 exec, exec, s[4:5]
	global_store_byte v[0:1], v9, off
.LBB66_1738:
	s_mov_b64 s[4:5], -1
.LBB66_1739:
	s_mov_b64 s[10:11], 0
.LBB66_1740:
	s_and_b64 vcc, exec, s[10:11]
	s_cbranch_vccz .LBB66_1780
; %bb.1741:
	s_cmp_gt_i32 s17, 22
	s_mov_b64 s[2:3], -1
	s_cbranch_scc0 .LBB66_1773
; %bb.1742:
	s_cmp_lt_i32 s17, 24
	s_cbranch_scc1 .LBB66_1762
; %bb.1743:
	s_cmp_gt_i32 s17, 24
	s_cbranch_scc0 .LBB66_1751
; %bb.1744:
	v_cvt_f32_f16_e32 v4, v3
	s_mov_b32 s2, 0x47800000
	v_mov_b32_e32 v9, 0x80
	v_and_b32_e32 v8, 0x7fffffff, v4
	v_cmp_gt_u32_e32 vcc, s2, v8
	s_and_saveexec_b64 s[2:3], vcc
	s_cbranch_execz .LBB66_1750
; %bb.1745:
	s_mov_b32 s4, 0x37ffffff
	v_cmp_lt_u32_e32 vcc, s4, v8
	s_mov_b64 s[4:5], 0
                                        ; implicit-def: $vgpr8
	s_and_saveexec_b64 s[10:11], vcc
	s_xor_b64 s[10:11], exec, s[10:11]
	s_cbranch_execz .LBB66_2075
; %bb.1746:
	v_bfe_u32 v8, v4, 21, 1
	s_mov_b32 s12, 0x88fffff
	v_add3_u32 v8, v4, v8, s12
	s_mov_b64 s[4:5], exec
	v_lshrrev_b32_e32 v8, 21, v8
	s_andn2_saveexec_b64 s[10:11], s[10:11]
	s_cbranch_execnz .LBB66_2076
.LBB66_1747:
	s_or_b64 exec, exec, s[10:11]
	v_mov_b32_e32 v9, 0
	s_and_saveexec_b64 s[10:11], s[4:5]
.LBB66_1748:
	v_lshrrev_b32_e32 v4, 24, v4
	s_movk_i32 s4, 0x80
	v_and_or_b32 v9, v4, s4, v8
.LBB66_1749:
	s_or_b64 exec, exec, s[10:11]
.LBB66_1750:
	s_or_b64 exec, exec, s[2:3]
	s_mov_b64 s[2:3], 0
	global_store_byte v[0:1], v9, off
.LBB66_1751:
	s_and_b64 vcc, exec, s[2:3]
	s_cbranch_vccz .LBB66_1761
; %bb.1752:
	v_cvt_f32_f16_e32 v4, v3
	s_mov_b32 s2, 0x43f00000
                                        ; implicit-def: $vgpr8
	v_and_b32_e32 v9, 0x7fffffff, v4
	v_cmp_gt_u32_e32 vcc, s2, v9
	s_and_saveexec_b64 s[2:3], vcc
	s_xor_b64 s[2:3], exec, s[2:3]
	s_cbranch_execz .LBB66_1758
; %bb.1753:
	s_mov_b32 s4, 0x3c7fffff
	v_cmp_lt_u32_e32 vcc, s4, v9
                                        ; implicit-def: $vgpr8
	s_and_saveexec_b64 s[4:5], vcc
	s_xor_b64 s[4:5], exec, s[4:5]
; %bb.1754:
	v_bfe_u32 v8, v4, 20, 1
	s_mov_b32 s10, 0x407ffff
	v_add3_u32 v8, v4, v8, s10
	v_lshrrev_b32_e32 v9, 20, v8
	v_and_b32_e32 v8, 0xff00000, v8
	s_mov_b32 s10, 0x7f00000
	v_mov_b32_e32 v13, 0x7e
	v_cmp_ne_u32_e32 vcc, s10, v8
	v_cndmask_b32_e32 v8, v13, v9, vcc
; %bb.1755:
	s_andn2_saveexec_b64 s[4:5], s[4:5]
; %bb.1756:
	s_mov_b32 s10, 0x46800000
	v_add_f32_e64 v8, |v4|, s10
; %bb.1757:
	s_or_b64 exec, exec, s[4:5]
                                        ; implicit-def: $vgpr9
.LBB66_1758:
	s_andn2_saveexec_b64 s[2:3], s[2:3]
; %bb.1759:
	s_mov_b32 s4, 0x7f800000
	v_mov_b32_e32 v8, 0x7e
	v_mov_b32_e32 v13, 0x7f
	v_cmp_lt_u32_e32 vcc, s4, v9
	v_cndmask_b32_e32 v8, v8, v13, vcc
; %bb.1760:
	s_or_b64 exec, exec, s[2:3]
	v_lshrrev_b32_e32 v4, 24, v4
	s_movk_i32 s2, 0x80
	v_and_or_b32 v4, v4, s2, v8
	global_store_byte v[0:1], v4, off
.LBB66_1761:
	s_mov_b64 s[2:3], 0
.LBB66_1762:
	s_andn2_b64 vcc, exec, s[2:3]
	s_cbranch_vccnz .LBB66_1772
; %bb.1763:
	v_cvt_f32_f16_e32 v4, v3
	s_mov_b32 s2, 0x47800000
                                        ; implicit-def: $vgpr8
	v_and_b32_e32 v9, 0x7fffffff, v4
	v_cmp_gt_u32_e32 vcc, s2, v9
	s_and_saveexec_b64 s[2:3], vcc
	s_xor_b64 s[2:3], exec, s[2:3]
	s_cbranch_execz .LBB66_1769
; %bb.1764:
	s_mov_b32 s4, 0x387fffff
	v_cmp_lt_u32_e32 vcc, s4, v9
                                        ; implicit-def: $vgpr8
	s_and_saveexec_b64 s[4:5], vcc
	s_xor_b64 s[4:5], exec, s[4:5]
; %bb.1765:
	v_bfe_u32 v8, v4, 21, 1
	s_mov_b32 s10, 0x80fffff
	v_add3_u32 v8, v4, v8, s10
	v_lshrrev_b32_e32 v8, 21, v8
; %bb.1766:
	s_andn2_saveexec_b64 s[4:5], s[4:5]
; %bb.1767:
	s_mov_b32 s10, 0x43000000
	v_add_f32_e64 v8, |v4|, s10
; %bb.1768:
	s_or_b64 exec, exec, s[4:5]
                                        ; implicit-def: $vgpr9
.LBB66_1769:
	s_andn2_saveexec_b64 s[2:3], s[2:3]
; %bb.1770:
	s_mov_b32 s4, 0x7f800000
	v_mov_b32_e32 v8, 0x7c
	v_mov_b32_e32 v13, 0x7f
	v_cmp_lt_u32_e32 vcc, s4, v9
	v_cndmask_b32_e32 v8, v8, v13, vcc
; %bb.1771:
	s_or_b64 exec, exec, s[2:3]
	v_lshrrev_b32_e32 v4, 24, v4
	s_movk_i32 s2, 0x80
	v_and_or_b32 v4, v4, s2, v8
	global_store_byte v[0:1], v4, off
.LBB66_1772:
	s_mov_b64 s[2:3], 0
	s_mov_b64 s[4:5], -1
.LBB66_1773:
	s_andn2_b64 vcc, exec, s[2:3]
	s_mov_b64 s[2:3], 0
	s_cbranch_vccnz .LBB66_1780
; %bb.1774:
	s_cmp_gt_i32 s17, 14
	s_mov_b64 s[10:11], -1
	s_cbranch_scc0 .LBB66_1778
; %bb.1775:
	s_cmp_eq_u32 s17, 15
	s_mov_b64 s[0:1], -1
	s_cbranch_scc0 .LBB66_1777
; %bb.1776:
	v_cvt_f32_f16_e32 v4, v3
	s_movk_i32 s0, 0x7fff
	v_cmp_o_f16_e32 vcc, v3, v3
	v_mov_b32_e32 v8, 0x7fc0
	v_bfe_u32 v9, v4, 16, 1
	v_add3_u32 v4, v4, v9, s0
	v_cndmask_b32_sdwa v4, v8, v4, vcc dst_sel:DWORD dst_unused:UNUSED_PAD src0_sel:DWORD src1_sel:WORD_1
	global_store_short v[0:1], v4, off
	s_mov_b64 s[0:1], 0
	s_mov_b64 s[4:5], -1
.LBB66_1777:
	s_mov_b64 s[10:11], 0
.LBB66_1778:
	s_and_b64 vcc, exec, s[10:11]
	s_cbranch_vccz .LBB66_1780
; %bb.1779:
	s_cmp_lg_u32 s17, 11
	s_mov_b64 s[2:3], -1
	s_cselect_b64 s[0:1], -1, 0
.LBB66_1780:
	s_and_b64 vcc, exec, s[0:1]
	s_cbranch_vccnz .LBB66_2074
; %bb.1781:
	s_andn2_b64 vcc, exec, s[2:3]
	s_cbranch_vccnz .LBB66_1783
.LBB66_1782:
	v_cmp_neq_f16_e32 vcc, 0, v3
	v_cndmask_b32_e64 v4, 0, 1, vcc
	s_mov_b64 s[4:5], -1
	global_store_byte v[0:1], v4, off
.LBB66_1783:
	s_mov_b64 s[0:1], 0
	s_branch .LBB66_1785
.LBB66_1784:
	s_mov_b64 s[0:1], -1
	s_mov_b64 s[4:5], 0
.LBB66_1785:
	s_and_b64 vcc, exec, s[0:1]
	s_cbranch_vccz .LBB66_1824
; %bb.1786:
	s_and_b32 s2, 0xffff, s20
	s_cmp_lt_i32 s2, 5
	s_mov_b64 s[0:1], -1
	s_cbranch_scc1 .LBB66_1807
; %bb.1787:
	s_cmp_lt_i32 s2, 8
	s_cbranch_scc1 .LBB66_1797
; %bb.1788:
	s_cmp_lt_i32 s2, 9
	s_cbranch_scc1 .LBB66_1794
; %bb.1789:
	s_cmp_gt_i32 s2, 9
	s_cbranch_scc0 .LBB66_1791
; %bb.1790:
	v_cvt_f32_f16_e32 v4, v3
	v_mov_b32_e32 v15, 0
	v_mov_b32_e32 v16, v15
	s_mov_b64 s[0:1], 0
	v_cvt_f64_f32_e32 v[13:14], v4
	global_store_dwordx4 v[0:1], v[13:16], off
.LBB66_1791:
	s_andn2_b64 vcc, exec, s[0:1]
	s_cbranch_vccnz .LBB66_1793
; %bb.1792:
	v_cvt_f32_f16_e32 v8, v3
	v_mov_b32_e32 v9, 0
	global_store_dwordx2 v[0:1], v[8:9], off
.LBB66_1793:
	s_mov_b64 s[0:1], 0
.LBB66_1794:
	s_andn2_b64 vcc, exec, s[0:1]
	s_cbranch_vccnz .LBB66_1796
; %bb.1795:
	v_and_b32_e32 v4, 0xffff, v3
	global_store_dword v[0:1], v4, off
.LBB66_1796:
	s_mov_b64 s[0:1], 0
.LBB66_1797:
	s_andn2_b64 vcc, exec, s[0:1]
	s_cbranch_vccnz .LBB66_1806
; %bb.1798:
	s_cmp_lt_i32 s2, 6
	s_mov_b64 s[0:1], -1
	s_cbranch_scc1 .LBB66_1804
; %bb.1799:
	s_cmp_gt_i32 s2, 6
	s_cbranch_scc0 .LBB66_1801
; %bb.1800:
	v_cvt_f32_f16_e32 v4, v3
	s_mov_b64 s[0:1], 0
	v_cvt_f64_f32_e32 v[8:9], v4
	global_store_dwordx2 v[0:1], v[8:9], off
.LBB66_1801:
	s_andn2_b64 vcc, exec, s[0:1]
	s_cbranch_vccnz .LBB66_1803
; %bb.1802:
	v_cvt_f32_f16_e32 v4, v3
	global_store_dword v[0:1], v4, off
.LBB66_1803:
	s_mov_b64 s[0:1], 0
.LBB66_1804:
	s_andn2_b64 vcc, exec, s[0:1]
	s_cbranch_vccnz .LBB66_1806
; %bb.1805:
	global_store_short v[0:1], v3, off
.LBB66_1806:
	s_mov_b64 s[0:1], 0
.LBB66_1807:
	s_andn2_b64 vcc, exec, s[0:1]
	s_cbranch_vccnz .LBB66_1823
; %bb.1808:
	s_cmp_lt_i32 s2, 2
	s_mov_b64 s[0:1], -1
	s_cbranch_scc1 .LBB66_1818
; %bb.1809:
	s_cmp_lt_i32 s2, 3
	s_cbranch_scc1 .LBB66_1815
; %bb.1810:
	s_cmp_gt_i32 s2, 3
	s_cbranch_scc0 .LBB66_1812
; %bb.1811:
	v_cvt_f32_f16_e32 v4, v3
	s_mov_b64 s[0:1], 0
	v_cvt_i32_f32_e32 v8, v4
	v_ashrrev_i32_e32 v9, 31, v8
	global_store_dwordx2 v[0:1], v[8:9], off
.LBB66_1812:
	s_andn2_b64 vcc, exec, s[0:1]
	s_cbranch_vccnz .LBB66_1814
; %bb.1813:
	v_cvt_f32_f16_e32 v4, v3
	v_cvt_i32_f32_e32 v4, v4
	global_store_dword v[0:1], v4, off
.LBB66_1814:
	s_mov_b64 s[0:1], 0
.LBB66_1815:
	s_andn2_b64 vcc, exec, s[0:1]
	s_cbranch_vccnz .LBB66_1817
; %bb.1816:
	v_cvt_i16_f16_e32 v4, v3
	global_store_short v[0:1], v4, off
.LBB66_1817:
	s_mov_b64 s[0:1], 0
.LBB66_1818:
	s_andn2_b64 vcc, exec, s[0:1]
	s_cbranch_vccnz .LBB66_1823
; %bb.1819:
	s_cmp_gt_i32 s2, 0
	s_mov_b64 s[0:1], -1
	s_cbranch_scc0 .LBB66_1821
; %bb.1820:
	v_cvt_i16_f16_e32 v4, v3
	global_store_byte v[0:1], v4, off
	s_mov_b64 s[0:1], 0
.LBB66_1821:
	s_andn2_b64 vcc, exec, s[0:1]
	s_cbranch_vccnz .LBB66_1823
; %bb.1822:
	v_cvt_f32_f16_e32 v3, v3
	v_cvt_i32_f32_e32 v3, v3
	global_store_byte v[0:1], v3, off
.LBB66_1823:
	s_mov_b64 s[4:5], -1
.LBB66_1824:
	s_andn2_b64 vcc, exec, s[4:5]
	s_cbranch_vccnz .LBB66_2020
; %bb.1825:
	v_mul_f32_e32 v0, v5, v5
	v_div_scale_f32 v4, s[0:1], v0, v0, 1.0
	v_add_f32_e32 v3, 1.0, v5
	v_mul_f32_e32 v1, v3, v3
	v_div_scale_f32 v8, s[0:1], v1, v1, 1.0
	v_div_scale_f32 v5, vcc, 1.0, v0, 1.0
	v_div_scale_f32 v9, s[0:1], 1.0, v1, 1.0
	v_add_f32_e32 v13, 1.0, v3
	v_mul_f32_e32 v3, v13, v13
	v_div_scale_f32 v16, s[2:3], v3, v3, 1.0
	v_add_f32_e32 v13, 1.0, v13
	v_add_f32_e32 v21, 1.0, v13
	v_rcp_f32_e32 v14, v4
	v_add_u32_e32 v2, s16, v2
	s_cmp_lt_i32 s20, 11
	v_rcp_f32_e32 v15, v8
	v_fma_f32 v17, -v4, v14, 1.0
	v_fmac_f32_e32 v14, v17, v14
	v_mul_f32_e32 v18, v5, v14
	v_fma_f32 v17, -v8, v15, 1.0
	v_fmac_f32_e32 v15, v17, v15
	v_fma_f32 v17, -v4, v18, v5
	v_fmac_f32_e32 v18, v17, v14
	v_fma_f32 v4, -v4, v18, v5
	v_mul_f32_e32 v19, v9, v15
	v_div_fmas_f32 v4, v4, v14, v18
	v_div_scale_f32 v14, s[2:3], 1.0, v3, 1.0
	v_fma_f32 v5, -v8, v19, v9
	v_fmac_f32_e32 v19, v5, v15
	v_mul_f32_e32 v5, v13, v13
	v_div_scale_f32 v17, s[4:5], v5, v5, 1.0
	v_div_scale_f32 v20, s[4:5], 1.0, v5, 1.0
	v_rcp_f32_e32 v18, v16
	v_fma_f32 v9, -v8, v19, v9
	v_mul_f32_e32 v8, v21, v21
	v_div_scale_f32 v22, s[10:11], v8, v8, 1.0
	v_fma_f32 v13, -v16, v18, 1.0
	v_fmac_f32_e32 v18, v13, v18
	s_mov_b64 vcc, s[0:1]
	v_mul_f32_e32 v13, v14, v18
	v_div_fmas_f32 v9, v9, v15, v19
	v_fma_f32 v15, -v16, v13, v14
	v_fmac_f32_e32 v13, v15, v18
	v_rcp_f32_e32 v15, v17
	v_fma_f32 v14, -v16, v13, v14
	s_mov_b64 vcc, s[2:3]
	v_div_fmas_f32 v13, v14, v18, v13
	v_div_scale_f32 v18, s[0:1], 1.0, v8, 1.0
	v_add_f32_e32 v19, 1.0, v21
	v_mul_f32_e32 v21, v19, v19
	v_fma_f32 v14, -v17, v15, 1.0
	v_div_scale_f32 v23, s[2:3], v21, v21, 1.0
	v_fmac_f32_e32 v15, v14, v15
	v_mul_f32_e32 v14, v20, v15
	v_fma_f32 v16, -v17, v14, v20
	v_fmac_f32_e32 v14, v16, v15
	v_fma_f32 v17, -v17, v14, v20
	s_mov_b64 vcc, s[4:5]
	v_div_fmas_f32 v14, v17, v15, v14
	v_div_scale_f32 v17, s[2:3], 1.0, v21, 1.0
	v_rcp_f32_e32 v16, v22
	v_add_f32_e32 v19, 1.0, v19
	v_mul_f32_e32 v20, v19, v19
	v_div_scale_f32 v24, s[4:5], v20, v20, 1.0
	v_fma_f32 v15, -v22, v16, 1.0
	v_fmac_f32_e32 v16, v15, v16
	v_mul_f32_e32 v15, v18, v16
	v_fma_f32 v25, -v22, v15, v18
	v_fmac_f32_e32 v15, v25, v16
	v_div_scale_f32 v25, s[4:5], 1.0, v20, 1.0
	v_fma_f32 v18, -v22, v15, v18
	v_rcp_f32_e32 v22, v23
	s_mov_b64 vcc, s[0:1]
	v_div_fmas_f32 v15, v18, v16, v15
	s_mov_b64 vcc, s[2:3]
	v_fma_f32 v16, -v23, v22, 1.0
	v_fmac_f32_e32 v22, v16, v22
	v_mul_f32_e32 v16, v17, v22
	v_fma_f32 v18, -v23, v16, v17
	v_fmac_f32_e32 v16, v18, v22
	v_rcp_f32_e32 v18, v24
	v_fma_f32 v17, -v23, v16, v17
	v_div_fmas_f32 v16, v17, v22, v16
	v_add_f32_e32 v22, v19, v19
	v_div_scale_f32 v23, s[0:1], v22, v22, 1.0
	v_fma_f32 v17, -v24, v18, 1.0
	v_fmac_f32_e32 v18, v17, v18
	v_mul_f32_e32 v17, v25, v18
	v_fma_f32 v26, -v24, v17, v25
	v_fmac_f32_e32 v17, v26, v18
	v_div_scale_f32 v26, s[0:1], 1.0, v22, 1.0
	v_fma_f32 v24, -v24, v17, v25
	s_mov_b64 vcc, s[4:5]
	v_div_fmas_f32 v17, v24, v18, v17
	s_mov_b64 vcc, s[0:1]
	s_mov_b32 s0, 0x3e2aaaab
	v_div_fixup_f32 v0, v4, v0, 1.0
	v_add_f32_e32 v0, v7, v0
	v_rcp_f32_e32 v25, v23
	v_div_fixup_f32 v1, v9, v1, 1.0
	v_add_f32_e32 v0, v0, v1
	v_div_fixup_f32 v1, v13, v3, 1.0
	v_fma_f32 v18, -v23, v25, 1.0
	v_fmac_f32_e32 v25, v18, v25
	v_add_f32_e32 v0, v0, v1
	v_mul_f32_e32 v18, v26, v25
	v_fma_f32 v24, -v23, v18, v26
	v_fmac_f32_e32 v18, v24, v25
	v_fma_f32 v23, -v23, v18, v26
	v_div_fmas_f32 v18, v23, v25, v18
	v_div_fixup_f32 v17, v17, v20, 1.0
	v_mov_b32_e32 v20, 0x3d088889
	v_fmac_f32_e32 v20, 0xbcc30c31, v17
	v_fma_f32 v20, -v17, v20, s0
	v_div_fixup_f32 v1, v14, v5, 1.0
	v_add_f32_e32 v0, v0, v1
	v_div_fixup_f32 v1, v15, v8, 1.0
	v_add_f32_e32 v0, v0, v1
	v_div_fixup_f32 v1, v16, v21, 1.0
	v_add_f32_e32 v0, v0, v1
	v_mov_b32_e32 v4, s9
	v_div_fixup_f32 v18, v18, v22, 1.0
	v_add_f32_e32 v18, 1.0, v18
	v_fmac_f32_e32 v18, v17, v20
	v_div_scale_f32 v17, s[0:1], v19, v19, v18
	v_div_scale_f32 v20, vcc, v18, v19, v18
	v_rcp_f32_e32 v22, v17
	v_fma_f32 v23, -v17, v22, 1.0
	v_fmac_f32_e32 v22, v23, v22
	v_mul_f32_e32 v23, v20, v22
	v_fma_f32 v24, -v17, v23, v20
	v_fmac_f32_e32 v23, v24, v22
	v_fma_f32 v17, -v17, v23, v20
	v_div_fmas_f32 v17, v17, v22, v23
	v_div_fixup_f32 v1, v17, v19, v18
	v_add_f32_e32 v0, v0, v1
	v_fma_mixlo_f16 v3, v6, v0, 0
	v_ashrrev_i32_e32 v1, 31, v2
	v_add_co_u32_e32 v0, vcc, s8, v2
	v_addc_co_u32_e32 v1, vcc, v4, v1, vcc
	s_cbranch_scc1 .LBB66_1903
; %bb.1826:
	s_and_b32 s17, 0xffff, s20
	s_mov_b64 s[10:11], -1
	s_mov_b64 s[2:3], 0
	s_cmp_gt_i32 s17, 25
	s_mov_b64 s[4:5], 0
	s_mov_b64 s[0:1], 0
	s_cbranch_scc0 .LBB66_1859
; %bb.1827:
	s_cmp_gt_i32 s17, 28
	s_cbranch_scc0 .LBB66_1842
; %bb.1828:
	s_cmp_gt_i32 s17, 43
	;; [unrolled: 3-line block ×3, first 2 shown]
	s_cbranch_scc0 .LBB66_1832
; %bb.1830:
	s_mov_b64 s[0:1], -1
	s_mov_b64 s[10:11], 0
	s_cmp_eq_u32 s17, 46
	s_cbranch_scc0 .LBB66_1832
; %bb.1831:
	v_cvt_f32_f16_e32 v4, v3
	s_movk_i32 s0, 0x7fff
	v_cmp_o_f16_e32 vcc, v3, v3
	v_mov_b32_e32 v5, 0x7fc0
	v_bfe_u32 v6, v4, 16, 1
	v_add3_u32 v4, v4, v6, s0
	v_cndmask_b32_sdwa v4, v5, v4, vcc dst_sel:DWORD dst_unused:UNUSED_PAD src0_sel:DWORD src1_sel:WORD_1
	global_store_dword v[0:1], v4, off
	s_mov_b64 s[0:1], 0
	s_mov_b64 s[4:5], -1
.LBB66_1832:
	s_and_b64 vcc, exec, s[10:11]
	s_cbranch_vccz .LBB66_1837
; %bb.1833:
	s_cmp_eq_u32 s17, 44
	s_mov_b64 s[0:1], -1
	s_cbranch_scc0 .LBB66_1837
; %bb.1834:
	v_cvt_f32_f16_e32 v4, v3
	s_movk_i32 s0, 0xff
	v_mov_b32_e32 v6, 0xff
	v_bfe_u32 v5, v4, 23, 8
	v_cmp_ne_u32_e32 vcc, s0, v5
	s_and_saveexec_b64 s[4:5], vcc
; %bb.1835:
	s_mov_b32 s0, 0x3fffff
	v_lshrrev_b32_e32 v6, 23, v4
	v_and_b32_e32 v7, 0x400000, v4
	v_and_or_b32 v4, v4, s0, v5
	v_cmp_ne_u32_e32 vcc, 0, v7
	v_cmp_ne_u32_e64 s[0:1], 0, v4
	s_and_b64 s[0:1], vcc, s[0:1]
	v_cndmask_b32_e64 v4, 0, 1, s[0:1]
	v_add_u32_e32 v6, v6, v4
; %bb.1836:
	s_or_b64 exec, exec, s[4:5]
	s_mov_b64 s[0:1], 0
	s_mov_b64 s[4:5], -1
	global_store_byte v[0:1], v6, off
.LBB66_1837:
	s_mov_b64 s[10:11], 0
.LBB66_1838:
	s_and_b64 vcc, exec, s[10:11]
	s_cbranch_vccz .LBB66_1841
; %bb.1839:
	s_cmp_eq_u32 s17, 29
	s_mov_b64 s[0:1], -1
	s_cbranch_scc0 .LBB66_1841
; %bb.1840:
	v_cvt_f32_f16_e32 v4, v3
	v_mov_b32_e32 v5, 0
	s_mov_b64 s[0:1], 0
	s_mov_b64 s[4:5], -1
	v_cvt_u32_f32_e32 v4, v4
	global_store_dwordx2 v[0:1], v[4:5], off
.LBB66_1841:
	s_mov_b64 s[10:11], 0
.LBB66_1842:
	s_and_b64 vcc, exec, s[10:11]
	s_cbranch_vccz .LBB66_1858
; %bb.1843:
	s_cmp_lt_i32 s17, 27
	s_mov_b64 s[4:5], -1
	s_cbranch_scc1 .LBB66_1849
; %bb.1844:
	s_cmp_gt_i32 s17, 27
	s_cbranch_scc0 .LBB66_1846
; %bb.1845:
	v_cvt_f32_f16_e32 v4, v3
	s_mov_b64 s[4:5], 0
	v_cvt_u32_f32_e32 v4, v4
	global_store_dword v[0:1], v4, off
.LBB66_1846:
	s_andn2_b64 vcc, exec, s[4:5]
	s_cbranch_vccnz .LBB66_1848
; %bb.1847:
	v_cvt_u16_f16_e32 v4, v3
	global_store_short v[0:1], v4, off
.LBB66_1848:
	s_mov_b64 s[4:5], 0
.LBB66_1849:
	s_andn2_b64 vcc, exec, s[4:5]
	s_cbranch_vccnz .LBB66_1857
; %bb.1850:
	v_cvt_f32_f16_e32 v4, v3
	s_mov_b32 s4, 0x43800000
	v_mov_b32_e32 v6, 0x80
	v_and_b32_e32 v5, 0x7fffffff, v4
	v_cmp_gt_u32_e32 vcc, s4, v5
	s_and_saveexec_b64 s[4:5], vcc
	s_cbranch_execz .LBB66_1856
; %bb.1851:
	s_mov_b32 s10, 0x3bffffff
	v_cmp_lt_u32_e32 vcc, s10, v5
	s_mov_b64 s[10:11], 0
                                        ; implicit-def: $vgpr5
	s_and_saveexec_b64 s[12:13], vcc
	s_xor_b64 s[12:13], exec, s[12:13]
	s_cbranch_execz .LBB66_2077
; %bb.1852:
	v_bfe_u32 v5, v4, 20, 1
	s_mov_b32 s21, 0x487ffff
	v_add3_u32 v5, v4, v5, s21
	s_mov_b64 s[10:11], exec
	v_lshrrev_b32_e32 v5, 20, v5
	s_andn2_saveexec_b64 s[12:13], s[12:13]
	s_cbranch_execnz .LBB66_2078
.LBB66_1853:
	s_or_b64 exec, exec, s[12:13]
	v_mov_b32_e32 v6, 0
	s_and_saveexec_b64 s[12:13], s[10:11]
.LBB66_1854:
	v_lshrrev_b32_e32 v4, 24, v4
	s_movk_i32 s10, 0x80
	v_and_or_b32 v6, v4, s10, v5
.LBB66_1855:
	s_or_b64 exec, exec, s[12:13]
.LBB66_1856:
	s_or_b64 exec, exec, s[4:5]
	global_store_byte v[0:1], v6, off
.LBB66_1857:
	s_mov_b64 s[4:5], -1
.LBB66_1858:
	s_mov_b64 s[10:11], 0
.LBB66_1859:
	s_and_b64 vcc, exec, s[10:11]
	s_cbranch_vccz .LBB66_1899
; %bb.1860:
	s_cmp_gt_i32 s17, 22
	s_mov_b64 s[2:3], -1
	s_cbranch_scc0 .LBB66_1892
; %bb.1861:
	s_cmp_lt_i32 s17, 24
	s_cbranch_scc1 .LBB66_1881
; %bb.1862:
	s_cmp_gt_i32 s17, 24
	s_cbranch_scc0 .LBB66_1870
; %bb.1863:
	v_cvt_f32_f16_e32 v4, v3
	s_mov_b32 s2, 0x47800000
	v_mov_b32_e32 v6, 0x80
	v_and_b32_e32 v5, 0x7fffffff, v4
	v_cmp_gt_u32_e32 vcc, s2, v5
	s_and_saveexec_b64 s[2:3], vcc
	s_cbranch_execz .LBB66_1869
; %bb.1864:
	s_mov_b32 s4, 0x37ffffff
	v_cmp_lt_u32_e32 vcc, s4, v5
	s_mov_b64 s[4:5], 0
                                        ; implicit-def: $vgpr5
	s_and_saveexec_b64 s[10:11], vcc
	s_xor_b64 s[10:11], exec, s[10:11]
	s_cbranch_execz .LBB66_2080
; %bb.1865:
	v_bfe_u32 v5, v4, 21, 1
	s_mov_b32 s12, 0x88fffff
	v_add3_u32 v5, v4, v5, s12
	s_mov_b64 s[4:5], exec
	v_lshrrev_b32_e32 v5, 21, v5
	s_andn2_saveexec_b64 s[10:11], s[10:11]
	s_cbranch_execnz .LBB66_2081
.LBB66_1866:
	s_or_b64 exec, exec, s[10:11]
	v_mov_b32_e32 v6, 0
	s_and_saveexec_b64 s[10:11], s[4:5]
.LBB66_1867:
	v_lshrrev_b32_e32 v4, 24, v4
	s_movk_i32 s4, 0x80
	v_and_or_b32 v6, v4, s4, v5
.LBB66_1868:
	s_or_b64 exec, exec, s[10:11]
.LBB66_1869:
	s_or_b64 exec, exec, s[2:3]
	s_mov_b64 s[2:3], 0
	global_store_byte v[0:1], v6, off
.LBB66_1870:
	s_and_b64 vcc, exec, s[2:3]
	s_cbranch_vccz .LBB66_1880
; %bb.1871:
	v_cvt_f32_f16_e32 v4, v3
	s_mov_b32 s2, 0x43f00000
                                        ; implicit-def: $vgpr5
	v_and_b32_e32 v6, 0x7fffffff, v4
	v_cmp_gt_u32_e32 vcc, s2, v6
	s_and_saveexec_b64 s[2:3], vcc
	s_xor_b64 s[2:3], exec, s[2:3]
	s_cbranch_execz .LBB66_1877
; %bb.1872:
	s_mov_b32 s4, 0x3c7fffff
	v_cmp_lt_u32_e32 vcc, s4, v6
                                        ; implicit-def: $vgpr5
	s_and_saveexec_b64 s[4:5], vcc
	s_xor_b64 s[4:5], exec, s[4:5]
; %bb.1873:
	v_bfe_u32 v5, v4, 20, 1
	s_mov_b32 s10, 0x407ffff
	v_add3_u32 v5, v4, v5, s10
	v_lshrrev_b32_e32 v6, 20, v5
	v_and_b32_e32 v5, 0xff00000, v5
	s_mov_b32 s10, 0x7f00000
	v_mov_b32_e32 v7, 0x7e
	v_cmp_ne_u32_e32 vcc, s10, v5
	v_cndmask_b32_e32 v5, v7, v6, vcc
; %bb.1874:
	s_andn2_saveexec_b64 s[4:5], s[4:5]
; %bb.1875:
	s_mov_b32 s10, 0x46800000
	v_add_f32_e64 v5, |v4|, s10
; %bb.1876:
	s_or_b64 exec, exec, s[4:5]
                                        ; implicit-def: $vgpr6
.LBB66_1877:
	s_andn2_saveexec_b64 s[2:3], s[2:3]
; %bb.1878:
	s_mov_b32 s4, 0x7f800000
	v_mov_b32_e32 v5, 0x7e
	v_mov_b32_e32 v7, 0x7f
	v_cmp_lt_u32_e32 vcc, s4, v6
	v_cndmask_b32_e32 v5, v5, v7, vcc
; %bb.1879:
	s_or_b64 exec, exec, s[2:3]
	v_lshrrev_b32_e32 v4, 24, v4
	s_movk_i32 s2, 0x80
	v_and_or_b32 v4, v4, s2, v5
	global_store_byte v[0:1], v4, off
.LBB66_1880:
	s_mov_b64 s[2:3], 0
.LBB66_1881:
	s_andn2_b64 vcc, exec, s[2:3]
	s_cbranch_vccnz .LBB66_1891
; %bb.1882:
	v_cvt_f32_f16_e32 v4, v3
	s_mov_b32 s2, 0x47800000
                                        ; implicit-def: $vgpr5
	v_and_b32_e32 v6, 0x7fffffff, v4
	v_cmp_gt_u32_e32 vcc, s2, v6
	s_and_saveexec_b64 s[2:3], vcc
	s_xor_b64 s[2:3], exec, s[2:3]
	s_cbranch_execz .LBB66_1888
; %bb.1883:
	s_mov_b32 s4, 0x387fffff
	v_cmp_lt_u32_e32 vcc, s4, v6
                                        ; implicit-def: $vgpr5
	s_and_saveexec_b64 s[4:5], vcc
	s_xor_b64 s[4:5], exec, s[4:5]
; %bb.1884:
	v_bfe_u32 v5, v4, 21, 1
	s_mov_b32 s10, 0x80fffff
	v_add3_u32 v5, v4, v5, s10
	v_lshrrev_b32_e32 v5, 21, v5
; %bb.1885:
	s_andn2_saveexec_b64 s[4:5], s[4:5]
; %bb.1886:
	s_mov_b32 s10, 0x43000000
	v_add_f32_e64 v5, |v4|, s10
; %bb.1887:
	s_or_b64 exec, exec, s[4:5]
                                        ; implicit-def: $vgpr6
.LBB66_1888:
	s_andn2_saveexec_b64 s[2:3], s[2:3]
; %bb.1889:
	s_mov_b32 s4, 0x7f800000
	v_mov_b32_e32 v5, 0x7c
	v_mov_b32_e32 v7, 0x7f
	v_cmp_lt_u32_e32 vcc, s4, v6
	v_cndmask_b32_e32 v5, v5, v7, vcc
; %bb.1890:
	s_or_b64 exec, exec, s[2:3]
	v_lshrrev_b32_e32 v4, 24, v4
	s_movk_i32 s2, 0x80
	v_and_or_b32 v4, v4, s2, v5
	global_store_byte v[0:1], v4, off
.LBB66_1891:
	s_mov_b64 s[2:3], 0
	s_mov_b64 s[4:5], -1
.LBB66_1892:
	s_andn2_b64 vcc, exec, s[2:3]
	s_mov_b64 s[2:3], 0
	s_cbranch_vccnz .LBB66_1899
; %bb.1893:
	s_cmp_gt_i32 s17, 14
	s_mov_b64 s[10:11], -1
	s_cbranch_scc0 .LBB66_1897
; %bb.1894:
	s_cmp_eq_u32 s17, 15
	s_mov_b64 s[0:1], -1
	s_cbranch_scc0 .LBB66_1896
; %bb.1895:
	v_cvt_f32_f16_e32 v4, v3
	s_movk_i32 s0, 0x7fff
	v_cmp_o_f16_e32 vcc, v3, v3
	v_mov_b32_e32 v5, 0x7fc0
	v_bfe_u32 v6, v4, 16, 1
	v_add3_u32 v4, v4, v6, s0
	v_cndmask_b32_sdwa v4, v5, v4, vcc dst_sel:DWORD dst_unused:UNUSED_PAD src0_sel:DWORD src1_sel:WORD_1
	global_store_short v[0:1], v4, off
	s_mov_b64 s[0:1], 0
	s_mov_b64 s[4:5], -1
.LBB66_1896:
	s_mov_b64 s[10:11], 0
.LBB66_1897:
	s_and_b64 vcc, exec, s[10:11]
	s_cbranch_vccz .LBB66_1899
; %bb.1898:
	s_cmp_lg_u32 s17, 11
	s_mov_b64 s[2:3], -1
	s_cselect_b64 s[0:1], -1, 0
.LBB66_1899:
	s_and_b64 vcc, exec, s[0:1]
	s_cbranch_vccnz .LBB66_2079
; %bb.1900:
	s_andn2_b64 vcc, exec, s[2:3]
	s_cbranch_vccnz .LBB66_1902
.LBB66_1901:
	v_cmp_neq_f16_e32 vcc, 0, v3
	v_cndmask_b32_e64 v4, 0, 1, vcc
	s_mov_b64 s[4:5], -1
	global_store_byte v[0:1], v4, off
.LBB66_1902:
	s_mov_b64 s[0:1], 0
	s_branch .LBB66_1904
.LBB66_1903:
	s_mov_b64 s[0:1], -1
	s_mov_b64 s[4:5], 0
.LBB66_1904:
	s_and_b64 vcc, exec, s[0:1]
	s_cbranch_vccz .LBB66_1943
; %bb.1905:
	s_and_b32 s2, 0xffff, s20
	s_cmp_lt_i32 s2, 5
	s_mov_b64 s[0:1], -1
	s_cbranch_scc1 .LBB66_1926
; %bb.1906:
	s_cmp_lt_i32 s2, 8
	s_cbranch_scc1 .LBB66_1916
; %bb.1907:
	s_cmp_lt_i32 s2, 9
	s_cbranch_scc1 .LBB66_1913
; %bb.1908:
	s_cmp_gt_i32 s2, 9
	s_cbranch_scc0 .LBB66_1910
; %bb.1909:
	v_cvt_f32_f16_e32 v4, v3
	v_mov_b32_e32 v6, 0
	v_mov_b32_e32 v7, v6
	s_mov_b64 s[0:1], 0
	v_cvt_f64_f32_e32 v[4:5], v4
	global_store_dwordx4 v[0:1], v[4:7], off
.LBB66_1910:
	s_andn2_b64 vcc, exec, s[0:1]
	s_cbranch_vccnz .LBB66_1912
; %bb.1911:
	v_cvt_f32_f16_e32 v4, v3
	v_mov_b32_e32 v5, 0
	global_store_dwordx2 v[0:1], v[4:5], off
.LBB66_1912:
	s_mov_b64 s[0:1], 0
.LBB66_1913:
	s_andn2_b64 vcc, exec, s[0:1]
	s_cbranch_vccnz .LBB66_1915
; %bb.1914:
	v_and_b32_e32 v4, 0xffff, v3
	global_store_dword v[0:1], v4, off
.LBB66_1915:
	s_mov_b64 s[0:1], 0
.LBB66_1916:
	s_andn2_b64 vcc, exec, s[0:1]
	s_cbranch_vccnz .LBB66_1925
; %bb.1917:
	s_cmp_lt_i32 s2, 6
	s_mov_b64 s[0:1], -1
	s_cbranch_scc1 .LBB66_1923
; %bb.1918:
	s_cmp_gt_i32 s2, 6
	s_cbranch_scc0 .LBB66_1920
; %bb.1919:
	v_cvt_f32_f16_e32 v4, v3
	s_mov_b64 s[0:1], 0
	v_cvt_f64_f32_e32 v[4:5], v4
	global_store_dwordx2 v[0:1], v[4:5], off
.LBB66_1920:
	s_andn2_b64 vcc, exec, s[0:1]
	s_cbranch_vccnz .LBB66_1922
; %bb.1921:
	v_cvt_f32_f16_e32 v4, v3
	global_store_dword v[0:1], v4, off
.LBB66_1922:
	s_mov_b64 s[0:1], 0
.LBB66_1923:
	s_andn2_b64 vcc, exec, s[0:1]
	s_cbranch_vccnz .LBB66_1925
; %bb.1924:
	global_store_short v[0:1], v3, off
.LBB66_1925:
	s_mov_b64 s[0:1], 0
.LBB66_1926:
	s_andn2_b64 vcc, exec, s[0:1]
	s_cbranch_vccnz .LBB66_1942
; %bb.1927:
	s_cmp_lt_i32 s2, 2
	s_mov_b64 s[0:1], -1
	s_cbranch_scc1 .LBB66_1937
; %bb.1928:
	s_cmp_lt_i32 s2, 3
	s_cbranch_scc1 .LBB66_1934
; %bb.1929:
	s_cmp_gt_i32 s2, 3
	s_cbranch_scc0 .LBB66_1931
; %bb.1930:
	v_cvt_f32_f16_e32 v4, v3
	s_mov_b64 s[0:1], 0
	v_cvt_i32_f32_e32 v4, v4
	v_ashrrev_i32_e32 v5, 31, v4
	global_store_dwordx2 v[0:1], v[4:5], off
.LBB66_1931:
	s_andn2_b64 vcc, exec, s[0:1]
	s_cbranch_vccnz .LBB66_1933
; %bb.1932:
	v_cvt_f32_f16_e32 v4, v3
	v_cvt_i32_f32_e32 v4, v4
	global_store_dword v[0:1], v4, off
.LBB66_1933:
	s_mov_b64 s[0:1], 0
.LBB66_1934:
	s_andn2_b64 vcc, exec, s[0:1]
	s_cbranch_vccnz .LBB66_1936
; %bb.1935:
	v_cvt_i16_f16_e32 v4, v3
	global_store_short v[0:1], v4, off
.LBB66_1936:
	s_mov_b64 s[0:1], 0
.LBB66_1937:
	s_andn2_b64 vcc, exec, s[0:1]
	s_cbranch_vccnz .LBB66_1942
; %bb.1938:
	s_cmp_gt_i32 s2, 0
	s_mov_b64 s[0:1], -1
	s_cbranch_scc0 .LBB66_1940
; %bb.1939:
	v_cvt_i16_f16_e32 v4, v3
	global_store_byte v[0:1], v4, off
	s_mov_b64 s[0:1], 0
.LBB66_1940:
	s_andn2_b64 vcc, exec, s[0:1]
	s_cbranch_vccnz .LBB66_1942
; %bb.1941:
	v_cvt_f32_f16_e32 v3, v3
	v_cvt_i32_f32_e32 v3, v3
	global_store_byte v[0:1], v3, off
.LBB66_1942:
	s_mov_b64 s[4:5], -1
.LBB66_1943:
	s_andn2_b64 vcc, exec, s[4:5]
	s_cbranch_vccnz .LBB66_2020
; %bb.1944:
	v_mul_f32_e32 v0, v10, v10
	v_div_scale_f32 v4, s[0:1], v0, v0, 1.0
	v_add_f32_e32 v3, 1.0, v10
	v_mul_f32_e32 v1, v3, v3
	v_div_scale_f32 v6, s[0:1], v1, v1, 1.0
	v_div_scale_f32 v5, vcc, 1.0, v0, 1.0
	v_div_scale_f32 v7, s[0:1], 1.0, v1, 1.0
	v_add_f32_e32 v8, 1.0, v3
	v_mul_f32_e32 v3, v8, v8
	v_div_scale_f32 v13, s[2:3], v3, v3, 1.0
	v_add_f32_e32 v8, 1.0, v8
	v_add_f32_e32 v18, 1.0, v8
	v_rcp_f32_e32 v9, v4
	s_cmp_lt_i32 s20, 11
	v_rcp_f32_e32 v10, v6
	v_fma_f32 v14, -v4, v9, 1.0
	v_fmac_f32_e32 v9, v14, v9
	v_mul_f32_e32 v15, v5, v9
	v_fma_f32 v14, -v6, v10, 1.0
	v_fmac_f32_e32 v10, v14, v10
	v_fma_f32 v14, -v4, v15, v5
	v_fmac_f32_e32 v15, v14, v9
	v_fma_f32 v4, -v4, v15, v5
	v_mul_f32_e32 v16, v7, v10
	v_div_fmas_f32 v4, v4, v9, v15
	v_div_scale_f32 v9, s[2:3], 1.0, v3, 1.0
	v_fma_f32 v5, -v6, v16, v7
	v_fmac_f32_e32 v16, v5, v10
	v_mul_f32_e32 v5, v8, v8
	v_div_scale_f32 v14, s[4:5], v5, v5, 1.0
	v_div_scale_f32 v17, s[4:5], 1.0, v5, 1.0
	v_rcp_f32_e32 v15, v13
	v_fma_f32 v7, -v6, v16, v7
	v_mul_f32_e32 v6, v18, v18
	v_div_scale_f32 v19, s[10:11], v6, v6, 1.0
	v_fma_f32 v8, -v13, v15, 1.0
	v_fmac_f32_e32 v15, v8, v15
	s_mov_b64 vcc, s[0:1]
	v_mul_f32_e32 v8, v9, v15
	v_div_fmas_f32 v7, v7, v10, v16
	v_fma_f32 v10, -v13, v8, v9
	v_fmac_f32_e32 v8, v10, v15
	v_rcp_f32_e32 v10, v14
	v_fma_f32 v9, -v13, v8, v9
	s_mov_b64 vcc, s[2:3]
	v_div_fmas_f32 v8, v9, v15, v8
	v_div_scale_f32 v15, s[0:1], 1.0, v6, 1.0
	v_add_f32_e32 v16, 1.0, v18
	v_mul_f32_e32 v18, v16, v16
	v_fma_f32 v9, -v14, v10, 1.0
	v_div_scale_f32 v20, s[2:3], v18, v18, 1.0
	v_fmac_f32_e32 v10, v9, v10
	v_mul_f32_e32 v9, v17, v10
	v_fma_f32 v13, -v14, v9, v17
	v_fmac_f32_e32 v9, v13, v10
	v_fma_f32 v14, -v14, v9, v17
	s_mov_b64 vcc, s[4:5]
	v_div_fmas_f32 v9, v14, v10, v9
	v_div_scale_f32 v14, s[2:3], 1.0, v18, 1.0
	v_rcp_f32_e32 v13, v19
	v_add_f32_e32 v16, 1.0, v16
	v_mul_f32_e32 v17, v16, v16
	v_div_scale_f32 v21, s[4:5], v17, v17, 1.0
	v_fma_f32 v10, -v19, v13, 1.0
	v_fmac_f32_e32 v13, v10, v13
	v_mul_f32_e32 v10, v15, v13
	v_fma_f32 v22, -v19, v10, v15
	v_fmac_f32_e32 v10, v22, v13
	v_div_scale_f32 v22, s[4:5], 1.0, v17, 1.0
	v_fma_f32 v15, -v19, v10, v15
	v_rcp_f32_e32 v19, v20
	s_mov_b64 vcc, s[0:1]
	v_div_fmas_f32 v10, v15, v13, v10
	s_mov_b64 vcc, s[2:3]
	v_fma_f32 v13, -v20, v19, 1.0
	v_fmac_f32_e32 v19, v13, v19
	v_mul_f32_e32 v13, v14, v19
	v_fma_f32 v15, -v20, v13, v14
	v_fmac_f32_e32 v13, v15, v19
	v_rcp_f32_e32 v15, v21
	v_fma_f32 v14, -v20, v13, v14
	v_div_fmas_f32 v13, v14, v19, v13
	v_add_f32_e32 v19, v16, v16
	v_div_scale_f32 v20, s[0:1], v19, v19, 1.0
	v_fma_f32 v14, -v21, v15, 1.0
	v_fmac_f32_e32 v15, v14, v15
	v_mul_f32_e32 v14, v22, v15
	v_fma_f32 v23, -v21, v14, v22
	v_fmac_f32_e32 v14, v23, v15
	v_div_scale_f32 v23, s[0:1], 1.0, v19, 1.0
	v_fma_f32 v21, -v21, v14, v22
	s_mov_b64 vcc, s[4:5]
	v_div_fmas_f32 v14, v21, v15, v14
	s_mov_b64 vcc, s[0:1]
	s_mov_b32 s0, 0x3e2aaaab
	v_div_fixup_f32 v0, v4, v0, 1.0
	v_add_f32_e32 v0, v12, v0
	v_rcp_f32_e32 v22, v20
	v_div_fixup_f32 v1, v7, v1, 1.0
	v_add_f32_e32 v0, v0, v1
	v_div_fixup_f32 v1, v8, v3, 1.0
	v_fma_f32 v15, -v20, v22, 1.0
	v_fmac_f32_e32 v22, v15, v22
	v_add_f32_e32 v0, v0, v1
	v_mul_f32_e32 v15, v23, v22
	v_fma_f32 v21, -v20, v15, v23
	v_fmac_f32_e32 v15, v21, v22
	v_fma_f32 v20, -v20, v15, v23
	v_div_fmas_f32 v15, v20, v22, v15
	v_div_fixup_f32 v14, v14, v17, 1.0
	v_mov_b32_e32 v17, 0x3d088889
	v_fmac_f32_e32 v17, 0xbcc30c31, v14
	v_fma_f32 v17, -v14, v17, s0
	v_div_fixup_f32 v1, v9, v5, 1.0
	v_add_f32_e32 v0, v0, v1
	v_div_fixup_f32 v1, v10, v6, 1.0
	v_add_f32_e32 v0, v0, v1
	v_div_fixup_f32 v1, v13, v18, 1.0
	v_add_f32_e32 v0, v0, v1
	v_div_fixup_f32 v15, v15, v19, 1.0
	v_add_f32_e32 v15, 1.0, v15
	v_fmac_f32_e32 v15, v14, v17
	v_div_scale_f32 v14, s[0:1], v16, v16, v15
	v_div_scale_f32 v17, vcc, v15, v16, v15
	v_rcp_f32_e32 v19, v14
	v_fma_f32 v20, -v14, v19, 1.0
	v_fmac_f32_e32 v19, v20, v19
	v_mul_f32_e32 v20, v17, v19
	v_fma_f32 v21, -v14, v20, v17
	v_fmac_f32_e32 v20, v21, v19
	v_fma_f32 v14, -v14, v20, v17
	v_div_fmas_f32 v14, v14, v19, v20
	v_div_fixup_f32 v1, v14, v16, v15
	v_add_f32_e32 v0, v0, v1
	v_fma_mixlo_f16 v3, v11, v0, 0
	v_add_u32_e32 v0, s16, v2
	v_ashrrev_i32_e32 v1, 31, v0
	v_mov_b32_e32 v2, s9
	v_add_co_u32_e32 v0, vcc, s8, v0
	v_addc_co_u32_e32 v1, vcc, v2, v1, vcc
	s_cbranch_scc1 .LBB66_2065
; %bb.1945:
	s_and_b32 s12, 0xffff, s20
	s_mov_b64 s[4:5], -1
	s_mov_b64 s[2:3], 0
	s_cmp_gt_i32 s12, 25
	s_mov_b64 s[0:1], 0
	s_cbranch_scc0 .LBB66_1978
; %bb.1946:
	s_cmp_gt_i32 s12, 28
	s_cbranch_scc0 .LBB66_1962
; %bb.1947:
	s_cmp_gt_i32 s12, 43
	;; [unrolled: 3-line block ×3, first 2 shown]
	s_cbranch_scc0 .LBB66_1952
; %bb.1949:
	s_cmp_eq_u32 s12, 46
	s_mov_b64 s[0:1], -1
	s_cbranch_scc0 .LBB66_1951
; %bb.1950:
	v_cvt_f32_f16_e32 v2, v3
	s_movk_i32 s0, 0x7fff
	v_cmp_o_f16_e32 vcc, v3, v3
	v_mov_b32_e32 v4, 0x7fc0
	v_bfe_u32 v5, v2, 16, 1
	v_add3_u32 v2, v2, v5, s0
	v_cndmask_b32_sdwa v2, v4, v2, vcc dst_sel:DWORD dst_unused:UNUSED_PAD src0_sel:DWORD src1_sel:WORD_1
	global_store_dword v[0:1], v2, off
	s_mov_b64 s[0:1], 0
.LBB66_1951:
	s_mov_b64 s[4:5], 0
.LBB66_1952:
	s_and_b64 vcc, exec, s[4:5]
	s_cbranch_vccz .LBB66_1957
; %bb.1953:
	s_cmp_eq_u32 s12, 44
	s_mov_b64 s[0:1], -1
	s_cbranch_scc0 .LBB66_1957
; %bb.1954:
	v_cvt_f32_f16_e32 v2, v3
	s_movk_i32 s0, 0xff
	v_mov_b32_e32 v5, 0xff
	v_bfe_u32 v4, v2, 23, 8
	v_cmp_ne_u32_e32 vcc, s0, v4
	s_and_saveexec_b64 s[4:5], vcc
; %bb.1955:
	s_mov_b32 s0, 0x3fffff
	v_lshrrev_b32_e32 v5, 23, v2
	v_and_b32_e32 v6, 0x400000, v2
	v_and_or_b32 v2, v2, s0, v4
	v_cmp_ne_u32_e32 vcc, 0, v6
	v_cmp_ne_u32_e64 s[0:1], 0, v2
	s_and_b64 s[0:1], vcc, s[0:1]
	v_cndmask_b32_e64 v2, 0, 1, s[0:1]
	v_add_u32_e32 v5, v5, v2
; %bb.1956:
	s_or_b64 exec, exec, s[4:5]
	s_mov_b64 s[0:1], 0
	global_store_byte v[0:1], v5, off
.LBB66_1957:
	s_mov_b64 s[4:5], 0
.LBB66_1958:
	s_and_b64 vcc, exec, s[4:5]
	s_cbranch_vccz .LBB66_1961
; %bb.1959:
	s_cmp_eq_u32 s12, 29
	s_mov_b64 s[0:1], -1
	s_cbranch_scc0 .LBB66_1961
; %bb.1960:
	v_cvt_f32_f16_e32 v2, v3
	v_mov_b32_e32 v5, 0
	s_mov_b64 s[0:1], 0
	v_cvt_u32_f32_e32 v4, v2
	global_store_dwordx2 v[0:1], v[4:5], off
.LBB66_1961:
	s_mov_b64 s[4:5], 0
.LBB66_1962:
	s_and_b64 vcc, exec, s[4:5]
	s_cbranch_vccz .LBB66_1977
; %bb.1963:
	s_cmp_lt_i32 s12, 27
	s_mov_b64 s[4:5], -1
	s_cbranch_scc1 .LBB66_1969
; %bb.1964:
	s_cmp_gt_i32 s12, 27
	s_cbranch_scc0 .LBB66_1966
; %bb.1965:
	v_cvt_f32_f16_e32 v2, v3
	s_mov_b64 s[4:5], 0
	v_cvt_u32_f32_e32 v2, v2
	global_store_dword v[0:1], v2, off
.LBB66_1966:
	s_andn2_b64 vcc, exec, s[4:5]
	s_cbranch_vccnz .LBB66_1968
; %bb.1967:
	v_cvt_u16_f16_e32 v2, v3
	global_store_short v[0:1], v2, off
.LBB66_1968:
	s_mov_b64 s[4:5], 0
.LBB66_1969:
	s_andn2_b64 vcc, exec, s[4:5]
	s_cbranch_vccnz .LBB66_1977
; %bb.1970:
	v_cvt_f32_f16_e32 v2, v3
	s_mov_b32 s4, 0x43800000
	v_mov_b32_e32 v5, 0x80
	v_and_b32_e32 v4, 0x7fffffff, v2
	v_cmp_gt_u32_e32 vcc, s4, v4
	s_and_saveexec_b64 s[4:5], vcc
	s_cbranch_execz .LBB66_1976
; %bb.1971:
	s_mov_b32 s8, 0x3bffffff
	v_cmp_lt_u32_e32 vcc, s8, v4
	s_mov_b64 s[8:9], 0
                                        ; implicit-def: $vgpr4
	s_and_saveexec_b64 s[10:11], vcc
	s_xor_b64 s[10:11], exec, s[10:11]
	s_cbranch_execz .LBB66_2082
; %bb.1972:
	v_bfe_u32 v4, v2, 20, 1
	s_mov_b32 s13, 0x487ffff
	v_add3_u32 v4, v2, v4, s13
	s_mov_b64 s[8:9], exec
	v_lshrrev_b32_e32 v4, 20, v4
	s_andn2_saveexec_b64 s[10:11], s[10:11]
	s_cbranch_execnz .LBB66_2083
.LBB66_1973:
	s_or_b64 exec, exec, s[10:11]
	v_mov_b32_e32 v5, 0
	s_and_saveexec_b64 s[10:11], s[8:9]
.LBB66_1974:
	v_lshrrev_b32_e32 v2, 24, v2
	s_movk_i32 s8, 0x80
	v_and_or_b32 v5, v2, s8, v4
.LBB66_1975:
	s_or_b64 exec, exec, s[10:11]
.LBB66_1976:
	s_or_b64 exec, exec, s[4:5]
	global_store_byte v[0:1], v5, off
.LBB66_1977:
	s_mov_b64 s[4:5], 0
.LBB66_1978:
	s_and_b64 vcc, exec, s[4:5]
	s_cbranch_vccz .LBB66_2018
; %bb.1979:
	s_cmp_gt_i32 s12, 22
	s_mov_b64 s[2:3], -1
	s_cbranch_scc0 .LBB66_2011
; %bb.1980:
	s_cmp_lt_i32 s12, 24
	s_cbranch_scc1 .LBB66_2000
; %bb.1981:
	s_cmp_gt_i32 s12, 24
	s_cbranch_scc0 .LBB66_1989
; %bb.1982:
	v_cvt_f32_f16_e32 v2, v3
	s_mov_b32 s2, 0x47800000
	v_mov_b32_e32 v5, 0x80
	v_and_b32_e32 v4, 0x7fffffff, v2
	v_cmp_gt_u32_e32 vcc, s2, v4
	s_and_saveexec_b64 s[2:3], vcc
	s_cbranch_execz .LBB66_1988
; %bb.1983:
	s_mov_b32 s4, 0x37ffffff
	v_cmp_lt_u32_e32 vcc, s4, v4
	s_mov_b64 s[4:5], 0
                                        ; implicit-def: $vgpr4
	s_and_saveexec_b64 s[8:9], vcc
	s_xor_b64 s[8:9], exec, s[8:9]
	s_cbranch_execz .LBB66_2085
; %bb.1984:
	v_bfe_u32 v4, v2, 21, 1
	s_mov_b32 s10, 0x88fffff
	v_add3_u32 v4, v2, v4, s10
	s_mov_b64 s[4:5], exec
	v_lshrrev_b32_e32 v4, 21, v4
	s_andn2_saveexec_b64 s[8:9], s[8:9]
	s_cbranch_execnz .LBB66_2086
.LBB66_1985:
	s_or_b64 exec, exec, s[8:9]
	v_mov_b32_e32 v5, 0
	s_and_saveexec_b64 s[8:9], s[4:5]
.LBB66_1986:
	v_lshrrev_b32_e32 v2, 24, v2
	s_movk_i32 s4, 0x80
	v_and_or_b32 v5, v2, s4, v4
.LBB66_1987:
	s_or_b64 exec, exec, s[8:9]
.LBB66_1988:
	s_or_b64 exec, exec, s[2:3]
	s_mov_b64 s[2:3], 0
	global_store_byte v[0:1], v5, off
.LBB66_1989:
	s_and_b64 vcc, exec, s[2:3]
	s_cbranch_vccz .LBB66_1999
; %bb.1990:
	v_cvt_f32_f16_e32 v2, v3
	s_mov_b32 s2, 0x43f00000
                                        ; implicit-def: $vgpr4
	v_and_b32_e32 v5, 0x7fffffff, v2
	v_cmp_gt_u32_e32 vcc, s2, v5
	s_and_saveexec_b64 s[2:3], vcc
	s_xor_b64 s[2:3], exec, s[2:3]
	s_cbranch_execz .LBB66_1996
; %bb.1991:
	s_mov_b32 s4, 0x3c7fffff
	v_cmp_lt_u32_e32 vcc, s4, v5
                                        ; implicit-def: $vgpr4
	s_and_saveexec_b64 s[4:5], vcc
	s_xor_b64 s[4:5], exec, s[4:5]
; %bb.1992:
	v_bfe_u32 v4, v2, 20, 1
	s_mov_b32 s8, 0x407ffff
	v_add3_u32 v4, v2, v4, s8
	v_lshrrev_b32_e32 v5, 20, v4
	v_and_b32_e32 v4, 0xff00000, v4
	s_mov_b32 s8, 0x7f00000
	v_mov_b32_e32 v6, 0x7e
	v_cmp_ne_u32_e32 vcc, s8, v4
	v_cndmask_b32_e32 v4, v6, v5, vcc
; %bb.1993:
	s_andn2_saveexec_b64 s[4:5], s[4:5]
; %bb.1994:
	s_mov_b32 s8, 0x46800000
	v_add_f32_e64 v4, |v2|, s8
; %bb.1995:
	s_or_b64 exec, exec, s[4:5]
                                        ; implicit-def: $vgpr5
.LBB66_1996:
	s_andn2_saveexec_b64 s[2:3], s[2:3]
; %bb.1997:
	s_mov_b32 s4, 0x7f800000
	v_mov_b32_e32 v4, 0x7e
	v_mov_b32_e32 v6, 0x7f
	v_cmp_lt_u32_e32 vcc, s4, v5
	v_cndmask_b32_e32 v4, v4, v6, vcc
; %bb.1998:
	s_or_b64 exec, exec, s[2:3]
	v_lshrrev_b32_e32 v2, 24, v2
	s_movk_i32 s2, 0x80
	v_and_or_b32 v2, v2, s2, v4
	global_store_byte v[0:1], v2, off
.LBB66_1999:
	s_mov_b64 s[2:3], 0
.LBB66_2000:
	s_andn2_b64 vcc, exec, s[2:3]
	s_cbranch_vccnz .LBB66_2010
; %bb.2001:
	v_cvt_f32_f16_e32 v2, v3
	s_mov_b32 s2, 0x47800000
                                        ; implicit-def: $vgpr4
	v_and_b32_e32 v5, 0x7fffffff, v2
	v_cmp_gt_u32_e32 vcc, s2, v5
	s_and_saveexec_b64 s[2:3], vcc
	s_xor_b64 s[2:3], exec, s[2:3]
	s_cbranch_execz .LBB66_2007
; %bb.2002:
	s_mov_b32 s4, 0x387fffff
	v_cmp_lt_u32_e32 vcc, s4, v5
                                        ; implicit-def: $vgpr4
	s_and_saveexec_b64 s[4:5], vcc
	s_xor_b64 s[4:5], exec, s[4:5]
; %bb.2003:
	v_bfe_u32 v4, v2, 21, 1
	s_mov_b32 s8, 0x80fffff
	v_add3_u32 v4, v2, v4, s8
	v_lshrrev_b32_e32 v4, 21, v4
; %bb.2004:
	s_andn2_saveexec_b64 s[4:5], s[4:5]
; %bb.2005:
	s_mov_b32 s8, 0x43000000
	v_add_f32_e64 v4, |v2|, s8
; %bb.2006:
	s_or_b64 exec, exec, s[4:5]
                                        ; implicit-def: $vgpr5
.LBB66_2007:
	s_andn2_saveexec_b64 s[2:3], s[2:3]
; %bb.2008:
	s_mov_b32 s4, 0x7f800000
	v_mov_b32_e32 v4, 0x7c
	v_mov_b32_e32 v6, 0x7f
	v_cmp_lt_u32_e32 vcc, s4, v5
	v_cndmask_b32_e32 v4, v4, v6, vcc
; %bb.2009:
	s_or_b64 exec, exec, s[2:3]
	v_lshrrev_b32_e32 v2, 24, v2
	s_movk_i32 s2, 0x80
	v_and_or_b32 v2, v2, s2, v4
	global_store_byte v[0:1], v2, off
.LBB66_2010:
	s_mov_b64 s[2:3], 0
.LBB66_2011:
	s_andn2_b64 vcc, exec, s[2:3]
	s_mov_b64 s[2:3], 0
	s_cbranch_vccnz .LBB66_2018
; %bb.2012:
	s_cmp_gt_i32 s12, 14
	s_mov_b64 s[4:5], -1
	s_cbranch_scc0 .LBB66_2016
; %bb.2013:
	s_cmp_eq_u32 s12, 15
	s_mov_b64 s[0:1], -1
	s_cbranch_scc0 .LBB66_2015
; %bb.2014:
	v_cvt_f32_f16_e32 v2, v3
	s_movk_i32 s0, 0x7fff
	v_cmp_o_f16_e32 vcc, v3, v3
	v_mov_b32_e32 v4, 0x7fc0
	v_bfe_u32 v5, v2, 16, 1
	v_add3_u32 v2, v2, v5, s0
	v_cndmask_b32_sdwa v2, v4, v2, vcc dst_sel:DWORD dst_unused:UNUSED_PAD src0_sel:DWORD src1_sel:WORD_1
	global_store_short v[0:1], v2, off
	s_mov_b64 s[0:1], 0
.LBB66_2015:
	s_mov_b64 s[4:5], 0
.LBB66_2016:
	s_and_b64 vcc, exec, s[4:5]
	s_cbranch_vccz .LBB66_2018
; %bb.2017:
	s_cmp_lg_u32 s12, 11
	s_mov_b64 s[2:3], -1
	s_cselect_b64 s[0:1], -1, 0
.LBB66_2018:
	s_and_b64 vcc, exec, s[0:1]
	s_cbranch_vccnz .LBB66_2084
.LBB66_2019:
	s_mov_b64 s[0:1], 0
	s_branch .LBB66_2021
.LBB66_2020:
	s_mov_b64 s[0:1], 0
	s_mov_b64 s[2:3], 0
                                        ; implicit-def: $sgpr20
                                        ; implicit-def: $vgpr0_vgpr1
                                        ; implicit-def: $vgpr3
.LBB66_2021:
	s_and_b64 s[16:17], s[2:3], exec
	s_andn2_b64 s[2:3], s[6:7], exec
	s_and_b64 s[4:5], s[18:19], exec
	s_and_b64 s[0:1], s[0:1], exec
	s_or_b64 s[6:7], s[2:3], s[4:5]
.LBB66_2022:
	s_or_b64 exec, exec, s[14:15]
	s_and_saveexec_b64 s[2:3], s[6:7]
	s_cbranch_execz .LBB66_2025
; %bb.2023:
	; divergent unreachable
	s_or_b64 exec, exec, s[2:3]
	s_and_saveexec_b64 s[2:3], s[16:17]
	s_xor_b64 s[2:3], exec, s[2:3]
	s_cbranch_execnz .LBB66_2026
.LBB66_2024:
	s_or_b64 exec, exec, s[2:3]
	s_and_saveexec_b64 s[2:3], s[0:1]
	s_cbranch_execnz .LBB66_2027
	s_branch .LBB66_2064
.LBB66_2025:
	s_or_b64 exec, exec, s[2:3]
	s_and_saveexec_b64 s[2:3], s[16:17]
	s_xor_b64 s[2:3], exec, s[2:3]
	s_cbranch_execz .LBB66_2024
.LBB66_2026:
	s_waitcnt vmcnt(0)
	v_cmp_neq_f16_e32 vcc, 0, v3
	v_cndmask_b32_e64 v2, 0, 1, vcc
	global_store_byte v[0:1], v2, off
	s_or_b64 exec, exec, s[2:3]
	s_and_saveexec_b64 s[2:3], s[0:1]
	s_cbranch_execz .LBB66_2064
.LBB66_2027:
	s_sext_i32_i16 s2, s20
	s_cmp_lt_i32 s2, 5
	s_mov_b64 s[0:1], -1
	s_cbranch_scc1 .LBB66_2048
; %bb.2028:
	s_cmp_lt_i32 s2, 8
	s_cbranch_scc1 .LBB66_2038
; %bb.2029:
	s_cmp_lt_i32 s2, 9
	s_cbranch_scc1 .LBB66_2035
; %bb.2030:
	s_cmp_gt_i32 s2, 9
	s_cbranch_scc0 .LBB66_2032
; %bb.2031:
	s_waitcnt vmcnt(0)
	v_cvt_f32_f16_e32 v2, v3
	v_mov_b32_e32 v6, 0
	v_mov_b32_e32 v7, v6
	s_mov_b64 s[0:1], 0
	v_cvt_f64_f32_e32 v[4:5], v2
	global_store_dwordx4 v[0:1], v[4:7], off
.LBB66_2032:
	s_andn2_b64 vcc, exec, s[0:1]
	s_cbranch_vccnz .LBB66_2034
; %bb.2033:
	s_waitcnt vmcnt(0)
	v_cvt_f32_f16_e32 v4, v3
	v_mov_b32_e32 v5, 0
	global_store_dwordx2 v[0:1], v[4:5], off
.LBB66_2034:
	s_mov_b64 s[0:1], 0
.LBB66_2035:
	s_andn2_b64 vcc, exec, s[0:1]
	s_cbranch_vccnz .LBB66_2037
; %bb.2036:
	s_waitcnt vmcnt(0)
	v_and_b32_e32 v2, 0xffff, v3
	global_store_dword v[0:1], v2, off
.LBB66_2037:
	s_mov_b64 s[0:1], 0
.LBB66_2038:
	s_andn2_b64 vcc, exec, s[0:1]
	s_cbranch_vccnz .LBB66_2047
; %bb.2039:
	s_sext_i32_i16 s2, s20
	s_cmp_lt_i32 s2, 6
	s_mov_b64 s[0:1], -1
	s_cbranch_scc1 .LBB66_2045
; %bb.2040:
	s_cmp_gt_i32 s2, 6
	s_cbranch_scc0 .LBB66_2042
; %bb.2041:
	s_waitcnt vmcnt(0)
	v_cvt_f32_f16_e32 v2, v3
	s_mov_b64 s[0:1], 0
	v_cvt_f64_f32_e32 v[4:5], v2
	global_store_dwordx2 v[0:1], v[4:5], off
.LBB66_2042:
	s_andn2_b64 vcc, exec, s[0:1]
	s_cbranch_vccnz .LBB66_2044
; %bb.2043:
	s_waitcnt vmcnt(0)
	v_cvt_f32_f16_e32 v2, v3
	global_store_dword v[0:1], v2, off
.LBB66_2044:
	s_mov_b64 s[0:1], 0
.LBB66_2045:
	s_andn2_b64 vcc, exec, s[0:1]
	s_cbranch_vccnz .LBB66_2047
; %bb.2046:
	s_waitcnt vmcnt(0)
	global_store_short v[0:1], v3, off
.LBB66_2047:
	s_mov_b64 s[0:1], 0
.LBB66_2048:
	s_andn2_b64 vcc, exec, s[0:1]
	s_cbranch_vccnz .LBB66_2064
; %bb.2049:
	s_sext_i32_i16 s2, s20
	s_cmp_lt_i32 s2, 2
	s_mov_b64 s[0:1], -1
	s_cbranch_scc1 .LBB66_2059
; %bb.2050:
	s_cmp_lt_i32 s2, 3
	s_cbranch_scc1 .LBB66_2056
; %bb.2051:
	s_cmp_gt_i32 s2, 3
	s_cbranch_scc0 .LBB66_2053
; %bb.2052:
	s_waitcnt vmcnt(0)
	v_cvt_f32_f16_e32 v2, v3
	s_mov_b64 s[0:1], 0
	v_cvt_i32_f32_e32 v4, v2
	v_ashrrev_i32_e32 v5, 31, v4
	global_store_dwordx2 v[0:1], v[4:5], off
.LBB66_2053:
	s_andn2_b64 vcc, exec, s[0:1]
	s_cbranch_vccnz .LBB66_2055
; %bb.2054:
	s_waitcnt vmcnt(0)
	v_cvt_f32_f16_e32 v2, v3
	v_cvt_i32_f32_e32 v2, v2
	global_store_dword v[0:1], v2, off
.LBB66_2055:
	s_mov_b64 s[0:1], 0
.LBB66_2056:
	s_andn2_b64 vcc, exec, s[0:1]
	s_cbranch_vccnz .LBB66_2058
; %bb.2057:
	s_waitcnt vmcnt(0)
	v_cvt_i16_f16_e32 v2, v3
	global_store_short v[0:1], v2, off
.LBB66_2058:
	s_mov_b64 s[0:1], 0
.LBB66_2059:
	s_andn2_b64 vcc, exec, s[0:1]
	s_cbranch_vccnz .LBB66_2064
; %bb.2060:
	s_sext_i32_i16 s0, s20
	s_cmp_gt_i32 s0, 0
	s_mov_b64 s[0:1], -1
	s_cbranch_scc0 .LBB66_2062
; %bb.2061:
	s_waitcnt vmcnt(0)
	v_cvt_i16_f16_e32 v2, v3
	global_store_byte v[0:1], v2, off
	s_mov_b64 s[0:1], 0
.LBB66_2062:
	s_andn2_b64 vcc, exec, s[0:1]
	s_cbranch_vccnz .LBB66_2064
; %bb.2063:
	s_waitcnt vmcnt(0)
	v_cvt_f32_f16_e32 v2, v3
	v_cvt_i32_f32_e32 v2, v2
	global_store_byte v[0:1], v2, off
	s_endpgm
.LBB66_2064:
	s_endpgm
.LBB66_2065:
	s_mov_b64 s[2:3], 0
	s_mov_b64 s[0:1], -1
	s_branch .LBB66_2021
.LBB66_2066:
	s_trap 2
	s_or_b64 s[18:19], s[18:19], exec
	s_cbranch_execz .LBB66_1529
	s_branch .LBB66_1530
.LBB66_2067:
	s_andn2_saveexec_b64 s[16:17], s[16:17]
	s_cbranch_execz .LBB66_1615
.LBB66_2068:
	s_mov_b32 s21, 0x46000000
	v_add_f32_e64 v14, |v9|, s21
	v_and_b32_e32 v14, 0xff, v14
	v_cmp_ne_u32_e32 vcc, 0, v14
	s_andn2_b64 s[10:11], s[10:11], exec
	s_and_b64 s[22:23], vcc, exec
	s_or_b64 s[10:11], s[10:11], s[22:23]
	s_or_b64 exec, exec, s[16:17]
	v_mov_b32_e32 v15, 0
	s_and_saveexec_b64 s[16:17], s[10:11]
	s_cbranch_execnz .LBB66_1616
	s_branch .LBB66_1617
.LBB66_2069:
	s_trap 2
	s_or_b64 s[18:19], s[18:19], exec
	s_cbranch_execz .LBB66_1663
	s_branch .LBB66_1664
.LBB66_2070:
	s_andn2_saveexec_b64 s[10:11], s[10:11]
	s_cbranch_execz .LBB66_1628
.LBB66_2071:
	s_mov_b32 s16, 0x42800000
	v_add_f32_e64 v14, |v9|, s16
	v_and_b32_e32 v14, 0xff, v14
	v_cmp_ne_u32_e32 vcc, 0, v14
	s_andn2_b64 s[4:5], s[4:5], exec
	s_and_b64 s[16:17], vcc, exec
	s_or_b64 s[4:5], s[4:5], s[16:17]
	s_or_b64 exec, exec, s[10:11]
	v_mov_b32_e32 v15, 0
	s_and_saveexec_b64 s[10:11], s[4:5]
	s_cbranch_execnz .LBB66_1629
	s_branch .LBB66_1630
.LBB66_2072:
	s_andn2_saveexec_b64 s[12:13], s[12:13]
	s_cbranch_execz .LBB66_1734
.LBB66_2073:
	s_mov_b32 s21, 0x46000000
	v_add_f32_e64 v8, |v4|, s21
	v_and_b32_e32 v8, 0xff, v8
	v_cmp_ne_u32_e32 vcc, 0, v8
	s_andn2_b64 s[10:11], s[10:11], exec
	s_and_b64 s[22:23], vcc, exec
	s_or_b64 s[10:11], s[10:11], s[22:23]
	s_or_b64 exec, exec, s[12:13]
	v_mov_b32_e32 v9, 0
	s_and_saveexec_b64 s[12:13], s[10:11]
	s_cbranch_execnz .LBB66_1735
	s_branch .LBB66_1736
.LBB66_2074:
	s_trap 2
	s_or_b64 s[18:19], s[18:19], exec
	s_cbranch_execz .LBB66_1782
	s_branch .LBB66_1783
.LBB66_2075:
	s_andn2_saveexec_b64 s[10:11], s[10:11]
	s_cbranch_execz .LBB66_1747
.LBB66_2076:
	s_mov_b32 s12, 0x42800000
	v_add_f32_e64 v8, |v4|, s12
	v_and_b32_e32 v8, 0xff, v8
	v_cmp_ne_u32_e32 vcc, 0, v8
	s_andn2_b64 s[4:5], s[4:5], exec
	s_and_b64 s[12:13], vcc, exec
	s_or_b64 s[4:5], s[4:5], s[12:13]
	s_or_b64 exec, exec, s[10:11]
	v_mov_b32_e32 v9, 0
	s_and_saveexec_b64 s[10:11], s[4:5]
	s_cbranch_execnz .LBB66_1748
	s_branch .LBB66_1749
.LBB66_2077:
	s_andn2_saveexec_b64 s[12:13], s[12:13]
	s_cbranch_execz .LBB66_1853
.LBB66_2078:
	s_mov_b32 s21, 0x46000000
	v_add_f32_e64 v5, |v4|, s21
	v_and_b32_e32 v5, 0xff, v5
	v_cmp_ne_u32_e32 vcc, 0, v5
	s_andn2_b64 s[10:11], s[10:11], exec
	s_and_b64 s[22:23], vcc, exec
	s_or_b64 s[10:11], s[10:11], s[22:23]
	s_or_b64 exec, exec, s[12:13]
	v_mov_b32_e32 v6, 0
	s_and_saveexec_b64 s[12:13], s[10:11]
	s_cbranch_execnz .LBB66_1854
	s_branch .LBB66_1855
.LBB66_2079:
	s_trap 2
	s_or_b64 s[18:19], s[18:19], exec
	s_cbranch_execz .LBB66_1901
	s_branch .LBB66_1902
.LBB66_2080:
	s_andn2_saveexec_b64 s[10:11], s[10:11]
	s_cbranch_execz .LBB66_1866
.LBB66_2081:
	s_mov_b32 s12, 0x42800000
	v_add_f32_e64 v5, |v4|, s12
	v_and_b32_e32 v5, 0xff, v5
	v_cmp_ne_u32_e32 vcc, 0, v5
	s_andn2_b64 s[4:5], s[4:5], exec
	s_and_b64 s[12:13], vcc, exec
	s_or_b64 s[4:5], s[4:5], s[12:13]
	s_or_b64 exec, exec, s[10:11]
	v_mov_b32_e32 v6, 0
	s_and_saveexec_b64 s[10:11], s[4:5]
	s_cbranch_execnz .LBB66_1867
	s_branch .LBB66_1868
.LBB66_2082:
	s_andn2_saveexec_b64 s[10:11], s[10:11]
	s_cbranch_execz .LBB66_1973
.LBB66_2083:
	s_mov_b32 s13, 0x46000000
	v_add_f32_e64 v4, |v2|, s13
	v_and_b32_e32 v4, 0xff, v4
	v_cmp_ne_u32_e32 vcc, 0, v4
	s_andn2_b64 s[8:9], s[8:9], exec
	s_and_b64 s[16:17], vcc, exec
	s_or_b64 s[8:9], s[8:9], s[16:17]
	s_or_b64 exec, exec, s[10:11]
	v_mov_b32_e32 v5, 0
	s_and_saveexec_b64 s[10:11], s[8:9]
	s_cbranch_execnz .LBB66_1974
	s_branch .LBB66_1975
.LBB66_2084:
	s_mov_b64 s[2:3], 0
	s_or_b64 s[18:19], s[18:19], exec
	s_trap 2
	s_branch .LBB66_2019
.LBB66_2085:
	s_andn2_saveexec_b64 s[8:9], s[8:9]
	s_cbranch_execz .LBB66_1985
.LBB66_2086:
	s_mov_b32 s10, 0x42800000
	v_add_f32_e64 v4, |v2|, s10
	v_and_b32_e32 v4, 0xff, v4
	v_cmp_ne_u32_e32 vcc, 0, v4
	s_andn2_b64 s[4:5], s[4:5], exec
	s_and_b64 s[10:11], vcc, exec
	s_or_b64 s[4:5], s[4:5], s[10:11]
	s_or_b64 exec, exec, s[8:9]
	v_mov_b32_e32 v5, 0
	s_and_saveexec_b64 s[8:9], s[4:5]
	s_cbranch_execnz .LBB66_1986
	s_branch .LBB66_1987
	.section	.rodata,"a",@progbits
	.p2align	6, 0x0
	.amdhsa_kernel _ZN2at6native32elementwise_kernel_manual_unrollILi128ELi4EZNS0_15gpu_kernel_implIZZZNS0_20trigamma_kernel_cudaERNS_18TensorIteratorBaseEENKUlvE_clEvENKUlvE1_clEvEUlN3c104HalfEE_EEvS4_RKT_EUlibE_EEviT1_
		.amdhsa_group_segment_fixed_size 0
		.amdhsa_private_segment_fixed_size 0
		.amdhsa_kernarg_size 40
		.amdhsa_user_sgpr_count 6
		.amdhsa_user_sgpr_private_segment_buffer 1
		.amdhsa_user_sgpr_dispatch_ptr 0
		.amdhsa_user_sgpr_queue_ptr 0
		.amdhsa_user_sgpr_kernarg_segment_ptr 1
		.amdhsa_user_sgpr_dispatch_id 0
		.amdhsa_user_sgpr_flat_scratch_init 0
		.amdhsa_user_sgpr_private_segment_size 0
		.amdhsa_uses_dynamic_stack 0
		.amdhsa_system_sgpr_private_segment_wavefront_offset 0
		.amdhsa_system_sgpr_workgroup_id_x 1
		.amdhsa_system_sgpr_workgroup_id_y 0
		.amdhsa_system_sgpr_workgroup_id_z 0
		.amdhsa_system_sgpr_workgroup_info 0
		.amdhsa_system_vgpr_workitem_id 0
		.amdhsa_next_free_vgpr 27
		.amdhsa_next_free_sgpr 44
		.amdhsa_reserve_vcc 1
		.amdhsa_reserve_flat_scratch 0
		.amdhsa_float_round_mode_32 0
		.amdhsa_float_round_mode_16_64 0
		.amdhsa_float_denorm_mode_32 3
		.amdhsa_float_denorm_mode_16_64 3
		.amdhsa_dx10_clamp 1
		.amdhsa_ieee_mode 1
		.amdhsa_fp16_overflow 0
		.amdhsa_exception_fp_ieee_invalid_op 0
		.amdhsa_exception_fp_denorm_src 0
		.amdhsa_exception_fp_ieee_div_zero 0
		.amdhsa_exception_fp_ieee_overflow 0
		.amdhsa_exception_fp_ieee_underflow 0
		.amdhsa_exception_fp_ieee_inexact 0
		.amdhsa_exception_int_div_zero 0
	.end_amdhsa_kernel
	.section	.text._ZN2at6native32elementwise_kernel_manual_unrollILi128ELi4EZNS0_15gpu_kernel_implIZZZNS0_20trigamma_kernel_cudaERNS_18TensorIteratorBaseEENKUlvE_clEvENKUlvE1_clEvEUlN3c104HalfEE_EEvS4_RKT_EUlibE_EEviT1_,"axG",@progbits,_ZN2at6native32elementwise_kernel_manual_unrollILi128ELi4EZNS0_15gpu_kernel_implIZZZNS0_20trigamma_kernel_cudaERNS_18TensorIteratorBaseEENKUlvE_clEvENKUlvE1_clEvEUlN3c104HalfEE_EEvS4_RKT_EUlibE_EEviT1_,comdat
.Lfunc_end66:
	.size	_ZN2at6native32elementwise_kernel_manual_unrollILi128ELi4EZNS0_15gpu_kernel_implIZZZNS0_20trigamma_kernel_cudaERNS_18TensorIteratorBaseEENKUlvE_clEvENKUlvE1_clEvEUlN3c104HalfEE_EEvS4_RKT_EUlibE_EEviT1_, .Lfunc_end66-_ZN2at6native32elementwise_kernel_manual_unrollILi128ELi4EZNS0_15gpu_kernel_implIZZZNS0_20trigamma_kernel_cudaERNS_18TensorIteratorBaseEENKUlvE_clEvENKUlvE1_clEvEUlN3c104HalfEE_EEvS4_RKT_EUlibE_EEviT1_
                                        ; -- End function
	.set _ZN2at6native32elementwise_kernel_manual_unrollILi128ELi4EZNS0_15gpu_kernel_implIZZZNS0_20trigamma_kernel_cudaERNS_18TensorIteratorBaseEENKUlvE_clEvENKUlvE1_clEvEUlN3c104HalfEE_EEvS4_RKT_EUlibE_EEviT1_.num_vgpr, 27
	.set _ZN2at6native32elementwise_kernel_manual_unrollILi128ELi4EZNS0_15gpu_kernel_implIZZZNS0_20trigamma_kernel_cudaERNS_18TensorIteratorBaseEENKUlvE_clEvENKUlvE1_clEvEUlN3c104HalfEE_EEvS4_RKT_EUlibE_EEviT1_.num_agpr, 0
	.set _ZN2at6native32elementwise_kernel_manual_unrollILi128ELi4EZNS0_15gpu_kernel_implIZZZNS0_20trigamma_kernel_cudaERNS_18TensorIteratorBaseEENKUlvE_clEvENKUlvE1_clEvEUlN3c104HalfEE_EEvS4_RKT_EUlibE_EEviT1_.numbered_sgpr, 44
	.set _ZN2at6native32elementwise_kernel_manual_unrollILi128ELi4EZNS0_15gpu_kernel_implIZZZNS0_20trigamma_kernel_cudaERNS_18TensorIteratorBaseEENKUlvE_clEvENKUlvE1_clEvEUlN3c104HalfEE_EEvS4_RKT_EUlibE_EEviT1_.num_named_barrier, 0
	.set _ZN2at6native32elementwise_kernel_manual_unrollILi128ELi4EZNS0_15gpu_kernel_implIZZZNS0_20trigamma_kernel_cudaERNS_18TensorIteratorBaseEENKUlvE_clEvENKUlvE1_clEvEUlN3c104HalfEE_EEvS4_RKT_EUlibE_EEviT1_.private_seg_size, 0
	.set _ZN2at6native32elementwise_kernel_manual_unrollILi128ELi4EZNS0_15gpu_kernel_implIZZZNS0_20trigamma_kernel_cudaERNS_18TensorIteratorBaseEENKUlvE_clEvENKUlvE1_clEvEUlN3c104HalfEE_EEvS4_RKT_EUlibE_EEviT1_.uses_vcc, 1
	.set _ZN2at6native32elementwise_kernel_manual_unrollILi128ELi4EZNS0_15gpu_kernel_implIZZZNS0_20trigamma_kernel_cudaERNS_18TensorIteratorBaseEENKUlvE_clEvENKUlvE1_clEvEUlN3c104HalfEE_EEvS4_RKT_EUlibE_EEviT1_.uses_flat_scratch, 0
	.set _ZN2at6native32elementwise_kernel_manual_unrollILi128ELi4EZNS0_15gpu_kernel_implIZZZNS0_20trigamma_kernel_cudaERNS_18TensorIteratorBaseEENKUlvE_clEvENKUlvE1_clEvEUlN3c104HalfEE_EEvS4_RKT_EUlibE_EEviT1_.has_dyn_sized_stack, 0
	.set _ZN2at6native32elementwise_kernel_manual_unrollILi128ELi4EZNS0_15gpu_kernel_implIZZZNS0_20trigamma_kernel_cudaERNS_18TensorIteratorBaseEENKUlvE_clEvENKUlvE1_clEvEUlN3c104HalfEE_EEvS4_RKT_EUlibE_EEviT1_.has_recursion, 0
	.set _ZN2at6native32elementwise_kernel_manual_unrollILi128ELi4EZNS0_15gpu_kernel_implIZZZNS0_20trigamma_kernel_cudaERNS_18TensorIteratorBaseEENKUlvE_clEvENKUlvE1_clEvEUlN3c104HalfEE_EEvS4_RKT_EUlibE_EEviT1_.has_indirect_call, 0
	.section	.AMDGPU.csdata,"",@progbits
; Kernel info:
; codeLenInByte = 49700
; TotalNumSgprs: 48
; NumVgprs: 27
; ScratchSize: 0
; MemoryBound: 0
; FloatMode: 240
; IeeeMode: 1
; LDSByteSize: 0 bytes/workgroup (compile time only)
; SGPRBlocks: 5
; VGPRBlocks: 6
; NumSGPRsForWavesPerEU: 48
; NumVGPRsForWavesPerEU: 27
; Occupancy: 9
; WaveLimiterHint : 0
; COMPUTE_PGM_RSRC2:SCRATCH_EN: 0
; COMPUTE_PGM_RSRC2:USER_SGPR: 6
; COMPUTE_PGM_RSRC2:TRAP_HANDLER: 0
; COMPUTE_PGM_RSRC2:TGID_X_EN: 1
; COMPUTE_PGM_RSRC2:TGID_Y_EN: 0
; COMPUTE_PGM_RSRC2:TGID_Z_EN: 0
; COMPUTE_PGM_RSRC2:TIDIG_COMP_CNT: 0
	.section	.text._ZN2at6native32elementwise_kernel_manual_unrollILi128ELi4EZNS0_15gpu_kernel_implIZZZNS0_20trigamma_kernel_cudaERNS_18TensorIteratorBaseEENKUlvE_clEvENKUlvE1_clEvEUlN3c104HalfEE_EEvS4_RKT_EUlibE0_EEviT1_,"axG",@progbits,_ZN2at6native32elementwise_kernel_manual_unrollILi128ELi4EZNS0_15gpu_kernel_implIZZZNS0_20trigamma_kernel_cudaERNS_18TensorIteratorBaseEENKUlvE_clEvENKUlvE1_clEvEUlN3c104HalfEE_EEvS4_RKT_EUlibE0_EEviT1_,comdat
	.globl	_ZN2at6native32elementwise_kernel_manual_unrollILi128ELi4EZNS0_15gpu_kernel_implIZZZNS0_20trigamma_kernel_cudaERNS_18TensorIteratorBaseEENKUlvE_clEvENKUlvE1_clEvEUlN3c104HalfEE_EEvS4_RKT_EUlibE0_EEviT1_ ; -- Begin function _ZN2at6native32elementwise_kernel_manual_unrollILi128ELi4EZNS0_15gpu_kernel_implIZZZNS0_20trigamma_kernel_cudaERNS_18TensorIteratorBaseEENKUlvE_clEvENKUlvE1_clEvEUlN3c104HalfEE_EEvS4_RKT_EUlibE0_EEviT1_
	.p2align	8
	.type	_ZN2at6native32elementwise_kernel_manual_unrollILi128ELi4EZNS0_15gpu_kernel_implIZZZNS0_20trigamma_kernel_cudaERNS_18TensorIteratorBaseEENKUlvE_clEvENKUlvE1_clEvEUlN3c104HalfEE_EEvS4_RKT_EUlibE0_EEviT1_,@function
_ZN2at6native32elementwise_kernel_manual_unrollILi128ELi4EZNS0_15gpu_kernel_implIZZZNS0_20trigamma_kernel_cudaERNS_18TensorIteratorBaseEENKUlvE_clEvENKUlvE1_clEvEUlN3c104HalfEE_EEvS4_RKT_EUlibE0_EEviT1_: ; @_ZN2at6native32elementwise_kernel_manual_unrollILi128ELi4EZNS0_15gpu_kernel_implIZZZNS0_20trigamma_kernel_cudaERNS_18TensorIteratorBaseEENKUlvE_clEvENKUlvE1_clEvEUlN3c104HalfEE_EEvS4_RKT_EUlibE0_EEviT1_
; %bb.0:
	s_load_dword s70, s[4:5], 0x0
	s_load_dword s33, s[4:5], 0x8
	s_add_u32 s34, s4, 8
	s_addc_u32 s35, s5, 0
	v_lshl_or_b32 v8, s6, 9, v0
	v_or_b32_e32 v15, 0x180, v8
	s_waitcnt lgkmcnt(0)
	s_add_i32 s72, s33, -1
	s_cmp_gt_u32 s72, 1
	v_cmp_le_i32_e32 vcc, s70, v15
	s_cselect_b64 s[42:43], -1, 0
	s_mov_b64 s[40:41], 0
	s_mov_b64 s[6:7], 0
	s_and_saveexec_b64 s[0:1], vcc
	s_xor_b64 s[44:45], exec, s[0:1]
	s_cbranch_execz .LBB67_1110
; %bb.1:
	v_mov_b32_e32 v0, 0
	global_load_ushort v0, v0, s[34:35] offset:345
	s_load_dwordx4 s[36:39], s[34:35], 0x4
	s_load_dwordx2 s[46:47], s[34:35], 0x14
	s_load_dwordx4 s[28:31], s[34:35], 0xc4
	s_load_dwordx4 s[24:27], s[34:35], 0x148
	s_cmp_lg_u32 s33, 0
	s_cselect_b64 s[52:53], -1, 0
	s_add_u32 s50, s34, 0xc4
	s_addc_u32 s51, s35, 0
	s_min_u32 s75, s72, 15
	s_cmp_gt_u32 s33, 1
	s_cselect_b64 s[48:49], -1, 0
	v_cmp_gt_i32_e32 vcc, s70, v8
	s_mov_b64 s[2:3], -1
	s_mov_b64 s[62:63], 0
	s_mov_b64 s[56:57], 0
	;; [unrolled: 1-line block ×3, first 2 shown]
	s_waitcnt vmcnt(0)
	v_readfirstlane_b32 s73, v0
	s_and_b32 s0, 0xffff, s73
	s_lshr_b32 s74, s0, 8
	s_and_saveexec_b64 s[58:59], vcc
	s_cbranch_execz .LBB67_272
; %bb.2:
	s_andn2_b64 vcc, exec, s[42:43]
	s_cbranch_vccnz .LBB67_7
; %bb.3:
	s_andn2_b64 vcc, exec, s[52:53]
	s_cbranch_vccnz .LBB67_8
; %bb.4:
	s_add_i32 s57, s75, 1
	s_cmp_eq_u32 s72, 2
	s_cbranch_scc1 .LBB67_9
; %bb.5:
	s_and_b32 s56, s57, 28
	v_mov_b32_e32 v2, 0
	s_mov_b32 s60, 0
	s_mov_b64 s[6:7], s[34:35]
	s_mov_b64 s[54:55], s[50:51]
	v_mov_b32_e32 v0, 0
	v_mov_b32_e32 v1, v8
.LBB67_6:                               ; =>This Inner Loop Header: Depth=1
	s_load_dwordx8 s[16:23], s[6:7], 0x4
	s_load_dwordx4 s[0:3], s[6:7], 0x24
	s_load_dwordx8 s[8:15], s[54:55], 0x0
	s_add_u32 s6, s6, 48
	s_addc_u32 s7, s7, 0
	s_waitcnt lgkmcnt(0)
	v_mul_hi_u32 v3, s17, v1
	s_add_i32 s60, s60, 4
	s_add_u32 s54, s54, 32
	s_addc_u32 s55, s55, 0
	v_add_u32_e32 v3, v1, v3
	v_lshrrev_b32_e32 v3, s18, v3
	v_mul_lo_u32 v4, v3, s16
	v_mul_hi_u32 v5, s20, v3
	s_cmp_lg_u32 s56, s60
	v_sub_u32_e32 v1, v1, v4
	v_add_u32_e32 v4, v3, v5
	v_mul_lo_u32 v5, v1, s8
	v_mul_lo_u32 v6, v1, s9
	v_lshrrev_b32_e32 v1, s21, v4
	v_mul_lo_u32 v4, v1, s19
	v_mul_hi_u32 v7, s23, v1
	v_sub_u32_e32 v3, v3, v4
	v_add_u32_e32 v4, v1, v7
	v_lshrrev_b32_e32 v4, s0, v4
	v_mul_hi_u32 v9, s2, v4
	v_mul_lo_u32 v10, v4, s22
	v_mul_lo_u32 v7, v3, s10
	;; [unrolled: 1-line block ×3, first 2 shown]
	v_sub_u32_e32 v10, v1, v10
	v_add_u32_e32 v1, v4, v9
	v_lshrrev_b32_e32 v1, s3, v1
	v_mul_lo_u32 v9, v1, s1
	v_mul_lo_u32 v11, v10, s12
	;; [unrolled: 1-line block ×3, first 2 shown]
	v_add3_u32 v0, v5, v0, v7
	v_sub_u32_e32 v4, v4, v9
	v_mul_lo_u32 v9, v4, s14
	v_mul_lo_u32 v4, v4, s15
	v_add3_u32 v2, v6, v2, v3
	v_add3_u32 v0, v11, v0, v9
	;; [unrolled: 1-line block ×3, first 2 shown]
	s_cbranch_scc1 .LBB67_6
	s_branch .LBB67_10
.LBB67_7:
                                        ; implicit-def: $vgpr0
                                        ; implicit-def: $vgpr2
	s_branch .LBB67_14
.LBB67_8:
	v_mov_b32_e32 v0, 0
	v_mov_b32_e32 v2, 0
	s_branch .LBB67_13
.LBB67_9:
	s_mov_b32 s56, 0
	v_mov_b32_e32 v0, 0
	v_mov_b32_e32 v2, 0
	;; [unrolled: 1-line block ×3, first 2 shown]
.LBB67_10:
	s_and_b32 s6, s57, 3
	s_cmp_eq_u32 s6, 0
	s_cbranch_scc1 .LBB67_13
; %bb.11:
	s_lshl_b32 s0, s56, 3
	s_add_u32 s0, s34, s0
	s_addc_u32 s1, s35, 0
	s_add_u32 s0, s0, 0xc4
	s_addc_u32 s1, s1, 0
	s_mul_i32 s2, s56, 12
	s_add_u32 s2, s34, s2
	s_addc_u32 s3, s35, 0
.LBB67_12:                              ; =>This Inner Loop Header: Depth=1
	s_load_dwordx2 s[8:9], s[2:3], 0x4
	s_load_dword s7, s[2:3], 0xc
	s_load_dwordx2 s[10:11], s[0:1], 0x0
	s_add_u32 s2, s2, 12
	s_addc_u32 s3, s3, 0
	s_waitcnt lgkmcnt(0)
	v_mul_hi_u32 v3, s9, v1
	s_add_u32 s0, s0, 8
	s_addc_u32 s1, s1, 0
	s_add_i32 s6, s6, -1
	v_add_u32_e32 v3, v1, v3
	v_lshrrev_b32_e32 v4, s7, v3
	v_mul_lo_u32 v3, v4, s8
	s_cmp_lg_u32 s6, 0
	v_sub_u32_e32 v3, v1, v3
	v_mad_u64_u32 v[0:1], s[8:9], v3, s10, v[0:1]
	v_mad_u64_u32 v[2:3], s[8:9], v3, s11, v[2:3]
	v_mov_b32_e32 v1, v4
	s_cbranch_scc1 .LBB67_12
.LBB67_13:
	s_cbranch_execnz .LBB67_16
.LBB67_14:
	s_waitcnt lgkmcnt(0)
	v_mul_hi_u32 v0, s37, v8
	s_andn2_b64 vcc, exec, s[48:49]
	v_add_u32_e32 v0, v8, v0
	v_lshrrev_b32_e32 v1, s38, v0
	v_mul_lo_u32 v0, v1, s36
	v_sub_u32_e32 v2, v8, v0
	v_mul_lo_u32 v0, v2, s28
	v_mul_lo_u32 v2, v2, s29
	s_cbranch_vccnz .LBB67_16
; %bb.15:
	v_mul_hi_u32 v3, s46, v1
	v_add_u32_e32 v3, v1, v3
	v_lshrrev_b32_e32 v3, s47, v3
	v_mul_lo_u32 v3, v3, s39
	v_sub_u32_e32 v3, v1, v3
	v_mad_u64_u32 v[0:1], s[0:1], v3, s30, v[0:1]
	v_mad_u64_u32 v[2:3], s[0:1], v3, s31, v[2:3]
.LBB67_16:
	s_waitcnt lgkmcnt(0)
	v_mov_b32_e32 v3, s27
	s_and_b32 s10, 0xffff, s74
	v_add_co_u32_e32 v1, vcc, s26, v2
	s_cmp_lt_i32 s10, 11
	v_addc_co_u32_e32 v2, vcc, 0, v3, vcc
	s_cbranch_scc1 .LBB67_23
; %bb.17:
	s_cmp_gt_i32 s10, 25
	s_cbranch_scc0 .LBB67_38
; %bb.18:
	s_cmp_gt_i32 s10, 28
	s_cbranch_scc0 .LBB67_41
	;; [unrolled: 3-line block ×4, first 2 shown]
; %bb.21:
	s_cmp_eq_u32 s10, 46
	s_mov_b64 s[2:3], 0
	s_cbranch_scc0 .LBB67_47
; %bb.22:
	global_load_dword v3, v[1:2], off
	s_mov_b64 s[0:1], -1
	s_mov_b64 s[8:9], 0
	s_waitcnt vmcnt(0)
	v_lshlrev_b32_e32 v3, 16, v3
	v_cvt_f16_f32_e32 v3, v3
	s_branch .LBB67_49
.LBB67_23:
	s_mov_b64 s[8:9], 0
                                        ; implicit-def: $vgpr3
	s_mov_b64 s[0:1], 0
	s_cbranch_execnz .LBB67_222
.LBB67_24:
	s_andn2_b64 vcc, exec, s[0:1]
	s_cbranch_vccnz .LBB67_269
.LBB67_25:
	s_waitcnt vmcnt(0)
	v_cvt_f32_f16_e32 v1, v3
	v_cmp_gt_f16_e32 vcc, 0.5, v3
	v_mov_b32_e32 v3, 0
	v_mov_b32_e32 v2, 1.0
	s_and_saveexec_b64 s[10:11], vcc
	s_cbranch_execz .LBB67_31
; %bb.26:
	v_mul_f32_e32 v2, 0x40490fdb, v1
	s_brev_b32 s0, 18
	v_and_b32_e32 v3, 0x7fffffff, v2
	v_cmp_nlt_f32_e64 s[0:1], |v2|, s0
                                        ; implicit-def: $vgpr4
                                        ; implicit-def: $vgpr5
	s_and_saveexec_b64 s[2:3], s[0:1]
	s_xor_b64 s[12:13], exec, s[2:3]
	s_cbranch_execz .LBB67_28
; %bb.27:
	v_and_b32_e32 v4, 0x7fffff, v3
	v_or_b32_e32 v7, 0x800000, v4
	s_mov_b32 s0, 0xfe5163ab
	v_mad_u64_u32 v[4:5], s[0:1], v7, s0, 0
	v_mov_b32_e32 v6, 0
	s_mov_b32 s0, 0x3c439041
	v_mad_u64_u32 v[9:10], s[0:1], v7, s0, v[5:6]
	s_mov_b32 s0, 0xdb629599
	v_not_b32_e32 v14, 63
	v_mov_b32_e32 v5, v10
	v_mad_u64_u32 v[10:11], s[0:1], v7, s0, v[5:6]
	s_mov_b32 s0, 0xf534ddc0
	v_not_b32_e32 v16, 31
	v_mov_b32_e32 v5, v11
	v_mad_u64_u32 v[11:12], s[0:1], v7, s0, v[5:6]
	v_lshrrev_b32_e32 v5, 23, v3
	v_add_u32_e32 v15, 0xffffff88, v5
	v_mov_b32_e32 v5, v12
	s_mov_b32 s0, 0xfc2757d1
	v_mad_u64_u32 v[12:13], s[0:1], v7, s0, v[5:6]
	v_cmp_lt_u32_e32 vcc, 63, v15
	v_cndmask_b32_e32 v5, 0, v14, vcc
	v_add_u32_e32 v15, v5, v15
	v_mov_b32_e32 v5, v13
	s_mov_b32 s0, 0x4e441529
	v_mad_u64_u32 v[13:14], s[0:1], v7, s0, v[5:6]
	v_cmp_lt_u32_e64 s[0:1], 31, v15
	v_cndmask_b32_e64 v5, 0, v16, s[0:1]
	v_add_u32_e32 v15, v5, v15
	v_mov_b32_e32 v5, v14
	s_mov_b32 s2, 0xa2f9836e
	v_mad_u64_u32 v[5:6], s[2:3], v7, s2, v[5:6]
	v_cmp_lt_u32_e64 s[2:3], 31, v15
	v_cndmask_b32_e64 v7, 0, v16, s[2:3]
	v_cndmask_b32_e32 v14, v13, v11, vcc
	v_cndmask_b32_e32 v5, v5, v12, vcc
	;; [unrolled: 1-line block ×3, first 2 shown]
	v_add_u32_e32 v7, v7, v15
	v_cndmask_b32_e64 v15, v5, v14, s[0:1]
	v_cndmask_b32_e64 v5, v6, v5, s[0:1]
	v_cndmask_b32_e32 v6, v12, v10, vcc
	v_cndmask_b32_e64 v12, v14, v6, s[0:1]
	v_cndmask_b32_e64 v5, v5, v15, s[2:3]
	;; [unrolled: 1-line block ×3, first 2 shown]
	v_sub_u32_e32 v14, 32, v7
	v_alignbit_b32 v15, v5, v13, v14
	v_cmp_eq_u32_e64 s[6:7], 0, v7
	v_cndmask_b32_e64 v7, v15, v5, s[6:7]
	v_cndmask_b32_e32 v5, v11, v9, vcc
	v_cndmask_b32_e64 v6, v6, v5, s[0:1]
	v_cndmask_b32_e64 v9, v12, v6, s[2:3]
	v_alignbit_b32 v11, v13, v9, v14
	v_cndmask_b32_e32 v4, v10, v4, vcc
	v_cndmask_b32_e64 v11, v11, v13, s[6:7]
	v_bfe_u32 v15, v7, 29, 1
	v_cndmask_b32_e64 v4, v5, v4, s[0:1]
	v_alignbit_b32 v12, v7, v11, 30
	v_sub_u32_e32 v16, 0, v15
	v_cndmask_b32_e64 v4, v6, v4, s[2:3]
	v_xor_b32_e32 v12, v12, v16
	v_alignbit_b32 v5, v9, v4, v14
	v_cndmask_b32_e64 v5, v5, v9, s[6:7]
	v_ffbh_u32_e32 v9, v12
	v_alignbit_b32 v6, v11, v5, 30
	v_min_u32_e32 v9, 32, v9
	v_alignbit_b32 v4, v5, v4, 30
	v_xor_b32_e32 v6, v6, v16
	v_sub_u32_e32 v10, 31, v9
	v_xor_b32_e32 v4, v4, v16
	v_alignbit_b32 v11, v12, v6, v10
	v_alignbit_b32 v4, v6, v4, v10
	;; [unrolled: 1-line block ×3, first 2 shown]
	v_ffbh_u32_e32 v6, v5
	v_min_u32_e32 v6, 32, v6
	v_lshrrev_b32_e32 v13, 29, v7
	v_not_b32_e32 v10, v6
	v_alignbit_b32 v4, v5, v4, v10
	v_lshlrev_b32_e32 v5, 31, v13
	v_or_b32_e32 v10, 0x33000000, v5
	v_add_lshl_u32 v6, v6, v9, 23
	v_lshrrev_b32_e32 v4, 9, v4
	v_sub_u32_e32 v6, v10, v6
	v_or_b32_e32 v5, 0.5, v5
	v_lshlrev_b32_e32 v9, 23, v9
	v_or_b32_e32 v4, v6, v4
	v_lshrrev_b32_e32 v6, 9, v11
	v_sub_u32_e32 v5, v5, v9
	v_or_b32_e32 v5, v6, v5
	s_mov_b32 s0, 0x3fc90fda
	v_mul_f32_e32 v6, 0x3fc90fda, v5
	v_fma_f32 v9, v5, s0, -v6
	v_fmac_f32_e32 v9, 0x33a22168, v5
	v_fmac_f32_e32 v9, 0x3fc90fda, v4
	v_lshrrev_b32_e32 v4, 30, v7
	v_add_f32_e32 v5, v6, v9
	v_add_u32_e32 v4, v15, v4
.LBB67_28:
	s_andn2_saveexec_b64 s[0:1], s[12:13]
	s_cbranch_execz .LBB67_30
; %bb.29:
	s_mov_b32 s2, 0x3f22f983
	v_mul_f32_e64 v4, |v2|, s2
	v_rndne_f32_e32 v6, v4
	s_mov_b32 s2, 0xbfc90fda
	v_cvt_i32_f32_e32 v4, v6
	v_fma_f32 v5, v6, s2, |v2|
	v_fmac_f32_e32 v5, 0xb3a22168, v6
	v_fmac_f32_e32 v5, 0xa7c234c4, v6
.LBB67_30:
	s_or_b64 exec, exec, s[0:1]
	v_mul_f32_e32 v6, v5, v5
	v_mov_b32_e32 v7, 0x3c0881c4
	v_fmac_f32_e32 v7, 0xb94c1982, v6
	v_mov_b32_e32 v9, 0xbe2aaa9d
	v_fmac_f32_e32 v9, v6, v7
	v_mul_f32_e32 v7, v6, v9
	v_fmac_f32_e32 v5, v5, v7
	v_mov_b32_e32 v7, 0xbab64f3b
	v_fmac_f32_e32 v7, 0x37d75334, v6
	v_mov_b32_e32 v9, 0x3d2aabf7
	;; [unrolled: 2-line block ×3, first 2 shown]
	v_fmac_f32_e32 v7, v6, v9
	v_fma_f32 v6, v6, v7, 1.0
	v_and_b32_e32 v7, 1, v4
	v_lshlrev_b32_e32 v4, 30, v4
	v_cmp_eq_u32_e32 vcc, 0, v7
	v_and_b32_e32 v4, 0x80000000, v4
	v_xor_b32_e32 v3, v3, v2
	v_cndmask_b32_e32 v5, v6, v5, vcc
	v_xor_b32_e32 v3, v3, v4
	s_movk_i32 s0, 0x1f8
	v_xor_b32_e32 v3, v3, v5
	v_mov_b32_e32 v4, 0x7fc00000
	v_cmp_class_f32_e64 vcc, v2, s0
	v_cndmask_b32_e32 v2, v4, v3, vcc
	v_mul_f32_e32 v2, v2, v2
	s_mov_b32 s2, 0xc11de9e7
	v_div_scale_f32 v3, s[0:1], v2, v2, s2
	v_div_scale_f32 v4, vcc, s2, v2, s2
	v_sub_f32_e32 v1, 1.0, v1
	v_rcp_f32_e32 v5, v3
	v_fma_f32 v6, -v3, v5, 1.0
	v_fmac_f32_e32 v5, v6, v5
	v_mul_f32_e32 v6, v4, v5
	v_fma_f32 v7, -v3, v6, v4
	v_fmac_f32_e32 v6, v7, v5
	v_fma_f32 v3, -v3, v6, v4
	v_div_fmas_f32 v3, v3, v5, v6
	v_div_fixup_f32 v2, v3, v2, s2
	v_add_f32_e32 v3, 0, v2
	v_mov_b32_e32 v2, -1.0
.LBB67_31:
	s_or_b64 exec, exec, s[10:11]
	v_mul_f32_e32 v4, v1, v1
	v_div_scale_f32 v6, s[0:1], v4, v4, 1.0
	v_add_f32_e32 v5, 1.0, v1
	v_mul_f32_e32 v1, v5, v5
	v_div_scale_f32 v9, s[0:1], v1, v1, 1.0
	v_div_scale_f32 v7, vcc, 1.0, v4, 1.0
	v_add_f32_e32 v10, 1.0, v5
	v_div_scale_f32 v11, s[0:1], 1.0, v1, 1.0
	v_mul_f32_e32 v5, v10, v10
	v_div_scale_f32 v12, s[2:3], v5, v5, 1.0
	v_div_scale_f32 v15, s[2:3], 1.0, v5, 1.0
	v_rcp_f32_e32 v13, v6
	v_add_f32_e32 v10, 1.0, v10
	s_and_b32 s12, s73, 0xff
	s_cmp_lt_i32 s12, 11
	v_rcp_f32_e32 v14, v9
	v_fma_f32 v16, -v6, v13, 1.0
	v_fmac_f32_e32 v13, v16, v13
	v_mul_f32_e32 v17, v7, v13
	v_fma_f32 v18, -v6, v17, v7
	v_fma_f32 v16, -v9, v14, 1.0
	v_fmac_f32_e32 v17, v18, v13
	v_fma_f32 v6, -v6, v17, v7
	v_fmac_f32_e32 v14, v16, v14
	v_div_fmas_f32 v6, v6, v13, v17
	v_mul_f32_e32 v13, v11, v14
	v_fma_f32 v7, -v9, v13, v11
	v_rcp_f32_e32 v16, v12
	v_fmac_f32_e32 v13, v7, v14
	v_mul_f32_e32 v7, v10, v10
	v_div_scale_f32 v17, s[6:7], v7, v7, 1.0
	v_fma_f32 v9, -v9, v13, v11
	v_fma_f32 v11, -v12, v16, 1.0
	v_fmac_f32_e32 v16, v11, v16
	s_mov_b64 vcc, s[0:1]
	v_mul_f32_e32 v11, v15, v16
	v_div_fmas_f32 v9, v9, v14, v13
	v_fma_f32 v13, -v12, v11, v15
	v_fmac_f32_e32 v11, v13, v16
	v_div_scale_f32 v13, s[0:1], 1.0, v7, 1.0
	v_add_f32_e32 v14, 1.0, v10
	v_mul_f32_e32 v10, v14, v14
	v_div_scale_f32 v18, s[6:7], v10, v10, 1.0
	v_fma_f32 v12, -v12, v11, v15
	s_mov_b64 vcc, s[2:3]
	v_div_fmas_f32 v11, v12, v16, v11
	v_div_scale_f32 v12, s[2:3], 1.0, v10, 1.0
	v_rcp_f32_e32 v15, v17
	v_add_f32_e32 v14, 1.0, v14
	v_mul_f32_e32 v19, v14, v14
	v_div_scale_f32 v20, s[6:7], v19, v19, 1.0
	v_fma_f32 v16, -v17, v15, 1.0
	v_fmac_f32_e32 v15, v16, v15
	v_mul_f32_e32 v16, v13, v15
	v_fma_f32 v21, -v17, v16, v13
	v_fmac_f32_e32 v16, v21, v15
	v_rcp_f32_e32 v21, v18
	v_fma_f32 v13, -v17, v16, v13
	s_mov_b64 vcc, s[0:1]
	v_div_fmas_f32 v13, v13, v15, v16
	v_fma_f32 v15, -v18, v21, 1.0
	v_fmac_f32_e32 v21, v15, v21
	v_mul_f32_e32 v15, v12, v21
	v_fma_f32 v16, -v18, v15, v12
	v_fmac_f32_e32 v15, v16, v21
	v_div_scale_f32 v16, s[0:1], 1.0, v19, 1.0
	v_add_f32_e32 v14, 1.0, v14
	v_mul_f32_e32 v22, v14, v14
	v_div_scale_f32 v23, s[6:7], v22, v22, 1.0
	v_rcp_f32_e32 v17, v20
	v_fma_f32 v12, -v18, v15, v12
	s_mov_b64 vcc, s[2:3]
	v_div_scale_f32 v18, s[2:3], 1.0, v22, 1.0
	v_div_fmas_f32 v12, v12, v21, v15
	v_add_f32_e32 v21, v14, v14
	v_div_scale_f32 v24, s[6:7], v21, v21, 1.0
	v_fma_f32 v15, -v20, v17, 1.0
	v_fmac_f32_e32 v17, v15, v17
	v_mul_f32_e32 v15, v16, v17
	v_fma_f32 v25, -v20, v15, v16
	v_fmac_f32_e32 v15, v25, v17
	v_div_scale_f32 v25, s[6:7], 1.0, v21, 1.0
	v_rcp_f32_e32 v26, v23
	v_fma_f32 v16, -v20, v15, v16
	s_mov_b64 vcc, s[0:1]
	v_div_fmas_f32 v15, v16, v17, v15
	v_fma_f32 v16, -v23, v26, 1.0
	v_fmac_f32_e32 v26, v16, v26
	v_mul_f32_e32 v16, v18, v26
	v_fma_f32 v17, -v23, v16, v18
	v_fmac_f32_e32 v16, v17, v26
	v_rcp_f32_e32 v17, v24
	v_fma_f32 v18, -v23, v16, v18
	s_mov_b64 vcc, s[2:3]
	v_div_fmas_f32 v16, v18, v26, v16
	v_fma_f32 v18, -v24, v17, 1.0
	v_fmac_f32_e32 v17, v18, v17
	v_mul_f32_e32 v18, v25, v17
	v_fma_f32 v20, -v24, v18, v25
	v_fmac_f32_e32 v18, v20, v17
	v_fma_f32 v20, -v24, v18, v25
	s_mov_b64 vcc, s[6:7]
	v_div_fmas_f32 v17, v20, v17, v18
	v_mov_b32_e32 v18, 0x3d088889
	s_mov_b32 s0, 0x3e2aaaab
	v_div_fixup_f32 v4, v6, v4, 1.0
	v_add_f32_e32 v3, v3, v4
	v_div_fixup_f32 v1, v9, v1, 1.0
	v_add_f32_e32 v1, v3, v1
	v_div_fixup_f32 v3, v11, v5, 1.0
	v_div_fixup_f32 v16, v16, v22, 1.0
	v_fmac_f32_e32 v18, 0xbcc30c31, v16
	v_fma_f32 v18, -v16, v18, s0
	v_add_f32_e32 v1, v1, v3
	v_div_fixup_f32 v3, v13, v7, 1.0
	v_add_f32_e32 v1, v1, v3
	v_div_fixup_f32 v3, v12, v10, 1.0
	;; [unrolled: 2-line block ×3, first 2 shown]
	v_add_f32_e32 v17, 1.0, v17
	v_fmac_f32_e32 v17, v16, v18
	v_div_scale_f32 v16, s[0:1], v14, v14, v17
	v_div_scale_f32 v18, vcc, v17, v14, v17
	v_div_fixup_f32 v3, v15, v19, 1.0
	v_add_f32_e32 v1, v1, v3
	v_rcp_f32_e32 v20, v16
	v_fma_f32 v21, -v16, v20, 1.0
	v_fmac_f32_e32 v20, v21, v20
	v_mul_f32_e32 v21, v18, v20
	v_fma_f32 v22, -v16, v21, v18
	v_fmac_f32_e32 v21, v22, v20
	v_fma_f32 v16, -v16, v21, v18
	v_div_fmas_f32 v16, v16, v20, v21
	v_add_co_u32_e32 v0, vcc, s24, v0
	v_div_fixup_f32 v3, v16, v14, v17
	v_add_f32_e32 v1, v1, v3
	v_fma_mixlo_f16 v2, v2, v1, 0
	v_mov_b32_e32 v1, s25
	v_addc_co_u32_e32 v1, vcc, 0, v1, vcc
	s_cbranch_scc1 .LBB67_39
; %bb.32:
	s_and_b32 s13, 0xffff, s12
	s_cmp_gt_i32 s13, 25
	s_cbranch_scc0 .LBB67_42
; %bb.33:
	s_cmp_gt_i32 s13, 28
	s_cbranch_scc0 .LBB67_44
; %bb.34:
	;; [unrolled: 3-line block ×4, first 2 shown]
	s_mov_b64 s[6:7], 0
	s_mov_b64 s[0:1], -1
	s_cmp_eq_u32 s13, 46
	s_mov_b64 s[2:3], 0
	s_cbranch_scc0 .LBB67_53
; %bb.37:
	v_cvt_f32_f16_e32 v3, v2
	s_movk_i32 s0, 0x7fff
	v_cmp_o_f16_e32 vcc, v2, v2
	v_mov_b32_e32 v4, 0x7fc0
	v_bfe_u32 v5, v3, 16, 1
	v_add3_u32 v3, v3, v5, s0
	v_cndmask_b32_sdwa v3, v4, v3, vcc dst_sel:DWORD dst_unused:UNUSED_PAD src0_sel:DWORD src1_sel:WORD_1
	global_store_dword v[0:1], v3, off
	s_mov_b64 s[2:3], -1
	s_mov_b64 s[0:1], 0
	s_branch .LBB67_53
.LBB67_38:
	s_mov_b64 s[8:9], 0
	s_mov_b64 s[0:1], 0
                                        ; implicit-def: $vgpr3
	s_cbranch_execnz .LBB67_187
	s_branch .LBB67_221
.LBB67_39:
	s_mov_b64 s[0:1], 0
	s_mov_b64 s[2:3], 0
	s_cbranch_execnz .LBB67_122
.LBB67_40:
	s_andn2_b64 vcc, exec, s[2:3]
	s_cbranch_vccnz .LBB67_270
	s_branch .LBB67_160
.LBB67_41:
	s_mov_b64 s[2:3], -1
	s_mov_b64 s[8:9], 0
	s_mov_b64 s[0:1], 0
                                        ; implicit-def: $vgpr3
	s_branch .LBB67_168
.LBB67_42:
	s_mov_b64 s[6:7], -1
	s_mov_b64 s[0:1], 0
	s_mov_b64 s[2:3], 0
	s_branch .LBB67_80
.LBB67_43:
	s_mov_b64 s[2:3], -1
	s_mov_b64 s[8:9], 0
	s_mov_b64 s[0:1], 0
                                        ; implicit-def: $vgpr3
	s_branch .LBB67_163
.LBB67_44:
	s_mov_b64 s[6:7], -1
	s_mov_b64 s[0:1], 0
	s_mov_b64 s[2:3], 0
	s_branch .LBB67_63
.LBB67_45:
	s_mov_b64 s[2:3], -1
	s_mov_b64 s[8:9], 0
	s_branch .LBB67_48
.LBB67_46:
	s_mov_b64 s[6:7], -1
	s_mov_b64 s[0:1], 0
	s_mov_b64 s[2:3], 0
	s_branch .LBB67_59
.LBB67_47:
	s_mov_b64 s[8:9], -1
.LBB67_48:
	s_mov_b64 s[0:1], 0
                                        ; implicit-def: $vgpr3
.LBB67_49:
	s_and_b64 vcc, exec, s[2:3]
	s_cbranch_vccz .LBB67_162
; %bb.50:
	s_cmp_eq_u32 s10, 44
	s_cbranch_scc0 .LBB67_161
; %bb.51:
	global_load_ubyte v3, v[1:2], off
	s_movk_i32 s2, 0xff
	v_mov_b32_e32 v5, 0x7e00
	s_mov_b64 s[0:1], -1
	s_mov_b64 s[8:9], 0
	s_waitcnt vmcnt(0)
	v_lshlrev_b32_e32 v4, 23, v3
	v_cvt_f16_f32_e32 v4, v4
	v_cmp_ne_u32_e32 vcc, s2, v3
	v_cndmask_b32_e32 v4, v5, v4, vcc
	v_cmp_ne_u32_e32 vcc, 0, v3
	v_cndmask_b32_e32 v3, 0, v4, vcc
	s_branch .LBB67_162
.LBB67_52:
	s_mov_b64 s[6:7], -1
	s_mov_b64 s[0:1], 0
	s_mov_b64 s[2:3], 0
.LBB67_53:
	s_and_b64 vcc, exec, s[6:7]
	s_cbranch_vccz .LBB67_58
; %bb.54:
	s_cmp_eq_u32 s13, 44
	s_mov_b64 s[0:1], -1
	s_cbranch_scc0 .LBB67_58
; %bb.55:
	v_cvt_f32_f16_e32 v3, v2
	s_movk_i32 s0, 0xff
	v_mov_b32_e32 v5, 0xff
	v_bfe_u32 v4, v3, 23, 8
	v_cmp_ne_u32_e32 vcc, s0, v4
	s_and_saveexec_b64 s[2:3], vcc
; %bb.56:
	s_mov_b32 s0, 0x3fffff
	v_lshrrev_b32_e32 v5, 23, v3
	v_and_b32_e32 v6, 0x400000, v3
	v_and_or_b32 v3, v3, s0, v4
	v_cmp_ne_u32_e32 vcc, 0, v6
	v_cmp_ne_u32_e64 s[0:1], 0, v3
	s_and_b64 s[0:1], vcc, s[0:1]
	v_cndmask_b32_e64 v3, 0, 1, s[0:1]
	v_add_u32_e32 v5, v5, v3
; %bb.57:
	s_or_b64 exec, exec, s[2:3]
	s_mov_b64 s[2:3], -1
	s_mov_b64 s[0:1], 0
	global_store_byte v[0:1], v5, off
.LBB67_58:
	s_mov_b64 s[6:7], 0
.LBB67_59:
	s_and_b64 vcc, exec, s[6:7]
	s_cbranch_vccz .LBB67_62
; %bb.60:
	s_cmp_eq_u32 s13, 29
	s_mov_b64 s[0:1], -1
	s_cbranch_scc0 .LBB67_62
; %bb.61:
	v_cvt_f32_f16_e32 v3, v2
	v_mov_b32_e32 v4, 0
	s_mov_b64 s[2:3], -1
	s_mov_b64 s[0:1], 0
	v_cvt_u32_f32_e32 v3, v3
	s_mov_b64 s[6:7], 0
	global_store_dwordx2 v[0:1], v[3:4], off
	s_branch .LBB67_63
.LBB67_62:
	s_mov_b64 s[6:7], 0
.LBB67_63:
	s_and_b64 vcc, exec, s[6:7]
	s_cbranch_vccz .LBB67_79
; %bb.64:
	s_cmp_lt_i32 s13, 27
	s_mov_b64 s[2:3], -1
	s_cbranch_scc1 .LBB67_70
; %bb.65:
	s_cmp_gt_i32 s13, 27
	s_cbranch_scc0 .LBB67_67
; %bb.66:
	v_cvt_f32_f16_e32 v3, v2
	s_mov_b64 s[2:3], 0
	v_cvt_u32_f32_e32 v3, v3
	global_store_dword v[0:1], v3, off
.LBB67_67:
	s_andn2_b64 vcc, exec, s[2:3]
	s_cbranch_vccnz .LBB67_69
; %bb.68:
	v_cvt_u16_f16_e32 v3, v2
	global_store_short v[0:1], v3, off
.LBB67_69:
	s_mov_b64 s[2:3], 0
.LBB67_70:
	s_andn2_b64 vcc, exec, s[2:3]
	s_cbranch_vccnz .LBB67_78
; %bb.71:
	v_cvt_f32_f16_e32 v3, v2
	s_mov_b32 s2, 0x43800000
	v_mov_b32_e32 v5, 0x80
	v_and_b32_e32 v4, 0x7fffffff, v3
	v_cmp_gt_u32_e32 vcc, s2, v4
	s_and_saveexec_b64 s[2:3], vcc
	s_cbranch_execz .LBB67_77
; %bb.72:
	s_mov_b32 s6, 0x3bffffff
	v_cmp_lt_u32_e32 vcc, s6, v4
	s_mov_b64 s[6:7], 0
                                        ; implicit-def: $vgpr4
	s_and_saveexec_b64 s[10:11], vcc
	s_xor_b64 s[10:11], exec, s[10:11]
	s_cbranch_execz .LBB67_319
; %bb.73:
	v_bfe_u32 v4, v3, 20, 1
	s_mov_b32 s14, 0x487ffff
	v_add3_u32 v4, v3, v4, s14
	s_mov_b64 s[6:7], exec
	v_lshrrev_b32_e32 v4, 20, v4
	s_andn2_saveexec_b64 s[10:11], s[10:11]
	s_cbranch_execnz .LBB67_320
.LBB67_74:
	s_or_b64 exec, exec, s[10:11]
	v_mov_b32_e32 v5, 0
	s_and_saveexec_b64 s[10:11], s[6:7]
.LBB67_75:
	v_lshrrev_b32_e32 v3, 24, v3
	s_movk_i32 s6, 0x80
	v_and_or_b32 v5, v3, s6, v4
.LBB67_76:
	s_or_b64 exec, exec, s[10:11]
.LBB67_77:
	s_or_b64 exec, exec, s[2:3]
	global_store_byte v[0:1], v5, off
.LBB67_78:
	s_mov_b64 s[2:3], -1
.LBB67_79:
	s_mov_b64 s[6:7], 0
.LBB67_80:
	s_and_b64 vcc, exec, s[6:7]
	s_cbranch_vccz .LBB67_121
; %bb.81:
	s_cmp_gt_i32 s13, 22
	s_mov_b64 s[6:7], -1
	s_cbranch_scc0 .LBB67_113
; %bb.82:
	s_cmp_lt_i32 s13, 24
	s_mov_b64 s[2:3], -1
	s_cbranch_scc1 .LBB67_102
; %bb.83:
	s_cmp_gt_i32 s13, 24
	s_cbranch_scc0 .LBB67_91
; %bb.84:
	v_cvt_f32_f16_e32 v3, v2
	s_mov_b32 s2, 0x47800000
	v_mov_b32_e32 v5, 0x80
	v_and_b32_e32 v4, 0x7fffffff, v3
	v_cmp_gt_u32_e32 vcc, s2, v4
	s_and_saveexec_b64 s[2:3], vcc
	s_cbranch_execz .LBB67_90
; %bb.85:
	s_mov_b32 s6, 0x37ffffff
	v_cmp_lt_u32_e32 vcc, s6, v4
	s_mov_b64 s[6:7], 0
                                        ; implicit-def: $vgpr4
	s_and_saveexec_b64 s[10:11], vcc
	s_xor_b64 s[10:11], exec, s[10:11]
	s_cbranch_execz .LBB67_323
; %bb.86:
	v_bfe_u32 v4, v3, 21, 1
	s_mov_b32 s14, 0x88fffff
	v_add3_u32 v4, v3, v4, s14
	s_mov_b64 s[6:7], exec
	v_lshrrev_b32_e32 v4, 21, v4
	s_andn2_saveexec_b64 s[10:11], s[10:11]
	s_cbranch_execnz .LBB67_324
.LBB67_87:
	s_or_b64 exec, exec, s[10:11]
	v_mov_b32_e32 v5, 0
	s_and_saveexec_b64 s[10:11], s[6:7]
.LBB67_88:
	v_lshrrev_b32_e32 v3, 24, v3
	s_movk_i32 s6, 0x80
	v_and_or_b32 v5, v3, s6, v4
.LBB67_89:
	s_or_b64 exec, exec, s[10:11]
.LBB67_90:
	s_or_b64 exec, exec, s[2:3]
	s_mov_b64 s[2:3], 0
	global_store_byte v[0:1], v5, off
.LBB67_91:
	s_and_b64 vcc, exec, s[2:3]
	s_cbranch_vccz .LBB67_101
; %bb.92:
	v_cvt_f32_f16_e32 v3, v2
	s_mov_b32 s2, 0x43f00000
                                        ; implicit-def: $vgpr4
	v_and_b32_e32 v5, 0x7fffffff, v3
	v_cmp_gt_u32_e32 vcc, s2, v5
	s_and_saveexec_b64 s[2:3], vcc
	s_xor_b64 s[2:3], exec, s[2:3]
	s_cbranch_execz .LBB67_98
; %bb.93:
	s_mov_b32 s6, 0x3c7fffff
	v_cmp_lt_u32_e32 vcc, s6, v5
                                        ; implicit-def: $vgpr4
	s_and_saveexec_b64 s[6:7], vcc
	s_xor_b64 s[6:7], exec, s[6:7]
; %bb.94:
	v_bfe_u32 v4, v3, 20, 1
	s_mov_b32 s10, 0x407ffff
	v_add3_u32 v4, v3, v4, s10
	v_lshrrev_b32_e32 v5, 20, v4
	v_and_b32_e32 v4, 0xff00000, v4
	s_mov_b32 s10, 0x7f00000
	v_mov_b32_e32 v6, 0x7e
	v_cmp_ne_u32_e32 vcc, s10, v4
	v_cndmask_b32_e32 v4, v6, v5, vcc
; %bb.95:
	s_andn2_saveexec_b64 s[6:7], s[6:7]
; %bb.96:
	s_mov_b32 s10, 0x46800000
	v_add_f32_e64 v4, |v3|, s10
; %bb.97:
	s_or_b64 exec, exec, s[6:7]
                                        ; implicit-def: $vgpr5
.LBB67_98:
	s_andn2_saveexec_b64 s[2:3], s[2:3]
; %bb.99:
	s_mov_b32 s6, 0x7f800000
	v_mov_b32_e32 v4, 0x7e
	v_mov_b32_e32 v6, 0x7f
	v_cmp_lt_u32_e32 vcc, s6, v5
	v_cndmask_b32_e32 v4, v4, v6, vcc
; %bb.100:
	s_or_b64 exec, exec, s[2:3]
	v_lshrrev_b32_e32 v3, 24, v3
	s_movk_i32 s2, 0x80
	v_and_or_b32 v3, v3, s2, v4
	global_store_byte v[0:1], v3, off
.LBB67_101:
	s_mov_b64 s[2:3], 0
.LBB67_102:
	s_andn2_b64 vcc, exec, s[2:3]
	s_cbranch_vccnz .LBB67_112
; %bb.103:
	v_cvt_f32_f16_e32 v3, v2
	s_mov_b32 s2, 0x47800000
                                        ; implicit-def: $vgpr4
	v_and_b32_e32 v5, 0x7fffffff, v3
	v_cmp_gt_u32_e32 vcc, s2, v5
	s_and_saveexec_b64 s[2:3], vcc
	s_xor_b64 s[2:3], exec, s[2:3]
	s_cbranch_execz .LBB67_109
; %bb.104:
	s_mov_b32 s6, 0x387fffff
	v_cmp_lt_u32_e32 vcc, s6, v5
                                        ; implicit-def: $vgpr4
	s_and_saveexec_b64 s[6:7], vcc
	s_xor_b64 s[6:7], exec, s[6:7]
; %bb.105:
	v_bfe_u32 v4, v3, 21, 1
	s_mov_b32 s10, 0x80fffff
	v_add3_u32 v4, v3, v4, s10
	v_lshrrev_b32_e32 v4, 21, v4
; %bb.106:
	s_andn2_saveexec_b64 s[6:7], s[6:7]
; %bb.107:
	s_mov_b32 s10, 0x43000000
	v_add_f32_e64 v4, |v3|, s10
; %bb.108:
	s_or_b64 exec, exec, s[6:7]
                                        ; implicit-def: $vgpr5
.LBB67_109:
	s_andn2_saveexec_b64 s[2:3], s[2:3]
; %bb.110:
	s_mov_b32 s6, 0x7f800000
	v_mov_b32_e32 v4, 0x7c
	v_mov_b32_e32 v6, 0x7f
	v_cmp_lt_u32_e32 vcc, s6, v5
	v_cndmask_b32_e32 v4, v4, v6, vcc
; %bb.111:
	s_or_b64 exec, exec, s[2:3]
	v_lshrrev_b32_e32 v3, 24, v3
	s_movk_i32 s2, 0x80
	v_and_or_b32 v3, v3, s2, v4
	global_store_byte v[0:1], v3, off
.LBB67_112:
	s_mov_b64 s[6:7], 0
	s_mov_b64 s[2:3], -1
.LBB67_113:
	s_andn2_b64 vcc, exec, s[6:7]
	s_cbranch_vccnz .LBB67_121
; %bb.114:
	s_cmp_gt_i32 s13, 14
	s_mov_b64 s[6:7], -1
	s_cbranch_scc0 .LBB67_118
; %bb.115:
	s_cmp_eq_u32 s13, 15
	s_mov_b64 s[0:1], -1
	s_cbranch_scc0 .LBB67_117
; %bb.116:
	v_cvt_f32_f16_e32 v3, v2
	s_movk_i32 s0, 0x7fff
	v_cmp_o_f16_e32 vcc, v2, v2
	v_mov_b32_e32 v4, 0x7fc0
	v_bfe_u32 v5, v3, 16, 1
	v_add3_u32 v3, v3, v5, s0
	v_cndmask_b32_sdwa v3, v4, v3, vcc dst_sel:DWORD dst_unused:UNUSED_PAD src0_sel:DWORD src1_sel:WORD_1
	global_store_short v[0:1], v3, off
	s_mov_b64 s[2:3], -1
	s_mov_b64 s[0:1], 0
.LBB67_117:
	s_mov_b64 s[6:7], 0
.LBB67_118:
	s_and_b64 vcc, exec, s[6:7]
	s_cbranch_vccz .LBB67_121
; %bb.119:
	s_cmp_eq_u32 s13, 11
	s_mov_b64 s[0:1], -1
	s_cbranch_scc0 .LBB67_121
; %bb.120:
	v_cmp_neq_f16_e32 vcc, 0, v2
	v_cndmask_b32_e64 v3, 0, 1, vcc
	s_mov_b64 s[2:3], -1
	s_mov_b64 s[0:1], 0
	global_store_byte v[0:1], v3, off
.LBB67_121:
	s_branch .LBB67_40
.LBB67_122:
	s_and_b32 s6, 0xffff, s12
	s_cmp_lt_i32 s6, 5
	s_mov_b64 s[2:3], -1
	s_cbranch_scc1 .LBB67_143
; %bb.123:
	s_cmp_lt_i32 s6, 8
	s_cbranch_scc1 .LBB67_133
; %bb.124:
	s_cmp_lt_i32 s6, 9
	s_cbranch_scc1 .LBB67_130
; %bb.125:
	s_cmp_gt_i32 s6, 9
	s_cbranch_scc0 .LBB67_127
; %bb.126:
	v_cvt_f32_f16_e32 v3, v2
	v_mov_b32_e32 v5, 0
	v_mov_b32_e32 v6, v5
	s_mov_b64 s[2:3], 0
	v_cvt_f64_f32_e32 v[3:4], v3
	global_store_dwordx4 v[0:1], v[3:6], off
.LBB67_127:
	s_andn2_b64 vcc, exec, s[2:3]
	s_cbranch_vccnz .LBB67_129
; %bb.128:
	v_cvt_f32_f16_e32 v3, v2
	v_mov_b32_e32 v4, 0
	global_store_dwordx2 v[0:1], v[3:4], off
.LBB67_129:
	s_mov_b64 s[2:3], 0
.LBB67_130:
	s_andn2_b64 vcc, exec, s[2:3]
	s_cbranch_vccnz .LBB67_132
; %bb.131:
	v_and_b32_e32 v3, 0xffff, v2
	global_store_dword v[0:1], v3, off
.LBB67_132:
	s_mov_b64 s[2:3], 0
.LBB67_133:
	s_andn2_b64 vcc, exec, s[2:3]
	s_cbranch_vccnz .LBB67_142
; %bb.134:
	s_cmp_lt_i32 s6, 6
	s_mov_b64 s[2:3], -1
	s_cbranch_scc1 .LBB67_140
; %bb.135:
	s_cmp_gt_i32 s6, 6
	s_cbranch_scc0 .LBB67_137
; %bb.136:
	v_cvt_f32_f16_e32 v3, v2
	s_mov_b64 s[2:3], 0
	v_cvt_f64_f32_e32 v[3:4], v3
	global_store_dwordx2 v[0:1], v[3:4], off
.LBB67_137:
	s_andn2_b64 vcc, exec, s[2:3]
	s_cbranch_vccnz .LBB67_139
; %bb.138:
	v_cvt_f32_f16_e32 v3, v2
	global_store_dword v[0:1], v3, off
.LBB67_139:
	s_mov_b64 s[2:3], 0
.LBB67_140:
	s_andn2_b64 vcc, exec, s[2:3]
	s_cbranch_vccnz .LBB67_142
; %bb.141:
	global_store_short v[0:1], v2, off
.LBB67_142:
	s_mov_b64 s[2:3], 0
.LBB67_143:
	s_andn2_b64 vcc, exec, s[2:3]
	s_cbranch_vccnz .LBB67_159
; %bb.144:
	s_cmp_lt_i32 s6, 2
	s_mov_b64 s[2:3], -1
	s_cbranch_scc1 .LBB67_154
; %bb.145:
	s_cmp_lt_i32 s6, 3
	s_cbranch_scc1 .LBB67_151
; %bb.146:
	s_cmp_gt_i32 s6, 3
	s_cbranch_scc0 .LBB67_148
; %bb.147:
	v_cvt_f32_f16_e32 v3, v2
	s_mov_b64 s[2:3], 0
	v_cvt_i32_f32_e32 v3, v3
	v_ashrrev_i32_e32 v4, 31, v3
	global_store_dwordx2 v[0:1], v[3:4], off
.LBB67_148:
	s_andn2_b64 vcc, exec, s[2:3]
	s_cbranch_vccnz .LBB67_150
; %bb.149:
	v_cvt_f32_f16_e32 v3, v2
	v_cvt_i32_f32_e32 v3, v3
	global_store_dword v[0:1], v3, off
.LBB67_150:
	s_mov_b64 s[2:3], 0
.LBB67_151:
	s_andn2_b64 vcc, exec, s[2:3]
	s_cbranch_vccnz .LBB67_153
; %bb.152:
	v_cvt_i16_f16_e32 v3, v2
	global_store_short v[0:1], v3, off
.LBB67_153:
	s_mov_b64 s[2:3], 0
.LBB67_154:
	s_andn2_b64 vcc, exec, s[2:3]
	s_cbranch_vccnz .LBB67_159
; %bb.155:
	s_cmp_gt_i32 s6, 0
	s_mov_b64 s[2:3], -1
	s_cbranch_scc0 .LBB67_157
; %bb.156:
	v_cvt_i16_f16_e32 v3, v2
	global_store_byte v[0:1], v3, off
	s_mov_b64 s[2:3], 0
.LBB67_157:
	s_andn2_b64 vcc, exec, s[2:3]
	s_cbranch_vccnz .LBB67_159
; %bb.158:
	v_cvt_f32_f16_e32 v2, v2
	v_cvt_i32_f32_e32 v2, v2
	global_store_byte v[0:1], v2, off
.LBB67_159:
.LBB67_160:
	v_add_u32_e32 v8, 0x80, v8
	s_mov_b64 s[2:3], -1
	s_branch .LBB67_271
.LBB67_161:
	s_mov_b64 s[8:9], -1
                                        ; implicit-def: $vgpr3
.LBB67_162:
	s_mov_b64 s[2:3], 0
.LBB67_163:
	s_and_b64 vcc, exec, s[2:3]
	s_cbranch_vccz .LBB67_167
; %bb.164:
	s_cmp_eq_u32 s10, 29
	s_cbranch_scc0 .LBB67_166
; %bb.165:
	global_load_dwordx2 v[3:4], v[1:2], off
	s_mov_b64 s[0:1], -1
	s_mov_b64 s[8:9], 0
	s_mov_b64 s[2:3], 0
	s_waitcnt vmcnt(0)
	v_ffbh_u32_e32 v5, v4
	v_min_u32_e32 v5, 32, v5
	v_lshlrev_b64 v[3:4], v5, v[3:4]
	v_min_u32_e32 v3, 1, v3
	v_or_b32_e32 v3, v4, v3
	v_cvt_f32_u32_e32 v3, v3
	v_sub_u32_e32 v4, 32, v5
	v_ldexp_f32 v3, v3, v4
	v_cvt_f16_f32_e32 v3, v3
	s_branch .LBB67_168
.LBB67_166:
	s_mov_b64 s[8:9], -1
                                        ; implicit-def: $vgpr3
.LBB67_167:
	s_mov_b64 s[2:3], 0
.LBB67_168:
	s_and_b64 vcc, exec, s[2:3]
	s_cbranch_vccz .LBB67_186
; %bb.169:
	s_cmp_lt_i32 s10, 27
	s_cbranch_scc1 .LBB67_172
; %bb.170:
	s_cmp_gt_i32 s10, 27
	s_cbranch_scc0 .LBB67_173
; %bb.171:
	global_load_dword v3, v[1:2], off
	s_mov_b64 s[0:1], 0
	s_waitcnt vmcnt(0)
	v_cvt_f32_u32_e32 v3, v3
	v_cvt_f16_f32_e32 v3, v3
	s_branch .LBB67_174
.LBB67_172:
	s_mov_b64 s[0:1], -1
                                        ; implicit-def: $vgpr3
	s_branch .LBB67_177
.LBB67_173:
	s_mov_b64 s[0:1], -1
                                        ; implicit-def: $vgpr3
.LBB67_174:
	s_andn2_b64 vcc, exec, s[0:1]
	s_cbranch_vccnz .LBB67_176
; %bb.175:
	global_load_ushort v3, v[1:2], off
	s_waitcnt vmcnt(0)
	v_cvt_f16_u16_e32 v3, v3
.LBB67_176:
	s_mov_b64 s[0:1], 0
.LBB67_177:
	s_andn2_b64 vcc, exec, s[0:1]
	s_cbranch_vccnz .LBB67_185
; %bb.178:
	global_load_ubyte v4, v[1:2], off
	s_movk_i32 s0, 0x7f
	s_waitcnt vmcnt(0)
	v_cmp_lt_i16_e32 vcc, s0, v4
	s_mov_b64 s[0:1], 0
	s_and_saveexec_b64 s[2:3], vcc
	s_xor_b64 s[2:3], exec, s[2:3]
	s_cbranch_execz .LBB67_198
; %bb.179:
	s_movk_i32 s0, 0x80
	v_cmp_eq_u16_e32 vcc, s0, v4
	s_mov_b64 s[0:1], -1
	s_and_saveexec_b64 s[6:7], vcc
; %bb.180:
	s_xor_b64 s[0:1], exec, -1
; %bb.181:
	s_or_b64 exec, exec, s[6:7]
	s_and_b64 s[0:1], s[0:1], exec
	s_or_saveexec_b64 s[2:3], s[2:3]
	v_mov_b32_e32 v3, 0x7e00
	s_xor_b64 exec, exec, s[2:3]
	s_cbranch_execnz .LBB67_199
.LBB67_182:
	s_or_b64 exec, exec, s[2:3]
	s_and_saveexec_b64 s[2:3], s[0:1]
	s_cbranch_execz .LBB67_184
.LBB67_183:
	v_lshlrev_b32_e32 v3, 24, v4
	v_and_b32_e32 v4, 0xffff, v4
	v_and_b32_e32 v5, 7, v4
	v_ffbh_u32_e32 v7, v5
	v_min_u32_e32 v7, 32, v7
	v_subrev_u32_e32 v9, 28, v7
	v_bfe_u32 v6, v4, 3, 4
	v_lshlrev_b32_e32 v4, v9, v4
	v_sub_u32_e32 v7, 29, v7
	v_and_b32_e32 v4, 7, v4
	v_cmp_eq_u32_e32 vcc, 0, v6
	v_cndmask_b32_e32 v6, v6, v7, vcc
	v_cndmask_b32_e32 v4, v5, v4, vcc
	v_mov_b32_e32 v5, 0x3b800000
	v_lshlrev_b32_e32 v4, 20, v4
	v_and_b32_e32 v3, 0x80000000, v3
	v_lshl_add_u32 v5, v6, 23, v5
	v_or3_b32 v3, v3, v5, v4
	v_cvt_f16_f32_e32 v3, v3
.LBB67_184:
	s_or_b64 exec, exec, s[2:3]
.LBB67_185:
	s_mov_b64 s[0:1], -1
.LBB67_186:
	s_branch .LBB67_221
.LBB67_187:
	s_cmp_gt_i32 s10, 22
	s_cbranch_scc0 .LBB67_197
; %bb.188:
	s_cmp_lt_i32 s10, 24
	s_cbranch_scc1 .LBB67_200
; %bb.189:
	s_cmp_gt_i32 s10, 24
	s_cbranch_scc0 .LBB67_201
; %bb.190:
	global_load_ubyte v4, v[1:2], off
	s_movk_i32 s0, 0x7f
	s_waitcnt vmcnt(0)
	v_cmp_lt_i16_e32 vcc, s0, v4
	s_mov_b64 s[0:1], 0
	s_and_saveexec_b64 s[2:3], vcc
	s_xor_b64 s[2:3], exec, s[2:3]
	s_cbranch_execz .LBB67_213
; %bb.191:
	s_movk_i32 s0, 0x80
	v_cmp_eq_u16_e32 vcc, s0, v4
	s_mov_b64 s[0:1], -1
	s_and_saveexec_b64 s[6:7], vcc
; %bb.192:
	s_xor_b64 s[0:1], exec, -1
; %bb.193:
	s_or_b64 exec, exec, s[6:7]
	s_and_b64 s[0:1], s[0:1], exec
	s_or_saveexec_b64 s[2:3], s[2:3]
	v_mov_b32_e32 v3, 0x7e00
	s_xor_b64 exec, exec, s[2:3]
	s_cbranch_execnz .LBB67_214
.LBB67_194:
	s_or_b64 exec, exec, s[2:3]
	s_and_saveexec_b64 s[2:3], s[0:1]
	s_cbranch_execz .LBB67_196
.LBB67_195:
	v_lshlrev_b32_e32 v3, 24, v4
	v_and_b32_e32 v4, 0xffff, v4
	v_and_b32_e32 v5, 3, v4
	v_ffbh_u32_e32 v7, v5
	v_min_u32_e32 v7, 32, v7
	v_subrev_u32_e32 v9, 29, v7
	v_bfe_u32 v6, v4, 2, 5
	v_lshlrev_b32_e32 v4, v9, v4
	v_sub_u32_e32 v7, 30, v7
	v_and_b32_e32 v4, 3, v4
	v_cmp_eq_u32_e32 vcc, 0, v6
	v_cndmask_b32_e32 v6, v6, v7, vcc
	v_cndmask_b32_e32 v4, v5, v4, vcc
	v_mov_b32_e32 v5, 0x37800000
	v_lshlrev_b32_e32 v4, 21, v4
	v_and_b32_e32 v3, 0x80000000, v3
	v_lshl_add_u32 v5, v6, 23, v5
	v_or3_b32 v3, v3, v5, v4
	v_cvt_f16_f32_e32 v3, v3
.LBB67_196:
	s_or_b64 exec, exec, s[2:3]
	s_mov_b64 s[0:1], 0
	s_branch .LBB67_202
.LBB67_197:
	s_mov_b64 s[2:3], -1
                                        ; implicit-def: $vgpr3
	s_branch .LBB67_208
.LBB67_198:
	s_or_saveexec_b64 s[2:3], s[2:3]
	v_mov_b32_e32 v3, 0x7e00
	s_xor_b64 exec, exec, s[2:3]
	s_cbranch_execz .LBB67_182
.LBB67_199:
	v_cmp_ne_u16_e32 vcc, 0, v4
	s_andn2_b64 s[0:1], s[0:1], exec
	s_and_b64 s[6:7], vcc, exec
	s_or_b64 s[0:1], s[0:1], s[6:7]
	v_mov_b32_e32 v3, v4
	s_or_b64 exec, exec, s[2:3]
	s_and_saveexec_b64 s[2:3], s[0:1]
	s_cbranch_execnz .LBB67_183
	s_branch .LBB67_184
.LBB67_200:
	s_mov_b64 s[0:1], -1
                                        ; implicit-def: $vgpr3
	s_branch .LBB67_205
.LBB67_201:
	s_mov_b64 s[0:1], -1
                                        ; implicit-def: $vgpr3
.LBB67_202:
	s_and_b64 vcc, exec, s[0:1]
	s_cbranch_vccz .LBB67_204
; %bb.203:
	global_load_ubyte v3, v[1:2], off
	s_mov_b32 s0, 0x7f800000
	s_waitcnt vmcnt(0)
	v_lshlrev_b32_e32 v3, 24, v3
	v_and_b32_e32 v4, 0x7f000000, v3
	v_ffbh_u32_e32 v5, v4
	v_min_u32_e32 v5, 32, v5
	v_sub_u32_e64 v5, v5, 4 clamp
	v_lshlrev_b32_e32 v7, v5, v4
	v_lshlrev_b32_e32 v5, 23, v5
	v_lshrrev_b32_e32 v7, 4, v7
	v_add_u32_e32 v6, 0x1000000, v4
	v_sub_u32_e32 v5, v7, v5
	v_ashrrev_i32_e32 v6, 8, v6
	v_add_u32_e32 v5, 0x3c000000, v5
	v_and_or_b32 v5, v6, s0, v5
	v_cmp_ne_u32_e32 vcc, 0, v4
	v_cndmask_b32_e32 v4, 0, v5, vcc
	s_brev_b32 s0, 1
	v_and_or_b32 v3, v3, s0, v4
	v_cvt_f16_f32_e32 v3, v3
.LBB67_204:
	s_mov_b64 s[0:1], 0
.LBB67_205:
	s_andn2_b64 vcc, exec, s[0:1]
	s_cbranch_vccnz .LBB67_207
; %bb.206:
	global_load_ubyte v3, v[1:2], off
	s_movk_i32 s0, 0x7f00
	s_brev_b32 s1, 16
	s_waitcnt vmcnt(0)
	v_lshlrev_b16_e32 v4, 8, v3
	v_lshlrev_b32_e32 v3, 25, v3
	v_lshrrev_b32_e32 v5, 4, v3
	v_and_or_b32 v6, v4, s0, 0.5
	v_or_b32_e32 v5, 0x70000000, v5
	v_add_f32_e32 v6, -0.5, v6
	v_mul_f32_e32 v5, 0x7800000, v5
	v_cmp_gt_u32_e32 vcc, s1, v3
	v_bfe_i32 v4, v4, 0, 16
	v_cndmask_b32_e32 v3, v5, v6, vcc
	s_brev_b32 s0, 1
	v_and_or_b32 v3, v4, s0, v3
	v_cvt_f16_f32_e32 v3, v3
.LBB67_207:
	s_mov_b64 s[2:3], 0
	s_mov_b64 s[0:1], -1
.LBB67_208:
	s_andn2_b64 vcc, exec, s[2:3]
	s_cbranch_vccnz .LBB67_221
; %bb.209:
	s_cmp_gt_i32 s10, 14
	s_cbranch_scc0 .LBB67_212
; %bb.210:
	s_cmp_eq_u32 s10, 15
	s_cbranch_scc0 .LBB67_215
; %bb.211:
	global_load_ushort v3, v[1:2], off
	s_mov_b64 s[0:1], -1
	s_mov_b64 s[8:9], 0
	s_waitcnt vmcnt(0)
	v_lshlrev_b32_e32 v3, 16, v3
	v_cvt_f16_f32_e32 v3, v3
	s_branch .LBB67_216
.LBB67_212:
	s_mov_b64 s[2:3], -1
                                        ; implicit-def: $vgpr3
	s_branch .LBB67_217
.LBB67_213:
	s_or_saveexec_b64 s[2:3], s[2:3]
	v_mov_b32_e32 v3, 0x7e00
	s_xor_b64 exec, exec, s[2:3]
	s_cbranch_execz .LBB67_194
.LBB67_214:
	v_cmp_ne_u16_e32 vcc, 0, v4
	s_andn2_b64 s[0:1], s[0:1], exec
	s_and_b64 s[6:7], vcc, exec
	s_or_b64 s[0:1], s[0:1], s[6:7]
	v_mov_b32_e32 v3, v4
	s_or_b64 exec, exec, s[2:3]
	s_and_saveexec_b64 s[2:3], s[0:1]
	s_cbranch_execnz .LBB67_195
	s_branch .LBB67_196
.LBB67_215:
	s_mov_b64 s[8:9], -1
                                        ; implicit-def: $vgpr3
.LBB67_216:
	s_mov_b64 s[2:3], 0
.LBB67_217:
	s_and_b64 vcc, exec, s[2:3]
	s_cbranch_vccz .LBB67_221
; %bb.218:
	s_cmp_eq_u32 s10, 11
	s_cbranch_scc0 .LBB67_220
; %bb.219:
	global_load_ubyte v3, v[1:2], off
	v_mov_b32_e32 v4, 0x3c00
	s_mov_b64 s[0:1], -1
	s_mov_b64 s[8:9], 0
	s_waitcnt vmcnt(0)
	v_cmp_ne_u16_e32 vcc, 0, v3
	v_cndmask_b32_e32 v3, 0, v4, vcc
	s_branch .LBB67_221
.LBB67_220:
	s_mov_b64 s[8:9], -1
                                        ; implicit-def: $vgpr3
.LBB67_221:
	s_branch .LBB67_24
.LBB67_222:
	s_cmp_lt_i32 s10, 5
	s_cbranch_scc1 .LBB67_227
; %bb.223:
	s_cmp_lt_i32 s10, 8
	s_cbranch_scc1 .LBB67_228
; %bb.224:
	;; [unrolled: 3-line block ×3, first 2 shown]
	s_cmp_gt_i32 s10, 9
	s_cbranch_scc0 .LBB67_230
; %bb.226:
	global_load_dwordx2 v[3:4], v[1:2], off
	s_movk_i32 s0, 0x1ff
	s_movk_i32 s1, 0xffe
	v_mov_b32_e32 v5, 0x7c00
	v_mov_b32_e32 v6, 0x7e00
	s_movk_i32 s2, 0x40f
	s_mov_b32 s3, 0x8000
	s_waitcnt vmcnt(0)
	v_and_or_b32 v3, v4, s0, v3
	v_cmp_ne_u32_e32 vcc, 0, v3
	v_lshrrev_b32_e32 v7, 8, v4
	v_bfe_u32 v9, v4, 20, 11
	v_cndmask_b32_e64 v3, 0, 1, vcc
	v_sub_u32_e32 v10, 0x3f1, v9
	v_and_or_b32 v3, v7, s1, v3
	v_add_u32_e32 v9, 0xfffffc10, v9
	v_med3_i32 v7, v10, 0, 13
	v_or_b32_e32 v10, 0x1000, v3
	v_cmp_ne_u32_e32 vcc, 0, v3
	v_lshl_or_b32 v11, v9, 12, v3
	v_cndmask_b32_e32 v3, v5, v6, vcc
	v_lshrrev_b32_e32 v6, v7, v10
	v_lshlrev_b32_e32 v7, v7, v6
	v_cmp_ne_u32_e32 vcc, v7, v10
	v_cndmask_b32_e64 v7, 0, 1, vcc
	v_or_b32_e32 v6, v6, v7
	v_cmp_gt_i32_e32 vcc, 1, v9
	v_cndmask_b32_e32 v6, v11, v6, vcc
	v_and_b32_e32 v7, 7, v6
	v_cmp_lt_i32_e32 vcc, 5, v7
	v_cndmask_b32_e64 v10, 0, 1, vcc
	v_cmp_eq_u32_e32 vcc, 3, v7
	v_cndmask_b32_e64 v7, 0, 1, vcc
	v_lshrrev_b32_e32 v6, 2, v6
	v_or_b32_e32 v7, v7, v10
	v_add_u32_e32 v6, v6, v7
	v_cmp_gt_i32_e32 vcc, 31, v9
	v_cndmask_b32_e32 v5, v5, v6, vcc
	v_cmp_eq_u32_e32 vcc, s2, v9
	v_lshrrev_b32_e32 v4, 16, v4
	v_cndmask_b32_e32 v3, v5, v3, vcc
	v_and_or_b32 v3, v4, s3, v3
	s_mov_b64 s[0:1], 0
	s_branch .LBB67_231
.LBB67_227:
                                        ; implicit-def: $vgpr3
	s_branch .LBB67_249
.LBB67_228:
	s_mov_b64 s[0:1], -1
                                        ; implicit-def: $vgpr3
	s_branch .LBB67_237
.LBB67_229:
	s_mov_b64 s[0:1], -1
                                        ; implicit-def: $vgpr3
	s_branch .LBB67_234
.LBB67_230:
	s_mov_b64 s[0:1], -1
                                        ; implicit-def: $vgpr3
.LBB67_231:
	s_andn2_b64 vcc, exec, s[0:1]
	s_cbranch_vccnz .LBB67_233
; %bb.232:
	global_load_dword v3, v[1:2], off
	s_waitcnt vmcnt(0)
	v_cvt_f16_f32_e32 v3, v3
.LBB67_233:
	s_mov_b64 s[0:1], 0
.LBB67_234:
	s_andn2_b64 vcc, exec, s[0:1]
	s_cbranch_vccnz .LBB67_236
; %bb.235:
	global_load_dword v3, v[1:2], off
.LBB67_236:
	s_mov_b64 s[0:1], 0
.LBB67_237:
	s_andn2_b64 vcc, exec, s[0:1]
	s_cbranch_vccnz .LBB67_248
; %bb.238:
	s_cmp_lt_i32 s10, 6
	s_cbranch_scc1 .LBB67_241
; %bb.239:
	s_cmp_gt_i32 s10, 6
	s_cbranch_scc0 .LBB67_242
; %bb.240:
	global_load_dwordx2 v[3:4], v[1:2], off
	s_movk_i32 s0, 0x1ff
	s_movk_i32 s1, 0xffe
	v_mov_b32_e32 v5, 0x7c00
	v_mov_b32_e32 v6, 0x7e00
	s_movk_i32 s2, 0x40f
	s_mov_b32 s3, 0x8000
	s_waitcnt vmcnt(0)
	v_and_or_b32 v3, v4, s0, v3
	v_cmp_ne_u32_e32 vcc, 0, v3
	v_lshrrev_b32_e32 v7, 8, v4
	v_bfe_u32 v9, v4, 20, 11
	v_cndmask_b32_e64 v3, 0, 1, vcc
	v_sub_u32_e32 v10, 0x3f1, v9
	v_and_or_b32 v3, v7, s1, v3
	v_add_u32_e32 v9, 0xfffffc10, v9
	v_med3_i32 v7, v10, 0, 13
	v_or_b32_e32 v10, 0x1000, v3
	v_cmp_ne_u32_e32 vcc, 0, v3
	v_lshl_or_b32 v11, v9, 12, v3
	v_cndmask_b32_e32 v3, v5, v6, vcc
	v_lshrrev_b32_e32 v6, v7, v10
	v_lshlrev_b32_e32 v7, v7, v6
	v_cmp_ne_u32_e32 vcc, v7, v10
	v_cndmask_b32_e64 v7, 0, 1, vcc
	v_or_b32_e32 v6, v6, v7
	v_cmp_gt_i32_e32 vcc, 1, v9
	v_cndmask_b32_e32 v6, v11, v6, vcc
	v_and_b32_e32 v7, 7, v6
	v_cmp_lt_i32_e32 vcc, 5, v7
	v_cndmask_b32_e64 v10, 0, 1, vcc
	v_cmp_eq_u32_e32 vcc, 3, v7
	v_cndmask_b32_e64 v7, 0, 1, vcc
	v_lshrrev_b32_e32 v6, 2, v6
	v_or_b32_e32 v7, v7, v10
	v_add_u32_e32 v6, v6, v7
	v_cmp_gt_i32_e32 vcc, 31, v9
	v_cndmask_b32_e32 v5, v5, v6, vcc
	v_cmp_eq_u32_e32 vcc, s2, v9
	v_lshrrev_b32_e32 v4, 16, v4
	v_cndmask_b32_e32 v3, v5, v3, vcc
	v_and_or_b32 v3, v4, s3, v3
	s_mov_b64 s[0:1], 0
	s_branch .LBB67_243
.LBB67_241:
	s_mov_b64 s[0:1], -1
                                        ; implicit-def: $vgpr3
	s_branch .LBB67_246
.LBB67_242:
	s_mov_b64 s[0:1], -1
                                        ; implicit-def: $vgpr3
.LBB67_243:
	s_andn2_b64 vcc, exec, s[0:1]
	s_cbranch_vccnz .LBB67_245
; %bb.244:
	global_load_dword v3, v[1:2], off
	s_waitcnt vmcnt(0)
	v_cvt_f16_f32_e32 v3, v3
.LBB67_245:
	s_mov_b64 s[0:1], 0
.LBB67_246:
	s_andn2_b64 vcc, exec, s[0:1]
	s_cbranch_vccnz .LBB67_248
; %bb.247:
	global_load_ushort v3, v[1:2], off
.LBB67_248:
	s_cbranch_execnz .LBB67_268
.LBB67_249:
	s_cmp_lt_i32 s10, 2
	s_cbranch_scc1 .LBB67_253
; %bb.250:
	s_cmp_lt_i32 s10, 3
	s_cbranch_scc1 .LBB67_254
; %bb.251:
	s_cmp_gt_i32 s10, 3
	s_cbranch_scc0 .LBB67_255
; %bb.252:
	global_load_dwordx2 v[3:4], v[1:2], off
	s_mov_b64 s[0:1], 0
	s_waitcnt vmcnt(0)
	v_xor_b32_e32 v6, v3, v4
	v_ffbh_i32_e32 v5, v4
	v_ashrrev_i32_e32 v6, 31, v6
	v_add_u32_e32 v5, -1, v5
	v_add_u32_e32 v6, 32, v6
	v_min_u32_e32 v5, v5, v6
	v_lshlrev_b64 v[3:4], v5, v[3:4]
	v_min_u32_e32 v3, 1, v3
	v_or_b32_e32 v3, v4, v3
	v_cvt_f32_i32_e32 v3, v3
	v_sub_u32_e32 v4, 32, v5
	v_ldexp_f32 v3, v3, v4
	v_cvt_f16_f32_e32 v3, v3
	s_branch .LBB67_256
.LBB67_253:
	s_mov_b64 s[0:1], -1
                                        ; implicit-def: $vgpr3
	s_branch .LBB67_262
.LBB67_254:
	s_mov_b64 s[0:1], -1
                                        ; implicit-def: $vgpr3
	s_branch .LBB67_259
.LBB67_255:
	s_mov_b64 s[0:1], -1
                                        ; implicit-def: $vgpr3
.LBB67_256:
	s_andn2_b64 vcc, exec, s[0:1]
	s_cbranch_vccnz .LBB67_258
; %bb.257:
	global_load_dword v3, v[1:2], off
	s_waitcnt vmcnt(0)
	v_cvt_f32_i32_e32 v3, v3
	v_cvt_f16_f32_e32 v3, v3
.LBB67_258:
	s_mov_b64 s[0:1], 0
.LBB67_259:
	s_andn2_b64 vcc, exec, s[0:1]
	s_cbranch_vccnz .LBB67_261
; %bb.260:
	global_load_ushort v3, v[1:2], off
	s_waitcnt vmcnt(0)
	v_cvt_f16_i16_e32 v3, v3
.LBB67_261:
	s_mov_b64 s[0:1], 0
.LBB67_262:
	s_andn2_b64 vcc, exec, s[0:1]
	s_cbranch_vccnz .LBB67_268
; %bb.263:
	s_cmp_gt_i32 s10, 0
	s_cbranch_scc0 .LBB67_265
; %bb.264:
	global_load_sbyte v3, v[1:2], off
	s_mov_b64 s[0:1], 0
	s_waitcnt vmcnt(0)
	v_cvt_f16_i16_e32 v3, v3
	s_branch .LBB67_266
.LBB67_265:
	s_mov_b64 s[0:1], -1
                                        ; implicit-def: $vgpr3
.LBB67_266:
	s_andn2_b64 vcc, exec, s[0:1]
	s_cbranch_vccnz .LBB67_268
; %bb.267:
	global_load_ubyte v1, v[1:2], off
	s_waitcnt vmcnt(0)
	v_cvt_f16_u16_e32 v3, v1
.LBB67_268:
	s_branch .LBB67_25
.LBB67_269:
	s_mov_b64 s[0:1], 0
.LBB67_270:
	s_mov_b64 s[2:3], 0
                                        ; implicit-def: $vgpr8
.LBB67_271:
	s_and_b64 s[54:55], s[0:1], exec
	s_and_b64 s[56:57], s[8:9], exec
	s_orn2_b64 s[2:3], s[2:3], exec
.LBB67_272:
	s_or_b64 exec, exec, s[58:59]
	s_mov_b64 s[6:7], 0
	s_mov_b64 s[0:1], 0
                                        ; implicit-def: $vgpr1_vgpr2
                                        ; implicit-def: $vgpr0
                                        ; implicit-def: $vgpr4
	s_and_saveexec_b64 s[58:59], s[2:3]
	s_cbranch_execz .LBB67_279
; %bb.273:
	v_cmp_gt_i32_e32 vcc, s70, v8
	s_mov_b64 s[0:1], -1
	s_mov_b64 s[60:61], s[56:57]
	s_mov_b64 s[62:63], s[54:55]
	s_and_saveexec_b64 s[64:65], vcc
	s_cbranch_execz .LBB67_554
; %bb.274:
	s_andn2_b64 vcc, exec, s[42:43]
	s_cbranch_vccnz .LBB67_282
; %bb.275:
	s_andn2_b64 vcc, exec, s[52:53]
	s_cbranch_vccnz .LBB67_283
; %bb.276:
	s_add_i32 s63, s75, 1
	s_cmp_eq_u32 s72, 2
	s_cbranch_scc1 .LBB67_284
; %bb.277:
	s_and_b32 s62, s63, 28
	v_mov_b32_e32 v2, 0
	s_mov_b32 s66, 0
	s_mov_b64 s[6:7], s[34:35]
	s_mov_b64 s[60:61], s[50:51]
	v_mov_b32_e32 v0, 0
	v_mov_b32_e32 v1, v8
.LBB67_278:                             ; =>This Inner Loop Header: Depth=1
	s_load_dwordx8 s[16:23], s[6:7], 0x4
	s_load_dwordx4 s[0:3], s[6:7], 0x24
	s_load_dwordx8 s[8:15], s[60:61], 0x0
	s_add_u32 s6, s6, 48
	s_addc_u32 s7, s7, 0
	s_waitcnt vmcnt(0) lgkmcnt(0)
	v_mul_hi_u32 v3, s17, v1
	s_add_i32 s66, s66, 4
	s_add_u32 s60, s60, 32
	s_addc_u32 s61, s61, 0
	v_add_u32_e32 v3, v1, v3
	v_lshrrev_b32_e32 v3, s18, v3
	v_mul_lo_u32 v4, v3, s16
	v_mul_hi_u32 v5, s20, v3
	s_cmp_eq_u32 s62, s66
	v_sub_u32_e32 v1, v1, v4
	v_add_u32_e32 v4, v3, v5
	v_mul_lo_u32 v5, v1, s8
	v_mul_lo_u32 v6, v1, s9
	v_lshrrev_b32_e32 v1, s21, v4
	v_mul_lo_u32 v4, v1, s19
	v_mul_hi_u32 v7, s23, v1
	v_sub_u32_e32 v3, v3, v4
	v_add_u32_e32 v4, v1, v7
	v_lshrrev_b32_e32 v4, s0, v4
	v_mul_hi_u32 v9, s2, v4
	v_mul_lo_u32 v10, v4, s22
	v_mul_lo_u32 v7, v3, s10
	;; [unrolled: 1-line block ×3, first 2 shown]
	v_sub_u32_e32 v10, v1, v10
	v_add_u32_e32 v1, v4, v9
	v_lshrrev_b32_e32 v1, s3, v1
	v_mul_lo_u32 v9, v1, s1
	v_mul_lo_u32 v11, v10, s12
	;; [unrolled: 1-line block ×3, first 2 shown]
	v_add3_u32 v0, v5, v0, v7
	v_sub_u32_e32 v4, v4, v9
	v_mul_lo_u32 v9, v4, s14
	v_mul_lo_u32 v4, v4, s15
	v_add3_u32 v2, v6, v2, v3
	v_add3_u32 v0, v11, v0, v9
	v_add3_u32 v2, v10, v2, v4
	s_cbranch_scc0 .LBB67_278
	s_branch .LBB67_285
.LBB67_279:
	s_or_b64 exec, exec, s[58:59]
	s_mov_b64 s[8:9], 0
	s_and_saveexec_b64 s[2:3], s[56:57]
	s_cbranch_execnz .LBB67_936
.LBB67_280:
	s_or_b64 exec, exec, s[2:3]
	s_and_saveexec_b64 s[2:3], s[62:63]
	s_xor_b64 s[2:3], exec, s[2:3]
	s_cbranch_execz .LBB67_937
.LBB67_281:
	global_load_ubyte v3, v[1:2], off
	v_mov_b32_e32 v4, 0x3c00
	s_or_b64 s[0:1], s[0:1], exec
	s_waitcnt vmcnt(0)
	v_cmp_ne_u16_e32 vcc, 0, v3
	v_cndmask_b32_e32 v4, 0, v4, vcc
	s_or_b64 exec, exec, s[2:3]
	s_and_saveexec_b64 s[2:3], s[6:7]
	s_cbranch_execz .LBB67_983
	s_branch .LBB67_938
.LBB67_282:
                                        ; implicit-def: $vgpr0
                                        ; implicit-def: $vgpr2
	s_andn2_b64 vcc, exec, s[0:1]
	s_cbranch_vccz .LBB67_289
	s_branch .LBB67_291
.LBB67_283:
	v_mov_b32_e32 v0, 0
	v_mov_b32_e32 v2, 0
	s_branch .LBB67_288
.LBB67_284:
	s_mov_b32 s62, 0
	v_mov_b32_e32 v0, 0
	v_mov_b32_e32 v2, 0
	;; [unrolled: 1-line block ×3, first 2 shown]
.LBB67_285:
	s_and_b32 s6, s63, 3
	s_cmp_eq_u32 s6, 0
	s_cbranch_scc1 .LBB67_288
; %bb.286:
	s_lshl_b32 s0, s62, 3
	s_add_u32 s0, s34, s0
	s_addc_u32 s1, s35, 0
	s_add_u32 s0, s0, 0xc4
	s_addc_u32 s1, s1, 0
	s_mul_i32 s2, s62, 12
	s_add_u32 s2, s34, s2
	s_addc_u32 s3, s35, 0
.LBB67_287:                             ; =>This Inner Loop Header: Depth=1
	s_load_dwordx2 s[8:9], s[2:3], 0x4
	s_load_dword s7, s[2:3], 0xc
	s_load_dwordx2 s[10:11], s[0:1], 0x0
	s_add_u32 s2, s2, 12
	s_addc_u32 s3, s3, 0
	s_waitcnt vmcnt(0) lgkmcnt(0)
	v_mul_hi_u32 v3, s9, v1
	s_add_u32 s0, s0, 8
	s_addc_u32 s1, s1, 0
	s_add_i32 s6, s6, -1
	v_add_u32_e32 v3, v1, v3
	v_lshrrev_b32_e32 v4, s7, v3
	v_mul_lo_u32 v3, v4, s8
	s_cmp_lg_u32 s6, 0
	v_sub_u32_e32 v3, v1, v3
	v_mad_u64_u32 v[0:1], s[8:9], v3, s10, v[0:1]
	v_mad_u64_u32 v[2:3], s[8:9], v3, s11, v[2:3]
	v_mov_b32_e32 v1, v4
	s_cbranch_scc1 .LBB67_287
.LBB67_288:
	s_cbranch_execnz .LBB67_291
.LBB67_289:
	s_waitcnt lgkmcnt(0)
	v_mul_hi_u32 v0, s37, v8
	s_andn2_b64 vcc, exec, s[48:49]
	v_add_u32_e32 v0, v8, v0
	v_lshrrev_b32_e32 v1, s38, v0
	v_mul_lo_u32 v0, v1, s36
	v_sub_u32_e32 v2, v8, v0
	v_mul_lo_u32 v0, v2, s28
	v_mul_lo_u32 v2, v2, s29
	s_cbranch_vccnz .LBB67_291
; %bb.290:
	s_waitcnt vmcnt(0)
	v_mul_hi_u32 v3, s46, v1
	v_add_u32_e32 v3, v1, v3
	v_lshrrev_b32_e32 v3, s47, v3
	v_mul_lo_u32 v3, v3, s39
	v_sub_u32_e32 v3, v1, v3
	v_mad_u64_u32 v[0:1], s[0:1], v3, s30, v[0:1]
	v_mad_u64_u32 v[2:3], s[0:1], v3, s31, v[2:3]
.LBB67_291:
	s_waitcnt vmcnt(0) lgkmcnt(0)
	v_mov_b32_e32 v3, s27
	s_and_b32 s10, 0xffff, s74
	v_add_co_u32_e32 v1, vcc, s26, v2
	s_cmp_lt_i32 s10, 11
	v_addc_co_u32_e32 v2, vcc, 0, v3, vcc
	s_cbranch_scc1 .LBB67_298
; %bb.292:
	s_cmp_gt_i32 s10, 25
	s_cbranch_scc0 .LBB67_313
; %bb.293:
	s_cmp_gt_i32 s10, 28
	s_cbranch_scc0 .LBB67_315
	;; [unrolled: 3-line block ×4, first 2 shown]
; %bb.296:
	s_cmp_eq_u32 s10, 46
	s_mov_b64 s[2:3], 0
	s_cbranch_scc0 .LBB67_325
; %bb.297:
	global_load_dword v3, v[1:2], off
	s_mov_b64 s[0:1], -1
	s_mov_b64 s[8:9], 0
	s_waitcnt vmcnt(0)
	v_lshlrev_b32_e32 v3, 16, v3
	v_cvt_f16_f32_e32 v3, v3
	s_branch .LBB67_326
.LBB67_298:
	s_mov_b64 s[0:1], 0
                                        ; implicit-def: $vgpr3
	s_mov_b64 s[8:9], s[56:57]
	s_cbranch_execnz .LBB67_503
.LBB67_299:
	s_andn2_b64 vcc, exec, s[0:1]
	s_cbranch_vccnz .LBB67_551
.LBB67_300:
	s_waitcnt vmcnt(0)
	v_cvt_f32_f16_e32 v1, v3
	v_cmp_gt_f16_e32 vcc, 0.5, v3
	v_mov_b32_e32 v3, 0
	v_mov_b32_e32 v2, 1.0
	s_and_saveexec_b64 s[10:11], vcc
	s_cbranch_execz .LBB67_306
; %bb.301:
	v_mul_f32_e32 v2, 0x40490fdb, v1
	s_brev_b32 s0, 18
	v_and_b32_e32 v3, 0x7fffffff, v2
	v_cmp_nlt_f32_e64 s[0:1], |v2|, s0
                                        ; implicit-def: $vgpr4
                                        ; implicit-def: $vgpr5
	s_and_saveexec_b64 s[2:3], s[0:1]
	s_xor_b64 s[12:13], exec, s[2:3]
	s_cbranch_execz .LBB67_303
; %bb.302:
	v_and_b32_e32 v4, 0x7fffff, v3
	v_or_b32_e32 v7, 0x800000, v4
	s_mov_b32 s0, 0xfe5163ab
	v_mad_u64_u32 v[4:5], s[0:1], v7, s0, 0
	v_mov_b32_e32 v6, 0
	s_mov_b32 s0, 0x3c439041
	v_mad_u64_u32 v[9:10], s[0:1], v7, s0, v[5:6]
	s_mov_b32 s0, 0xdb629599
	v_not_b32_e32 v14, 63
	v_mov_b32_e32 v5, v10
	v_mad_u64_u32 v[10:11], s[0:1], v7, s0, v[5:6]
	s_mov_b32 s0, 0xf534ddc0
	v_not_b32_e32 v16, 31
	v_mov_b32_e32 v5, v11
	v_mad_u64_u32 v[11:12], s[0:1], v7, s0, v[5:6]
	v_lshrrev_b32_e32 v5, 23, v3
	v_add_u32_e32 v15, 0xffffff88, v5
	v_mov_b32_e32 v5, v12
	s_mov_b32 s0, 0xfc2757d1
	v_mad_u64_u32 v[12:13], s[0:1], v7, s0, v[5:6]
	v_cmp_lt_u32_e32 vcc, 63, v15
	v_cndmask_b32_e32 v5, 0, v14, vcc
	v_add_u32_e32 v15, v5, v15
	v_mov_b32_e32 v5, v13
	s_mov_b32 s0, 0x4e441529
	v_mad_u64_u32 v[13:14], s[0:1], v7, s0, v[5:6]
	v_cmp_lt_u32_e64 s[0:1], 31, v15
	v_cndmask_b32_e64 v5, 0, v16, s[0:1]
	v_add_u32_e32 v15, v5, v15
	v_mov_b32_e32 v5, v14
	s_mov_b32 s2, 0xa2f9836e
	v_mad_u64_u32 v[5:6], s[2:3], v7, s2, v[5:6]
	v_cmp_lt_u32_e64 s[2:3], 31, v15
	v_cndmask_b32_e64 v7, 0, v16, s[2:3]
	v_cndmask_b32_e32 v14, v13, v11, vcc
	v_cndmask_b32_e32 v5, v5, v12, vcc
	;; [unrolled: 1-line block ×3, first 2 shown]
	v_add_u32_e32 v7, v7, v15
	v_cndmask_b32_e64 v15, v5, v14, s[0:1]
	v_cndmask_b32_e64 v5, v6, v5, s[0:1]
	v_cndmask_b32_e32 v6, v12, v10, vcc
	v_cndmask_b32_e64 v12, v14, v6, s[0:1]
	v_cndmask_b32_e64 v5, v5, v15, s[2:3]
	v_cndmask_b32_e64 v13, v15, v12, s[2:3]
	v_sub_u32_e32 v14, 32, v7
	v_alignbit_b32 v15, v5, v13, v14
	v_cmp_eq_u32_e64 s[6:7], 0, v7
	v_cndmask_b32_e64 v7, v15, v5, s[6:7]
	v_cndmask_b32_e32 v5, v11, v9, vcc
	v_cndmask_b32_e64 v6, v6, v5, s[0:1]
	v_cndmask_b32_e64 v9, v12, v6, s[2:3]
	v_alignbit_b32 v11, v13, v9, v14
	v_cndmask_b32_e32 v4, v10, v4, vcc
	v_cndmask_b32_e64 v11, v11, v13, s[6:7]
	v_bfe_u32 v15, v7, 29, 1
	v_cndmask_b32_e64 v4, v5, v4, s[0:1]
	v_alignbit_b32 v12, v7, v11, 30
	v_sub_u32_e32 v16, 0, v15
	v_cndmask_b32_e64 v4, v6, v4, s[2:3]
	v_xor_b32_e32 v12, v12, v16
	v_alignbit_b32 v5, v9, v4, v14
	v_cndmask_b32_e64 v5, v5, v9, s[6:7]
	v_ffbh_u32_e32 v9, v12
	v_alignbit_b32 v6, v11, v5, 30
	v_min_u32_e32 v9, 32, v9
	v_alignbit_b32 v4, v5, v4, 30
	v_xor_b32_e32 v6, v6, v16
	v_sub_u32_e32 v10, 31, v9
	v_xor_b32_e32 v4, v4, v16
	v_alignbit_b32 v11, v12, v6, v10
	v_alignbit_b32 v4, v6, v4, v10
	;; [unrolled: 1-line block ×3, first 2 shown]
	v_ffbh_u32_e32 v6, v5
	v_min_u32_e32 v6, 32, v6
	v_lshrrev_b32_e32 v13, 29, v7
	v_not_b32_e32 v10, v6
	v_alignbit_b32 v4, v5, v4, v10
	v_lshlrev_b32_e32 v5, 31, v13
	v_or_b32_e32 v10, 0x33000000, v5
	v_add_lshl_u32 v6, v6, v9, 23
	v_lshrrev_b32_e32 v4, 9, v4
	v_sub_u32_e32 v6, v10, v6
	v_or_b32_e32 v5, 0.5, v5
	v_lshlrev_b32_e32 v9, 23, v9
	v_or_b32_e32 v4, v6, v4
	v_lshrrev_b32_e32 v6, 9, v11
	v_sub_u32_e32 v5, v5, v9
	v_or_b32_e32 v5, v6, v5
	s_mov_b32 s0, 0x3fc90fda
	v_mul_f32_e32 v6, 0x3fc90fda, v5
	v_fma_f32 v9, v5, s0, -v6
	v_fmac_f32_e32 v9, 0x33a22168, v5
	v_fmac_f32_e32 v9, 0x3fc90fda, v4
	v_lshrrev_b32_e32 v4, 30, v7
	v_add_f32_e32 v5, v6, v9
	v_add_u32_e32 v4, v15, v4
.LBB67_303:
	s_andn2_saveexec_b64 s[0:1], s[12:13]
	s_cbranch_execz .LBB67_305
; %bb.304:
	s_mov_b32 s2, 0x3f22f983
	v_mul_f32_e64 v4, |v2|, s2
	v_rndne_f32_e32 v6, v4
	s_mov_b32 s2, 0xbfc90fda
	v_cvt_i32_f32_e32 v4, v6
	v_fma_f32 v5, v6, s2, |v2|
	v_fmac_f32_e32 v5, 0xb3a22168, v6
	v_fmac_f32_e32 v5, 0xa7c234c4, v6
.LBB67_305:
	s_or_b64 exec, exec, s[0:1]
	v_mul_f32_e32 v6, v5, v5
	v_mov_b32_e32 v7, 0x3c0881c4
	v_fmac_f32_e32 v7, 0xb94c1982, v6
	v_mov_b32_e32 v9, 0xbe2aaa9d
	v_fmac_f32_e32 v9, v6, v7
	v_mul_f32_e32 v7, v6, v9
	v_fmac_f32_e32 v5, v5, v7
	v_mov_b32_e32 v7, 0xbab64f3b
	v_fmac_f32_e32 v7, 0x37d75334, v6
	v_mov_b32_e32 v9, 0x3d2aabf7
	;; [unrolled: 2-line block ×3, first 2 shown]
	v_fmac_f32_e32 v7, v6, v9
	v_fma_f32 v6, v6, v7, 1.0
	v_and_b32_e32 v7, 1, v4
	v_lshlrev_b32_e32 v4, 30, v4
	v_cmp_eq_u32_e32 vcc, 0, v7
	v_and_b32_e32 v4, 0x80000000, v4
	v_xor_b32_e32 v3, v3, v2
	v_cndmask_b32_e32 v5, v6, v5, vcc
	v_xor_b32_e32 v3, v3, v4
	s_movk_i32 s0, 0x1f8
	v_xor_b32_e32 v3, v3, v5
	v_mov_b32_e32 v4, 0x7fc00000
	v_cmp_class_f32_e64 vcc, v2, s0
	v_cndmask_b32_e32 v2, v4, v3, vcc
	v_mul_f32_e32 v2, v2, v2
	s_mov_b32 s2, 0xc11de9e7
	v_div_scale_f32 v3, s[0:1], v2, v2, s2
	v_div_scale_f32 v4, vcc, s2, v2, s2
	v_sub_f32_e32 v1, 1.0, v1
	v_rcp_f32_e32 v5, v3
	v_fma_f32 v6, -v3, v5, 1.0
	v_fmac_f32_e32 v5, v6, v5
	v_mul_f32_e32 v6, v4, v5
	v_fma_f32 v7, -v3, v6, v4
	v_fmac_f32_e32 v6, v7, v5
	v_fma_f32 v3, -v3, v6, v4
	v_div_fmas_f32 v3, v3, v5, v6
	v_div_fixup_f32 v2, v3, v2, s2
	v_add_f32_e32 v3, 0, v2
	v_mov_b32_e32 v2, -1.0
.LBB67_306:
	s_or_b64 exec, exec, s[10:11]
	v_mul_f32_e32 v4, v1, v1
	v_div_scale_f32 v6, s[0:1], v4, v4, 1.0
	v_add_f32_e32 v5, 1.0, v1
	v_mul_f32_e32 v1, v5, v5
	v_div_scale_f32 v9, s[0:1], v1, v1, 1.0
	v_div_scale_f32 v7, vcc, 1.0, v4, 1.0
	v_add_f32_e32 v10, 1.0, v5
	v_div_scale_f32 v11, s[0:1], 1.0, v1, 1.0
	v_mul_f32_e32 v5, v10, v10
	v_div_scale_f32 v12, s[2:3], v5, v5, 1.0
	v_div_scale_f32 v15, s[2:3], 1.0, v5, 1.0
	v_rcp_f32_e32 v13, v6
	v_add_f32_e32 v10, 1.0, v10
	s_and_b32 s12, s73, 0xff
	s_cmp_lt_i32 s12, 11
	v_rcp_f32_e32 v14, v9
	v_fma_f32 v16, -v6, v13, 1.0
	v_fmac_f32_e32 v13, v16, v13
	v_mul_f32_e32 v17, v7, v13
	v_fma_f32 v18, -v6, v17, v7
	v_fma_f32 v16, -v9, v14, 1.0
	v_fmac_f32_e32 v17, v18, v13
	v_fma_f32 v6, -v6, v17, v7
	v_fmac_f32_e32 v14, v16, v14
	v_div_fmas_f32 v6, v6, v13, v17
	v_mul_f32_e32 v13, v11, v14
	v_fma_f32 v7, -v9, v13, v11
	v_rcp_f32_e32 v16, v12
	v_fmac_f32_e32 v13, v7, v14
	v_mul_f32_e32 v7, v10, v10
	v_div_scale_f32 v17, s[6:7], v7, v7, 1.0
	v_fma_f32 v9, -v9, v13, v11
	v_fma_f32 v11, -v12, v16, 1.0
	v_fmac_f32_e32 v16, v11, v16
	s_mov_b64 vcc, s[0:1]
	v_mul_f32_e32 v11, v15, v16
	v_div_fmas_f32 v9, v9, v14, v13
	v_fma_f32 v13, -v12, v11, v15
	v_fmac_f32_e32 v11, v13, v16
	v_div_scale_f32 v13, s[0:1], 1.0, v7, 1.0
	v_add_f32_e32 v14, 1.0, v10
	v_mul_f32_e32 v10, v14, v14
	v_div_scale_f32 v18, s[6:7], v10, v10, 1.0
	v_fma_f32 v12, -v12, v11, v15
	s_mov_b64 vcc, s[2:3]
	v_div_fmas_f32 v11, v12, v16, v11
	v_div_scale_f32 v12, s[2:3], 1.0, v10, 1.0
	v_rcp_f32_e32 v15, v17
	v_add_f32_e32 v14, 1.0, v14
	v_mul_f32_e32 v19, v14, v14
	v_div_scale_f32 v20, s[6:7], v19, v19, 1.0
	v_fma_f32 v16, -v17, v15, 1.0
	v_fmac_f32_e32 v15, v16, v15
	v_mul_f32_e32 v16, v13, v15
	v_fma_f32 v21, -v17, v16, v13
	v_fmac_f32_e32 v16, v21, v15
	v_rcp_f32_e32 v21, v18
	v_fma_f32 v13, -v17, v16, v13
	s_mov_b64 vcc, s[0:1]
	v_div_fmas_f32 v13, v13, v15, v16
	v_fma_f32 v15, -v18, v21, 1.0
	v_fmac_f32_e32 v21, v15, v21
	v_mul_f32_e32 v15, v12, v21
	v_fma_f32 v16, -v18, v15, v12
	v_fmac_f32_e32 v15, v16, v21
	v_div_scale_f32 v16, s[0:1], 1.0, v19, 1.0
	v_add_f32_e32 v14, 1.0, v14
	v_mul_f32_e32 v22, v14, v14
	v_div_scale_f32 v23, s[6:7], v22, v22, 1.0
	v_rcp_f32_e32 v17, v20
	v_fma_f32 v12, -v18, v15, v12
	s_mov_b64 vcc, s[2:3]
	v_div_scale_f32 v18, s[2:3], 1.0, v22, 1.0
	v_div_fmas_f32 v12, v12, v21, v15
	v_add_f32_e32 v21, v14, v14
	v_div_scale_f32 v24, s[6:7], v21, v21, 1.0
	v_fma_f32 v15, -v20, v17, 1.0
	v_fmac_f32_e32 v17, v15, v17
	v_mul_f32_e32 v15, v16, v17
	v_fma_f32 v25, -v20, v15, v16
	v_fmac_f32_e32 v15, v25, v17
	v_div_scale_f32 v25, s[6:7], 1.0, v21, 1.0
	v_rcp_f32_e32 v26, v23
	v_fma_f32 v16, -v20, v15, v16
	s_mov_b64 vcc, s[0:1]
	v_div_fmas_f32 v15, v16, v17, v15
	v_fma_f32 v16, -v23, v26, 1.0
	v_fmac_f32_e32 v26, v16, v26
	v_mul_f32_e32 v16, v18, v26
	v_fma_f32 v17, -v23, v16, v18
	v_fmac_f32_e32 v16, v17, v26
	v_rcp_f32_e32 v17, v24
	v_fma_f32 v18, -v23, v16, v18
	s_mov_b64 vcc, s[2:3]
	v_div_fmas_f32 v16, v18, v26, v16
	v_fma_f32 v18, -v24, v17, 1.0
	v_fmac_f32_e32 v17, v18, v17
	v_mul_f32_e32 v18, v25, v17
	v_fma_f32 v20, -v24, v18, v25
	v_fmac_f32_e32 v18, v20, v17
	v_fma_f32 v20, -v24, v18, v25
	s_mov_b64 vcc, s[6:7]
	v_div_fmas_f32 v17, v20, v17, v18
	v_mov_b32_e32 v18, 0x3d088889
	s_mov_b32 s0, 0x3e2aaaab
	v_div_fixup_f32 v4, v6, v4, 1.0
	v_add_f32_e32 v3, v3, v4
	v_div_fixup_f32 v1, v9, v1, 1.0
	v_add_f32_e32 v1, v3, v1
	v_div_fixup_f32 v3, v11, v5, 1.0
	v_div_fixup_f32 v16, v16, v22, 1.0
	v_fmac_f32_e32 v18, 0xbcc30c31, v16
	v_fma_f32 v18, -v16, v18, s0
	v_add_f32_e32 v1, v1, v3
	v_div_fixup_f32 v3, v13, v7, 1.0
	v_add_f32_e32 v1, v1, v3
	v_div_fixup_f32 v3, v12, v10, 1.0
	v_add_f32_e32 v1, v1, v3
	v_div_fixup_f32 v17, v17, v21, 1.0
	v_add_f32_e32 v17, 1.0, v17
	v_fmac_f32_e32 v17, v16, v18
	v_div_scale_f32 v16, s[0:1], v14, v14, v17
	v_div_scale_f32 v18, vcc, v17, v14, v17
	v_div_fixup_f32 v3, v15, v19, 1.0
	v_add_f32_e32 v1, v1, v3
	v_rcp_f32_e32 v20, v16
	v_fma_f32 v21, -v16, v20, 1.0
	v_fmac_f32_e32 v20, v21, v20
	v_mul_f32_e32 v21, v18, v20
	v_fma_f32 v22, -v16, v21, v18
	v_fmac_f32_e32 v21, v22, v20
	v_fma_f32 v16, -v16, v21, v18
	v_div_fmas_f32 v16, v16, v20, v21
	v_add_co_u32_e32 v0, vcc, s24, v0
	v_div_fixup_f32 v3, v16, v14, v17
	v_add_f32_e32 v1, v1, v3
	v_fma_mixlo_f16 v2, v2, v1, 0
	v_mov_b32_e32 v1, s25
	v_addc_co_u32_e32 v1, vcc, 0, v1, vcc
	s_cbranch_scc1 .LBB67_314
; %bb.307:
	s_and_b32 s13, 0xffff, s12
	s_cmp_gt_i32 s13, 25
	s_cbranch_scc0 .LBB67_316
; %bb.308:
	s_cmp_gt_i32 s13, 28
	s_cbranch_scc0 .LBB67_318
; %bb.309:
	;; [unrolled: 3-line block ×4, first 2 shown]
	s_mov_b64 s[6:7], 0
	s_mov_b64 s[0:1], -1
	s_cmp_eq_u32 s13, 46
	s_mov_b64 s[2:3], 0
	s_cbranch_scc0 .LBB67_330
; %bb.312:
	v_cvt_f32_f16_e32 v3, v2
	s_movk_i32 s0, 0x7fff
	v_cmp_o_f16_e32 vcc, v2, v2
	v_mov_b32_e32 v4, 0x7fc0
	v_bfe_u32 v5, v3, 16, 1
	v_add3_u32 v3, v3, v5, s0
	v_cndmask_b32_sdwa v3, v4, v3, vcc dst_sel:DWORD dst_unused:UNUSED_PAD src0_sel:DWORD src1_sel:WORD_1
	global_store_dword v[0:1], v3, off
	s_mov_b64 s[2:3], -1
	s_mov_b64 s[0:1], 0
	s_branch .LBB67_330
.LBB67_313:
	s_mov_b64 s[2:3], -1
	s_mov_b64 s[0:1], 0
	s_mov_b64 s[8:9], s[56:57]
                                        ; implicit-def: $vgpr3
	s_branch .LBB67_467
.LBB67_314:
	s_mov_b64 s[6:7], -1
	s_mov_b64 s[2:3], 0
	s_mov_b64 s[0:1], s[54:55]
	s_branch .LBB67_399
.LBB67_315:
	s_mov_b64 s[2:3], -1
	s_mov_b64 s[0:1], 0
	s_mov_b64 s[8:9], s[56:57]
                                        ; implicit-def: $vgpr3
	s_branch .LBB67_448
.LBB67_316:
	s_mov_b64 s[6:7], -1
	s_mov_b64 s[2:3], 0
	s_mov_b64 s[0:1], s[54:55]
	s_branch .LBB67_357
.LBB67_317:
	s_mov_b64 s[2:3], -1
	s_mov_b64 s[0:1], 0
	s_mov_b64 s[8:9], s[56:57]
                                        ; implicit-def: $vgpr3
	s_branch .LBB67_443
.LBB67_318:
	s_mov_b64 s[6:7], -1
	s_mov_b64 s[2:3], 0
	s_mov_b64 s[0:1], s[54:55]
	s_branch .LBB67_340
.LBB67_319:
	s_andn2_saveexec_b64 s[10:11], s[10:11]
	s_cbranch_execz .LBB67_74
.LBB67_320:
	s_mov_b32 s14, 0x46000000
	v_add_f32_e64 v4, |v3|, s14
	v_and_b32_e32 v4, 0xff, v4
	v_cmp_ne_u32_e32 vcc, 0, v4
	s_andn2_b64 s[6:7], s[6:7], exec
	s_and_b64 s[14:15], vcc, exec
	s_or_b64 s[6:7], s[6:7], s[14:15]
	s_or_b64 exec, exec, s[10:11]
	v_mov_b32_e32 v5, 0
	s_and_saveexec_b64 s[10:11], s[6:7]
	s_cbranch_execnz .LBB67_75
	s_branch .LBB67_76
.LBB67_321:
	s_mov_b64 s[2:3], -1
	s_mov_b64 s[0:1], 0
	s_mov_b64 s[8:9], s[56:57]
                                        ; implicit-def: $vgpr3
	s_branch .LBB67_326
.LBB67_322:
	s_mov_b64 s[6:7], -1
	s_mov_b64 s[2:3], 0
	s_mov_b64 s[0:1], s[54:55]
	s_branch .LBB67_336
.LBB67_323:
	s_andn2_saveexec_b64 s[10:11], s[10:11]
	s_cbranch_execz .LBB67_87
.LBB67_324:
	s_mov_b32 s14, 0x42800000
	v_add_f32_e64 v4, |v3|, s14
	v_and_b32_e32 v4, 0xff, v4
	v_cmp_ne_u32_e32 vcc, 0, v4
	s_andn2_b64 s[6:7], s[6:7], exec
	s_and_b64 s[14:15], vcc, exec
	s_or_b64 s[6:7], s[6:7], s[14:15]
	s_or_b64 exec, exec, s[10:11]
	v_mov_b32_e32 v5, 0
	s_and_saveexec_b64 s[10:11], s[6:7]
	s_cbranch_execnz .LBB67_88
	s_branch .LBB67_89
.LBB67_325:
	s_mov_b64 s[8:9], -1
                                        ; implicit-def: $vgpr3
	s_mov_b64 s[0:1], 0
.LBB67_326:
	s_and_b64 vcc, exec, s[2:3]
	s_cbranch_vccz .LBB67_442
; %bb.327:
	s_cmp_eq_u32 s10, 44
	s_cbranch_scc0 .LBB67_441
; %bb.328:
	global_load_ubyte v3, v[1:2], off
	s_movk_i32 s2, 0xff
	v_mov_b32_e32 v5, 0x7e00
	s_mov_b64 s[0:1], -1
	s_mov_b64 s[8:9], 0
	s_waitcnt vmcnt(0)
	v_lshlrev_b32_e32 v4, 23, v3
	v_cvt_f16_f32_e32 v4, v4
	v_cmp_ne_u32_e32 vcc, s2, v3
	v_cndmask_b32_e32 v4, v5, v4, vcc
	v_cmp_ne_u32_e32 vcc, 0, v3
	v_cndmask_b32_e32 v3, 0, v4, vcc
	s_branch .LBB67_442
.LBB67_329:
	s_mov_b64 s[6:7], -1
	s_mov_b64 s[2:3], 0
	s_mov_b64 s[0:1], s[54:55]
.LBB67_330:
	s_and_b64 vcc, exec, s[6:7]
	s_cbranch_vccz .LBB67_335
; %bb.331:
	s_cmp_eq_u32 s13, 44
	s_mov_b64 s[0:1], -1
	s_cbranch_scc0 .LBB67_335
; %bb.332:
	v_cvt_f32_f16_e32 v3, v2
	s_movk_i32 s0, 0xff
	v_mov_b32_e32 v5, 0xff
	v_bfe_u32 v4, v3, 23, 8
	v_cmp_ne_u32_e32 vcc, s0, v4
	s_and_saveexec_b64 s[2:3], vcc
; %bb.333:
	s_mov_b32 s0, 0x3fffff
	v_lshrrev_b32_e32 v5, 23, v3
	v_and_b32_e32 v6, 0x400000, v3
	v_and_or_b32 v3, v3, s0, v4
	v_cmp_ne_u32_e32 vcc, 0, v6
	v_cmp_ne_u32_e64 s[0:1], 0, v3
	s_and_b64 s[0:1], vcc, s[0:1]
	v_cndmask_b32_e64 v3, 0, 1, s[0:1]
	v_add_u32_e32 v5, v5, v3
; %bb.334:
	s_or_b64 exec, exec, s[2:3]
	s_mov_b64 s[2:3], -1
	s_mov_b64 s[0:1], 0
	global_store_byte v[0:1], v5, off
.LBB67_335:
	s_mov_b64 s[6:7], 0
.LBB67_336:
	s_and_b64 vcc, exec, s[6:7]
	s_cbranch_vccz .LBB67_339
; %bb.337:
	s_cmp_eq_u32 s13, 29
	s_mov_b64 s[0:1], -1
	s_cbranch_scc0 .LBB67_339
; %bb.338:
	v_cvt_f32_f16_e32 v3, v2
	v_mov_b32_e32 v4, 0
	s_mov_b64 s[2:3], -1
	s_mov_b64 s[0:1], 0
	v_cvt_u32_f32_e32 v3, v3
	s_mov_b64 s[6:7], 0
	global_store_dwordx2 v[0:1], v[3:4], off
	s_branch .LBB67_340
.LBB67_339:
	s_mov_b64 s[6:7], 0
.LBB67_340:
	s_and_b64 vcc, exec, s[6:7]
	s_cbranch_vccz .LBB67_356
; %bb.341:
	s_cmp_lt_i32 s13, 27
	s_mov_b64 s[2:3], -1
	s_cbranch_scc1 .LBB67_347
; %bb.342:
	s_cmp_gt_i32 s13, 27
	s_cbranch_scc0 .LBB67_344
; %bb.343:
	v_cvt_f32_f16_e32 v3, v2
	s_mov_b64 s[2:3], 0
	v_cvt_u32_f32_e32 v3, v3
	global_store_dword v[0:1], v3, off
.LBB67_344:
	s_andn2_b64 vcc, exec, s[2:3]
	s_cbranch_vccnz .LBB67_346
; %bb.345:
	v_cvt_u16_f16_e32 v3, v2
	global_store_short v[0:1], v3, off
.LBB67_346:
	s_mov_b64 s[2:3], 0
.LBB67_347:
	s_andn2_b64 vcc, exec, s[2:3]
	s_cbranch_vccnz .LBB67_355
; %bb.348:
	v_cvt_f32_f16_e32 v3, v2
	s_mov_b32 s2, 0x43800000
	v_mov_b32_e32 v5, 0x80
	v_and_b32_e32 v4, 0x7fffffff, v3
	v_cmp_gt_u32_e32 vcc, s2, v4
	s_and_saveexec_b64 s[2:3], vcc
	s_cbranch_execz .LBB67_354
; %bb.349:
	s_mov_b32 s6, 0x3bffffff
	v_cmp_lt_u32_e32 vcc, s6, v4
	s_mov_b64 s[6:7], 0
                                        ; implicit-def: $vgpr4
	s_and_saveexec_b64 s[10:11], vcc
	s_xor_b64 s[10:11], exec, s[10:11]
	s_cbranch_execz .LBB67_582
; %bb.350:
	v_bfe_u32 v4, v3, 20, 1
	s_mov_b32 s14, 0x487ffff
	v_add3_u32 v4, v3, v4, s14
	s_mov_b64 s[6:7], exec
	v_lshrrev_b32_e32 v4, 20, v4
	s_andn2_saveexec_b64 s[10:11], s[10:11]
	s_cbranch_execnz .LBB67_583
.LBB67_351:
	s_or_b64 exec, exec, s[10:11]
	v_mov_b32_e32 v5, 0
	s_and_saveexec_b64 s[10:11], s[6:7]
.LBB67_352:
	v_lshrrev_b32_e32 v3, 24, v3
	s_movk_i32 s6, 0x80
	v_and_or_b32 v5, v3, s6, v4
.LBB67_353:
	s_or_b64 exec, exec, s[10:11]
.LBB67_354:
	s_or_b64 exec, exec, s[2:3]
	global_store_byte v[0:1], v5, off
.LBB67_355:
	s_mov_b64 s[2:3], -1
.LBB67_356:
	s_mov_b64 s[6:7], 0
.LBB67_357:
	s_and_b64 vcc, exec, s[6:7]
	s_cbranch_vccz .LBB67_398
; %bb.358:
	s_cmp_gt_i32 s13, 22
	s_mov_b64 s[6:7], -1
	s_cbranch_scc0 .LBB67_390
; %bb.359:
	s_cmp_lt_i32 s13, 24
	s_mov_b64 s[2:3], -1
	s_cbranch_scc1 .LBB67_379
; %bb.360:
	s_cmp_gt_i32 s13, 24
	s_cbranch_scc0 .LBB67_368
; %bb.361:
	v_cvt_f32_f16_e32 v3, v2
	s_mov_b32 s2, 0x47800000
	v_mov_b32_e32 v5, 0x80
	v_and_b32_e32 v4, 0x7fffffff, v3
	v_cmp_gt_u32_e32 vcc, s2, v4
	s_and_saveexec_b64 s[2:3], vcc
	s_cbranch_execz .LBB67_367
; %bb.362:
	s_mov_b32 s6, 0x37ffffff
	v_cmp_lt_u32_e32 vcc, s6, v4
	s_mov_b64 s[6:7], 0
                                        ; implicit-def: $vgpr4
	s_and_saveexec_b64 s[10:11], vcc
	s_xor_b64 s[10:11], exec, s[10:11]
	s_cbranch_execz .LBB67_585
; %bb.363:
	v_bfe_u32 v4, v3, 21, 1
	s_mov_b32 s14, 0x88fffff
	v_add3_u32 v4, v3, v4, s14
	s_mov_b64 s[6:7], exec
	v_lshrrev_b32_e32 v4, 21, v4
	s_andn2_saveexec_b64 s[10:11], s[10:11]
	s_cbranch_execnz .LBB67_586
.LBB67_364:
	s_or_b64 exec, exec, s[10:11]
	v_mov_b32_e32 v5, 0
	s_and_saveexec_b64 s[10:11], s[6:7]
.LBB67_365:
	v_lshrrev_b32_e32 v3, 24, v3
	s_movk_i32 s6, 0x80
	v_and_or_b32 v5, v3, s6, v4
.LBB67_366:
	s_or_b64 exec, exec, s[10:11]
.LBB67_367:
	s_or_b64 exec, exec, s[2:3]
	s_mov_b64 s[2:3], 0
	global_store_byte v[0:1], v5, off
.LBB67_368:
	s_and_b64 vcc, exec, s[2:3]
	s_cbranch_vccz .LBB67_378
; %bb.369:
	v_cvt_f32_f16_e32 v3, v2
	s_mov_b32 s2, 0x43f00000
                                        ; implicit-def: $vgpr4
	v_and_b32_e32 v5, 0x7fffffff, v3
	v_cmp_gt_u32_e32 vcc, s2, v5
	s_and_saveexec_b64 s[2:3], vcc
	s_xor_b64 s[2:3], exec, s[2:3]
	s_cbranch_execz .LBB67_375
; %bb.370:
	s_mov_b32 s6, 0x3c7fffff
	v_cmp_lt_u32_e32 vcc, s6, v5
                                        ; implicit-def: $vgpr4
	s_and_saveexec_b64 s[6:7], vcc
	s_xor_b64 s[6:7], exec, s[6:7]
; %bb.371:
	v_bfe_u32 v4, v3, 20, 1
	s_mov_b32 s10, 0x407ffff
	v_add3_u32 v4, v3, v4, s10
	v_lshrrev_b32_e32 v5, 20, v4
	v_and_b32_e32 v4, 0xff00000, v4
	s_mov_b32 s10, 0x7f00000
	v_mov_b32_e32 v6, 0x7e
	v_cmp_ne_u32_e32 vcc, s10, v4
	v_cndmask_b32_e32 v4, v6, v5, vcc
; %bb.372:
	s_andn2_saveexec_b64 s[6:7], s[6:7]
; %bb.373:
	s_mov_b32 s10, 0x46800000
	v_add_f32_e64 v4, |v3|, s10
; %bb.374:
	s_or_b64 exec, exec, s[6:7]
                                        ; implicit-def: $vgpr5
.LBB67_375:
	s_andn2_saveexec_b64 s[2:3], s[2:3]
; %bb.376:
	s_mov_b32 s6, 0x7f800000
	v_mov_b32_e32 v4, 0x7e
	v_mov_b32_e32 v6, 0x7f
	v_cmp_lt_u32_e32 vcc, s6, v5
	v_cndmask_b32_e32 v4, v4, v6, vcc
; %bb.377:
	s_or_b64 exec, exec, s[2:3]
	v_lshrrev_b32_e32 v3, 24, v3
	s_movk_i32 s2, 0x80
	v_and_or_b32 v3, v3, s2, v4
	global_store_byte v[0:1], v3, off
.LBB67_378:
	s_mov_b64 s[2:3], 0
.LBB67_379:
	s_andn2_b64 vcc, exec, s[2:3]
	s_cbranch_vccnz .LBB67_389
; %bb.380:
	v_cvt_f32_f16_e32 v3, v2
	s_mov_b32 s2, 0x47800000
                                        ; implicit-def: $vgpr4
	v_and_b32_e32 v5, 0x7fffffff, v3
	v_cmp_gt_u32_e32 vcc, s2, v5
	s_and_saveexec_b64 s[2:3], vcc
	s_xor_b64 s[2:3], exec, s[2:3]
	s_cbranch_execz .LBB67_386
; %bb.381:
	s_mov_b32 s6, 0x387fffff
	v_cmp_lt_u32_e32 vcc, s6, v5
                                        ; implicit-def: $vgpr4
	s_and_saveexec_b64 s[6:7], vcc
	s_xor_b64 s[6:7], exec, s[6:7]
; %bb.382:
	v_bfe_u32 v4, v3, 21, 1
	s_mov_b32 s10, 0x80fffff
	v_add3_u32 v4, v3, v4, s10
	v_lshrrev_b32_e32 v4, 21, v4
; %bb.383:
	s_andn2_saveexec_b64 s[6:7], s[6:7]
; %bb.384:
	s_mov_b32 s10, 0x43000000
	v_add_f32_e64 v4, |v3|, s10
; %bb.385:
	s_or_b64 exec, exec, s[6:7]
                                        ; implicit-def: $vgpr5
.LBB67_386:
	s_andn2_saveexec_b64 s[2:3], s[2:3]
; %bb.387:
	s_mov_b32 s6, 0x7f800000
	v_mov_b32_e32 v4, 0x7c
	v_mov_b32_e32 v6, 0x7f
	v_cmp_lt_u32_e32 vcc, s6, v5
	v_cndmask_b32_e32 v4, v4, v6, vcc
; %bb.388:
	s_or_b64 exec, exec, s[2:3]
	v_lshrrev_b32_e32 v3, 24, v3
	s_movk_i32 s2, 0x80
	v_and_or_b32 v3, v3, s2, v4
	global_store_byte v[0:1], v3, off
.LBB67_389:
	s_mov_b64 s[6:7], 0
	s_mov_b64 s[2:3], -1
.LBB67_390:
	s_andn2_b64 vcc, exec, s[6:7]
	s_cbranch_vccnz .LBB67_398
; %bb.391:
	s_cmp_gt_i32 s13, 14
	s_mov_b64 s[6:7], -1
	s_cbranch_scc0 .LBB67_395
; %bb.392:
	s_cmp_eq_u32 s13, 15
	s_mov_b64 s[0:1], -1
	s_cbranch_scc0 .LBB67_394
; %bb.393:
	v_cvt_f32_f16_e32 v3, v2
	s_movk_i32 s0, 0x7fff
	v_cmp_o_f16_e32 vcc, v2, v2
	v_mov_b32_e32 v4, 0x7fc0
	v_bfe_u32 v5, v3, 16, 1
	v_add3_u32 v3, v3, v5, s0
	v_cndmask_b32_sdwa v3, v4, v3, vcc dst_sel:DWORD dst_unused:UNUSED_PAD src0_sel:DWORD src1_sel:WORD_1
	global_store_short v[0:1], v3, off
	s_mov_b64 s[2:3], -1
	s_mov_b64 s[0:1], 0
.LBB67_394:
	s_mov_b64 s[6:7], 0
.LBB67_395:
	s_and_b64 vcc, exec, s[6:7]
	s_cbranch_vccz .LBB67_398
; %bb.396:
	s_cmp_eq_u32 s13, 11
	s_mov_b64 s[0:1], -1
	s_cbranch_scc0 .LBB67_398
; %bb.397:
	v_cmp_neq_f16_e32 vcc, 0, v2
	v_cndmask_b32_e64 v3, 0, 1, vcc
	s_mov_b64 s[2:3], -1
	s_mov_b64 s[0:1], 0
	global_store_byte v[0:1], v3, off
.LBB67_398:
	s_mov_b64 s[6:7], 0
.LBB67_399:
	s_and_b64 vcc, exec, s[6:7]
	s_cbranch_vccz .LBB67_438
; %bb.400:
	s_and_b32 s6, 0xffff, s12
	s_cmp_lt_i32 s6, 5
	s_mov_b64 s[2:3], -1
	s_cbranch_scc1 .LBB67_421
; %bb.401:
	s_cmp_lt_i32 s6, 8
	s_cbranch_scc1 .LBB67_411
; %bb.402:
	s_cmp_lt_i32 s6, 9
	s_cbranch_scc1 .LBB67_408
; %bb.403:
	s_cmp_gt_i32 s6, 9
	s_cbranch_scc0 .LBB67_405
; %bb.404:
	v_cvt_f32_f16_e32 v3, v2
	v_mov_b32_e32 v5, 0
	v_mov_b32_e32 v6, v5
	s_mov_b64 s[2:3], 0
	v_cvt_f64_f32_e32 v[3:4], v3
	global_store_dwordx4 v[0:1], v[3:6], off
.LBB67_405:
	s_andn2_b64 vcc, exec, s[2:3]
	s_cbranch_vccnz .LBB67_407
; %bb.406:
	v_cvt_f32_f16_e32 v3, v2
	v_mov_b32_e32 v4, 0
	global_store_dwordx2 v[0:1], v[3:4], off
.LBB67_407:
	s_mov_b64 s[2:3], 0
.LBB67_408:
	s_andn2_b64 vcc, exec, s[2:3]
	s_cbranch_vccnz .LBB67_410
; %bb.409:
	v_and_b32_e32 v3, 0xffff, v2
	global_store_dword v[0:1], v3, off
.LBB67_410:
	s_mov_b64 s[2:3], 0
.LBB67_411:
	s_andn2_b64 vcc, exec, s[2:3]
	s_cbranch_vccnz .LBB67_420
; %bb.412:
	s_cmp_lt_i32 s6, 6
	s_mov_b64 s[2:3], -1
	s_cbranch_scc1 .LBB67_418
; %bb.413:
	s_cmp_gt_i32 s6, 6
	s_cbranch_scc0 .LBB67_415
; %bb.414:
	v_cvt_f32_f16_e32 v3, v2
	s_mov_b64 s[2:3], 0
	v_cvt_f64_f32_e32 v[3:4], v3
	global_store_dwordx2 v[0:1], v[3:4], off
.LBB67_415:
	s_andn2_b64 vcc, exec, s[2:3]
	s_cbranch_vccnz .LBB67_417
; %bb.416:
	v_cvt_f32_f16_e32 v3, v2
	global_store_dword v[0:1], v3, off
.LBB67_417:
	s_mov_b64 s[2:3], 0
.LBB67_418:
	s_andn2_b64 vcc, exec, s[2:3]
	s_cbranch_vccnz .LBB67_420
; %bb.419:
	global_store_short v[0:1], v2, off
.LBB67_420:
	s_mov_b64 s[2:3], 0
.LBB67_421:
	s_andn2_b64 vcc, exec, s[2:3]
	s_cbranch_vccnz .LBB67_437
; %bb.422:
	s_cmp_lt_i32 s6, 2
	s_mov_b64 s[2:3], -1
	s_cbranch_scc1 .LBB67_432
; %bb.423:
	s_cmp_lt_i32 s6, 3
	s_cbranch_scc1 .LBB67_429
; %bb.424:
	s_cmp_gt_i32 s6, 3
	s_cbranch_scc0 .LBB67_426
; %bb.425:
	v_cvt_f32_f16_e32 v3, v2
	s_mov_b64 s[2:3], 0
	v_cvt_i32_f32_e32 v3, v3
	v_ashrrev_i32_e32 v4, 31, v3
	global_store_dwordx2 v[0:1], v[3:4], off
.LBB67_426:
	s_andn2_b64 vcc, exec, s[2:3]
	s_cbranch_vccnz .LBB67_428
; %bb.427:
	v_cvt_f32_f16_e32 v3, v2
	v_cvt_i32_f32_e32 v3, v3
	global_store_dword v[0:1], v3, off
.LBB67_428:
	s_mov_b64 s[2:3], 0
.LBB67_429:
	s_andn2_b64 vcc, exec, s[2:3]
	s_cbranch_vccnz .LBB67_431
; %bb.430:
	v_cvt_i16_f16_e32 v3, v2
	global_store_short v[0:1], v3, off
.LBB67_431:
	s_mov_b64 s[2:3], 0
.LBB67_432:
	s_andn2_b64 vcc, exec, s[2:3]
	s_cbranch_vccnz .LBB67_437
; %bb.433:
	s_cmp_gt_i32 s6, 0
	s_mov_b64 s[2:3], -1
	s_cbranch_scc0 .LBB67_435
; %bb.434:
	v_cvt_i16_f16_e32 v3, v2
	s_mov_b64 s[2:3], 0
	global_store_byte v[0:1], v3, off
.LBB67_435:
	s_andn2_b64 vcc, exec, s[2:3]
	s_cbranch_vccnz .LBB67_437
; %bb.436:
	v_cvt_f32_f16_e32 v2, v2
	v_cvt_i32_f32_e32 v2, v2
	global_store_byte v[0:1], v2, off
.LBB67_437:
	s_mov_b64 s[2:3], -1
.LBB67_438:
	s_andn2_b64 vcc, exec, s[2:3]
	s_cbranch_vccnz .LBB67_440
; %bb.439:
	v_add_u32_e32 v8, 0x80, v8
	s_mov_b64 s[2:3], -1
	s_branch .LBB67_553
.LBB67_440:
	s_mov_b64 s[2:3], 0
	s_branch .LBB67_552
.LBB67_441:
	s_mov_b64 s[8:9], -1
                                        ; implicit-def: $vgpr3
.LBB67_442:
	s_mov_b64 s[2:3], 0
.LBB67_443:
	s_and_b64 vcc, exec, s[2:3]
	s_cbranch_vccz .LBB67_447
; %bb.444:
	s_cmp_eq_u32 s10, 29
	s_cbranch_scc0 .LBB67_446
; %bb.445:
	global_load_dwordx2 v[3:4], v[1:2], off
	s_mov_b64 s[0:1], -1
	s_mov_b64 s[8:9], 0
	s_mov_b64 s[2:3], 0
	s_waitcnt vmcnt(0)
	v_ffbh_u32_e32 v5, v4
	v_min_u32_e32 v5, 32, v5
	v_lshlrev_b64 v[3:4], v5, v[3:4]
	v_min_u32_e32 v3, 1, v3
	v_or_b32_e32 v3, v4, v3
	v_cvt_f32_u32_e32 v3, v3
	v_sub_u32_e32 v4, 32, v5
	v_ldexp_f32 v3, v3, v4
	v_cvt_f16_f32_e32 v3, v3
	s_branch .LBB67_448
.LBB67_446:
	s_mov_b64 s[8:9], -1
                                        ; implicit-def: $vgpr3
.LBB67_447:
	s_mov_b64 s[2:3], 0
.LBB67_448:
	s_and_b64 vcc, exec, s[2:3]
	s_cbranch_vccz .LBB67_466
; %bb.449:
	s_cmp_lt_i32 s10, 27
	s_cbranch_scc1 .LBB67_452
; %bb.450:
	s_cmp_gt_i32 s10, 27
	s_cbranch_scc0 .LBB67_453
; %bb.451:
	global_load_dword v3, v[1:2], off
	s_mov_b64 s[0:1], 0
	s_waitcnt vmcnt(0)
	v_cvt_f32_u32_e32 v3, v3
	v_cvt_f16_f32_e32 v3, v3
	s_branch .LBB67_454
.LBB67_452:
	s_mov_b64 s[0:1], -1
                                        ; implicit-def: $vgpr3
	s_branch .LBB67_457
.LBB67_453:
	s_mov_b64 s[0:1], -1
                                        ; implicit-def: $vgpr3
.LBB67_454:
	s_andn2_b64 vcc, exec, s[0:1]
	s_cbranch_vccnz .LBB67_456
; %bb.455:
	global_load_ushort v3, v[1:2], off
	s_waitcnt vmcnt(0)
	v_cvt_f16_u16_e32 v3, v3
.LBB67_456:
	s_mov_b64 s[0:1], 0
.LBB67_457:
	s_andn2_b64 vcc, exec, s[0:1]
	s_cbranch_vccnz .LBB67_465
; %bb.458:
	global_load_ubyte v4, v[1:2], off
	s_movk_i32 s0, 0x7f
	s_waitcnt vmcnt(0)
	v_cmp_lt_i16_e32 vcc, s0, v4
	s_mov_b64 s[0:1], 0
	s_and_saveexec_b64 s[2:3], vcc
	s_xor_b64 s[2:3], exec, s[2:3]
	s_cbranch_execz .LBB67_479
; %bb.459:
	s_movk_i32 s0, 0x80
	v_cmp_eq_u16_e32 vcc, s0, v4
	s_mov_b64 s[0:1], -1
	s_and_saveexec_b64 s[6:7], vcc
; %bb.460:
	s_xor_b64 s[0:1], exec, -1
; %bb.461:
	s_or_b64 exec, exec, s[6:7]
	s_and_b64 s[0:1], s[0:1], exec
	s_or_saveexec_b64 s[2:3], s[2:3]
	v_mov_b32_e32 v3, 0x7e00
	s_xor_b64 exec, exec, s[2:3]
	s_cbranch_execnz .LBB67_480
.LBB67_462:
	s_or_b64 exec, exec, s[2:3]
	s_and_saveexec_b64 s[2:3], s[0:1]
	s_cbranch_execz .LBB67_464
.LBB67_463:
	v_lshlrev_b32_e32 v3, 24, v4
	v_and_b32_e32 v4, 0xffff, v4
	v_and_b32_e32 v5, 7, v4
	v_ffbh_u32_e32 v7, v5
	v_min_u32_e32 v7, 32, v7
	v_subrev_u32_e32 v9, 28, v7
	v_bfe_u32 v6, v4, 3, 4
	v_lshlrev_b32_e32 v4, v9, v4
	v_sub_u32_e32 v7, 29, v7
	v_and_b32_e32 v4, 7, v4
	v_cmp_eq_u32_e32 vcc, 0, v6
	v_cndmask_b32_e32 v6, v6, v7, vcc
	v_cndmask_b32_e32 v4, v5, v4, vcc
	v_mov_b32_e32 v5, 0x3b800000
	v_lshlrev_b32_e32 v4, 20, v4
	v_and_b32_e32 v3, 0x80000000, v3
	v_lshl_add_u32 v5, v6, 23, v5
	v_or3_b32 v3, v3, v5, v4
	v_cvt_f16_f32_e32 v3, v3
.LBB67_464:
	s_or_b64 exec, exec, s[2:3]
.LBB67_465:
	s_mov_b64 s[0:1], -1
.LBB67_466:
	s_mov_b64 s[2:3], 0
.LBB67_467:
	s_and_b64 vcc, exec, s[2:3]
	s_cbranch_vccz .LBB67_502
; %bb.468:
	s_cmp_gt_i32 s10, 22
	s_cbranch_scc0 .LBB67_478
; %bb.469:
	s_cmp_lt_i32 s10, 24
	s_cbranch_scc1 .LBB67_481
; %bb.470:
	s_cmp_gt_i32 s10, 24
	s_cbranch_scc0 .LBB67_482
; %bb.471:
	global_load_ubyte v4, v[1:2], off
	s_movk_i32 s0, 0x7f
	s_waitcnt vmcnt(0)
	v_cmp_lt_i16_e32 vcc, s0, v4
	s_mov_b64 s[0:1], 0
	s_and_saveexec_b64 s[2:3], vcc
	s_xor_b64 s[2:3], exec, s[2:3]
	s_cbranch_execz .LBB67_494
; %bb.472:
	s_movk_i32 s0, 0x80
	v_cmp_eq_u16_e32 vcc, s0, v4
	s_mov_b64 s[0:1], -1
	s_and_saveexec_b64 s[6:7], vcc
; %bb.473:
	s_xor_b64 s[0:1], exec, -1
; %bb.474:
	s_or_b64 exec, exec, s[6:7]
	s_and_b64 s[0:1], s[0:1], exec
	s_or_saveexec_b64 s[2:3], s[2:3]
	v_mov_b32_e32 v3, 0x7e00
	s_xor_b64 exec, exec, s[2:3]
	s_cbranch_execnz .LBB67_495
.LBB67_475:
	s_or_b64 exec, exec, s[2:3]
	s_and_saveexec_b64 s[2:3], s[0:1]
	s_cbranch_execz .LBB67_477
.LBB67_476:
	v_lshlrev_b32_e32 v3, 24, v4
	v_and_b32_e32 v4, 0xffff, v4
	v_and_b32_e32 v5, 3, v4
	v_ffbh_u32_e32 v7, v5
	v_min_u32_e32 v7, 32, v7
	v_subrev_u32_e32 v9, 29, v7
	v_bfe_u32 v6, v4, 2, 5
	v_lshlrev_b32_e32 v4, v9, v4
	v_sub_u32_e32 v7, 30, v7
	v_and_b32_e32 v4, 3, v4
	v_cmp_eq_u32_e32 vcc, 0, v6
	v_cndmask_b32_e32 v6, v6, v7, vcc
	v_cndmask_b32_e32 v4, v5, v4, vcc
	v_mov_b32_e32 v5, 0x37800000
	v_lshlrev_b32_e32 v4, 21, v4
	v_and_b32_e32 v3, 0x80000000, v3
	v_lshl_add_u32 v5, v6, 23, v5
	v_or3_b32 v3, v3, v5, v4
	v_cvt_f16_f32_e32 v3, v3
.LBB67_477:
	s_or_b64 exec, exec, s[2:3]
	s_mov_b64 s[0:1], 0
	s_branch .LBB67_483
.LBB67_478:
	s_mov_b64 s[2:3], -1
                                        ; implicit-def: $vgpr3
	s_branch .LBB67_489
.LBB67_479:
	s_or_saveexec_b64 s[2:3], s[2:3]
	v_mov_b32_e32 v3, 0x7e00
	s_xor_b64 exec, exec, s[2:3]
	s_cbranch_execz .LBB67_462
.LBB67_480:
	v_cmp_ne_u16_e32 vcc, 0, v4
	s_andn2_b64 s[0:1], s[0:1], exec
	s_and_b64 s[6:7], vcc, exec
	s_or_b64 s[0:1], s[0:1], s[6:7]
	v_mov_b32_e32 v3, v4
	s_or_b64 exec, exec, s[2:3]
	s_and_saveexec_b64 s[2:3], s[0:1]
	s_cbranch_execnz .LBB67_463
	s_branch .LBB67_464
.LBB67_481:
	s_mov_b64 s[0:1], -1
                                        ; implicit-def: $vgpr3
	s_branch .LBB67_486
.LBB67_482:
	s_mov_b64 s[0:1], -1
                                        ; implicit-def: $vgpr3
.LBB67_483:
	s_and_b64 vcc, exec, s[0:1]
	s_cbranch_vccz .LBB67_485
; %bb.484:
	global_load_ubyte v3, v[1:2], off
	s_mov_b32 s0, 0x7f800000
	s_waitcnt vmcnt(0)
	v_lshlrev_b32_e32 v3, 24, v3
	v_and_b32_e32 v4, 0x7f000000, v3
	v_ffbh_u32_e32 v5, v4
	v_min_u32_e32 v5, 32, v5
	v_sub_u32_e64 v5, v5, 4 clamp
	v_lshlrev_b32_e32 v7, v5, v4
	v_lshlrev_b32_e32 v5, 23, v5
	v_lshrrev_b32_e32 v7, 4, v7
	v_add_u32_e32 v6, 0x1000000, v4
	v_sub_u32_e32 v5, v7, v5
	v_ashrrev_i32_e32 v6, 8, v6
	v_add_u32_e32 v5, 0x3c000000, v5
	v_and_or_b32 v5, v6, s0, v5
	v_cmp_ne_u32_e32 vcc, 0, v4
	v_cndmask_b32_e32 v4, 0, v5, vcc
	s_brev_b32 s0, 1
	v_and_or_b32 v3, v3, s0, v4
	v_cvt_f16_f32_e32 v3, v3
.LBB67_485:
	s_mov_b64 s[0:1], 0
.LBB67_486:
	s_andn2_b64 vcc, exec, s[0:1]
	s_cbranch_vccnz .LBB67_488
; %bb.487:
	global_load_ubyte v3, v[1:2], off
	s_movk_i32 s0, 0x7f00
	s_brev_b32 s1, 16
	s_waitcnt vmcnt(0)
	v_lshlrev_b16_e32 v4, 8, v3
	v_lshlrev_b32_e32 v3, 25, v3
	v_lshrrev_b32_e32 v5, 4, v3
	v_and_or_b32 v6, v4, s0, 0.5
	v_or_b32_e32 v5, 0x70000000, v5
	v_add_f32_e32 v6, -0.5, v6
	v_mul_f32_e32 v5, 0x7800000, v5
	v_cmp_gt_u32_e32 vcc, s1, v3
	v_bfe_i32 v4, v4, 0, 16
	v_cndmask_b32_e32 v3, v5, v6, vcc
	s_brev_b32 s0, 1
	v_and_or_b32 v3, v4, s0, v3
	v_cvt_f16_f32_e32 v3, v3
.LBB67_488:
	s_mov_b64 s[2:3], 0
	s_mov_b64 s[0:1], -1
.LBB67_489:
	s_andn2_b64 vcc, exec, s[2:3]
	s_cbranch_vccnz .LBB67_502
; %bb.490:
	s_cmp_gt_i32 s10, 14
	s_cbranch_scc0 .LBB67_493
; %bb.491:
	s_cmp_eq_u32 s10, 15
	s_cbranch_scc0 .LBB67_496
; %bb.492:
	global_load_ushort v3, v[1:2], off
	s_mov_b64 s[0:1], -1
	s_mov_b64 s[8:9], 0
	s_waitcnt vmcnt(0)
	v_lshlrev_b32_e32 v3, 16, v3
	v_cvt_f16_f32_e32 v3, v3
	s_branch .LBB67_497
.LBB67_493:
	s_mov_b64 s[2:3], -1
                                        ; implicit-def: $vgpr3
	s_branch .LBB67_498
.LBB67_494:
	s_or_saveexec_b64 s[2:3], s[2:3]
	v_mov_b32_e32 v3, 0x7e00
	s_xor_b64 exec, exec, s[2:3]
	s_cbranch_execz .LBB67_475
.LBB67_495:
	v_cmp_ne_u16_e32 vcc, 0, v4
	s_andn2_b64 s[0:1], s[0:1], exec
	s_and_b64 s[6:7], vcc, exec
	s_or_b64 s[0:1], s[0:1], s[6:7]
	v_mov_b32_e32 v3, v4
	s_or_b64 exec, exec, s[2:3]
	s_and_saveexec_b64 s[2:3], s[0:1]
	s_cbranch_execnz .LBB67_476
	s_branch .LBB67_477
.LBB67_496:
	s_mov_b64 s[8:9], -1
                                        ; implicit-def: $vgpr3
.LBB67_497:
	s_mov_b64 s[2:3], 0
.LBB67_498:
	s_and_b64 vcc, exec, s[2:3]
	s_cbranch_vccz .LBB67_502
; %bb.499:
	s_cmp_eq_u32 s10, 11
	s_cbranch_scc0 .LBB67_501
; %bb.500:
	global_load_ubyte v3, v[1:2], off
	v_mov_b32_e32 v4, 0x3c00
	s_mov_b64 s[0:1], -1
	s_mov_b64 s[8:9], 0
	s_waitcnt vmcnt(0)
	v_cmp_ne_u16_e32 vcc, 0, v3
	v_cndmask_b32_e32 v3, 0, v4, vcc
	s_branch .LBB67_502
.LBB67_501:
	s_mov_b64 s[8:9], -1
                                        ; implicit-def: $vgpr3
.LBB67_502:
	s_branch .LBB67_299
.LBB67_503:
	s_cmp_lt_i32 s10, 5
	s_cbranch_scc1 .LBB67_508
; %bb.504:
	s_cmp_lt_i32 s10, 8
	s_cbranch_scc1 .LBB67_509
; %bb.505:
	;; [unrolled: 3-line block ×3, first 2 shown]
	s_cmp_gt_i32 s10, 9
	s_cbranch_scc0 .LBB67_511
; %bb.507:
	global_load_dwordx2 v[3:4], v[1:2], off
	s_movk_i32 s0, 0x1ff
	s_movk_i32 s1, 0xffe
	v_mov_b32_e32 v5, 0x7c00
	v_mov_b32_e32 v6, 0x7e00
	s_movk_i32 s2, 0x40f
	s_mov_b32 s3, 0x8000
	s_waitcnt vmcnt(0)
	v_and_or_b32 v3, v4, s0, v3
	v_cmp_ne_u32_e32 vcc, 0, v3
	v_lshrrev_b32_e32 v7, 8, v4
	v_bfe_u32 v9, v4, 20, 11
	v_cndmask_b32_e64 v3, 0, 1, vcc
	v_sub_u32_e32 v10, 0x3f1, v9
	v_and_or_b32 v3, v7, s1, v3
	v_add_u32_e32 v9, 0xfffffc10, v9
	v_med3_i32 v7, v10, 0, 13
	v_or_b32_e32 v10, 0x1000, v3
	v_cmp_ne_u32_e32 vcc, 0, v3
	v_lshl_or_b32 v11, v9, 12, v3
	v_cndmask_b32_e32 v3, v5, v6, vcc
	v_lshrrev_b32_e32 v6, v7, v10
	v_lshlrev_b32_e32 v7, v7, v6
	v_cmp_ne_u32_e32 vcc, v7, v10
	v_cndmask_b32_e64 v7, 0, 1, vcc
	v_or_b32_e32 v6, v6, v7
	v_cmp_gt_i32_e32 vcc, 1, v9
	v_cndmask_b32_e32 v6, v11, v6, vcc
	v_and_b32_e32 v7, 7, v6
	v_cmp_lt_i32_e32 vcc, 5, v7
	v_cndmask_b32_e64 v10, 0, 1, vcc
	v_cmp_eq_u32_e32 vcc, 3, v7
	v_cndmask_b32_e64 v7, 0, 1, vcc
	v_lshrrev_b32_e32 v6, 2, v6
	v_or_b32_e32 v7, v7, v10
	v_add_u32_e32 v6, v6, v7
	v_cmp_gt_i32_e32 vcc, 31, v9
	v_cndmask_b32_e32 v5, v5, v6, vcc
	v_cmp_eq_u32_e32 vcc, s2, v9
	v_lshrrev_b32_e32 v4, 16, v4
	v_cndmask_b32_e32 v3, v5, v3, vcc
	v_and_or_b32 v3, v4, s3, v3
	s_mov_b64 s[0:1], 0
	s_branch .LBB67_512
.LBB67_508:
	s_mov_b64 s[0:1], -1
                                        ; implicit-def: $vgpr3
	s_branch .LBB67_530
.LBB67_509:
	s_mov_b64 s[0:1], -1
                                        ; implicit-def: $vgpr3
	s_branch .LBB67_518
.LBB67_510:
	s_mov_b64 s[0:1], -1
                                        ; implicit-def: $vgpr3
	s_branch .LBB67_515
.LBB67_511:
	s_mov_b64 s[0:1], -1
                                        ; implicit-def: $vgpr3
.LBB67_512:
	s_andn2_b64 vcc, exec, s[0:1]
	s_cbranch_vccnz .LBB67_514
; %bb.513:
	global_load_dword v3, v[1:2], off
	s_waitcnt vmcnt(0)
	v_cvt_f16_f32_e32 v3, v3
.LBB67_514:
	s_mov_b64 s[0:1], 0
.LBB67_515:
	s_andn2_b64 vcc, exec, s[0:1]
	s_cbranch_vccnz .LBB67_517
; %bb.516:
	global_load_dword v3, v[1:2], off
.LBB67_517:
	s_mov_b64 s[0:1], 0
.LBB67_518:
	s_andn2_b64 vcc, exec, s[0:1]
	s_cbranch_vccnz .LBB67_529
; %bb.519:
	s_cmp_lt_i32 s10, 6
	s_cbranch_scc1 .LBB67_522
; %bb.520:
	s_cmp_gt_i32 s10, 6
	s_cbranch_scc0 .LBB67_523
; %bb.521:
	global_load_dwordx2 v[3:4], v[1:2], off
	s_movk_i32 s0, 0x1ff
	s_movk_i32 s1, 0xffe
	v_mov_b32_e32 v5, 0x7c00
	v_mov_b32_e32 v6, 0x7e00
	s_movk_i32 s2, 0x40f
	s_mov_b32 s3, 0x8000
	s_waitcnt vmcnt(0)
	v_and_or_b32 v3, v4, s0, v3
	v_cmp_ne_u32_e32 vcc, 0, v3
	v_lshrrev_b32_e32 v7, 8, v4
	v_bfe_u32 v9, v4, 20, 11
	v_cndmask_b32_e64 v3, 0, 1, vcc
	v_sub_u32_e32 v10, 0x3f1, v9
	v_and_or_b32 v3, v7, s1, v3
	v_add_u32_e32 v9, 0xfffffc10, v9
	v_med3_i32 v7, v10, 0, 13
	v_or_b32_e32 v10, 0x1000, v3
	v_cmp_ne_u32_e32 vcc, 0, v3
	v_lshl_or_b32 v11, v9, 12, v3
	v_cndmask_b32_e32 v3, v5, v6, vcc
	v_lshrrev_b32_e32 v6, v7, v10
	v_lshlrev_b32_e32 v7, v7, v6
	v_cmp_ne_u32_e32 vcc, v7, v10
	v_cndmask_b32_e64 v7, 0, 1, vcc
	v_or_b32_e32 v6, v6, v7
	v_cmp_gt_i32_e32 vcc, 1, v9
	v_cndmask_b32_e32 v6, v11, v6, vcc
	v_and_b32_e32 v7, 7, v6
	v_cmp_lt_i32_e32 vcc, 5, v7
	v_cndmask_b32_e64 v10, 0, 1, vcc
	v_cmp_eq_u32_e32 vcc, 3, v7
	v_cndmask_b32_e64 v7, 0, 1, vcc
	v_lshrrev_b32_e32 v6, 2, v6
	v_or_b32_e32 v7, v7, v10
	v_add_u32_e32 v6, v6, v7
	v_cmp_gt_i32_e32 vcc, 31, v9
	v_cndmask_b32_e32 v5, v5, v6, vcc
	v_cmp_eq_u32_e32 vcc, s2, v9
	v_lshrrev_b32_e32 v4, 16, v4
	v_cndmask_b32_e32 v3, v5, v3, vcc
	v_and_or_b32 v3, v4, s3, v3
	s_mov_b64 s[0:1], 0
	s_branch .LBB67_524
.LBB67_522:
	s_mov_b64 s[0:1], -1
                                        ; implicit-def: $vgpr3
	s_branch .LBB67_527
.LBB67_523:
	s_mov_b64 s[0:1], -1
                                        ; implicit-def: $vgpr3
.LBB67_524:
	s_andn2_b64 vcc, exec, s[0:1]
	s_cbranch_vccnz .LBB67_526
; %bb.525:
	global_load_dword v3, v[1:2], off
	s_waitcnt vmcnt(0)
	v_cvt_f16_f32_e32 v3, v3
.LBB67_526:
	s_mov_b64 s[0:1], 0
.LBB67_527:
	s_andn2_b64 vcc, exec, s[0:1]
	s_cbranch_vccnz .LBB67_529
; %bb.528:
	global_load_ushort v3, v[1:2], off
.LBB67_529:
	s_mov_b64 s[0:1], 0
.LBB67_530:
	s_andn2_b64 vcc, exec, s[0:1]
	s_cbranch_vccnz .LBB67_550
; %bb.531:
	s_cmp_lt_i32 s10, 2
	s_cbranch_scc1 .LBB67_535
; %bb.532:
	s_cmp_lt_i32 s10, 3
	s_cbranch_scc1 .LBB67_536
; %bb.533:
	s_cmp_gt_i32 s10, 3
	s_cbranch_scc0 .LBB67_537
; %bb.534:
	global_load_dwordx2 v[3:4], v[1:2], off
	s_mov_b64 s[0:1], 0
	s_waitcnt vmcnt(0)
	v_xor_b32_e32 v6, v3, v4
	v_ffbh_i32_e32 v5, v4
	v_ashrrev_i32_e32 v6, 31, v6
	v_add_u32_e32 v5, -1, v5
	v_add_u32_e32 v6, 32, v6
	v_min_u32_e32 v5, v5, v6
	v_lshlrev_b64 v[3:4], v5, v[3:4]
	v_min_u32_e32 v3, 1, v3
	v_or_b32_e32 v3, v4, v3
	v_cvt_f32_i32_e32 v3, v3
	v_sub_u32_e32 v4, 32, v5
	v_ldexp_f32 v3, v3, v4
	v_cvt_f16_f32_e32 v3, v3
	s_branch .LBB67_538
.LBB67_535:
	s_mov_b64 s[0:1], -1
                                        ; implicit-def: $vgpr3
	s_branch .LBB67_544
.LBB67_536:
	s_mov_b64 s[0:1], -1
                                        ; implicit-def: $vgpr3
	s_branch .LBB67_541
.LBB67_537:
	s_mov_b64 s[0:1], -1
                                        ; implicit-def: $vgpr3
.LBB67_538:
	s_andn2_b64 vcc, exec, s[0:1]
	s_cbranch_vccnz .LBB67_540
; %bb.539:
	global_load_dword v3, v[1:2], off
	s_waitcnt vmcnt(0)
	v_cvt_f32_i32_e32 v3, v3
	v_cvt_f16_f32_e32 v3, v3
.LBB67_540:
	s_mov_b64 s[0:1], 0
.LBB67_541:
	s_andn2_b64 vcc, exec, s[0:1]
	s_cbranch_vccnz .LBB67_543
; %bb.542:
	global_load_ushort v3, v[1:2], off
	s_waitcnt vmcnt(0)
	v_cvt_f16_i16_e32 v3, v3
.LBB67_543:
	s_mov_b64 s[0:1], 0
.LBB67_544:
	s_andn2_b64 vcc, exec, s[0:1]
	s_cbranch_vccnz .LBB67_550
; %bb.545:
	s_cmp_gt_i32 s10, 0
	s_cbranch_scc0 .LBB67_547
; %bb.546:
	global_load_sbyte v3, v[1:2], off
	s_mov_b64 s[0:1], 0
	s_waitcnt vmcnt(0)
	v_cvt_f16_i16_e32 v3, v3
	s_branch .LBB67_548
.LBB67_547:
	s_mov_b64 s[0:1], -1
                                        ; implicit-def: $vgpr3
.LBB67_548:
	s_andn2_b64 vcc, exec, s[0:1]
	s_cbranch_vccnz .LBB67_550
; %bb.549:
	global_load_ubyte v1, v[1:2], off
	s_waitcnt vmcnt(0)
	v_cvt_f16_u16_e32 v3, v1
.LBB67_550:
	s_branch .LBB67_300
.LBB67_551:
	s_mov_b64 s[2:3], 0
	s_mov_b64 s[0:1], s[54:55]
.LBB67_552:
                                        ; implicit-def: $vgpr8
.LBB67_553:
	s_andn2_b64 s[6:7], s[54:55], exec
	s_and_b64 s[0:1], s[0:1], exec
	s_or_b64 s[62:63], s[6:7], s[0:1]
	s_andn2_b64 s[0:1], s[56:57], exec
	s_and_b64 s[6:7], s[8:9], exec
	s_or_b64 s[60:61], s[0:1], s[6:7]
	s_orn2_b64 s[0:1], s[2:3], exec
.LBB67_554:
	s_or_b64 exec, exec, s[64:65]
	s_mov_b64 s[2:3], 0
	s_mov_b64 s[8:9], 0
	;; [unrolled: 1-line block ×3, first 2 shown]
                                        ; implicit-def: $vgpr1_vgpr2
                                        ; implicit-def: $vgpr0
                                        ; implicit-def: $vgpr4
	s_and_saveexec_b64 s[64:65], s[0:1]
	s_cbranch_execz .LBB67_935
; %bb.555:
	v_cmp_gt_i32_e32 vcc, s70, v8
	s_mov_b64 s[2:3], -1
	s_mov_b64 s[6:7], s[60:61]
	s_mov_b64 s[68:69], s[62:63]
	s_and_saveexec_b64 s[66:67], vcc
	s_cbranch_execz .LBB67_835
; %bb.556:
	s_andn2_b64 vcc, exec, s[42:43]
	s_cbranch_vccnz .LBB67_561
; %bb.557:
	s_andn2_b64 vcc, exec, s[52:53]
	s_cbranch_vccnz .LBB67_562
; %bb.558:
	s_add_i32 s76, s75, 1
	s_cmp_eq_u32 s72, 2
	s_cbranch_scc1 .LBB67_563
; %bb.559:
	s_and_b32 s71, s76, 28
	v_mov_b32_e32 v2, 0
	s_mov_b32 s77, 0
	s_mov_b64 s[6:7], s[34:35]
	s_mov_b64 s[68:69], s[50:51]
	v_mov_b32_e32 v0, 0
	v_mov_b32_e32 v1, v8
.LBB67_560:                             ; =>This Inner Loop Header: Depth=1
	s_load_dwordx8 s[16:23], s[6:7], 0x4
	s_load_dwordx4 s[0:3], s[6:7], 0x24
	s_load_dwordx8 s[8:15], s[68:69], 0x0
	s_add_u32 s6, s6, 48
	s_addc_u32 s7, s7, 0
	s_waitcnt vmcnt(0) lgkmcnt(0)
	v_mul_hi_u32 v3, s17, v1
	s_add_i32 s77, s77, 4
	s_add_u32 s68, s68, 32
	s_addc_u32 s69, s69, 0
	v_add_u32_e32 v3, v1, v3
	v_lshrrev_b32_e32 v3, s18, v3
	v_mul_lo_u32 v4, v3, s16
	v_mul_hi_u32 v5, s20, v3
	s_cmp_eq_u32 s71, s77
	v_sub_u32_e32 v1, v1, v4
	v_add_u32_e32 v4, v3, v5
	v_mul_lo_u32 v5, v1, s8
	v_mul_lo_u32 v6, v1, s9
	v_lshrrev_b32_e32 v1, s21, v4
	v_mul_lo_u32 v4, v1, s19
	v_mul_hi_u32 v7, s23, v1
	v_sub_u32_e32 v3, v3, v4
	v_add_u32_e32 v4, v1, v7
	v_lshrrev_b32_e32 v4, s0, v4
	v_mul_hi_u32 v9, s2, v4
	v_mul_lo_u32 v10, v4, s22
	v_mul_lo_u32 v7, v3, s10
	;; [unrolled: 1-line block ×3, first 2 shown]
	v_sub_u32_e32 v10, v1, v10
	v_add_u32_e32 v1, v4, v9
	v_lshrrev_b32_e32 v1, s3, v1
	v_mul_lo_u32 v9, v1, s1
	v_mul_lo_u32 v11, v10, s12
	;; [unrolled: 1-line block ×3, first 2 shown]
	v_add3_u32 v0, v5, v0, v7
	v_sub_u32_e32 v4, v4, v9
	v_mul_lo_u32 v9, v4, s14
	v_mul_lo_u32 v4, v4, s15
	v_add3_u32 v2, v6, v2, v3
	v_add3_u32 v0, v11, v0, v9
	v_add3_u32 v2, v10, v2, v4
	s_cbranch_scc0 .LBB67_560
	s_branch .LBB67_564
.LBB67_561:
	s_mov_b64 s[0:1], -1
                                        ; implicit-def: $vgpr0
                                        ; implicit-def: $vgpr2
	s_branch .LBB67_568
.LBB67_562:
	v_mov_b32_e32 v0, 0
	v_mov_b32_e32 v2, 0
	s_branch .LBB67_567
.LBB67_563:
	s_mov_b32 s71, 0
	v_mov_b32_e32 v0, 0
	v_mov_b32_e32 v2, 0
	;; [unrolled: 1-line block ×3, first 2 shown]
.LBB67_564:
	s_and_b32 s6, s76, 3
	s_cmp_eq_u32 s6, 0
	s_cbranch_scc1 .LBB67_567
; %bb.565:
	s_lshl_b32 s0, s71, 3
	s_add_u32 s0, s34, s0
	s_addc_u32 s1, s35, 0
	s_add_u32 s0, s0, 0xc4
	s_addc_u32 s1, s1, 0
	s_mul_i32 s2, s71, 12
	s_add_u32 s2, s34, s2
	s_addc_u32 s3, s35, 0
.LBB67_566:                             ; =>This Inner Loop Header: Depth=1
	s_load_dwordx2 s[8:9], s[2:3], 0x4
	s_load_dword s7, s[2:3], 0xc
	s_load_dwordx2 s[10:11], s[0:1], 0x0
	s_add_u32 s2, s2, 12
	s_addc_u32 s3, s3, 0
	s_waitcnt vmcnt(0) lgkmcnt(0)
	v_mul_hi_u32 v3, s9, v1
	s_add_u32 s0, s0, 8
	s_addc_u32 s1, s1, 0
	s_add_i32 s6, s6, -1
	v_add_u32_e32 v3, v1, v3
	v_lshrrev_b32_e32 v4, s7, v3
	v_mul_lo_u32 v3, v4, s8
	s_cmp_lg_u32 s6, 0
	v_sub_u32_e32 v3, v1, v3
	v_mad_u64_u32 v[0:1], s[8:9], v3, s10, v[0:1]
	v_mad_u64_u32 v[2:3], s[8:9], v3, s11, v[2:3]
	v_mov_b32_e32 v1, v4
	s_cbranch_scc1 .LBB67_566
.LBB67_567:
	s_mov_b64 s[0:1], 0
.LBB67_568:
	s_andn2_b64 vcc, exec, s[0:1]
	s_cbranch_vccnz .LBB67_571
; %bb.569:
	s_waitcnt lgkmcnt(0)
	v_mul_hi_u32 v0, s37, v8
	s_andn2_b64 vcc, exec, s[48:49]
	v_add_u32_e32 v0, v8, v0
	v_lshrrev_b32_e32 v1, s38, v0
	v_mul_lo_u32 v0, v1, s36
	v_sub_u32_e32 v2, v8, v0
	v_mul_lo_u32 v0, v2, s28
	v_mul_lo_u32 v2, v2, s29
	s_cbranch_vccnz .LBB67_571
; %bb.570:
	s_waitcnt vmcnt(0)
	v_mul_hi_u32 v3, s46, v1
	v_add_u32_e32 v3, v1, v3
	v_lshrrev_b32_e32 v3, s47, v3
	v_mul_lo_u32 v3, v3, s39
	v_sub_u32_e32 v3, v1, v3
	v_mad_u64_u32 v[0:1], s[0:1], v3, s30, v[0:1]
	v_mad_u64_u32 v[2:3], s[0:1], v3, s31, v[2:3]
.LBB67_571:
	s_waitcnt vmcnt(0) lgkmcnt(0)
	v_mov_b32_e32 v3, s27
	s_and_b32 s10, 0xffff, s74
	v_add_co_u32_e32 v1, vcc, s26, v2
	s_cmp_lt_i32 s10, 11
	v_addc_co_u32_e32 v2, vcc, 0, v3, vcc
	s_cbranch_scc1 .LBB67_578
; %bb.572:
	s_cmp_gt_i32 s10, 25
	s_cbranch_scc0 .LBB67_579
; %bb.573:
	s_cmp_gt_i32 s10, 28
	s_cbranch_scc0 .LBB67_580
; %bb.574:
	s_cmp_gt_i32 s10, 43
	s_cbranch_scc0 .LBB67_581
; %bb.575:
	s_cmp_gt_i32 s10, 45
	s_cbranch_scc0 .LBB67_584
; %bb.576:
	s_cmp_eq_u32 s10, 46
	s_mov_b64 s[2:3], 0
	s_cbranch_scc0 .LBB67_587
; %bb.577:
	global_load_dword v3, v[1:2], off
	s_mov_b64 s[0:1], -1
	s_mov_b64 s[8:9], 0
	s_waitcnt vmcnt(0)
	v_lshlrev_b32_e32 v3, 16, v3
	v_cvt_f16_f32_e32 v3, v3
	s_branch .LBB67_588
.LBB67_578:
	s_mov_b64 s[2:3], -1
	s_mov_b64 s[0:1], 0
                                        ; implicit-def: $vgpr3
	s_mov_b64 s[8:9], s[60:61]
	s_branch .LBB67_653
.LBB67_579:
	s_mov_b64 s[2:3], -1
	s_mov_b64 s[0:1], 0
	s_mov_b64 s[8:9], s[60:61]
                                        ; implicit-def: $vgpr3
	s_branch .LBB67_617
.LBB67_580:
	s_mov_b64 s[2:3], -1
	s_mov_b64 s[0:1], 0
	s_mov_b64 s[8:9], s[60:61]
                                        ; implicit-def: $vgpr3
	s_branch .LBB67_598
.LBB67_581:
	s_mov_b64 s[2:3], -1
	s_mov_b64 s[0:1], 0
	s_mov_b64 s[8:9], s[60:61]
                                        ; implicit-def: $vgpr3
	s_branch .LBB67_593
.LBB67_582:
	s_andn2_saveexec_b64 s[10:11], s[10:11]
	s_cbranch_execz .LBB67_351
.LBB67_583:
	s_mov_b32 s14, 0x46000000
	v_add_f32_e64 v4, |v3|, s14
	v_and_b32_e32 v4, 0xff, v4
	v_cmp_ne_u32_e32 vcc, 0, v4
	s_andn2_b64 s[6:7], s[6:7], exec
	s_and_b64 s[14:15], vcc, exec
	s_or_b64 s[6:7], s[6:7], s[14:15]
	s_or_b64 exec, exec, s[10:11]
	v_mov_b32_e32 v5, 0
	s_and_saveexec_b64 s[10:11], s[6:7]
	s_cbranch_execnz .LBB67_352
	s_branch .LBB67_353
.LBB67_584:
	s_mov_b64 s[2:3], -1
	s_mov_b64 s[0:1], 0
	s_mov_b64 s[8:9], s[60:61]
                                        ; implicit-def: $vgpr3
	s_branch .LBB67_588
.LBB67_585:
	s_andn2_saveexec_b64 s[10:11], s[10:11]
	s_cbranch_execz .LBB67_364
.LBB67_586:
	s_mov_b32 s14, 0x42800000
	v_add_f32_e64 v4, |v3|, s14
	v_and_b32_e32 v4, 0xff, v4
	v_cmp_ne_u32_e32 vcc, 0, v4
	s_andn2_b64 s[6:7], s[6:7], exec
	s_and_b64 s[14:15], vcc, exec
	s_or_b64 s[6:7], s[6:7], s[14:15]
	s_or_b64 exec, exec, s[10:11]
	v_mov_b32_e32 v5, 0
	s_and_saveexec_b64 s[10:11], s[6:7]
	s_cbranch_execnz .LBB67_365
	s_branch .LBB67_366
.LBB67_587:
	s_mov_b64 s[8:9], -1
                                        ; implicit-def: $vgpr3
	s_mov_b64 s[0:1], 0
.LBB67_588:
	s_and_b64 vcc, exec, s[2:3]
	s_cbranch_vccz .LBB67_592
; %bb.589:
	s_cmp_eq_u32 s10, 44
	s_cbranch_scc0 .LBB67_591
; %bb.590:
	global_load_ubyte v3, v[1:2], off
	s_movk_i32 s2, 0xff
	v_mov_b32_e32 v5, 0x7e00
	s_mov_b64 s[0:1], -1
	s_mov_b64 s[8:9], 0
	s_waitcnt vmcnt(0)
	v_lshlrev_b32_e32 v4, 23, v3
	v_cvt_f16_f32_e32 v4, v4
	v_cmp_ne_u32_e32 vcc, s2, v3
	v_cndmask_b32_e32 v4, v5, v4, vcc
	v_cmp_ne_u32_e32 vcc, 0, v3
	v_cndmask_b32_e32 v3, 0, v4, vcc
	s_branch .LBB67_592
.LBB67_591:
	s_mov_b64 s[8:9], -1
                                        ; implicit-def: $vgpr3
.LBB67_592:
	s_mov_b64 s[2:3], 0
.LBB67_593:
	s_and_b64 vcc, exec, s[2:3]
	s_cbranch_vccz .LBB67_597
; %bb.594:
	s_cmp_eq_u32 s10, 29
	s_cbranch_scc0 .LBB67_596
; %bb.595:
	global_load_dwordx2 v[3:4], v[1:2], off
	s_mov_b64 s[0:1], -1
	s_mov_b64 s[8:9], 0
	s_mov_b64 s[2:3], 0
	s_waitcnt vmcnt(0)
	v_ffbh_u32_e32 v5, v4
	v_min_u32_e32 v5, 32, v5
	v_lshlrev_b64 v[3:4], v5, v[3:4]
	v_min_u32_e32 v3, 1, v3
	v_or_b32_e32 v3, v4, v3
	v_cvt_f32_u32_e32 v3, v3
	v_sub_u32_e32 v4, 32, v5
	v_ldexp_f32 v3, v3, v4
	v_cvt_f16_f32_e32 v3, v3
	s_branch .LBB67_598
.LBB67_596:
	s_mov_b64 s[8:9], -1
                                        ; implicit-def: $vgpr3
.LBB67_597:
	s_mov_b64 s[2:3], 0
.LBB67_598:
	s_and_b64 vcc, exec, s[2:3]
	s_cbranch_vccz .LBB67_616
; %bb.599:
	s_cmp_lt_i32 s10, 27
	s_cbranch_scc1 .LBB67_602
; %bb.600:
	s_cmp_gt_i32 s10, 27
	s_cbranch_scc0 .LBB67_603
; %bb.601:
	global_load_dword v3, v[1:2], off
	s_mov_b64 s[0:1], 0
	s_waitcnt vmcnt(0)
	v_cvt_f32_u32_e32 v3, v3
	v_cvt_f16_f32_e32 v3, v3
	s_branch .LBB67_604
.LBB67_602:
	s_mov_b64 s[0:1], -1
                                        ; implicit-def: $vgpr3
	s_branch .LBB67_607
.LBB67_603:
	s_mov_b64 s[0:1], -1
                                        ; implicit-def: $vgpr3
.LBB67_604:
	s_andn2_b64 vcc, exec, s[0:1]
	s_cbranch_vccnz .LBB67_606
; %bb.605:
	global_load_ushort v3, v[1:2], off
	s_waitcnt vmcnt(0)
	v_cvt_f16_u16_e32 v3, v3
.LBB67_606:
	s_mov_b64 s[0:1], 0
.LBB67_607:
	s_andn2_b64 vcc, exec, s[0:1]
	s_cbranch_vccnz .LBB67_615
; %bb.608:
	global_load_ubyte v4, v[1:2], off
	s_movk_i32 s0, 0x7f
	s_waitcnt vmcnt(0)
	v_cmp_lt_i16_e32 vcc, s0, v4
	s_mov_b64 s[0:1], 0
	s_and_saveexec_b64 s[2:3], vcc
	s_xor_b64 s[2:3], exec, s[2:3]
	s_cbranch_execz .LBB67_629
; %bb.609:
	s_movk_i32 s0, 0x80
	v_cmp_eq_u16_e32 vcc, s0, v4
	s_mov_b64 s[0:1], -1
	s_and_saveexec_b64 s[6:7], vcc
; %bb.610:
	s_xor_b64 s[0:1], exec, -1
; %bb.611:
	s_or_b64 exec, exec, s[6:7]
	s_and_b64 s[0:1], s[0:1], exec
	s_or_saveexec_b64 s[2:3], s[2:3]
	v_mov_b32_e32 v3, 0x7e00
	s_xor_b64 exec, exec, s[2:3]
	s_cbranch_execnz .LBB67_630
.LBB67_612:
	s_or_b64 exec, exec, s[2:3]
	s_and_saveexec_b64 s[2:3], s[0:1]
	s_cbranch_execz .LBB67_614
.LBB67_613:
	v_lshlrev_b32_e32 v3, 24, v4
	v_and_b32_e32 v4, 0xffff, v4
	v_and_b32_e32 v5, 7, v4
	v_ffbh_u32_e32 v7, v5
	v_min_u32_e32 v7, 32, v7
	v_subrev_u32_e32 v9, 28, v7
	v_bfe_u32 v6, v4, 3, 4
	v_lshlrev_b32_e32 v4, v9, v4
	v_sub_u32_e32 v7, 29, v7
	v_and_b32_e32 v4, 7, v4
	v_cmp_eq_u32_e32 vcc, 0, v6
	v_cndmask_b32_e32 v6, v6, v7, vcc
	v_cndmask_b32_e32 v4, v5, v4, vcc
	v_mov_b32_e32 v5, 0x3b800000
	v_lshlrev_b32_e32 v4, 20, v4
	v_and_b32_e32 v3, 0x80000000, v3
	v_lshl_add_u32 v5, v6, 23, v5
	v_or3_b32 v3, v3, v5, v4
	v_cvt_f16_f32_e32 v3, v3
.LBB67_614:
	s_or_b64 exec, exec, s[2:3]
.LBB67_615:
	s_mov_b64 s[0:1], -1
.LBB67_616:
	s_mov_b64 s[2:3], 0
.LBB67_617:
	s_and_b64 vcc, exec, s[2:3]
	s_cbranch_vccz .LBB67_652
; %bb.618:
	s_cmp_gt_i32 s10, 22
	s_cbranch_scc0 .LBB67_628
; %bb.619:
	s_cmp_lt_i32 s10, 24
	s_cbranch_scc1 .LBB67_631
; %bb.620:
	s_cmp_gt_i32 s10, 24
	s_cbranch_scc0 .LBB67_632
; %bb.621:
	global_load_ubyte v4, v[1:2], off
	s_movk_i32 s0, 0x7f
	s_waitcnt vmcnt(0)
	v_cmp_lt_i16_e32 vcc, s0, v4
	s_mov_b64 s[0:1], 0
	s_and_saveexec_b64 s[2:3], vcc
	s_xor_b64 s[2:3], exec, s[2:3]
	s_cbranch_execz .LBB67_644
; %bb.622:
	s_movk_i32 s0, 0x80
	v_cmp_eq_u16_e32 vcc, s0, v4
	s_mov_b64 s[0:1], -1
	s_and_saveexec_b64 s[6:7], vcc
; %bb.623:
	s_xor_b64 s[0:1], exec, -1
; %bb.624:
	s_or_b64 exec, exec, s[6:7]
	s_and_b64 s[0:1], s[0:1], exec
	s_or_saveexec_b64 s[2:3], s[2:3]
	v_mov_b32_e32 v3, 0x7e00
	s_xor_b64 exec, exec, s[2:3]
	s_cbranch_execnz .LBB67_645
.LBB67_625:
	s_or_b64 exec, exec, s[2:3]
	s_and_saveexec_b64 s[2:3], s[0:1]
	s_cbranch_execz .LBB67_627
.LBB67_626:
	v_lshlrev_b32_e32 v3, 24, v4
	v_and_b32_e32 v4, 0xffff, v4
	v_and_b32_e32 v5, 3, v4
	v_ffbh_u32_e32 v7, v5
	v_min_u32_e32 v7, 32, v7
	v_subrev_u32_e32 v9, 29, v7
	v_bfe_u32 v6, v4, 2, 5
	v_lshlrev_b32_e32 v4, v9, v4
	v_sub_u32_e32 v7, 30, v7
	v_and_b32_e32 v4, 3, v4
	v_cmp_eq_u32_e32 vcc, 0, v6
	v_cndmask_b32_e32 v6, v6, v7, vcc
	v_cndmask_b32_e32 v4, v5, v4, vcc
	v_mov_b32_e32 v5, 0x37800000
	v_lshlrev_b32_e32 v4, 21, v4
	v_and_b32_e32 v3, 0x80000000, v3
	v_lshl_add_u32 v5, v6, 23, v5
	v_or3_b32 v3, v3, v5, v4
	v_cvt_f16_f32_e32 v3, v3
.LBB67_627:
	s_or_b64 exec, exec, s[2:3]
	s_mov_b64 s[0:1], 0
	s_branch .LBB67_633
.LBB67_628:
	s_mov_b64 s[2:3], -1
                                        ; implicit-def: $vgpr3
	s_branch .LBB67_639
.LBB67_629:
	s_or_saveexec_b64 s[2:3], s[2:3]
	v_mov_b32_e32 v3, 0x7e00
	s_xor_b64 exec, exec, s[2:3]
	s_cbranch_execz .LBB67_612
.LBB67_630:
	v_cmp_ne_u16_e32 vcc, 0, v4
	s_andn2_b64 s[0:1], s[0:1], exec
	s_and_b64 s[6:7], vcc, exec
	s_or_b64 s[0:1], s[0:1], s[6:7]
	v_mov_b32_e32 v3, v4
	s_or_b64 exec, exec, s[2:3]
	s_and_saveexec_b64 s[2:3], s[0:1]
	s_cbranch_execnz .LBB67_613
	s_branch .LBB67_614
.LBB67_631:
	s_mov_b64 s[0:1], -1
                                        ; implicit-def: $vgpr3
	s_branch .LBB67_636
.LBB67_632:
	s_mov_b64 s[0:1], -1
                                        ; implicit-def: $vgpr3
.LBB67_633:
	s_and_b64 vcc, exec, s[0:1]
	s_cbranch_vccz .LBB67_635
; %bb.634:
	global_load_ubyte v3, v[1:2], off
	s_mov_b32 s0, 0x7f800000
	s_waitcnt vmcnt(0)
	v_lshlrev_b32_e32 v3, 24, v3
	v_and_b32_e32 v4, 0x7f000000, v3
	v_ffbh_u32_e32 v5, v4
	v_min_u32_e32 v5, 32, v5
	v_sub_u32_e64 v5, v5, 4 clamp
	v_lshlrev_b32_e32 v7, v5, v4
	v_lshlrev_b32_e32 v5, 23, v5
	v_lshrrev_b32_e32 v7, 4, v7
	v_add_u32_e32 v6, 0x1000000, v4
	v_sub_u32_e32 v5, v7, v5
	v_ashrrev_i32_e32 v6, 8, v6
	v_add_u32_e32 v5, 0x3c000000, v5
	v_and_or_b32 v5, v6, s0, v5
	v_cmp_ne_u32_e32 vcc, 0, v4
	v_cndmask_b32_e32 v4, 0, v5, vcc
	s_brev_b32 s0, 1
	v_and_or_b32 v3, v3, s0, v4
	v_cvt_f16_f32_e32 v3, v3
.LBB67_635:
	s_mov_b64 s[0:1], 0
.LBB67_636:
	s_andn2_b64 vcc, exec, s[0:1]
	s_cbranch_vccnz .LBB67_638
; %bb.637:
	global_load_ubyte v3, v[1:2], off
	s_movk_i32 s0, 0x7f00
	s_brev_b32 s1, 16
	s_waitcnt vmcnt(0)
	v_lshlrev_b16_e32 v4, 8, v3
	v_lshlrev_b32_e32 v3, 25, v3
	v_lshrrev_b32_e32 v5, 4, v3
	v_and_or_b32 v6, v4, s0, 0.5
	v_or_b32_e32 v5, 0x70000000, v5
	v_add_f32_e32 v6, -0.5, v6
	v_mul_f32_e32 v5, 0x7800000, v5
	v_cmp_gt_u32_e32 vcc, s1, v3
	v_bfe_i32 v4, v4, 0, 16
	v_cndmask_b32_e32 v3, v5, v6, vcc
	s_brev_b32 s0, 1
	v_and_or_b32 v3, v4, s0, v3
	v_cvt_f16_f32_e32 v3, v3
.LBB67_638:
	s_mov_b64 s[2:3], 0
	s_mov_b64 s[0:1], -1
.LBB67_639:
	s_andn2_b64 vcc, exec, s[2:3]
	s_cbranch_vccnz .LBB67_652
; %bb.640:
	s_cmp_gt_i32 s10, 14
	s_cbranch_scc0 .LBB67_643
; %bb.641:
	s_cmp_eq_u32 s10, 15
	s_cbranch_scc0 .LBB67_646
; %bb.642:
	global_load_ushort v3, v[1:2], off
	s_mov_b64 s[0:1], -1
	s_mov_b64 s[8:9], 0
	s_waitcnt vmcnt(0)
	v_lshlrev_b32_e32 v3, 16, v3
	v_cvt_f16_f32_e32 v3, v3
	s_branch .LBB67_647
.LBB67_643:
	s_mov_b64 s[2:3], -1
                                        ; implicit-def: $vgpr3
	s_branch .LBB67_648
.LBB67_644:
	s_or_saveexec_b64 s[2:3], s[2:3]
	v_mov_b32_e32 v3, 0x7e00
	s_xor_b64 exec, exec, s[2:3]
	s_cbranch_execz .LBB67_625
.LBB67_645:
	v_cmp_ne_u16_e32 vcc, 0, v4
	s_andn2_b64 s[0:1], s[0:1], exec
	s_and_b64 s[6:7], vcc, exec
	s_or_b64 s[0:1], s[0:1], s[6:7]
	v_mov_b32_e32 v3, v4
	s_or_b64 exec, exec, s[2:3]
	s_and_saveexec_b64 s[2:3], s[0:1]
	s_cbranch_execnz .LBB67_626
	s_branch .LBB67_627
.LBB67_646:
	s_mov_b64 s[8:9], -1
                                        ; implicit-def: $vgpr3
.LBB67_647:
	s_mov_b64 s[2:3], 0
.LBB67_648:
	s_and_b64 vcc, exec, s[2:3]
	s_cbranch_vccz .LBB67_652
; %bb.649:
	s_cmp_eq_u32 s10, 11
	s_cbranch_scc0 .LBB67_651
; %bb.650:
	global_load_ubyte v3, v[1:2], off
	v_mov_b32_e32 v4, 0x3c00
	s_mov_b64 s[0:1], -1
	s_mov_b64 s[8:9], 0
	s_waitcnt vmcnt(0)
	v_cmp_ne_u16_e32 vcc, 0, v3
	v_cndmask_b32_e32 v3, 0, v4, vcc
	s_branch .LBB67_652
.LBB67_651:
	s_mov_b64 s[8:9], -1
                                        ; implicit-def: $vgpr3
.LBB67_652:
	s_mov_b64 s[2:3], 0
.LBB67_653:
	s_and_b64 vcc, exec, s[2:3]
	s_cbranch_vccz .LBB67_702
; %bb.654:
	s_cmp_lt_i32 s10, 5
	s_cbranch_scc1 .LBB67_659
; %bb.655:
	s_cmp_lt_i32 s10, 8
	s_cbranch_scc1 .LBB67_660
; %bb.656:
	s_cmp_lt_i32 s10, 9
	s_cbranch_scc1 .LBB67_661
; %bb.657:
	s_cmp_gt_i32 s10, 9
	s_cbranch_scc0 .LBB67_662
; %bb.658:
	global_load_dwordx2 v[3:4], v[1:2], off
	s_movk_i32 s0, 0x1ff
	s_movk_i32 s1, 0xffe
	v_mov_b32_e32 v5, 0x7c00
	v_mov_b32_e32 v6, 0x7e00
	s_movk_i32 s2, 0x40f
	s_mov_b32 s3, 0x8000
	s_waitcnt vmcnt(0)
	v_and_or_b32 v3, v4, s0, v3
	v_cmp_ne_u32_e32 vcc, 0, v3
	v_lshrrev_b32_e32 v7, 8, v4
	v_bfe_u32 v9, v4, 20, 11
	v_cndmask_b32_e64 v3, 0, 1, vcc
	v_sub_u32_e32 v10, 0x3f1, v9
	v_and_or_b32 v3, v7, s1, v3
	v_add_u32_e32 v9, 0xfffffc10, v9
	v_med3_i32 v7, v10, 0, 13
	v_or_b32_e32 v10, 0x1000, v3
	v_cmp_ne_u32_e32 vcc, 0, v3
	v_lshl_or_b32 v11, v9, 12, v3
	v_cndmask_b32_e32 v3, v5, v6, vcc
	v_lshrrev_b32_e32 v6, v7, v10
	v_lshlrev_b32_e32 v7, v7, v6
	v_cmp_ne_u32_e32 vcc, v7, v10
	v_cndmask_b32_e64 v7, 0, 1, vcc
	v_or_b32_e32 v6, v6, v7
	v_cmp_gt_i32_e32 vcc, 1, v9
	v_cndmask_b32_e32 v6, v11, v6, vcc
	v_and_b32_e32 v7, 7, v6
	v_cmp_lt_i32_e32 vcc, 5, v7
	v_cndmask_b32_e64 v10, 0, 1, vcc
	v_cmp_eq_u32_e32 vcc, 3, v7
	v_cndmask_b32_e64 v7, 0, 1, vcc
	v_lshrrev_b32_e32 v6, 2, v6
	v_or_b32_e32 v7, v7, v10
	v_add_u32_e32 v6, v6, v7
	v_cmp_gt_i32_e32 vcc, 31, v9
	v_cndmask_b32_e32 v5, v5, v6, vcc
	v_cmp_eq_u32_e32 vcc, s2, v9
	v_lshrrev_b32_e32 v4, 16, v4
	v_cndmask_b32_e32 v3, v5, v3, vcc
	v_and_or_b32 v3, v4, s3, v3
	s_mov_b64 s[0:1], 0
	s_branch .LBB67_663
.LBB67_659:
	s_mov_b64 s[0:1], -1
                                        ; implicit-def: $vgpr3
	s_branch .LBB67_681
.LBB67_660:
	s_mov_b64 s[0:1], -1
                                        ; implicit-def: $vgpr3
	s_branch .LBB67_669
.LBB67_661:
	s_mov_b64 s[0:1], -1
                                        ; implicit-def: $vgpr3
	s_branch .LBB67_666
.LBB67_662:
	s_mov_b64 s[0:1], -1
                                        ; implicit-def: $vgpr3
.LBB67_663:
	s_andn2_b64 vcc, exec, s[0:1]
	s_cbranch_vccnz .LBB67_665
; %bb.664:
	global_load_dword v3, v[1:2], off
	s_waitcnt vmcnt(0)
	v_cvt_f16_f32_e32 v3, v3
.LBB67_665:
	s_mov_b64 s[0:1], 0
.LBB67_666:
	s_andn2_b64 vcc, exec, s[0:1]
	s_cbranch_vccnz .LBB67_668
; %bb.667:
	global_load_dword v3, v[1:2], off
.LBB67_668:
	s_mov_b64 s[0:1], 0
.LBB67_669:
	s_andn2_b64 vcc, exec, s[0:1]
	s_cbranch_vccnz .LBB67_680
; %bb.670:
	s_cmp_lt_i32 s10, 6
	s_cbranch_scc1 .LBB67_673
; %bb.671:
	s_cmp_gt_i32 s10, 6
	s_cbranch_scc0 .LBB67_674
; %bb.672:
	global_load_dwordx2 v[3:4], v[1:2], off
	s_movk_i32 s0, 0x1ff
	s_movk_i32 s1, 0xffe
	v_mov_b32_e32 v5, 0x7c00
	v_mov_b32_e32 v6, 0x7e00
	s_movk_i32 s2, 0x40f
	s_mov_b32 s3, 0x8000
	s_waitcnt vmcnt(0)
	v_and_or_b32 v3, v4, s0, v3
	v_cmp_ne_u32_e32 vcc, 0, v3
	v_lshrrev_b32_e32 v7, 8, v4
	v_bfe_u32 v9, v4, 20, 11
	v_cndmask_b32_e64 v3, 0, 1, vcc
	v_sub_u32_e32 v10, 0x3f1, v9
	v_and_or_b32 v3, v7, s1, v3
	v_add_u32_e32 v9, 0xfffffc10, v9
	v_med3_i32 v7, v10, 0, 13
	v_or_b32_e32 v10, 0x1000, v3
	v_cmp_ne_u32_e32 vcc, 0, v3
	v_lshl_or_b32 v11, v9, 12, v3
	v_cndmask_b32_e32 v3, v5, v6, vcc
	v_lshrrev_b32_e32 v6, v7, v10
	v_lshlrev_b32_e32 v7, v7, v6
	v_cmp_ne_u32_e32 vcc, v7, v10
	v_cndmask_b32_e64 v7, 0, 1, vcc
	v_or_b32_e32 v6, v6, v7
	v_cmp_gt_i32_e32 vcc, 1, v9
	v_cndmask_b32_e32 v6, v11, v6, vcc
	v_and_b32_e32 v7, 7, v6
	v_cmp_lt_i32_e32 vcc, 5, v7
	v_cndmask_b32_e64 v10, 0, 1, vcc
	v_cmp_eq_u32_e32 vcc, 3, v7
	v_cndmask_b32_e64 v7, 0, 1, vcc
	v_lshrrev_b32_e32 v6, 2, v6
	v_or_b32_e32 v7, v7, v10
	v_add_u32_e32 v6, v6, v7
	v_cmp_gt_i32_e32 vcc, 31, v9
	v_cndmask_b32_e32 v5, v5, v6, vcc
	v_cmp_eq_u32_e32 vcc, s2, v9
	v_lshrrev_b32_e32 v4, 16, v4
	v_cndmask_b32_e32 v3, v5, v3, vcc
	v_and_or_b32 v3, v4, s3, v3
	s_mov_b64 s[0:1], 0
	s_branch .LBB67_675
.LBB67_673:
	s_mov_b64 s[0:1], -1
                                        ; implicit-def: $vgpr3
	s_branch .LBB67_678
.LBB67_674:
	s_mov_b64 s[0:1], -1
                                        ; implicit-def: $vgpr3
.LBB67_675:
	s_andn2_b64 vcc, exec, s[0:1]
	s_cbranch_vccnz .LBB67_677
; %bb.676:
	global_load_dword v3, v[1:2], off
	s_waitcnt vmcnt(0)
	v_cvt_f16_f32_e32 v3, v3
.LBB67_677:
	s_mov_b64 s[0:1], 0
.LBB67_678:
	s_andn2_b64 vcc, exec, s[0:1]
	s_cbranch_vccnz .LBB67_680
; %bb.679:
	global_load_ushort v3, v[1:2], off
.LBB67_680:
	s_mov_b64 s[0:1], 0
.LBB67_681:
	s_andn2_b64 vcc, exec, s[0:1]
	s_cbranch_vccnz .LBB67_701
; %bb.682:
	s_cmp_lt_i32 s10, 2
	s_cbranch_scc1 .LBB67_686
; %bb.683:
	s_cmp_lt_i32 s10, 3
	s_cbranch_scc1 .LBB67_687
; %bb.684:
	s_cmp_gt_i32 s10, 3
	s_cbranch_scc0 .LBB67_688
; %bb.685:
	global_load_dwordx2 v[3:4], v[1:2], off
	s_mov_b64 s[0:1], 0
	s_waitcnt vmcnt(0)
	v_xor_b32_e32 v6, v3, v4
	v_ffbh_i32_e32 v5, v4
	v_ashrrev_i32_e32 v6, 31, v6
	v_add_u32_e32 v5, -1, v5
	v_add_u32_e32 v6, 32, v6
	v_min_u32_e32 v5, v5, v6
	v_lshlrev_b64 v[3:4], v5, v[3:4]
	v_min_u32_e32 v3, 1, v3
	v_or_b32_e32 v3, v4, v3
	v_cvt_f32_i32_e32 v3, v3
	v_sub_u32_e32 v4, 32, v5
	v_ldexp_f32 v3, v3, v4
	v_cvt_f16_f32_e32 v3, v3
	s_branch .LBB67_689
.LBB67_686:
	s_mov_b64 s[0:1], -1
                                        ; implicit-def: $vgpr3
	s_branch .LBB67_695
.LBB67_687:
	s_mov_b64 s[0:1], -1
                                        ; implicit-def: $vgpr3
	s_branch .LBB67_692
.LBB67_688:
	s_mov_b64 s[0:1], -1
                                        ; implicit-def: $vgpr3
.LBB67_689:
	s_andn2_b64 vcc, exec, s[0:1]
	s_cbranch_vccnz .LBB67_691
; %bb.690:
	global_load_dword v3, v[1:2], off
	s_waitcnt vmcnt(0)
	v_cvt_f32_i32_e32 v3, v3
	v_cvt_f16_f32_e32 v3, v3
.LBB67_691:
	s_mov_b64 s[0:1], 0
.LBB67_692:
	s_andn2_b64 vcc, exec, s[0:1]
	s_cbranch_vccnz .LBB67_694
; %bb.693:
	global_load_ushort v3, v[1:2], off
	s_waitcnt vmcnt(0)
	v_cvt_f16_i16_e32 v3, v3
.LBB67_694:
	s_mov_b64 s[0:1], 0
.LBB67_695:
	s_andn2_b64 vcc, exec, s[0:1]
	s_cbranch_vccnz .LBB67_701
; %bb.696:
	s_cmp_gt_i32 s10, 0
	s_cbranch_scc0 .LBB67_698
; %bb.697:
	global_load_sbyte v3, v[1:2], off
	s_mov_b64 s[0:1], 0
	s_waitcnt vmcnt(0)
	v_cvt_f16_i16_e32 v3, v3
	s_branch .LBB67_699
.LBB67_698:
	s_mov_b64 s[0:1], -1
                                        ; implicit-def: $vgpr3
.LBB67_699:
	s_andn2_b64 vcc, exec, s[0:1]
	s_cbranch_vccnz .LBB67_701
; %bb.700:
	global_load_ubyte v1, v[1:2], off
	s_waitcnt vmcnt(0)
	v_cvt_f16_u16_e32 v3, v1
.LBB67_701:
	s_mov_b64 s[0:1], -1
.LBB67_702:
	s_andn2_b64 vcc, exec, s[0:1]
	s_cbranch_vccnz .LBB67_716
; %bb.703:
	s_waitcnt vmcnt(0)
	v_cvt_f32_f16_e32 v1, v3
	v_cmp_gt_f16_e32 vcc, 0.5, v3
	v_mov_b32_e32 v3, 0
	v_mov_b32_e32 v2, 1.0
	s_and_saveexec_b64 s[10:11], vcc
	s_cbranch_execz .LBB67_709
; %bb.704:
	v_mul_f32_e32 v2, 0x40490fdb, v1
	s_brev_b32 s0, 18
	v_and_b32_e32 v3, 0x7fffffff, v2
	v_cmp_nlt_f32_e64 s[0:1], |v2|, s0
                                        ; implicit-def: $vgpr4
                                        ; implicit-def: $vgpr5
	s_and_saveexec_b64 s[2:3], s[0:1]
	s_xor_b64 s[12:13], exec, s[2:3]
	s_cbranch_execz .LBB67_706
; %bb.705:
	v_and_b32_e32 v4, 0x7fffff, v3
	v_or_b32_e32 v7, 0x800000, v4
	s_mov_b32 s0, 0xfe5163ab
	v_mad_u64_u32 v[4:5], s[0:1], v7, s0, 0
	v_mov_b32_e32 v6, 0
	s_mov_b32 s0, 0x3c439041
	v_mad_u64_u32 v[9:10], s[0:1], v7, s0, v[5:6]
	s_mov_b32 s0, 0xdb629599
	v_not_b32_e32 v14, 63
	v_mov_b32_e32 v5, v10
	v_mad_u64_u32 v[10:11], s[0:1], v7, s0, v[5:6]
	s_mov_b32 s0, 0xf534ddc0
	v_not_b32_e32 v16, 31
	v_mov_b32_e32 v5, v11
	v_mad_u64_u32 v[11:12], s[0:1], v7, s0, v[5:6]
	v_lshrrev_b32_e32 v5, 23, v3
	v_add_u32_e32 v15, 0xffffff88, v5
	v_mov_b32_e32 v5, v12
	s_mov_b32 s0, 0xfc2757d1
	v_mad_u64_u32 v[12:13], s[0:1], v7, s0, v[5:6]
	v_cmp_lt_u32_e32 vcc, 63, v15
	v_cndmask_b32_e32 v5, 0, v14, vcc
	v_add_u32_e32 v15, v5, v15
	v_mov_b32_e32 v5, v13
	s_mov_b32 s0, 0x4e441529
	v_mad_u64_u32 v[13:14], s[0:1], v7, s0, v[5:6]
	v_cmp_lt_u32_e64 s[0:1], 31, v15
	v_cndmask_b32_e64 v5, 0, v16, s[0:1]
	v_add_u32_e32 v15, v5, v15
	v_mov_b32_e32 v5, v14
	s_mov_b32 s2, 0xa2f9836e
	v_mad_u64_u32 v[5:6], s[2:3], v7, s2, v[5:6]
	v_cmp_lt_u32_e64 s[2:3], 31, v15
	v_cndmask_b32_e64 v7, 0, v16, s[2:3]
	v_cndmask_b32_e32 v14, v13, v11, vcc
	v_cndmask_b32_e32 v5, v5, v12, vcc
	;; [unrolled: 1-line block ×3, first 2 shown]
	v_add_u32_e32 v7, v7, v15
	v_cndmask_b32_e64 v15, v5, v14, s[0:1]
	v_cndmask_b32_e64 v5, v6, v5, s[0:1]
	v_cndmask_b32_e32 v6, v12, v10, vcc
	v_cndmask_b32_e64 v12, v14, v6, s[0:1]
	v_cndmask_b32_e64 v5, v5, v15, s[2:3]
	;; [unrolled: 1-line block ×3, first 2 shown]
	v_sub_u32_e32 v14, 32, v7
	v_alignbit_b32 v15, v5, v13, v14
	v_cmp_eq_u32_e64 s[6:7], 0, v7
	v_cndmask_b32_e64 v7, v15, v5, s[6:7]
	v_cndmask_b32_e32 v5, v11, v9, vcc
	v_cndmask_b32_e64 v6, v6, v5, s[0:1]
	v_cndmask_b32_e64 v9, v12, v6, s[2:3]
	v_alignbit_b32 v11, v13, v9, v14
	v_cndmask_b32_e32 v4, v10, v4, vcc
	v_cndmask_b32_e64 v11, v11, v13, s[6:7]
	v_bfe_u32 v15, v7, 29, 1
	v_cndmask_b32_e64 v4, v5, v4, s[0:1]
	v_alignbit_b32 v12, v7, v11, 30
	v_sub_u32_e32 v16, 0, v15
	v_cndmask_b32_e64 v4, v6, v4, s[2:3]
	v_xor_b32_e32 v12, v12, v16
	v_alignbit_b32 v5, v9, v4, v14
	v_cndmask_b32_e64 v5, v5, v9, s[6:7]
	v_ffbh_u32_e32 v9, v12
	v_alignbit_b32 v6, v11, v5, 30
	v_min_u32_e32 v9, 32, v9
	v_alignbit_b32 v4, v5, v4, 30
	v_xor_b32_e32 v6, v6, v16
	v_sub_u32_e32 v10, 31, v9
	v_xor_b32_e32 v4, v4, v16
	v_alignbit_b32 v11, v12, v6, v10
	v_alignbit_b32 v4, v6, v4, v10
	;; [unrolled: 1-line block ×3, first 2 shown]
	v_ffbh_u32_e32 v6, v5
	v_min_u32_e32 v6, 32, v6
	v_lshrrev_b32_e32 v13, 29, v7
	v_not_b32_e32 v10, v6
	v_alignbit_b32 v4, v5, v4, v10
	v_lshlrev_b32_e32 v5, 31, v13
	v_or_b32_e32 v10, 0x33000000, v5
	v_add_lshl_u32 v6, v6, v9, 23
	v_lshrrev_b32_e32 v4, 9, v4
	v_sub_u32_e32 v6, v10, v6
	v_or_b32_e32 v5, 0.5, v5
	v_lshlrev_b32_e32 v9, 23, v9
	v_or_b32_e32 v4, v6, v4
	v_lshrrev_b32_e32 v6, 9, v11
	v_sub_u32_e32 v5, v5, v9
	v_or_b32_e32 v5, v6, v5
	s_mov_b32 s0, 0x3fc90fda
	v_mul_f32_e32 v6, 0x3fc90fda, v5
	v_fma_f32 v9, v5, s0, -v6
	v_fmac_f32_e32 v9, 0x33a22168, v5
	v_fmac_f32_e32 v9, 0x3fc90fda, v4
	v_lshrrev_b32_e32 v4, 30, v7
	v_add_f32_e32 v5, v6, v9
	v_add_u32_e32 v4, v15, v4
.LBB67_706:
	s_andn2_saveexec_b64 s[0:1], s[12:13]
	s_cbranch_execz .LBB67_708
; %bb.707:
	s_mov_b32 s2, 0x3f22f983
	v_mul_f32_e64 v4, |v2|, s2
	v_rndne_f32_e32 v6, v4
	s_mov_b32 s2, 0xbfc90fda
	v_cvt_i32_f32_e32 v4, v6
	v_fma_f32 v5, v6, s2, |v2|
	v_fmac_f32_e32 v5, 0xb3a22168, v6
	v_fmac_f32_e32 v5, 0xa7c234c4, v6
.LBB67_708:
	s_or_b64 exec, exec, s[0:1]
	v_mul_f32_e32 v6, v5, v5
	v_mov_b32_e32 v7, 0x3c0881c4
	v_fmac_f32_e32 v7, 0xb94c1982, v6
	v_mov_b32_e32 v9, 0xbe2aaa9d
	v_fmac_f32_e32 v9, v6, v7
	v_mul_f32_e32 v7, v6, v9
	v_fmac_f32_e32 v5, v5, v7
	v_mov_b32_e32 v7, 0xbab64f3b
	v_fmac_f32_e32 v7, 0x37d75334, v6
	v_mov_b32_e32 v9, 0x3d2aabf7
	;; [unrolled: 2-line block ×3, first 2 shown]
	v_fmac_f32_e32 v7, v6, v9
	v_fma_f32 v6, v6, v7, 1.0
	v_and_b32_e32 v7, 1, v4
	v_lshlrev_b32_e32 v4, 30, v4
	v_cmp_eq_u32_e32 vcc, 0, v7
	v_and_b32_e32 v4, 0x80000000, v4
	v_xor_b32_e32 v3, v3, v2
	v_cndmask_b32_e32 v5, v6, v5, vcc
	v_xor_b32_e32 v3, v3, v4
	s_movk_i32 s0, 0x1f8
	v_xor_b32_e32 v3, v3, v5
	v_mov_b32_e32 v4, 0x7fc00000
	v_cmp_class_f32_e64 vcc, v2, s0
	v_cndmask_b32_e32 v2, v4, v3, vcc
	v_mul_f32_e32 v2, v2, v2
	s_mov_b32 s2, 0xc11de9e7
	v_div_scale_f32 v3, s[0:1], v2, v2, s2
	v_div_scale_f32 v4, vcc, s2, v2, s2
	v_sub_f32_e32 v1, 1.0, v1
	v_rcp_f32_e32 v5, v3
	v_fma_f32 v6, -v3, v5, 1.0
	v_fmac_f32_e32 v5, v6, v5
	v_mul_f32_e32 v6, v4, v5
	v_fma_f32 v7, -v3, v6, v4
	v_fmac_f32_e32 v6, v7, v5
	v_fma_f32 v3, -v3, v6, v4
	v_div_fmas_f32 v3, v3, v5, v6
	v_div_fixup_f32 v2, v3, v2, s2
	v_add_f32_e32 v3, 0, v2
	v_mov_b32_e32 v2, -1.0
.LBB67_709:
	s_or_b64 exec, exec, s[10:11]
	v_mul_f32_e32 v4, v1, v1
	v_div_scale_f32 v6, s[0:1], v4, v4, 1.0
	v_add_f32_e32 v5, 1.0, v1
	v_mul_f32_e32 v1, v5, v5
	v_div_scale_f32 v9, s[0:1], v1, v1, 1.0
	v_div_scale_f32 v7, vcc, 1.0, v4, 1.0
	v_add_f32_e32 v10, 1.0, v5
	v_div_scale_f32 v11, s[0:1], 1.0, v1, 1.0
	v_mul_f32_e32 v5, v10, v10
	v_div_scale_f32 v12, s[2:3], v5, v5, 1.0
	v_div_scale_f32 v15, s[2:3], 1.0, v5, 1.0
	v_rcp_f32_e32 v13, v6
	v_add_f32_e32 v10, 1.0, v10
	s_and_b32 s12, s73, 0xff
	s_cmp_lt_i32 s12, 11
	v_rcp_f32_e32 v14, v9
	v_fma_f32 v16, -v6, v13, 1.0
	v_fmac_f32_e32 v13, v16, v13
	v_mul_f32_e32 v17, v7, v13
	v_fma_f32 v18, -v6, v17, v7
	v_fma_f32 v16, -v9, v14, 1.0
	v_fmac_f32_e32 v17, v18, v13
	v_fma_f32 v6, -v6, v17, v7
	v_fmac_f32_e32 v14, v16, v14
	v_div_fmas_f32 v6, v6, v13, v17
	v_mul_f32_e32 v13, v11, v14
	v_fma_f32 v7, -v9, v13, v11
	v_rcp_f32_e32 v16, v12
	v_fmac_f32_e32 v13, v7, v14
	v_mul_f32_e32 v7, v10, v10
	v_div_scale_f32 v17, s[6:7], v7, v7, 1.0
	v_fma_f32 v9, -v9, v13, v11
	v_fma_f32 v11, -v12, v16, 1.0
	v_fmac_f32_e32 v16, v11, v16
	s_mov_b64 vcc, s[0:1]
	v_mul_f32_e32 v11, v15, v16
	v_div_fmas_f32 v9, v9, v14, v13
	v_fma_f32 v13, -v12, v11, v15
	v_fmac_f32_e32 v11, v13, v16
	v_div_scale_f32 v13, s[0:1], 1.0, v7, 1.0
	v_add_f32_e32 v14, 1.0, v10
	v_mul_f32_e32 v10, v14, v14
	v_div_scale_f32 v18, s[6:7], v10, v10, 1.0
	v_fma_f32 v12, -v12, v11, v15
	s_mov_b64 vcc, s[2:3]
	v_div_fmas_f32 v11, v12, v16, v11
	v_div_scale_f32 v12, s[2:3], 1.0, v10, 1.0
	v_rcp_f32_e32 v15, v17
	v_add_f32_e32 v14, 1.0, v14
	v_mul_f32_e32 v19, v14, v14
	v_div_scale_f32 v20, s[6:7], v19, v19, 1.0
	v_fma_f32 v16, -v17, v15, 1.0
	v_fmac_f32_e32 v15, v16, v15
	v_mul_f32_e32 v16, v13, v15
	v_fma_f32 v21, -v17, v16, v13
	v_fmac_f32_e32 v16, v21, v15
	v_rcp_f32_e32 v21, v18
	v_fma_f32 v13, -v17, v16, v13
	s_mov_b64 vcc, s[0:1]
	v_div_fmas_f32 v13, v13, v15, v16
	v_fma_f32 v15, -v18, v21, 1.0
	v_fmac_f32_e32 v21, v15, v21
	v_mul_f32_e32 v15, v12, v21
	v_fma_f32 v16, -v18, v15, v12
	v_fmac_f32_e32 v15, v16, v21
	v_div_scale_f32 v16, s[0:1], 1.0, v19, 1.0
	v_add_f32_e32 v14, 1.0, v14
	v_mul_f32_e32 v22, v14, v14
	v_div_scale_f32 v23, s[6:7], v22, v22, 1.0
	v_rcp_f32_e32 v17, v20
	v_fma_f32 v12, -v18, v15, v12
	s_mov_b64 vcc, s[2:3]
	v_div_scale_f32 v18, s[2:3], 1.0, v22, 1.0
	v_div_fmas_f32 v12, v12, v21, v15
	v_add_f32_e32 v21, v14, v14
	v_div_scale_f32 v24, s[6:7], v21, v21, 1.0
	v_fma_f32 v15, -v20, v17, 1.0
	v_fmac_f32_e32 v17, v15, v17
	v_mul_f32_e32 v15, v16, v17
	v_fma_f32 v25, -v20, v15, v16
	v_fmac_f32_e32 v15, v25, v17
	v_div_scale_f32 v25, s[6:7], 1.0, v21, 1.0
	v_rcp_f32_e32 v26, v23
	v_fma_f32 v16, -v20, v15, v16
	s_mov_b64 vcc, s[0:1]
	v_div_fmas_f32 v15, v16, v17, v15
	v_fma_f32 v16, -v23, v26, 1.0
	v_fmac_f32_e32 v26, v16, v26
	v_mul_f32_e32 v16, v18, v26
	v_fma_f32 v17, -v23, v16, v18
	v_fmac_f32_e32 v16, v17, v26
	v_rcp_f32_e32 v17, v24
	v_fma_f32 v18, -v23, v16, v18
	s_mov_b64 vcc, s[2:3]
	v_div_fmas_f32 v16, v18, v26, v16
	v_fma_f32 v18, -v24, v17, 1.0
	v_fmac_f32_e32 v17, v18, v17
	v_mul_f32_e32 v18, v25, v17
	v_fma_f32 v20, -v24, v18, v25
	v_fmac_f32_e32 v18, v20, v17
	v_fma_f32 v20, -v24, v18, v25
	s_mov_b64 vcc, s[6:7]
	v_div_fmas_f32 v17, v20, v17, v18
	v_mov_b32_e32 v18, 0x3d088889
	s_mov_b32 s0, 0x3e2aaaab
	v_div_fixup_f32 v4, v6, v4, 1.0
	v_add_f32_e32 v3, v3, v4
	v_div_fixup_f32 v1, v9, v1, 1.0
	v_add_f32_e32 v1, v3, v1
	v_div_fixup_f32 v3, v11, v5, 1.0
	v_div_fixup_f32 v16, v16, v22, 1.0
	v_fmac_f32_e32 v18, 0xbcc30c31, v16
	v_fma_f32 v18, -v16, v18, s0
	v_add_f32_e32 v1, v1, v3
	v_div_fixup_f32 v3, v13, v7, 1.0
	v_add_f32_e32 v1, v1, v3
	v_div_fixup_f32 v3, v12, v10, 1.0
	v_add_f32_e32 v1, v1, v3
	v_div_fixup_f32 v17, v17, v21, 1.0
	v_add_f32_e32 v17, 1.0, v17
	v_fmac_f32_e32 v17, v16, v18
	v_div_scale_f32 v16, s[0:1], v14, v14, v17
	v_div_scale_f32 v18, vcc, v17, v14, v17
	v_div_fixup_f32 v3, v15, v19, 1.0
	v_add_f32_e32 v1, v1, v3
	v_rcp_f32_e32 v20, v16
	v_fma_f32 v21, -v16, v20, 1.0
	v_fmac_f32_e32 v20, v21, v20
	v_mul_f32_e32 v21, v18, v20
	v_fma_f32 v22, -v16, v21, v18
	v_fmac_f32_e32 v21, v22, v20
	v_fma_f32 v16, -v16, v21, v18
	v_div_fmas_f32 v16, v16, v20, v21
	v_add_co_u32_e32 v0, vcc, s24, v0
	v_div_fixup_f32 v3, v16, v14, v17
	v_add_f32_e32 v1, v1, v3
	v_fma_mixlo_f16 v2, v2, v1, 0
	v_mov_b32_e32 v1, s25
	v_addc_co_u32_e32 v1, vcc, 0, v1, vcc
	s_cbranch_scc1 .LBB67_717
; %bb.710:
	s_and_b32 s13, 0xffff, s12
	s_cmp_gt_i32 s13, 25
	s_cbranch_scc0 .LBB67_718
; %bb.711:
	s_cmp_gt_i32 s13, 28
	s_cbranch_scc0 .LBB67_719
; %bb.712:
	;; [unrolled: 3-line block ×4, first 2 shown]
	s_mov_b64 s[6:7], 0
	s_mov_b64 s[0:1], -1
	s_cmp_eq_u32 s13, 46
	s_mov_b64 s[2:3], 0
	s_cbranch_scc0 .LBB67_722
; %bb.715:
	v_cvt_f32_f16_e32 v3, v2
	s_movk_i32 s0, 0x7fff
	v_cmp_o_f16_e32 vcc, v2, v2
	v_mov_b32_e32 v4, 0x7fc0
	v_bfe_u32 v5, v3, 16, 1
	v_add3_u32 v3, v3, v5, s0
	v_cndmask_b32_sdwa v3, v4, v3, vcc dst_sel:DWORD dst_unused:UNUSED_PAD src0_sel:DWORD src1_sel:WORD_1
	global_store_dword v[0:1], v3, off
	s_mov_b64 s[2:3], -1
	s_mov_b64 s[0:1], 0
	s_branch .LBB67_722
.LBB67_716:
	s_mov_b64 s[2:3], 0
	s_mov_b64 s[0:1], s[62:63]
	s_branch .LBB67_833
.LBB67_717:
	s_mov_b64 s[6:7], -1
	s_mov_b64 s[2:3], 0
	s_mov_b64 s[0:1], s[62:63]
	s_branch .LBB67_791
.LBB67_718:
	s_mov_b64 s[6:7], -1
	s_mov_b64 s[2:3], 0
	s_mov_b64 s[0:1], s[62:63]
	s_branch .LBB67_749
.LBB67_719:
	s_mov_b64 s[6:7], -1
	s_mov_b64 s[2:3], 0
	s_mov_b64 s[0:1], s[62:63]
	s_branch .LBB67_732
.LBB67_720:
	s_mov_b64 s[6:7], -1
	s_mov_b64 s[2:3], 0
	s_mov_b64 s[0:1], s[62:63]
	s_branch .LBB67_728
.LBB67_721:
	s_mov_b64 s[6:7], -1
	s_mov_b64 s[2:3], 0
	s_mov_b64 s[0:1], s[62:63]
.LBB67_722:
	s_and_b64 vcc, exec, s[6:7]
	s_cbranch_vccz .LBB67_727
; %bb.723:
	s_cmp_eq_u32 s13, 44
	s_mov_b64 s[0:1], -1
	s_cbranch_scc0 .LBB67_727
; %bb.724:
	v_cvt_f32_f16_e32 v3, v2
	s_movk_i32 s0, 0xff
	v_mov_b32_e32 v5, 0xff
	v_bfe_u32 v4, v3, 23, 8
	v_cmp_ne_u32_e32 vcc, s0, v4
	s_and_saveexec_b64 s[2:3], vcc
; %bb.725:
	s_mov_b32 s0, 0x3fffff
	v_lshrrev_b32_e32 v5, 23, v3
	v_and_b32_e32 v6, 0x400000, v3
	v_and_or_b32 v3, v3, s0, v4
	v_cmp_ne_u32_e32 vcc, 0, v6
	v_cmp_ne_u32_e64 s[0:1], 0, v3
	s_and_b64 s[0:1], vcc, s[0:1]
	v_cndmask_b32_e64 v3, 0, 1, s[0:1]
	v_add_u32_e32 v5, v5, v3
; %bb.726:
	s_or_b64 exec, exec, s[2:3]
	s_mov_b64 s[2:3], -1
	s_mov_b64 s[0:1], 0
	global_store_byte v[0:1], v5, off
.LBB67_727:
	s_mov_b64 s[6:7], 0
.LBB67_728:
	s_and_b64 vcc, exec, s[6:7]
	s_cbranch_vccz .LBB67_731
; %bb.729:
	s_cmp_eq_u32 s13, 29
	s_mov_b64 s[0:1], -1
	s_cbranch_scc0 .LBB67_731
; %bb.730:
	v_cvt_f32_f16_e32 v3, v2
	v_mov_b32_e32 v4, 0
	s_mov_b64 s[2:3], -1
	s_mov_b64 s[0:1], 0
	v_cvt_u32_f32_e32 v3, v3
	s_mov_b64 s[6:7], 0
	global_store_dwordx2 v[0:1], v[3:4], off
	s_branch .LBB67_732
.LBB67_731:
	s_mov_b64 s[6:7], 0
.LBB67_732:
	s_and_b64 vcc, exec, s[6:7]
	s_cbranch_vccz .LBB67_748
; %bb.733:
	s_cmp_lt_i32 s13, 27
	s_mov_b64 s[2:3], -1
	s_cbranch_scc1 .LBB67_739
; %bb.734:
	s_cmp_gt_i32 s13, 27
	s_cbranch_scc0 .LBB67_736
; %bb.735:
	v_cvt_f32_f16_e32 v3, v2
	s_mov_b64 s[2:3], 0
	v_cvt_u32_f32_e32 v3, v3
	global_store_dword v[0:1], v3, off
.LBB67_736:
	s_andn2_b64 vcc, exec, s[2:3]
	s_cbranch_vccnz .LBB67_738
; %bb.737:
	v_cvt_u16_f16_e32 v3, v2
	global_store_short v[0:1], v3, off
.LBB67_738:
	s_mov_b64 s[2:3], 0
.LBB67_739:
	s_andn2_b64 vcc, exec, s[2:3]
	s_cbranch_vccnz .LBB67_747
; %bb.740:
	v_cvt_f32_f16_e32 v3, v2
	s_mov_b32 s2, 0x43800000
	v_mov_b32_e32 v5, 0x80
	v_and_b32_e32 v4, 0x7fffffff, v3
	v_cmp_gt_u32_e32 vcc, s2, v4
	s_and_saveexec_b64 s[2:3], vcc
	s_cbranch_execz .LBB67_746
; %bb.741:
	s_mov_b32 s6, 0x3bffffff
	v_cmp_lt_u32_e32 vcc, s6, v4
	s_mov_b64 s[6:7], 0
                                        ; implicit-def: $vgpr4
	s_and_saveexec_b64 s[10:11], vcc
	s_xor_b64 s[10:11], exec, s[10:11]
	s_cbranch_execz .LBB67_863
; %bb.742:
	v_bfe_u32 v4, v3, 20, 1
	s_mov_b32 s14, 0x487ffff
	v_add3_u32 v4, v3, v4, s14
	s_mov_b64 s[6:7], exec
	v_lshrrev_b32_e32 v4, 20, v4
	s_andn2_saveexec_b64 s[10:11], s[10:11]
	s_cbranch_execnz .LBB67_864
.LBB67_743:
	s_or_b64 exec, exec, s[10:11]
	v_mov_b32_e32 v5, 0
	s_and_saveexec_b64 s[10:11], s[6:7]
.LBB67_744:
	v_lshrrev_b32_e32 v3, 24, v3
	s_movk_i32 s6, 0x80
	v_and_or_b32 v5, v3, s6, v4
.LBB67_745:
	s_or_b64 exec, exec, s[10:11]
.LBB67_746:
	s_or_b64 exec, exec, s[2:3]
	global_store_byte v[0:1], v5, off
.LBB67_747:
	s_mov_b64 s[2:3], -1
.LBB67_748:
	s_mov_b64 s[6:7], 0
.LBB67_749:
	s_and_b64 vcc, exec, s[6:7]
	s_cbranch_vccz .LBB67_790
; %bb.750:
	s_cmp_gt_i32 s13, 22
	s_mov_b64 s[6:7], -1
	s_cbranch_scc0 .LBB67_782
; %bb.751:
	s_cmp_lt_i32 s13, 24
	s_mov_b64 s[2:3], -1
	s_cbranch_scc1 .LBB67_771
; %bb.752:
	s_cmp_gt_i32 s13, 24
	s_cbranch_scc0 .LBB67_760
; %bb.753:
	v_cvt_f32_f16_e32 v3, v2
	s_mov_b32 s2, 0x47800000
	v_mov_b32_e32 v5, 0x80
	v_and_b32_e32 v4, 0x7fffffff, v3
	v_cmp_gt_u32_e32 vcc, s2, v4
	s_and_saveexec_b64 s[2:3], vcc
	s_cbranch_execz .LBB67_759
; %bb.754:
	s_mov_b32 s6, 0x37ffffff
	v_cmp_lt_u32_e32 vcc, s6, v4
	s_mov_b64 s[6:7], 0
                                        ; implicit-def: $vgpr4
	s_and_saveexec_b64 s[10:11], vcc
	s_xor_b64 s[10:11], exec, s[10:11]
	s_cbranch_execz .LBB67_866
; %bb.755:
	v_bfe_u32 v4, v3, 21, 1
	s_mov_b32 s14, 0x88fffff
	v_add3_u32 v4, v3, v4, s14
	s_mov_b64 s[6:7], exec
	v_lshrrev_b32_e32 v4, 21, v4
	s_andn2_saveexec_b64 s[10:11], s[10:11]
	s_cbranch_execnz .LBB67_867
.LBB67_756:
	s_or_b64 exec, exec, s[10:11]
	v_mov_b32_e32 v5, 0
	s_and_saveexec_b64 s[10:11], s[6:7]
.LBB67_757:
	v_lshrrev_b32_e32 v3, 24, v3
	s_movk_i32 s6, 0x80
	v_and_or_b32 v5, v3, s6, v4
.LBB67_758:
	s_or_b64 exec, exec, s[10:11]
.LBB67_759:
	s_or_b64 exec, exec, s[2:3]
	s_mov_b64 s[2:3], 0
	global_store_byte v[0:1], v5, off
.LBB67_760:
	s_and_b64 vcc, exec, s[2:3]
	s_cbranch_vccz .LBB67_770
; %bb.761:
	v_cvt_f32_f16_e32 v3, v2
	s_mov_b32 s2, 0x43f00000
                                        ; implicit-def: $vgpr4
	v_and_b32_e32 v5, 0x7fffffff, v3
	v_cmp_gt_u32_e32 vcc, s2, v5
	s_and_saveexec_b64 s[2:3], vcc
	s_xor_b64 s[2:3], exec, s[2:3]
	s_cbranch_execz .LBB67_767
; %bb.762:
	s_mov_b32 s6, 0x3c7fffff
	v_cmp_lt_u32_e32 vcc, s6, v5
                                        ; implicit-def: $vgpr4
	s_and_saveexec_b64 s[6:7], vcc
	s_xor_b64 s[6:7], exec, s[6:7]
; %bb.763:
	v_bfe_u32 v4, v3, 20, 1
	s_mov_b32 s10, 0x407ffff
	v_add3_u32 v4, v3, v4, s10
	v_lshrrev_b32_e32 v5, 20, v4
	v_and_b32_e32 v4, 0xff00000, v4
	s_mov_b32 s10, 0x7f00000
	v_mov_b32_e32 v6, 0x7e
	v_cmp_ne_u32_e32 vcc, s10, v4
	v_cndmask_b32_e32 v4, v6, v5, vcc
; %bb.764:
	s_andn2_saveexec_b64 s[6:7], s[6:7]
; %bb.765:
	s_mov_b32 s10, 0x46800000
	v_add_f32_e64 v4, |v3|, s10
; %bb.766:
	s_or_b64 exec, exec, s[6:7]
                                        ; implicit-def: $vgpr5
.LBB67_767:
	s_andn2_saveexec_b64 s[2:3], s[2:3]
; %bb.768:
	s_mov_b32 s6, 0x7f800000
	v_mov_b32_e32 v4, 0x7e
	v_mov_b32_e32 v6, 0x7f
	v_cmp_lt_u32_e32 vcc, s6, v5
	v_cndmask_b32_e32 v4, v4, v6, vcc
; %bb.769:
	s_or_b64 exec, exec, s[2:3]
	v_lshrrev_b32_e32 v3, 24, v3
	s_movk_i32 s2, 0x80
	v_and_or_b32 v3, v3, s2, v4
	global_store_byte v[0:1], v3, off
.LBB67_770:
	s_mov_b64 s[2:3], 0
.LBB67_771:
	s_andn2_b64 vcc, exec, s[2:3]
	s_cbranch_vccnz .LBB67_781
; %bb.772:
	v_cvt_f32_f16_e32 v3, v2
	s_mov_b32 s2, 0x47800000
                                        ; implicit-def: $vgpr4
	v_and_b32_e32 v5, 0x7fffffff, v3
	v_cmp_gt_u32_e32 vcc, s2, v5
	s_and_saveexec_b64 s[2:3], vcc
	s_xor_b64 s[2:3], exec, s[2:3]
	s_cbranch_execz .LBB67_778
; %bb.773:
	s_mov_b32 s6, 0x387fffff
	v_cmp_lt_u32_e32 vcc, s6, v5
                                        ; implicit-def: $vgpr4
	s_and_saveexec_b64 s[6:7], vcc
	s_xor_b64 s[6:7], exec, s[6:7]
; %bb.774:
	v_bfe_u32 v4, v3, 21, 1
	s_mov_b32 s10, 0x80fffff
	v_add3_u32 v4, v3, v4, s10
	v_lshrrev_b32_e32 v4, 21, v4
; %bb.775:
	s_andn2_saveexec_b64 s[6:7], s[6:7]
; %bb.776:
	s_mov_b32 s10, 0x43000000
	v_add_f32_e64 v4, |v3|, s10
; %bb.777:
	s_or_b64 exec, exec, s[6:7]
                                        ; implicit-def: $vgpr5
.LBB67_778:
	s_andn2_saveexec_b64 s[2:3], s[2:3]
; %bb.779:
	s_mov_b32 s6, 0x7f800000
	v_mov_b32_e32 v4, 0x7c
	v_mov_b32_e32 v6, 0x7f
	v_cmp_lt_u32_e32 vcc, s6, v5
	v_cndmask_b32_e32 v4, v4, v6, vcc
; %bb.780:
	s_or_b64 exec, exec, s[2:3]
	v_lshrrev_b32_e32 v3, 24, v3
	s_movk_i32 s2, 0x80
	v_and_or_b32 v3, v3, s2, v4
	global_store_byte v[0:1], v3, off
.LBB67_781:
	s_mov_b64 s[6:7], 0
	s_mov_b64 s[2:3], -1
.LBB67_782:
	s_andn2_b64 vcc, exec, s[6:7]
	s_cbranch_vccnz .LBB67_790
; %bb.783:
	s_cmp_gt_i32 s13, 14
	s_mov_b64 s[6:7], -1
	s_cbranch_scc0 .LBB67_787
; %bb.784:
	s_cmp_eq_u32 s13, 15
	s_mov_b64 s[0:1], -1
	s_cbranch_scc0 .LBB67_786
; %bb.785:
	v_cvt_f32_f16_e32 v3, v2
	s_movk_i32 s0, 0x7fff
	v_cmp_o_f16_e32 vcc, v2, v2
	v_mov_b32_e32 v4, 0x7fc0
	v_bfe_u32 v5, v3, 16, 1
	v_add3_u32 v3, v3, v5, s0
	v_cndmask_b32_sdwa v3, v4, v3, vcc dst_sel:DWORD dst_unused:UNUSED_PAD src0_sel:DWORD src1_sel:WORD_1
	global_store_short v[0:1], v3, off
	s_mov_b64 s[2:3], -1
	s_mov_b64 s[0:1], 0
.LBB67_786:
	s_mov_b64 s[6:7], 0
.LBB67_787:
	s_and_b64 vcc, exec, s[6:7]
	s_cbranch_vccz .LBB67_790
; %bb.788:
	s_cmp_eq_u32 s13, 11
	s_mov_b64 s[0:1], -1
	s_cbranch_scc0 .LBB67_790
; %bb.789:
	v_cmp_neq_f16_e32 vcc, 0, v2
	v_cndmask_b32_e64 v3, 0, 1, vcc
	s_mov_b64 s[2:3], -1
	s_mov_b64 s[0:1], 0
	global_store_byte v[0:1], v3, off
.LBB67_790:
	s_mov_b64 s[6:7], 0
.LBB67_791:
	s_and_b64 vcc, exec, s[6:7]
	s_cbranch_vccz .LBB67_830
; %bb.792:
	s_and_b32 s6, 0xffff, s12
	s_cmp_lt_i32 s6, 5
	s_mov_b64 s[2:3], -1
	s_cbranch_scc1 .LBB67_813
; %bb.793:
	s_cmp_lt_i32 s6, 8
	s_cbranch_scc1 .LBB67_803
; %bb.794:
	s_cmp_lt_i32 s6, 9
	s_cbranch_scc1 .LBB67_800
; %bb.795:
	s_cmp_gt_i32 s6, 9
	s_cbranch_scc0 .LBB67_797
; %bb.796:
	v_cvt_f32_f16_e32 v3, v2
	v_mov_b32_e32 v5, 0
	v_mov_b32_e32 v6, v5
	s_mov_b64 s[2:3], 0
	v_cvt_f64_f32_e32 v[3:4], v3
	global_store_dwordx4 v[0:1], v[3:6], off
.LBB67_797:
	s_andn2_b64 vcc, exec, s[2:3]
	s_cbranch_vccnz .LBB67_799
; %bb.798:
	v_cvt_f32_f16_e32 v3, v2
	v_mov_b32_e32 v4, 0
	global_store_dwordx2 v[0:1], v[3:4], off
.LBB67_799:
	s_mov_b64 s[2:3], 0
.LBB67_800:
	s_andn2_b64 vcc, exec, s[2:3]
	s_cbranch_vccnz .LBB67_802
; %bb.801:
	v_and_b32_e32 v3, 0xffff, v2
	global_store_dword v[0:1], v3, off
.LBB67_802:
	s_mov_b64 s[2:3], 0
.LBB67_803:
	s_andn2_b64 vcc, exec, s[2:3]
	s_cbranch_vccnz .LBB67_812
; %bb.804:
	s_cmp_lt_i32 s6, 6
	s_mov_b64 s[2:3], -1
	s_cbranch_scc1 .LBB67_810
; %bb.805:
	s_cmp_gt_i32 s6, 6
	s_cbranch_scc0 .LBB67_807
; %bb.806:
	v_cvt_f32_f16_e32 v3, v2
	s_mov_b64 s[2:3], 0
	v_cvt_f64_f32_e32 v[3:4], v3
	global_store_dwordx2 v[0:1], v[3:4], off
.LBB67_807:
	s_andn2_b64 vcc, exec, s[2:3]
	s_cbranch_vccnz .LBB67_809
; %bb.808:
	v_cvt_f32_f16_e32 v3, v2
	global_store_dword v[0:1], v3, off
.LBB67_809:
	s_mov_b64 s[2:3], 0
.LBB67_810:
	s_andn2_b64 vcc, exec, s[2:3]
	s_cbranch_vccnz .LBB67_812
; %bb.811:
	global_store_short v[0:1], v2, off
.LBB67_812:
	s_mov_b64 s[2:3], 0
.LBB67_813:
	s_andn2_b64 vcc, exec, s[2:3]
	s_cbranch_vccnz .LBB67_829
; %bb.814:
	s_cmp_lt_i32 s6, 2
	s_mov_b64 s[2:3], -1
	s_cbranch_scc1 .LBB67_824
; %bb.815:
	s_cmp_lt_i32 s6, 3
	s_cbranch_scc1 .LBB67_821
; %bb.816:
	s_cmp_gt_i32 s6, 3
	s_cbranch_scc0 .LBB67_818
; %bb.817:
	v_cvt_f32_f16_e32 v3, v2
	s_mov_b64 s[2:3], 0
	v_cvt_i32_f32_e32 v3, v3
	v_ashrrev_i32_e32 v4, 31, v3
	global_store_dwordx2 v[0:1], v[3:4], off
.LBB67_818:
	s_andn2_b64 vcc, exec, s[2:3]
	s_cbranch_vccnz .LBB67_820
; %bb.819:
	v_cvt_f32_f16_e32 v3, v2
	v_cvt_i32_f32_e32 v3, v3
	global_store_dword v[0:1], v3, off
.LBB67_820:
	s_mov_b64 s[2:3], 0
.LBB67_821:
	s_andn2_b64 vcc, exec, s[2:3]
	s_cbranch_vccnz .LBB67_823
; %bb.822:
	v_cvt_i16_f16_e32 v3, v2
	global_store_short v[0:1], v3, off
.LBB67_823:
	s_mov_b64 s[2:3], 0
.LBB67_824:
	s_andn2_b64 vcc, exec, s[2:3]
	s_cbranch_vccnz .LBB67_829
; %bb.825:
	s_cmp_gt_i32 s6, 0
	s_mov_b64 s[2:3], -1
	s_cbranch_scc0 .LBB67_827
; %bb.826:
	v_cvt_i16_f16_e32 v3, v2
	s_mov_b64 s[2:3], 0
	global_store_byte v[0:1], v3, off
.LBB67_827:
	s_andn2_b64 vcc, exec, s[2:3]
	s_cbranch_vccnz .LBB67_829
; %bb.828:
	v_cvt_f32_f16_e32 v2, v2
	v_cvt_i32_f32_e32 v2, v2
	global_store_byte v[0:1], v2, off
.LBB67_829:
	s_mov_b64 s[2:3], -1
.LBB67_830:
	s_andn2_b64 vcc, exec, s[2:3]
	s_cbranch_vccnz .LBB67_832
; %bb.831:
	v_add_u32_e32 v8, 0x80, v8
	s_mov_b64 s[2:3], -1
	s_branch .LBB67_834
.LBB67_832:
	s_mov_b64 s[2:3], 0
.LBB67_833:
                                        ; implicit-def: $vgpr8
.LBB67_834:
	s_andn2_b64 s[6:7], s[62:63], exec
	s_and_b64 s[0:1], s[0:1], exec
	s_or_b64 s[68:69], s[6:7], s[0:1]
	s_andn2_b64 s[0:1], s[60:61], exec
	s_and_b64 s[6:7], s[8:9], exec
	s_or_b64 s[6:7], s[0:1], s[6:7]
	s_orn2_b64 s[2:3], s[2:3], exec
.LBB67_835:
	s_or_b64 exec, exec, s[66:67]
	s_mov_b64 s[0:1], 0
	s_mov_b64 s[8:9], 0
	;; [unrolled: 1-line block ×3, first 2 shown]
                                        ; implicit-def: $vgpr1_vgpr2
                                        ; implicit-def: $vgpr0
                                        ; implicit-def: $vgpr4
	s_and_saveexec_b64 s[66:67], s[2:3]
	s_cbranch_execz .LBB67_934
; %bb.836:
	v_cmp_gt_i32_e32 vcc, s70, v8
	s_mov_b64 s[2:3], 0
	s_mov_b64 s[12:13], s[6:7]
                                        ; implicit-def: $vgpr1_vgpr2
                                        ; implicit-def: $vgpr0
                                        ; implicit-def: $vgpr4
	s_and_saveexec_b64 s[70:71], vcc
	s_cbranch_execz .LBB67_933
; %bb.837:
	s_andn2_b64 vcc, exec, s[42:43]
	s_cbranch_vccnz .LBB67_842
; %bb.838:
	s_andn2_b64 vcc, exec, s[52:53]
	s_cbranch_vccnz .LBB67_843
; %bb.839:
	s_add_i32 s76, s75, 1
	s_cmp_eq_u32 s72, 2
	s_cbranch_scc1 .LBB67_844
; %bb.840:
	s_and_b32 s75, s76, 28
	v_mov_b32_e32 v2, 0
	s_mov_b32 s77, 0
	s_mov_b64 s[52:53], s[34:35]
	v_mov_b32_e32 v0, 0
	v_mov_b32_e32 v1, v8
.LBB67_841:                             ; =>This Inner Loop Header: Depth=1
	s_load_dwordx8 s[16:23], s[52:53], 0x4
	s_load_dwordx4 s[0:3], s[52:53], 0x24
	s_load_dwordx8 s[8:15], s[50:51], 0x0
	s_add_u32 s52, s52, 48
	s_addc_u32 s53, s53, 0
	s_waitcnt vmcnt(0) lgkmcnt(0)
	v_mul_hi_u32 v3, s17, v1
	s_add_i32 s77, s77, 4
	s_add_u32 s50, s50, 32
	s_addc_u32 s51, s51, 0
	v_add_u32_e32 v3, v1, v3
	v_lshrrev_b32_e32 v3, s18, v3
	v_mul_lo_u32 v4, v3, s16
	v_mul_hi_u32 v5, s20, v3
	s_cmp_eq_u32 s75, s77
	v_sub_u32_e32 v1, v1, v4
	v_add_u32_e32 v4, v3, v5
	v_mul_lo_u32 v5, v1, s8
	v_mul_lo_u32 v6, v1, s9
	v_lshrrev_b32_e32 v1, s21, v4
	v_mul_lo_u32 v4, v1, s19
	v_mul_hi_u32 v7, s23, v1
	v_sub_u32_e32 v3, v3, v4
	v_add_u32_e32 v4, v1, v7
	v_lshrrev_b32_e32 v4, s0, v4
	v_mul_hi_u32 v9, s2, v4
	v_mul_lo_u32 v10, v4, s22
	v_mul_lo_u32 v7, v3, s10
	;; [unrolled: 1-line block ×3, first 2 shown]
	v_sub_u32_e32 v10, v1, v10
	v_add_u32_e32 v1, v4, v9
	v_lshrrev_b32_e32 v1, s3, v1
	v_mul_lo_u32 v9, v1, s1
	v_mul_lo_u32 v11, v10, s12
	;; [unrolled: 1-line block ×3, first 2 shown]
	v_add3_u32 v0, v5, v0, v7
	v_sub_u32_e32 v4, v4, v9
	v_mul_lo_u32 v9, v4, s14
	v_mul_lo_u32 v4, v4, s15
	v_add3_u32 v2, v6, v2, v3
	v_add3_u32 v0, v11, v0, v9
	;; [unrolled: 1-line block ×3, first 2 shown]
	s_cbranch_scc0 .LBB67_841
	s_branch .LBB67_845
.LBB67_842:
	s_mov_b64 s[0:1], -1
                                        ; implicit-def: $vgpr0
                                        ; implicit-def: $vgpr2
	s_branch .LBB67_849
.LBB67_843:
	v_mov_b32_e32 v0, 0
	v_mov_b32_e32 v2, 0
	s_branch .LBB67_848
.LBB67_844:
	s_mov_b32 s75, 0
	v_mov_b32_e32 v0, 0
	v_mov_b32_e32 v2, 0
	;; [unrolled: 1-line block ×3, first 2 shown]
.LBB67_845:
	s_and_b32 s8, s76, 3
	s_cmp_eq_u32 s8, 0
	s_cbranch_scc1 .LBB67_848
; %bb.846:
	s_lshl_b32 s0, s75, 3
	s_add_u32 s0, s34, s0
	s_addc_u32 s1, s35, 0
	s_add_u32 s0, s0, 0xc4
	s_addc_u32 s1, s1, 0
	s_mul_i32 s2, s75, 12
	s_add_u32 s2, s34, s2
	s_addc_u32 s3, s35, 0
.LBB67_847:                             ; =>This Inner Loop Header: Depth=1
	s_load_dwordx2 s[10:11], s[2:3], 0x4
	s_load_dword s9, s[2:3], 0xc
	s_load_dwordx2 s[12:13], s[0:1], 0x0
	s_add_u32 s2, s2, 12
	s_addc_u32 s3, s3, 0
	s_waitcnt vmcnt(0) lgkmcnt(0)
	v_mul_hi_u32 v3, s11, v1
	s_add_u32 s0, s0, 8
	s_addc_u32 s1, s1, 0
	s_add_i32 s8, s8, -1
	v_add_u32_e32 v3, v1, v3
	v_lshrrev_b32_e32 v4, s9, v3
	v_mul_lo_u32 v3, v4, s10
	s_cmp_lg_u32 s8, 0
	v_sub_u32_e32 v3, v1, v3
	v_mad_u64_u32 v[0:1], s[10:11], v3, s12, v[0:1]
	v_mad_u64_u32 v[2:3], s[10:11], v3, s13, v[2:3]
	v_mov_b32_e32 v1, v4
	s_cbranch_scc1 .LBB67_847
.LBB67_848:
	s_mov_b64 s[0:1], 0
.LBB67_849:
	s_andn2_b64 vcc, exec, s[0:1]
	s_cbranch_vccnz .LBB67_852
; %bb.850:
	s_waitcnt lgkmcnt(0)
	v_mul_hi_u32 v0, s37, v8
	s_andn2_b64 vcc, exec, s[48:49]
	v_add_u32_e32 v0, v8, v0
	v_lshrrev_b32_e32 v1, s38, v0
	v_mul_lo_u32 v0, v1, s36
	v_sub_u32_e32 v2, v8, v0
	v_mul_lo_u32 v0, v2, s28
	v_mul_lo_u32 v2, v2, s29
	s_cbranch_vccnz .LBB67_852
; %bb.851:
	s_waitcnt vmcnt(0)
	v_mul_hi_u32 v3, s46, v1
	v_add_u32_e32 v3, v1, v3
	v_lshrrev_b32_e32 v3, s47, v3
	v_mul_lo_u32 v3, v3, s39
	v_sub_u32_e32 v3, v1, v3
	v_mad_u64_u32 v[0:1], s[0:1], v3, s30, v[0:1]
	v_mad_u64_u32 v[2:3], s[0:1], v3, s31, v[2:3]
.LBB67_852:
	s_waitcnt vmcnt(0) lgkmcnt(0)
	v_mov_b32_e32 v3, s27
	s_and_b32 s14, 0xffff, s74
	v_add_co_u32_e32 v1, vcc, s26, v2
	s_cmp_lt_i32 s14, 11
	v_addc_co_u32_e32 v2, vcc, 0, v3, vcc
	s_cbranch_scc1 .LBB67_859
; %bb.853:
	s_cmp_gt_i32 s14, 25
	s_mov_b64 s[2:3], 0
	s_cbranch_scc0 .LBB67_860
; %bb.854:
	s_cmp_gt_i32 s14, 28
	s_cbranch_scc0 .LBB67_861
; %bb.855:
	s_cmp_gt_i32 s14, 43
	;; [unrolled: 3-line block ×3, first 2 shown]
	s_cbranch_scc0 .LBB67_865
; %bb.857:
	s_cmp_eq_u32 s14, 46
	s_mov_b64 s[10:11], 0
	s_cbranch_scc0 .LBB67_868
; %bb.858:
	global_load_dword v3, v[1:2], off
	s_mov_b64 s[0:1], 0
	s_mov_b64 s[8:9], -1
	s_waitcnt vmcnt(0)
	v_lshlrev_b32_e32 v3, 16, v3
	v_cvt_f16_f32_e32 v4, v3
	s_branch .LBB67_869
.LBB67_859:
	s_mov_b64 s[12:13], -1
	s_mov_b64 s[8:9], 0
	s_mov_b64 s[2:3], 0
	;; [unrolled: 1-line block ×3, first 2 shown]
                                        ; implicit-def: $vgpr4
	s_branch .LBB67_932
.LBB67_860:
	s_mov_b64 s[10:11], -1
	s_mov_b64 s[8:9], 0
	s_mov_b64 s[0:1], s[6:7]
                                        ; implicit-def: $vgpr4
	s_branch .LBB67_898
.LBB67_861:
	s_mov_b64 s[10:11], -1
	s_mov_b64 s[8:9], 0
	s_mov_b64 s[0:1], s[6:7]
                                        ; implicit-def: $vgpr4
	s_branch .LBB67_879
.LBB67_862:
	s_mov_b64 s[10:11], -1
	s_mov_b64 s[8:9], 0
	s_mov_b64 s[0:1], s[6:7]
                                        ; implicit-def: $vgpr4
	s_branch .LBB67_874
.LBB67_863:
	s_andn2_saveexec_b64 s[10:11], s[10:11]
	s_cbranch_execz .LBB67_743
.LBB67_864:
	s_mov_b32 s14, 0x46000000
	v_add_f32_e64 v4, |v3|, s14
	v_and_b32_e32 v4, 0xff, v4
	v_cmp_ne_u32_e32 vcc, 0, v4
	s_andn2_b64 s[6:7], s[6:7], exec
	s_and_b64 s[14:15], vcc, exec
	s_or_b64 s[6:7], s[6:7], s[14:15]
	s_or_b64 exec, exec, s[10:11]
	v_mov_b32_e32 v5, 0
	s_and_saveexec_b64 s[10:11], s[6:7]
	s_cbranch_execnz .LBB67_744
	s_branch .LBB67_745
.LBB67_865:
	s_mov_b64 s[10:11], -1
	s_mov_b64 s[8:9], 0
	s_mov_b64 s[0:1], s[6:7]
                                        ; implicit-def: $vgpr4
	s_branch .LBB67_869
.LBB67_866:
	s_andn2_saveexec_b64 s[10:11], s[10:11]
	s_cbranch_execz .LBB67_756
.LBB67_867:
	s_mov_b32 s14, 0x42800000
	v_add_f32_e64 v4, |v3|, s14
	v_and_b32_e32 v4, 0xff, v4
	v_cmp_ne_u32_e32 vcc, 0, v4
	s_andn2_b64 s[6:7], s[6:7], exec
	s_and_b64 s[14:15], vcc, exec
	s_or_b64 s[6:7], s[6:7], s[14:15]
	s_or_b64 exec, exec, s[10:11]
	v_mov_b32_e32 v5, 0
	s_and_saveexec_b64 s[10:11], s[6:7]
	s_cbranch_execnz .LBB67_757
	s_branch .LBB67_758
.LBB67_868:
	s_mov_b64 s[0:1], -1
                                        ; implicit-def: $vgpr4
	s_mov_b64 s[8:9], 0
.LBB67_869:
	s_and_b64 vcc, exec, s[10:11]
	s_cbranch_vccz .LBB67_873
; %bb.870:
	s_cmp_eq_u32 s14, 44
	s_cbranch_scc0 .LBB67_872
; %bb.871:
	global_load_ubyte v3, v[1:2], off
	s_movk_i32 s8, 0xff
	v_mov_b32_e32 v5, 0x7e00
	s_mov_b64 s[0:1], 0
	s_waitcnt vmcnt(0)
	v_lshlrev_b32_e32 v4, 23, v3
	v_cvt_f16_f32_e32 v4, v4
	v_cmp_ne_u32_e32 vcc, s8, v3
	s_mov_b64 s[8:9], -1
	v_cndmask_b32_e32 v4, v5, v4, vcc
	v_cmp_ne_u32_e32 vcc, 0, v3
	v_cndmask_b32_e32 v4, 0, v4, vcc
	s_branch .LBB67_873
.LBB67_872:
	s_mov_b64 s[0:1], -1
                                        ; implicit-def: $vgpr4
.LBB67_873:
	s_mov_b64 s[10:11], 0
.LBB67_874:
	s_and_b64 vcc, exec, s[10:11]
	s_cbranch_vccz .LBB67_878
; %bb.875:
	s_cmp_eq_u32 s14, 29
	s_cbranch_scc0 .LBB67_877
; %bb.876:
	global_load_dwordx2 v[3:4], v[1:2], off
	s_mov_b64 s[0:1], 0
	s_mov_b64 s[8:9], -1
	s_mov_b64 s[10:11], 0
	s_waitcnt vmcnt(0)
	v_ffbh_u32_e32 v5, v4
	v_min_u32_e32 v5, 32, v5
	v_lshlrev_b64 v[3:4], v5, v[3:4]
	v_min_u32_e32 v3, 1, v3
	v_or_b32_e32 v3, v4, v3
	v_cvt_f32_u32_e32 v3, v3
	v_sub_u32_e32 v4, 32, v5
	v_ldexp_f32 v3, v3, v4
	v_cvt_f16_f32_e32 v4, v3
	s_branch .LBB67_879
.LBB67_877:
	s_mov_b64 s[0:1], -1
                                        ; implicit-def: $vgpr4
.LBB67_878:
	s_mov_b64 s[10:11], 0
.LBB67_879:
	s_and_b64 vcc, exec, s[10:11]
	s_cbranch_vccz .LBB67_897
; %bb.880:
	s_cmp_lt_i32 s14, 27
	s_cbranch_scc1 .LBB67_883
; %bb.881:
	s_cmp_gt_i32 s14, 27
	s_cbranch_scc0 .LBB67_884
; %bb.882:
	global_load_dword v3, v[1:2], off
	s_mov_b64 s[8:9], 0
	s_waitcnt vmcnt(0)
	v_cvt_f32_u32_e32 v3, v3
	v_cvt_f16_f32_e32 v4, v3
	s_branch .LBB67_885
.LBB67_883:
	s_mov_b64 s[8:9], -1
                                        ; implicit-def: $vgpr4
	s_branch .LBB67_888
.LBB67_884:
	s_mov_b64 s[8:9], -1
                                        ; implicit-def: $vgpr4
.LBB67_885:
	s_andn2_b64 vcc, exec, s[8:9]
	s_cbranch_vccnz .LBB67_887
; %bb.886:
	global_load_ushort v3, v[1:2], off
	s_waitcnt vmcnt(0)
	v_cvt_f16_u16_e32 v4, v3
.LBB67_887:
	s_mov_b64 s[8:9], 0
.LBB67_888:
	s_andn2_b64 vcc, exec, s[8:9]
	s_cbranch_vccnz .LBB67_896
; %bb.889:
	global_load_ubyte v3, v[1:2], off
	s_movk_i32 s8, 0x7f
	s_waitcnt vmcnt(0)
	v_cmp_lt_i16_e32 vcc, s8, v3
	s_mov_b64 s[8:9], 0
	s_and_saveexec_b64 s[10:11], vcc
	s_xor_b64 s[10:11], exec, s[10:11]
	s_cbranch_execz .LBB67_910
; %bb.890:
	s_movk_i32 s8, 0x80
	v_cmp_eq_u16_e32 vcc, s8, v3
	s_mov_b64 s[8:9], -1
	s_and_saveexec_b64 s[12:13], vcc
; %bb.891:
	s_xor_b64 s[8:9], exec, -1
; %bb.892:
	s_or_b64 exec, exec, s[12:13]
	s_and_b64 s[8:9], s[8:9], exec
	s_or_saveexec_b64 s[10:11], s[10:11]
	v_mov_b32_e32 v4, 0x7e00
	s_xor_b64 exec, exec, s[10:11]
	s_cbranch_execnz .LBB67_911
.LBB67_893:
	s_or_b64 exec, exec, s[10:11]
	s_and_saveexec_b64 s[10:11], s[8:9]
	s_cbranch_execz .LBB67_895
.LBB67_894:
	v_lshlrev_b32_e32 v4, 24, v3
	v_and_b32_e32 v3, 0xffff, v3
	v_and_b32_e32 v5, 7, v3
	v_ffbh_u32_e32 v7, v5
	v_min_u32_e32 v7, 32, v7
	v_subrev_u32_e32 v8, 28, v7
	v_bfe_u32 v6, v3, 3, 4
	v_lshlrev_b32_e32 v3, v8, v3
	v_sub_u32_e32 v7, 29, v7
	v_and_b32_e32 v3, 7, v3
	v_cmp_eq_u32_e32 vcc, 0, v6
	v_cndmask_b32_e32 v6, v6, v7, vcc
	v_cndmask_b32_e32 v3, v5, v3, vcc
	v_mov_b32_e32 v5, 0x3b800000
	v_lshlrev_b32_e32 v3, 20, v3
	v_and_b32_e32 v4, 0x80000000, v4
	v_lshl_add_u32 v5, v6, 23, v5
	v_or3_b32 v3, v4, v5, v3
	v_cvt_f16_f32_e32 v4, v3
.LBB67_895:
	s_or_b64 exec, exec, s[10:11]
.LBB67_896:
	s_mov_b64 s[8:9], -1
.LBB67_897:
	s_mov_b64 s[10:11], 0
.LBB67_898:
	s_and_b64 vcc, exec, s[10:11]
	s_cbranch_vccz .LBB67_931
; %bb.899:
	s_cmp_gt_i32 s14, 22
	s_cbranch_scc0 .LBB67_909
; %bb.900:
	s_cmp_lt_i32 s14, 24
	s_cbranch_scc1 .LBB67_912
; %bb.901:
	s_cmp_gt_i32 s14, 24
	s_cbranch_scc0 .LBB67_913
; %bb.902:
	global_load_ubyte v3, v[1:2], off
	s_movk_i32 s2, 0x7f
	s_waitcnt vmcnt(0)
	v_cmp_lt_i16_e32 vcc, s2, v3
	s_mov_b64 s[2:3], 0
	s_and_saveexec_b64 s[8:9], vcc
	s_xor_b64 s[8:9], exec, s[8:9]
	s_cbranch_execz .LBB67_925
; %bb.903:
	s_movk_i32 s2, 0x80
	v_cmp_eq_u16_e32 vcc, s2, v3
	s_mov_b64 s[2:3], -1
	s_and_saveexec_b64 s[10:11], vcc
; %bb.904:
	s_xor_b64 s[2:3], exec, -1
; %bb.905:
	s_or_b64 exec, exec, s[10:11]
	s_and_b64 s[2:3], s[2:3], exec
	s_or_saveexec_b64 s[8:9], s[8:9]
	v_mov_b32_e32 v4, 0x7e00
	s_xor_b64 exec, exec, s[8:9]
	s_cbranch_execnz .LBB67_926
.LBB67_906:
	s_or_b64 exec, exec, s[8:9]
	s_and_saveexec_b64 s[8:9], s[2:3]
	s_cbranch_execz .LBB67_908
.LBB67_907:
	v_lshlrev_b32_e32 v4, 24, v3
	v_and_b32_e32 v3, 0xffff, v3
	v_and_b32_e32 v5, 3, v3
	v_ffbh_u32_e32 v7, v5
	v_min_u32_e32 v7, 32, v7
	v_subrev_u32_e32 v8, 29, v7
	v_bfe_u32 v6, v3, 2, 5
	v_lshlrev_b32_e32 v3, v8, v3
	v_sub_u32_e32 v7, 30, v7
	v_and_b32_e32 v3, 3, v3
	v_cmp_eq_u32_e32 vcc, 0, v6
	v_cndmask_b32_e32 v6, v6, v7, vcc
	v_cndmask_b32_e32 v3, v5, v3, vcc
	v_mov_b32_e32 v5, 0x37800000
	v_lshlrev_b32_e32 v3, 21, v3
	v_and_b32_e32 v4, 0x80000000, v4
	v_lshl_add_u32 v5, v6, 23, v5
	v_or3_b32 v3, v4, v5, v3
	v_cvt_f16_f32_e32 v4, v3
.LBB67_908:
	s_or_b64 exec, exec, s[8:9]
	s_mov_b64 s[2:3], 0
	s_branch .LBB67_914
.LBB67_909:
	s_mov_b64 s[2:3], -1
                                        ; implicit-def: $vgpr4
	s_branch .LBB67_920
.LBB67_910:
	s_or_saveexec_b64 s[10:11], s[10:11]
	v_mov_b32_e32 v4, 0x7e00
	s_xor_b64 exec, exec, s[10:11]
	s_cbranch_execz .LBB67_893
.LBB67_911:
	v_cmp_ne_u16_e32 vcc, 0, v3
	s_andn2_b64 s[8:9], s[8:9], exec
	s_and_b64 s[12:13], vcc, exec
	s_or_b64 s[8:9], s[8:9], s[12:13]
	v_mov_b32_e32 v4, v3
	s_or_b64 exec, exec, s[10:11]
	s_and_saveexec_b64 s[10:11], s[8:9]
	s_cbranch_execnz .LBB67_894
	s_branch .LBB67_895
.LBB67_912:
	s_mov_b64 s[2:3], -1
                                        ; implicit-def: $vgpr4
	s_branch .LBB67_917
.LBB67_913:
	s_mov_b64 s[2:3], -1
                                        ; implicit-def: $vgpr4
.LBB67_914:
	s_and_b64 vcc, exec, s[2:3]
	s_cbranch_vccz .LBB67_916
; %bb.915:
	global_load_ubyte v3, v[1:2], off
	s_mov_b32 s2, 0x7f800000
	s_waitcnt vmcnt(0)
	v_lshlrev_b32_e32 v3, 24, v3
	v_and_b32_e32 v4, 0x7f000000, v3
	v_ffbh_u32_e32 v5, v4
	v_min_u32_e32 v5, 32, v5
	v_sub_u32_e64 v5, v5, 4 clamp
	v_lshlrev_b32_e32 v7, v5, v4
	v_lshlrev_b32_e32 v5, 23, v5
	v_lshrrev_b32_e32 v7, 4, v7
	v_add_u32_e32 v6, 0x1000000, v4
	v_sub_u32_e32 v5, v7, v5
	v_ashrrev_i32_e32 v6, 8, v6
	v_add_u32_e32 v5, 0x3c000000, v5
	v_and_or_b32 v5, v6, s2, v5
	v_cmp_ne_u32_e32 vcc, 0, v4
	v_cndmask_b32_e32 v4, 0, v5, vcc
	s_brev_b32 s2, 1
	v_and_or_b32 v3, v3, s2, v4
	v_cvt_f16_f32_e32 v4, v3
.LBB67_916:
	s_mov_b64 s[2:3], 0
.LBB67_917:
	s_andn2_b64 vcc, exec, s[2:3]
	s_cbranch_vccnz .LBB67_919
; %bb.918:
	global_load_ubyte v3, v[1:2], off
	s_movk_i32 s2, 0x7f00
	s_brev_b32 s3, 16
	s_waitcnt vmcnt(0)
	v_lshlrev_b16_e32 v4, 8, v3
	v_lshlrev_b32_e32 v3, 25, v3
	v_lshrrev_b32_e32 v5, 4, v3
	v_and_or_b32 v6, v4, s2, 0.5
	v_or_b32_e32 v5, 0x70000000, v5
	v_add_f32_e32 v6, -0.5, v6
	v_mul_f32_e32 v5, 0x7800000, v5
	v_cmp_gt_u32_e32 vcc, s3, v3
	v_bfe_i32 v4, v4, 0, 16
	v_cndmask_b32_e32 v3, v5, v6, vcc
	s_brev_b32 s2, 1
	v_and_or_b32 v3, v4, s2, v3
	v_cvt_f16_f32_e32 v4, v3
.LBB67_919:
	s_mov_b64 s[2:3], 0
	s_mov_b64 s[8:9], -1
.LBB67_920:
	s_andn2_b64 vcc, exec, s[2:3]
	s_mov_b64 s[2:3], 0
	s_cbranch_vccnz .LBB67_931
; %bb.921:
	s_cmp_gt_i32 s14, 14
	s_cbranch_scc0 .LBB67_924
; %bb.922:
	s_cmp_eq_u32 s14, 15
	s_cbranch_scc0 .LBB67_927
; %bb.923:
	global_load_ushort v3, v[1:2], off
	s_mov_b64 s[0:1], 0
	s_mov_b64 s[8:9], -1
	s_waitcnt vmcnt(0)
	v_lshlrev_b32_e32 v3, 16, v3
	v_cvt_f16_f32_e32 v4, v3
	s_branch .LBB67_928
.LBB67_924:
	s_mov_b64 s[10:11], -1
                                        ; implicit-def: $vgpr4
	s_branch .LBB67_929
.LBB67_925:
	s_or_saveexec_b64 s[8:9], s[8:9]
	v_mov_b32_e32 v4, 0x7e00
	s_xor_b64 exec, exec, s[8:9]
	s_cbranch_execz .LBB67_906
.LBB67_926:
	v_cmp_ne_u16_e32 vcc, 0, v3
	s_andn2_b64 s[2:3], s[2:3], exec
	s_and_b64 s[10:11], vcc, exec
	s_or_b64 s[2:3], s[2:3], s[10:11]
	v_mov_b32_e32 v4, v3
	s_or_b64 exec, exec, s[8:9]
	s_and_saveexec_b64 s[8:9], s[2:3]
	s_cbranch_execnz .LBB67_907
	s_branch .LBB67_908
.LBB67_927:
	s_mov_b64 s[0:1], -1
                                        ; implicit-def: $vgpr4
.LBB67_928:
	s_mov_b64 s[10:11], 0
.LBB67_929:
	s_and_b64 vcc, exec, s[10:11]
	s_cbranch_vccz .LBB67_931
; %bb.930:
	s_cmp_lg_u32 s14, 11
	s_cselect_b64 s[10:11], -1, 0
	s_andn2_b64 s[0:1], s[0:1], exec
	s_and_b64 s[10:11], s[10:11], exec
	s_mov_b64 s[2:3], -1
	s_or_b64 s[0:1], s[0:1], s[10:11]
.LBB67_931:
	s_mov_b64 s[12:13], 0
.LBB67_932:
	s_and_b64 s[10:11], s[8:9], exec
	s_and_b64 s[8:9], s[12:13], exec
	s_andn2_b64 s[12:13], s[6:7], exec
	s_and_b64 s[0:1], s[0:1], exec
	s_and_b64 s[2:3], s[2:3], exec
	s_or_b64 s[12:13], s[12:13], s[0:1]
.LBB67_933:
	s_or_b64 exec, exec, s[70:71]
	s_and_b64 s[0:1], s[2:3], exec
	s_andn2_b64 s[2:3], s[6:7], exec
	s_and_b64 s[6:7], s[12:13], exec
	s_and_b64 s[10:11], s[10:11], exec
	;; [unrolled: 1-line block ×3, first 2 shown]
	s_or_b64 s[6:7], s[2:3], s[6:7]
.LBB67_934:
	s_or_b64 exec, exec, s[66:67]
	s_andn2_b64 s[2:3], s[62:63], exec
	s_and_b64 s[12:13], s[68:69], exec
	s_or_b64 s[62:63], s[2:3], s[12:13]
	s_and_b64 s[2:3], s[0:1], exec
	s_andn2_b64 s[0:1], s[60:61], exec
	s_and_b64 s[6:7], s[6:7], exec
	s_and_b64 s[10:11], s[10:11], exec
	;; [unrolled: 1-line block ×3, first 2 shown]
	s_or_b64 s[60:61], s[0:1], s[6:7]
.LBB67_935:
	s_or_b64 exec, exec, s[64:65]
	s_andn2_b64 s[0:1], s[54:55], exec
	s_and_b64 s[6:7], s[62:63], exec
	s_or_b64 s[54:55], s[0:1], s[6:7]
	s_and_b64 s[6:7], s[8:9], exec
	s_and_b64 s[62:63], s[2:3], exec
	s_andn2_b64 s[2:3], s[56:57], exec
	s_and_b64 s[8:9], s[60:61], exec
	s_and_b64 s[0:1], s[10:11], exec
	s_or_b64 s[56:57], s[2:3], s[8:9]
	s_or_b64 exec, exec, s[58:59]
	s_mov_b64 s[8:9], 0
	s_and_saveexec_b64 s[2:3], s[56:57]
	s_cbranch_execz .LBB67_280
.LBB67_936:
	s_mov_b64 s[8:9], exec
	s_andn2_b64 s[62:63], s[62:63], exec
	s_trap 2
	s_or_b64 exec, exec, s[2:3]
	s_and_saveexec_b64 s[2:3], s[62:63]
	s_xor_b64 s[2:3], exec, s[2:3]
	s_cbranch_execnz .LBB67_281
.LBB67_937:
	s_or_b64 exec, exec, s[2:3]
	s_and_saveexec_b64 s[2:3], s[6:7]
	s_cbranch_execz .LBB67_983
.LBB67_938:
	s_sext_i32_i16 s6, s74
	s_cmp_lt_i32 s6, 5
	s_cbranch_scc1 .LBB67_943
; %bb.939:
	s_cmp_lt_i32 s6, 8
	s_cbranch_scc1 .LBB67_944
; %bb.940:
	s_cmp_lt_i32 s6, 9
	s_cbranch_scc1 .LBB67_945
; %bb.941:
	s_cmp_gt_i32 s6, 9
	s_cbranch_scc0 .LBB67_946
; %bb.942:
	global_load_dwordx2 v[3:4], v[1:2], off
	s_movk_i32 s6, 0x1ff
	s_movk_i32 s7, 0xffe
	v_mov_b32_e32 v5, 0x7c00
	v_mov_b32_e32 v6, 0x7e00
	s_movk_i32 s10, 0x40f
	s_mov_b32 s11, 0x8000
	s_waitcnt vmcnt(0)
	v_and_or_b32 v3, v4, s6, v3
	v_cmp_ne_u32_e32 vcc, 0, v3
	v_lshrrev_b32_e32 v7, 8, v4
	v_bfe_u32 v8, v4, 20, 11
	v_cndmask_b32_e64 v3, 0, 1, vcc
	v_sub_u32_e32 v9, 0x3f1, v8
	v_and_or_b32 v3, v7, s7, v3
	v_add_u32_e32 v8, 0xfffffc10, v8
	v_med3_i32 v7, v9, 0, 13
	v_or_b32_e32 v9, 0x1000, v3
	v_cmp_ne_u32_e32 vcc, 0, v3
	v_lshl_or_b32 v10, v8, 12, v3
	v_cndmask_b32_e32 v3, v5, v6, vcc
	v_lshrrev_b32_e32 v6, v7, v9
	v_lshlrev_b32_e32 v7, v7, v6
	v_cmp_ne_u32_e32 vcc, v7, v9
	v_cndmask_b32_e64 v7, 0, 1, vcc
	v_or_b32_e32 v6, v6, v7
	v_cmp_gt_i32_e32 vcc, 1, v8
	v_cndmask_b32_e32 v6, v10, v6, vcc
	v_and_b32_e32 v7, 7, v6
	v_cmp_lt_i32_e32 vcc, 5, v7
	v_cndmask_b32_e64 v9, 0, 1, vcc
	v_cmp_eq_u32_e32 vcc, 3, v7
	v_cndmask_b32_e64 v7, 0, 1, vcc
	v_lshrrev_b32_e32 v6, 2, v6
	v_or_b32_e32 v7, v7, v9
	v_add_u32_e32 v6, v6, v7
	v_cmp_gt_i32_e32 vcc, 31, v8
	v_cndmask_b32_e32 v5, v5, v6, vcc
	v_cmp_eq_u32_e32 vcc, s10, v8
	v_lshrrev_b32_e32 v4, 16, v4
	v_cndmask_b32_e32 v3, v5, v3, vcc
	v_and_or_b32 v4, v4, s11, v3
	s_mov_b64 s[6:7], 0
	s_branch .LBB67_947
.LBB67_943:
                                        ; implicit-def: $vgpr4
	s_branch .LBB67_964
.LBB67_944:
                                        ; implicit-def: $vgpr4
	s_branch .LBB67_953
.LBB67_945:
	s_mov_b64 s[6:7], -1
                                        ; implicit-def: $vgpr4
	s_branch .LBB67_950
.LBB67_946:
	s_mov_b64 s[6:7], -1
                                        ; implicit-def: $vgpr4
.LBB67_947:
	s_andn2_b64 vcc, exec, s[6:7]
	s_cbranch_vccnz .LBB67_949
; %bb.948:
	global_load_dword v3, v[1:2], off
	s_waitcnt vmcnt(0)
	v_cvt_f16_f32_e32 v4, v3
.LBB67_949:
	s_mov_b64 s[6:7], 0
.LBB67_950:
	s_andn2_b64 vcc, exec, s[6:7]
	s_cbranch_vccnz .LBB67_952
; %bb.951:
	global_load_dword v4, v[1:2], off
.LBB67_952:
	s_cbranch_execnz .LBB67_963
.LBB67_953:
	s_sext_i32_i16 s6, s74
	s_cmp_lt_i32 s6, 6
	s_cbranch_scc1 .LBB67_956
; %bb.954:
	s_cmp_gt_i32 s6, 6
	s_cbranch_scc0 .LBB67_957
; %bb.955:
	global_load_dwordx2 v[3:4], v[1:2], off
	s_movk_i32 s6, 0x1ff
	s_movk_i32 s7, 0xffe
	v_mov_b32_e32 v5, 0x7c00
	v_mov_b32_e32 v6, 0x7e00
	s_movk_i32 s10, 0x40f
	s_mov_b32 s11, 0x8000
	s_waitcnt vmcnt(0)
	v_and_or_b32 v3, v4, s6, v3
	v_cmp_ne_u32_e32 vcc, 0, v3
	v_lshrrev_b32_e32 v7, 8, v4
	v_bfe_u32 v8, v4, 20, 11
	v_cndmask_b32_e64 v3, 0, 1, vcc
	v_sub_u32_e32 v9, 0x3f1, v8
	v_and_or_b32 v3, v7, s7, v3
	v_add_u32_e32 v8, 0xfffffc10, v8
	v_med3_i32 v7, v9, 0, 13
	v_or_b32_e32 v9, 0x1000, v3
	v_cmp_ne_u32_e32 vcc, 0, v3
	v_lshl_or_b32 v10, v8, 12, v3
	v_cndmask_b32_e32 v3, v5, v6, vcc
	v_lshrrev_b32_e32 v6, v7, v9
	v_lshlrev_b32_e32 v7, v7, v6
	v_cmp_ne_u32_e32 vcc, v7, v9
	v_cndmask_b32_e64 v7, 0, 1, vcc
	v_or_b32_e32 v6, v6, v7
	v_cmp_gt_i32_e32 vcc, 1, v8
	v_cndmask_b32_e32 v6, v10, v6, vcc
	v_and_b32_e32 v7, 7, v6
	v_cmp_lt_i32_e32 vcc, 5, v7
	v_cndmask_b32_e64 v9, 0, 1, vcc
	v_cmp_eq_u32_e32 vcc, 3, v7
	v_cndmask_b32_e64 v7, 0, 1, vcc
	v_lshrrev_b32_e32 v6, 2, v6
	v_or_b32_e32 v7, v7, v9
	v_add_u32_e32 v6, v6, v7
	v_cmp_gt_i32_e32 vcc, 31, v8
	v_cndmask_b32_e32 v5, v5, v6, vcc
	v_cmp_eq_u32_e32 vcc, s10, v8
	v_lshrrev_b32_e32 v4, 16, v4
	v_cndmask_b32_e32 v3, v5, v3, vcc
	v_and_or_b32 v4, v4, s11, v3
	s_mov_b64 s[6:7], 0
	s_branch .LBB67_958
.LBB67_956:
	s_mov_b64 s[6:7], -1
                                        ; implicit-def: $vgpr4
	s_branch .LBB67_961
.LBB67_957:
	s_mov_b64 s[6:7], -1
                                        ; implicit-def: $vgpr4
.LBB67_958:
	s_andn2_b64 vcc, exec, s[6:7]
	s_cbranch_vccnz .LBB67_960
; %bb.959:
	global_load_dword v3, v[1:2], off
	s_waitcnt vmcnt(0)
	v_cvt_f16_f32_e32 v4, v3
.LBB67_960:
	s_mov_b64 s[6:7], 0
.LBB67_961:
	s_andn2_b64 vcc, exec, s[6:7]
	s_cbranch_vccnz .LBB67_963
; %bb.962:
	global_load_ushort v4, v[1:2], off
.LBB67_963:
	s_cbranch_execnz .LBB67_982
.LBB67_964:
	s_sext_i32_i16 s6, s74
	s_cmp_lt_i32 s6, 2
	s_cbranch_scc1 .LBB67_968
; %bb.965:
	s_cmp_lt_i32 s6, 3
	s_cbranch_scc1 .LBB67_969
; %bb.966:
	s_cmp_gt_i32 s6, 3
	s_cbranch_scc0 .LBB67_970
; %bb.967:
	global_load_dwordx2 v[3:4], v[1:2], off
	s_mov_b64 s[6:7], 0
	s_waitcnt vmcnt(0)
	v_xor_b32_e32 v6, v3, v4
	v_ffbh_i32_e32 v5, v4
	v_ashrrev_i32_e32 v6, 31, v6
	v_add_u32_e32 v5, -1, v5
	v_add_u32_e32 v6, 32, v6
	v_min_u32_e32 v5, v5, v6
	v_lshlrev_b64 v[3:4], v5, v[3:4]
	v_min_u32_e32 v3, 1, v3
	v_or_b32_e32 v3, v4, v3
	v_cvt_f32_i32_e32 v3, v3
	v_sub_u32_e32 v4, 32, v5
	v_ldexp_f32 v3, v3, v4
	v_cvt_f16_f32_e32 v4, v3
	s_branch .LBB67_971
.LBB67_968:
                                        ; implicit-def: $vgpr4
	s_branch .LBB67_977
.LBB67_969:
	s_mov_b64 s[6:7], -1
                                        ; implicit-def: $vgpr4
	s_branch .LBB67_974
.LBB67_970:
	s_mov_b64 s[6:7], -1
                                        ; implicit-def: $vgpr4
.LBB67_971:
	s_andn2_b64 vcc, exec, s[6:7]
	s_cbranch_vccnz .LBB67_973
; %bb.972:
	global_load_dword v3, v[1:2], off
	s_waitcnt vmcnt(0)
	v_cvt_f32_i32_e32 v3, v3
	v_cvt_f16_f32_e32 v4, v3
.LBB67_973:
	s_mov_b64 s[6:7], 0
.LBB67_974:
	s_andn2_b64 vcc, exec, s[6:7]
	s_cbranch_vccnz .LBB67_976
; %bb.975:
	global_load_ushort v3, v[1:2], off
	s_waitcnt vmcnt(0)
	v_cvt_f16_i16_e32 v4, v3
.LBB67_976:
	s_cbranch_execnz .LBB67_982
.LBB67_977:
	s_sext_i32_i16 s6, s74
	s_cmp_gt_i32 s6, 0
	s_cbranch_scc0 .LBB67_979
; %bb.978:
	global_load_sbyte v3, v[1:2], off
	s_mov_b64 s[6:7], 0
	s_waitcnt vmcnt(0)
	v_cvt_f16_i16_e32 v4, v3
	s_branch .LBB67_980
.LBB67_979:
	s_mov_b64 s[6:7], -1
                                        ; implicit-def: $vgpr4
.LBB67_980:
	s_andn2_b64 vcc, exec, s[6:7]
	s_cbranch_vccnz .LBB67_982
; %bb.981:
	global_load_ubyte v1, v[1:2], off
	s_waitcnt vmcnt(0)
	v_cvt_f16_u16_e32 v4, v1
.LBB67_982:
	s_or_b64 s[0:1], s[0:1], exec
.LBB67_983:
	s_or_b64 exec, exec, s[2:3]
	s_mov_b64 s[6:7], 0
	s_mov_b64 s[2:3], 0
                                        ; implicit-def: $sgpr16
                                        ; implicit-def: $vgpr1_vgpr2
                                        ; implicit-def: $vgpr3
	s_and_saveexec_b64 s[10:11], s[0:1]
	s_cbranch_execz .LBB67_1007
; %bb.984:
	s_waitcnt vmcnt(0)
	v_cvt_f32_f16_e32 v1, v4
	v_cmp_gt_f16_e32 vcc, 0.5, v4
	v_mov_b32_e32 v3, 0
	v_mov_b32_e32 v2, 1.0
	s_and_saveexec_b64 s[12:13], vcc
	s_cbranch_execz .LBB67_990
; %bb.985:
	v_mul_f32_e32 v2, 0x40490fdb, v1
	s_brev_b32 s0, 18
	v_and_b32_e32 v3, 0x7fffffff, v2
	v_cmp_nlt_f32_e64 s[0:1], |v2|, s0
                                        ; implicit-def: $vgpr4
                                        ; implicit-def: $vgpr5
	s_and_saveexec_b64 s[2:3], s[0:1]
	s_xor_b64 s[14:15], exec, s[2:3]
	s_cbranch_execz .LBB67_987
; %bb.986:
	v_and_b32_e32 v4, 0x7fffff, v3
	v_or_b32_e32 v13, 0x800000, v4
	s_mov_b32 s0, 0xfe5163ab
	v_mad_u64_u32 v[4:5], s[0:1], v13, s0, 0
	v_mov_b32_e32 v6, 0
	s_mov_b32 s0, 0x3c439041
	v_mad_u64_u32 v[7:8], s[0:1], v13, s0, v[5:6]
	s_mov_b32 s0, 0xdb629599
	v_not_b32_e32 v12, 63
	v_mov_b32_e32 v5, v8
	v_mad_u64_u32 v[8:9], s[0:1], v13, s0, v[5:6]
	s_mov_b32 s0, 0xf534ddc0
	v_not_b32_e32 v15, 31
	v_mov_b32_e32 v5, v9
	v_mad_u64_u32 v[9:10], s[0:1], v13, s0, v[5:6]
	v_lshrrev_b32_e32 v5, 23, v3
	v_add_u32_e32 v14, 0xffffff88, v5
	v_mov_b32_e32 v5, v10
	s_mov_b32 s0, 0xfc2757d1
	v_mad_u64_u32 v[10:11], s[0:1], v13, s0, v[5:6]
	v_cmp_lt_u32_e32 vcc, 63, v14
	v_cndmask_b32_e32 v5, 0, v12, vcc
	v_add_u32_e32 v14, v5, v14
	v_mov_b32_e32 v5, v11
	s_mov_b32 s0, 0x4e441529
	v_mad_u64_u32 v[11:12], s[0:1], v13, s0, v[5:6]
	v_cmp_lt_u32_e64 s[0:1], 31, v14
	v_cndmask_b32_e64 v5, 0, v15, s[0:1]
	v_add_u32_e32 v14, v5, v14
	v_mov_b32_e32 v5, v12
	s_mov_b32 s2, 0xa2f9836e
	v_mad_u64_u32 v[5:6], s[2:3], v13, s2, v[5:6]
	v_cmp_lt_u32_e64 s[2:3], 31, v14
	v_cndmask_b32_e64 v12, 0, v15, s[2:3]
	v_cndmask_b32_e32 v13, v11, v9, vcc
	v_cndmask_b32_e32 v5, v5, v10, vcc
	;; [unrolled: 1-line block ×3, first 2 shown]
	v_add_u32_e32 v12, v12, v14
	v_cndmask_b32_e64 v14, v5, v13, s[0:1]
	v_cndmask_b32_e64 v5, v6, v5, s[0:1]
	v_cndmask_b32_e32 v6, v10, v8, vcc
	v_cndmask_b32_e64 v10, v13, v6, s[0:1]
	v_cndmask_b32_e64 v5, v5, v14, s[2:3]
	v_cndmask_b32_e64 v11, v14, v10, s[2:3]
	v_sub_u32_e32 v13, 32, v12
	v_alignbit_b32 v14, v5, v11, v13
	v_cmp_eq_u32_e64 s[6:7], 0, v12
	v_cndmask_b32_e64 v12, v14, v5, s[6:7]
	v_cndmask_b32_e32 v5, v9, v7, vcc
	v_cndmask_b32_e64 v6, v6, v5, s[0:1]
	v_cndmask_b32_e64 v7, v10, v6, s[2:3]
	v_alignbit_b32 v9, v11, v7, v13
	v_cndmask_b32_e32 v4, v8, v4, vcc
	v_cndmask_b32_e64 v9, v9, v11, s[6:7]
	v_bfe_u32 v14, v12, 29, 1
	v_cndmask_b32_e64 v4, v5, v4, s[0:1]
	v_alignbit_b32 v10, v12, v9, 30
	v_sub_u32_e32 v15, 0, v14
	v_cndmask_b32_e64 v4, v6, v4, s[2:3]
	v_xor_b32_e32 v10, v10, v15
	v_alignbit_b32 v5, v7, v4, v13
	v_cndmask_b32_e64 v5, v5, v7, s[6:7]
	v_ffbh_u32_e32 v7, v10
	v_alignbit_b32 v6, v9, v5, 30
	v_min_u32_e32 v7, 32, v7
	v_alignbit_b32 v4, v5, v4, 30
	v_xor_b32_e32 v6, v6, v15
	v_sub_u32_e32 v8, 31, v7
	v_xor_b32_e32 v4, v4, v15
	v_alignbit_b32 v9, v10, v6, v8
	v_alignbit_b32 v4, v6, v4, v8
	;; [unrolled: 1-line block ×3, first 2 shown]
	v_ffbh_u32_e32 v6, v5
	v_min_u32_e32 v6, 32, v6
	v_lshrrev_b32_e32 v11, 29, v12
	v_not_b32_e32 v8, v6
	v_alignbit_b32 v4, v5, v4, v8
	v_lshlrev_b32_e32 v5, 31, v11
	v_or_b32_e32 v8, 0x33000000, v5
	v_add_lshl_u32 v6, v6, v7, 23
	v_lshrrev_b32_e32 v4, 9, v4
	v_sub_u32_e32 v6, v8, v6
	v_or_b32_e32 v5, 0.5, v5
	v_lshlrev_b32_e32 v7, 23, v7
	v_or_b32_e32 v4, v6, v4
	v_lshrrev_b32_e32 v6, 9, v9
	v_sub_u32_e32 v5, v5, v7
	v_or_b32_e32 v5, v6, v5
	s_mov_b32 s0, 0x3fc90fda
	v_mul_f32_e32 v6, 0x3fc90fda, v5
	v_fma_f32 v7, v5, s0, -v6
	v_fmac_f32_e32 v7, 0x33a22168, v5
	v_fmac_f32_e32 v7, 0x3fc90fda, v4
	v_lshrrev_b32_e32 v4, 30, v12
	v_add_f32_e32 v5, v6, v7
	v_add_u32_e32 v4, v14, v4
.LBB67_987:
	s_andn2_saveexec_b64 s[0:1], s[14:15]
	s_cbranch_execz .LBB67_989
; %bb.988:
	s_mov_b32 s2, 0x3f22f983
	v_mul_f32_e64 v4, |v2|, s2
	v_rndne_f32_e32 v6, v4
	s_mov_b32 s2, 0xbfc90fda
	v_cvt_i32_f32_e32 v4, v6
	v_fma_f32 v5, v6, s2, |v2|
	v_fmac_f32_e32 v5, 0xb3a22168, v6
	v_fmac_f32_e32 v5, 0xa7c234c4, v6
.LBB67_989:
	s_or_b64 exec, exec, s[0:1]
	v_mul_f32_e32 v6, v5, v5
	v_mov_b32_e32 v7, 0x3c0881c4
	v_fmac_f32_e32 v7, 0xb94c1982, v6
	v_mov_b32_e32 v8, 0xbe2aaa9d
	v_fmac_f32_e32 v8, v6, v7
	v_mul_f32_e32 v7, v6, v8
	v_fmac_f32_e32 v5, v5, v7
	v_mov_b32_e32 v7, 0xbab64f3b
	v_fmac_f32_e32 v7, 0x37d75334, v6
	v_mov_b32_e32 v8, 0x3d2aabf7
	v_fmac_f32_e32 v8, v6, v7
	v_mov_b32_e32 v7, 0xbf000004
	v_fmac_f32_e32 v7, v6, v8
	v_fma_f32 v6, v6, v7, 1.0
	v_and_b32_e32 v7, 1, v4
	v_lshlrev_b32_e32 v4, 30, v4
	v_cmp_eq_u32_e32 vcc, 0, v7
	v_and_b32_e32 v4, 0x80000000, v4
	v_xor_b32_e32 v3, v3, v2
	v_cndmask_b32_e32 v5, v6, v5, vcc
	v_xor_b32_e32 v3, v3, v4
	s_movk_i32 s0, 0x1f8
	v_xor_b32_e32 v3, v3, v5
	v_mov_b32_e32 v4, 0x7fc00000
	v_cmp_class_f32_e64 vcc, v2, s0
	v_cndmask_b32_e32 v2, v4, v3, vcc
	v_mul_f32_e32 v2, v2, v2
	s_mov_b32 s2, 0xc11de9e7
	v_div_scale_f32 v3, s[0:1], v2, v2, s2
	v_div_scale_f32 v4, vcc, s2, v2, s2
	v_sub_f32_e32 v1, 1.0, v1
	v_rcp_f32_e32 v5, v3
	v_fma_f32 v6, -v3, v5, 1.0
	v_fmac_f32_e32 v5, v6, v5
	v_mul_f32_e32 v6, v4, v5
	v_fma_f32 v7, -v3, v6, v4
	v_fmac_f32_e32 v6, v7, v5
	v_fma_f32 v3, -v3, v6, v4
	v_div_fmas_f32 v3, v3, v5, v6
	v_div_fixup_f32 v2, v3, v2, s2
	v_add_f32_e32 v3, 0, v2
	v_mov_b32_e32 v2, -1.0
.LBB67_990:
	s_or_b64 exec, exec, s[12:13]
	v_mul_f32_e32 v4, v1, v1
	v_div_scale_f32 v6, s[0:1], v4, v4, 1.0
	v_add_f32_e32 v5, 1.0, v1
	v_mul_f32_e32 v1, v5, v5
	v_div_scale_f32 v8, s[0:1], v1, v1, 1.0
	v_div_scale_f32 v7, vcc, 1.0, v4, 1.0
	v_add_f32_e32 v9, 1.0, v5
	v_div_scale_f32 v10, s[0:1], 1.0, v1, 1.0
	v_mul_f32_e32 v5, v9, v9
	v_div_scale_f32 v11, s[2:3], v5, v5, 1.0
	v_div_scale_f32 v14, s[2:3], 1.0, v5, 1.0
	v_rcp_f32_e32 v12, v6
	v_add_f32_e32 v9, 1.0, v9
	s_and_b32 s16, s73, 0xff
	s_cmp_lt_i32 s16, 11
	v_rcp_f32_e32 v13, v8
	v_fma_f32 v15, -v6, v12, 1.0
	v_fmac_f32_e32 v12, v15, v12
	v_mul_f32_e32 v16, v7, v12
	v_fma_f32 v17, -v6, v16, v7
	v_fma_f32 v15, -v8, v13, 1.0
	v_fmac_f32_e32 v16, v17, v12
	v_fma_f32 v6, -v6, v16, v7
	v_fmac_f32_e32 v13, v15, v13
	v_div_fmas_f32 v6, v6, v12, v16
	v_mul_f32_e32 v12, v10, v13
	v_fma_f32 v7, -v8, v12, v10
	v_rcp_f32_e32 v15, v11
	v_fmac_f32_e32 v12, v7, v13
	v_mul_f32_e32 v7, v9, v9
	v_div_scale_f32 v16, s[6:7], v7, v7, 1.0
	v_fma_f32 v8, -v8, v12, v10
	v_fma_f32 v10, -v11, v15, 1.0
	v_fmac_f32_e32 v15, v10, v15
	s_mov_b64 vcc, s[0:1]
	v_mul_f32_e32 v10, v14, v15
	v_div_fmas_f32 v8, v8, v13, v12
	v_fma_f32 v12, -v11, v10, v14
	v_fmac_f32_e32 v10, v12, v15
	v_div_scale_f32 v12, s[0:1], 1.0, v7, 1.0
	v_add_f32_e32 v13, 1.0, v9
	v_mul_f32_e32 v9, v13, v13
	v_div_scale_f32 v17, s[6:7], v9, v9, 1.0
	v_fma_f32 v11, -v11, v10, v14
	s_mov_b64 vcc, s[2:3]
	v_div_fmas_f32 v10, v11, v15, v10
	v_div_scale_f32 v11, s[2:3], 1.0, v9, 1.0
	v_rcp_f32_e32 v14, v16
	v_add_f32_e32 v13, 1.0, v13
	v_mul_f32_e32 v18, v13, v13
	v_div_scale_f32 v19, s[6:7], v18, v18, 1.0
	v_fma_f32 v15, -v16, v14, 1.0
	v_fmac_f32_e32 v14, v15, v14
	v_mul_f32_e32 v15, v12, v14
	v_fma_f32 v20, -v16, v15, v12
	v_fmac_f32_e32 v15, v20, v14
	v_rcp_f32_e32 v20, v17
	v_fma_f32 v12, -v16, v15, v12
	s_mov_b64 vcc, s[0:1]
	v_div_fmas_f32 v12, v12, v14, v15
	v_fma_f32 v14, -v17, v20, 1.0
	v_fmac_f32_e32 v20, v14, v20
	v_mul_f32_e32 v14, v11, v20
	v_fma_f32 v15, -v17, v14, v11
	v_fmac_f32_e32 v14, v15, v20
	v_div_scale_f32 v15, s[0:1], 1.0, v18, 1.0
	v_add_f32_e32 v13, 1.0, v13
	v_mul_f32_e32 v21, v13, v13
	v_div_scale_f32 v22, s[6:7], v21, v21, 1.0
	v_rcp_f32_e32 v16, v19
	v_fma_f32 v11, -v17, v14, v11
	s_mov_b64 vcc, s[2:3]
	v_div_scale_f32 v17, s[2:3], 1.0, v21, 1.0
	v_div_fmas_f32 v11, v11, v20, v14
	v_add_f32_e32 v20, v13, v13
	v_div_scale_f32 v23, s[6:7], v20, v20, 1.0
	v_fma_f32 v14, -v19, v16, 1.0
	v_fmac_f32_e32 v16, v14, v16
	v_mul_f32_e32 v14, v15, v16
	v_fma_f32 v24, -v19, v14, v15
	v_fmac_f32_e32 v14, v24, v16
	v_div_scale_f32 v24, s[6:7], 1.0, v20, 1.0
	v_rcp_f32_e32 v25, v22
	v_fma_f32 v15, -v19, v14, v15
	s_mov_b64 vcc, s[0:1]
	v_div_fmas_f32 v14, v15, v16, v14
	v_fma_f32 v15, -v22, v25, 1.0
	v_fmac_f32_e32 v25, v15, v25
	v_mul_f32_e32 v15, v17, v25
	v_fma_f32 v16, -v22, v15, v17
	v_fmac_f32_e32 v15, v16, v25
	v_rcp_f32_e32 v16, v23
	v_fma_f32 v17, -v22, v15, v17
	s_mov_b64 vcc, s[2:3]
	v_div_fmas_f32 v15, v17, v25, v15
	v_fma_f32 v17, -v23, v16, 1.0
	v_fmac_f32_e32 v16, v17, v16
	v_mul_f32_e32 v17, v24, v16
	v_fma_f32 v19, -v23, v17, v24
	v_fmac_f32_e32 v17, v19, v16
	v_fma_f32 v19, -v23, v17, v24
	s_mov_b64 vcc, s[6:7]
	v_div_fmas_f32 v16, v19, v16, v17
	v_mov_b32_e32 v17, 0x3d088889
	s_mov_b32 s0, 0x3e2aaaab
	v_div_fixup_f32 v4, v6, v4, 1.0
	v_add_f32_e32 v3, v3, v4
	v_div_fixup_f32 v1, v8, v1, 1.0
	v_add_f32_e32 v1, v3, v1
	v_div_fixup_f32 v3, v10, v5, 1.0
	v_div_fixup_f32 v15, v15, v21, 1.0
	v_fmac_f32_e32 v17, 0xbcc30c31, v15
	v_fma_f32 v17, -v15, v17, s0
	v_add_f32_e32 v1, v1, v3
	v_div_fixup_f32 v3, v12, v7, 1.0
	v_add_f32_e32 v1, v1, v3
	v_div_fixup_f32 v3, v11, v9, 1.0
	;; [unrolled: 2-line block ×3, first 2 shown]
	v_add_f32_e32 v16, 1.0, v16
	v_fmac_f32_e32 v16, v15, v17
	v_div_scale_f32 v15, s[0:1], v13, v13, v16
	v_div_scale_f32 v17, vcc, v16, v13, v16
	v_div_fixup_f32 v3, v14, v18, 1.0
	v_add_f32_e32 v1, v1, v3
	v_rcp_f32_e32 v19, v15
	v_fma_f32 v20, -v15, v19, 1.0
	v_fmac_f32_e32 v19, v20, v19
	v_mul_f32_e32 v20, v17, v19
	v_fma_f32 v21, -v15, v20, v17
	v_fmac_f32_e32 v20, v21, v19
	v_fma_f32 v15, -v15, v20, v17
	v_div_fmas_f32 v15, v15, v19, v20
	v_div_fixup_f32 v3, v15, v13, v16
	v_add_f32_e32 v1, v1, v3
	v_fma_mixlo_f16 v3, v2, v1, 0
	s_waitcnt lgkmcnt(0)
	v_mov_b32_e32 v2, s25
	v_add_co_u32_e32 v1, vcc, s24, v0
	v_addc_co_u32_e32 v2, vcc, 0, v2, vcc
	s_cbranch_scc1 .LBB67_1010
; %bb.991:
	s_and_b32 s17, 0xffff, s16
	s_mov_b64 s[6:7], -1
	s_cmp_gt_i32 s17, 25
	s_mov_b64 s[0:1], s[54:55]
	s_cbranch_scc0 .LBB67_1028
; %bb.992:
	s_mov_b64 s[2:3], -1
	s_cmp_gt_i32 s17, 28
	s_mov_b64 s[0:1], s[54:55]
	s_cbranch_scc0 .LBB67_1012
; %bb.993:
	s_cmp_gt_i32 s17, 43
	s_mov_b64 s[0:1], s[54:55]
	s_cbranch_scc0 .LBB67_1004
; %bb.994:
	s_cmp_gt_i32 s17, 45
	s_mov_b64 s[0:1], s[54:55]
	s_cbranch_scc0 .LBB67_998
; %bb.995:
	s_cmp_eq_u32 s17, 46
	s_mov_b64 s[0:1], -1
	s_cbranch_scc0 .LBB67_997
; %bb.996:
	v_cvt_f32_f16_e32 v0, v3
	s_movk_i32 s0, 0x7fff
	v_cmp_o_f16_e32 vcc, v3, v3
	v_mov_b32_e32 v4, 0x7fc0
	v_bfe_u32 v5, v0, 16, 1
	v_add3_u32 v0, v0, v5, s0
	v_cndmask_b32_sdwa v0, v4, v0, vcc dst_sel:DWORD dst_unused:UNUSED_PAD src0_sel:DWORD src1_sel:WORD_1
	global_store_dword v[1:2], v0, off
	s_mov_b64 s[0:1], 0
.LBB67_997:
	s_mov_b64 s[2:3], 0
.LBB67_998:
	s_and_b64 vcc, exec, s[2:3]
	s_cbranch_vccz .LBB67_1003
; %bb.999:
	s_cmp_eq_u32 s17, 44
	s_mov_b64 s[0:1], -1
	s_cbranch_scc0 .LBB67_1003
; %bb.1000:
	v_cvt_f32_f16_e32 v0, v3
	s_movk_i32 s0, 0xff
	v_mov_b32_e32 v5, 0xff
	v_bfe_u32 v4, v0, 23, 8
	v_cmp_ne_u32_e32 vcc, s0, v4
	s_and_saveexec_b64 s[2:3], vcc
; %bb.1001:
	s_mov_b32 s0, 0x3fffff
	v_lshrrev_b32_e32 v5, 23, v0
	v_and_b32_e32 v6, 0x400000, v0
	v_and_or_b32 v0, v0, s0, v4
	v_cmp_ne_u32_e32 vcc, 0, v6
	v_cmp_ne_u32_e64 s[0:1], 0, v0
	s_and_b64 s[0:1], vcc, s[0:1]
	v_cndmask_b32_e64 v0, 0, 1, s[0:1]
	v_add_u32_e32 v5, v5, v0
; %bb.1002:
	s_or_b64 exec, exec, s[2:3]
	s_mov_b64 s[0:1], 0
	global_store_byte v[1:2], v5, off
.LBB67_1003:
	s_mov_b64 s[2:3], 0
.LBB67_1004:
	s_and_b64 vcc, exec, s[2:3]
	s_cbranch_vccz .LBB67_1011
; %bb.1005:
	s_cmp_eq_u32 s17, 29
	s_mov_b64 s[0:1], -1
	s_cbranch_scc0 .LBB67_1011
; %bb.1006:
	v_cvt_f32_f16_e32 v0, v3
	v_mov_b32_e32 v5, 0
	s_mov_b64 s[0:1], 0
	s_mov_b64 s[2:3], 0
	v_cvt_u32_f32_e32 v4, v0
	global_store_dwordx2 v[1:2], v[4:5], off
	s_branch .LBB67_1012
.LBB67_1007:
	s_or_b64 exec, exec, s[10:11]
	s_and_saveexec_b64 s[0:1], s[54:55]
	s_cbranch_execnz .LBB67_1070
.LBB67_1008:
	s_or_b64 exec, exec, s[0:1]
	s_and_saveexec_b64 s[0:1], s[6:7]
	s_xor_b64 s[0:1], exec, s[0:1]
	s_cbranch_execz .LBB67_1071
.LBB67_1009:
	s_waitcnt vmcnt(0)
	v_cmp_neq_f16_e32 vcc, 0, v3
	v_cndmask_b32_e64 v0, 0, 1, vcc
	global_store_byte v[1:2], v0, off
	s_or_b64 exec, exec, s[0:1]
	s_and_saveexec_b64 s[0:1], s[2:3]
	s_xor_b64 s[0:1], exec, s[0:1]
	s_cbranch_execz .LBB67_1109
	s_branch .LBB67_1072
.LBB67_1010:
	s_mov_b64 s[6:7], 0
	s_mov_b64 s[2:3], -1
	s_mov_b64 s[0:1], s[54:55]
	s_branch .LBB67_1069
.LBB67_1011:
	s_mov_b64 s[2:3], 0
.LBB67_1012:
	s_and_b64 vcc, exec, s[2:3]
	s_cbranch_vccz .LBB67_1027
; %bb.1013:
	s_cmp_lt_i32 s17, 27
	s_mov_b64 s[2:3], -1
	s_cbranch_scc1 .LBB67_1019
; %bb.1014:
	s_cmp_gt_i32 s17, 27
	s_cbranch_scc0 .LBB67_1016
; %bb.1015:
	v_cvt_f32_f16_e32 v0, v3
	s_mov_b64 s[2:3], 0
	v_cvt_u32_f32_e32 v0, v0
	global_store_dword v[1:2], v0, off
.LBB67_1016:
	s_andn2_b64 vcc, exec, s[2:3]
	s_cbranch_vccnz .LBB67_1018
; %bb.1017:
	v_cvt_u16_f16_e32 v0, v3
	global_store_short v[1:2], v0, off
.LBB67_1018:
	s_mov_b64 s[2:3], 0
.LBB67_1019:
	s_andn2_b64 vcc, exec, s[2:3]
	s_cbranch_vccnz .LBB67_1027
; %bb.1020:
	v_cvt_f32_f16_e32 v0, v3
	s_mov_b32 s2, 0x43800000
	v_mov_b32_e32 v5, 0x80
	v_and_b32_e32 v4, 0x7fffffff, v0
	v_cmp_gt_u32_e32 vcc, s2, v4
	s_and_saveexec_b64 s[2:3], vcc
	s_cbranch_execz .LBB67_1026
; %bb.1021:
	s_mov_b32 s6, 0x3bffffff
	v_cmp_lt_u32_e32 vcc, s6, v4
	s_mov_b64 s[6:7], 0
                                        ; implicit-def: $vgpr4
	s_and_saveexec_b64 s[12:13], vcc
	s_xor_b64 s[12:13], exec, s[12:13]
	s_cbranch_execz .LBB67_1180
; %bb.1022:
	v_bfe_u32 v4, v0, 20, 1
	s_mov_b32 s14, 0x487ffff
	v_add3_u32 v4, v0, v4, s14
	s_mov_b64 s[6:7], exec
	v_lshrrev_b32_e32 v4, 20, v4
	s_andn2_saveexec_b64 s[12:13], s[12:13]
	s_cbranch_execnz .LBB67_1181
.LBB67_1023:
	s_or_b64 exec, exec, s[12:13]
	v_mov_b32_e32 v5, 0
	s_and_saveexec_b64 s[12:13], s[6:7]
.LBB67_1024:
	v_lshrrev_b32_e32 v0, 24, v0
	s_movk_i32 s6, 0x80
	v_and_or_b32 v5, v0, s6, v4
.LBB67_1025:
	s_or_b64 exec, exec, s[12:13]
.LBB67_1026:
	s_or_b64 exec, exec, s[2:3]
	global_store_byte v[1:2], v5, off
.LBB67_1027:
	s_mov_b64 s[6:7], 0
.LBB67_1028:
	s_mov_b64 s[2:3], 0
	s_and_b64 vcc, exec, s[6:7]
	s_cbranch_vccz .LBB67_1068
; %bb.1029:
	s_cmp_gt_i32 s17, 22
	s_mov_b64 s[6:7], -1
	s_cbranch_scc0 .LBB67_1061
; %bb.1030:
	s_cmp_lt_i32 s17, 24
	s_cbranch_scc1 .LBB67_1050
; %bb.1031:
	s_cmp_gt_i32 s17, 24
	s_cbranch_scc0 .LBB67_1039
; %bb.1032:
	v_cvt_f32_f16_e32 v0, v3
	s_mov_b32 s6, 0x47800000
	v_mov_b32_e32 v5, 0x80
	v_and_b32_e32 v4, 0x7fffffff, v0
	v_cmp_gt_u32_e32 vcc, s6, v4
	s_and_saveexec_b64 s[6:7], vcc
	s_cbranch_execz .LBB67_1038
; %bb.1033:
	s_mov_b32 s12, 0x37ffffff
	v_cmp_lt_u32_e32 vcc, s12, v4
	s_mov_b64 s[12:13], 0
                                        ; implicit-def: $vgpr4
	s_and_saveexec_b64 s[14:15], vcc
	s_xor_b64 s[14:15], exec, s[14:15]
	s_cbranch_execz .LBB67_1311
; %bb.1034:
	v_bfe_u32 v4, v0, 21, 1
	s_mov_b32 s18, 0x88fffff
	v_add3_u32 v4, v0, v4, s18
	s_mov_b64 s[12:13], exec
	v_lshrrev_b32_e32 v4, 21, v4
	s_andn2_saveexec_b64 s[14:15], s[14:15]
	s_cbranch_execnz .LBB67_1312
.LBB67_1035:
	s_or_b64 exec, exec, s[14:15]
	v_mov_b32_e32 v5, 0
	s_and_saveexec_b64 s[14:15], s[12:13]
.LBB67_1036:
	v_lshrrev_b32_e32 v0, 24, v0
	s_movk_i32 s12, 0x80
	v_and_or_b32 v5, v0, s12, v4
.LBB67_1037:
	s_or_b64 exec, exec, s[14:15]
.LBB67_1038:
	s_or_b64 exec, exec, s[6:7]
	s_mov_b64 s[6:7], 0
	global_store_byte v[1:2], v5, off
.LBB67_1039:
	s_and_b64 vcc, exec, s[6:7]
	s_cbranch_vccz .LBB67_1049
; %bb.1040:
	v_cvt_f32_f16_e32 v0, v3
	s_mov_b32 s6, 0x43f00000
                                        ; implicit-def: $vgpr4
	v_and_b32_e32 v5, 0x7fffffff, v0
	v_cmp_gt_u32_e32 vcc, s6, v5
	s_and_saveexec_b64 s[6:7], vcc
	s_xor_b64 s[6:7], exec, s[6:7]
	s_cbranch_execz .LBB67_1046
; %bb.1041:
	s_mov_b32 s12, 0x3c7fffff
	v_cmp_lt_u32_e32 vcc, s12, v5
                                        ; implicit-def: $vgpr4
	s_and_saveexec_b64 s[12:13], vcc
	s_xor_b64 s[12:13], exec, s[12:13]
; %bb.1042:
	v_bfe_u32 v4, v0, 20, 1
	s_mov_b32 s14, 0x407ffff
	v_add3_u32 v4, v0, v4, s14
	v_lshrrev_b32_e32 v5, 20, v4
	v_and_b32_e32 v4, 0xff00000, v4
	s_mov_b32 s14, 0x7f00000
	v_mov_b32_e32 v6, 0x7e
	v_cmp_ne_u32_e32 vcc, s14, v4
	v_cndmask_b32_e32 v4, v6, v5, vcc
; %bb.1043:
	s_andn2_saveexec_b64 s[12:13], s[12:13]
; %bb.1044:
	s_mov_b32 s14, 0x46800000
	v_add_f32_e64 v4, |v0|, s14
; %bb.1045:
	s_or_b64 exec, exec, s[12:13]
                                        ; implicit-def: $vgpr5
.LBB67_1046:
	s_andn2_saveexec_b64 s[6:7], s[6:7]
; %bb.1047:
	s_mov_b32 s12, 0x7f800000
	v_mov_b32_e32 v4, 0x7e
	v_mov_b32_e32 v6, 0x7f
	v_cmp_lt_u32_e32 vcc, s12, v5
	v_cndmask_b32_e32 v4, v4, v6, vcc
; %bb.1048:
	s_or_b64 exec, exec, s[6:7]
	v_lshrrev_b32_e32 v0, 24, v0
	s_movk_i32 s6, 0x80
	v_and_or_b32 v0, v0, s6, v4
	global_store_byte v[1:2], v0, off
.LBB67_1049:
	s_mov_b64 s[6:7], 0
.LBB67_1050:
	s_andn2_b64 vcc, exec, s[6:7]
	s_cbranch_vccnz .LBB67_1060
; %bb.1051:
	v_cvt_f32_f16_e32 v0, v3
	s_mov_b32 s6, 0x47800000
                                        ; implicit-def: $vgpr4
	v_and_b32_e32 v5, 0x7fffffff, v0
	v_cmp_gt_u32_e32 vcc, s6, v5
	s_and_saveexec_b64 s[6:7], vcc
	s_xor_b64 s[6:7], exec, s[6:7]
	s_cbranch_execz .LBB67_1057
; %bb.1052:
	s_mov_b32 s12, 0x387fffff
	v_cmp_lt_u32_e32 vcc, s12, v5
                                        ; implicit-def: $vgpr4
	s_and_saveexec_b64 s[12:13], vcc
	s_xor_b64 s[12:13], exec, s[12:13]
; %bb.1053:
	v_bfe_u32 v4, v0, 21, 1
	s_mov_b32 s14, 0x80fffff
	v_add3_u32 v4, v0, v4, s14
	v_lshrrev_b32_e32 v4, 21, v4
; %bb.1054:
	s_andn2_saveexec_b64 s[12:13], s[12:13]
; %bb.1055:
	s_mov_b32 s14, 0x43000000
	v_add_f32_e64 v4, |v0|, s14
; %bb.1056:
	s_or_b64 exec, exec, s[12:13]
                                        ; implicit-def: $vgpr5
.LBB67_1057:
	s_andn2_saveexec_b64 s[6:7], s[6:7]
; %bb.1058:
	s_mov_b32 s12, 0x7f800000
	v_mov_b32_e32 v4, 0x7c
	v_mov_b32_e32 v6, 0x7f
	v_cmp_lt_u32_e32 vcc, s12, v5
	v_cndmask_b32_e32 v4, v4, v6, vcc
; %bb.1059:
	s_or_b64 exec, exec, s[6:7]
	v_lshrrev_b32_e32 v0, 24, v0
	s_movk_i32 s6, 0x80
	v_and_or_b32 v0, v0, s6, v4
	global_store_byte v[1:2], v0, off
.LBB67_1060:
	s_mov_b64 s[6:7], 0
.LBB67_1061:
	s_andn2_b64 vcc, exec, s[6:7]
	s_mov_b64 s[6:7], 0
	s_cbranch_vccnz .LBB67_1069
; %bb.1062:
	s_cmp_gt_i32 s17, 14
	s_mov_b64 s[12:13], -1
	s_cbranch_scc0 .LBB67_1066
; %bb.1063:
	s_cmp_eq_u32 s17, 15
	s_mov_b64 s[0:1], -1
	s_cbranch_scc0 .LBB67_1065
; %bb.1064:
	v_cvt_f32_f16_e32 v0, v3
	s_movk_i32 s0, 0x7fff
	v_cmp_o_f16_e32 vcc, v3, v3
	v_mov_b32_e32 v4, 0x7fc0
	v_bfe_u32 v5, v0, 16, 1
	v_add3_u32 v0, v0, v5, s0
	v_cndmask_b32_sdwa v0, v4, v0, vcc dst_sel:DWORD dst_unused:UNUSED_PAD src0_sel:DWORD src1_sel:WORD_1
	global_store_short v[1:2], v0, off
	s_mov_b64 s[0:1], 0
.LBB67_1065:
	s_mov_b64 s[12:13], 0
.LBB67_1066:
	s_and_b64 vcc, exec, s[12:13]
	s_cbranch_vccz .LBB67_1069
; %bb.1067:
	s_cmp_lg_u32 s17, 11
	s_cselect_b64 s[12:13], -1, 0
	s_andn2_b64 s[0:1], s[0:1], exec
	s_and_b64 s[12:13], s[12:13], exec
	s_mov_b64 s[6:7], -1
	s_or_b64 s[0:1], s[0:1], s[12:13]
	s_branch .LBB67_1069
.LBB67_1068:
	s_mov_b64 s[6:7], 0
.LBB67_1069:
	s_andn2_b64 s[12:13], s[54:55], exec
	s_and_b64 s[0:1], s[0:1], exec
	s_and_b64 s[2:3], s[2:3], exec
	;; [unrolled: 1-line block ×3, first 2 shown]
	s_or_b64 s[54:55], s[12:13], s[0:1]
	s_or_b64 exec, exec, s[10:11]
	s_and_saveexec_b64 s[0:1], s[54:55]
	s_cbranch_execz .LBB67_1008
.LBB67_1070:
	s_or_b64 s[8:9], s[8:9], exec
	s_andn2_b64 s[6:7], s[6:7], exec
	s_trap 2
	s_or_b64 exec, exec, s[0:1]
	s_and_saveexec_b64 s[0:1], s[6:7]
	s_xor_b64 s[0:1], exec, s[0:1]
	s_cbranch_execnz .LBB67_1009
.LBB67_1071:
	s_or_b64 exec, exec, s[0:1]
	s_and_saveexec_b64 s[0:1], s[2:3]
	s_xor_b64 s[0:1], exec, s[0:1]
	s_cbranch_execz .LBB67_1109
.LBB67_1072:
	s_sext_i32_i16 s6, s16
	s_cmp_lt_i32 s6, 5
	s_mov_b64 s[2:3], -1
	s_cbranch_scc1 .LBB67_1093
; %bb.1073:
	s_cmp_lt_i32 s6, 8
	s_cbranch_scc1 .LBB67_1083
; %bb.1074:
	s_cmp_lt_i32 s6, 9
	s_cbranch_scc1 .LBB67_1080
; %bb.1075:
	s_cmp_gt_i32 s6, 9
	s_cbranch_scc0 .LBB67_1077
; %bb.1076:
	s_waitcnt vmcnt(0)
	v_cvt_f32_f16_e32 v0, v3
	v_mov_b32_e32 v6, 0
	v_mov_b32_e32 v7, v6
	s_mov_b64 s[2:3], 0
	v_cvt_f64_f32_e32 v[4:5], v0
	global_store_dwordx4 v[1:2], v[4:7], off
.LBB67_1077:
	s_andn2_b64 vcc, exec, s[2:3]
	s_cbranch_vccnz .LBB67_1079
; %bb.1078:
	s_waitcnt vmcnt(0)
	v_cvt_f32_f16_e32 v4, v3
	v_mov_b32_e32 v5, 0
	global_store_dwordx2 v[1:2], v[4:5], off
.LBB67_1079:
	s_mov_b64 s[2:3], 0
.LBB67_1080:
	s_andn2_b64 vcc, exec, s[2:3]
	s_cbranch_vccnz .LBB67_1082
; %bb.1081:
	s_waitcnt vmcnt(0)
	v_and_b32_e32 v0, 0xffff, v3
	global_store_dword v[1:2], v0, off
.LBB67_1082:
	s_mov_b64 s[2:3], 0
.LBB67_1083:
	s_andn2_b64 vcc, exec, s[2:3]
	s_cbranch_vccnz .LBB67_1092
; %bb.1084:
	s_sext_i32_i16 s6, s16
	s_cmp_lt_i32 s6, 6
	s_mov_b64 s[2:3], -1
	s_cbranch_scc1 .LBB67_1090
; %bb.1085:
	s_cmp_gt_i32 s6, 6
	s_cbranch_scc0 .LBB67_1087
; %bb.1086:
	s_waitcnt vmcnt(0)
	v_cvt_f32_f16_e32 v0, v3
	s_mov_b64 s[2:3], 0
	v_cvt_f64_f32_e32 v[4:5], v0
	global_store_dwordx2 v[1:2], v[4:5], off
.LBB67_1087:
	s_andn2_b64 vcc, exec, s[2:3]
	s_cbranch_vccnz .LBB67_1089
; %bb.1088:
	s_waitcnt vmcnt(0)
	v_cvt_f32_f16_e32 v0, v3
	global_store_dword v[1:2], v0, off
.LBB67_1089:
	s_mov_b64 s[2:3], 0
.LBB67_1090:
	s_andn2_b64 vcc, exec, s[2:3]
	s_cbranch_vccnz .LBB67_1092
; %bb.1091:
	s_waitcnt vmcnt(0)
	global_store_short v[1:2], v3, off
.LBB67_1092:
	s_mov_b64 s[2:3], 0
.LBB67_1093:
	s_andn2_b64 vcc, exec, s[2:3]
	s_cbranch_vccnz .LBB67_1109
; %bb.1094:
	s_sext_i32_i16 s6, s16
	s_cmp_lt_i32 s6, 2
	s_mov_b64 s[2:3], -1
	s_cbranch_scc1 .LBB67_1104
; %bb.1095:
	s_cmp_lt_i32 s6, 3
	s_cbranch_scc1 .LBB67_1101
; %bb.1096:
	s_cmp_gt_i32 s6, 3
	s_cbranch_scc0 .LBB67_1098
; %bb.1097:
	s_waitcnt vmcnt(0)
	v_cvt_f32_f16_e32 v0, v3
	s_mov_b64 s[2:3], 0
	v_cvt_i32_f32_e32 v4, v0
	v_ashrrev_i32_e32 v5, 31, v4
	global_store_dwordx2 v[1:2], v[4:5], off
.LBB67_1098:
	s_andn2_b64 vcc, exec, s[2:3]
	s_cbranch_vccnz .LBB67_1100
; %bb.1099:
	s_waitcnt vmcnt(0)
	v_cvt_f32_f16_e32 v0, v3
	v_cvt_i32_f32_e32 v0, v0
	global_store_dword v[1:2], v0, off
.LBB67_1100:
	s_mov_b64 s[2:3], 0
.LBB67_1101:
	s_andn2_b64 vcc, exec, s[2:3]
	s_cbranch_vccnz .LBB67_1103
; %bb.1102:
	s_waitcnt vmcnt(0)
	v_cvt_i16_f16_e32 v0, v3
	global_store_short v[1:2], v0, off
.LBB67_1103:
	s_mov_b64 s[2:3], 0
.LBB67_1104:
	s_andn2_b64 vcc, exec, s[2:3]
	s_cbranch_vccnz .LBB67_1109
; %bb.1105:
	s_sext_i32_i16 s2, s16
	s_cmp_gt_i32 s2, 0
	s_mov_b64 s[2:3], -1
	s_cbranch_scc0 .LBB67_1107
; %bb.1106:
	s_waitcnt vmcnt(0)
	v_cvt_i16_f16_e32 v0, v3
	s_mov_b64 s[2:3], 0
	global_store_byte v[1:2], v0, off
.LBB67_1107:
	s_andn2_b64 vcc, exec, s[2:3]
	s_cbranch_vccnz .LBB67_1109
; %bb.1108:
	s_waitcnt vmcnt(0)
	v_cvt_f32_f16_e32 v0, v3
	v_cvt_i32_f32_e32 v0, v0
	global_store_byte v[1:2], v0, off
.LBB67_1109:
	s_or_b64 exec, exec, s[0:1]
	s_and_b64 s[6:7], s[8:9], exec
                                        ; implicit-def: $vgpr15
                                        ; implicit-def: $vgpr8
.LBB67_1110:
	s_waitcnt lgkmcnt(0)
	s_or_saveexec_b64 s[28:29], s[44:45]
	s_mov_b64 s[0:1], 0
                                        ; implicit-def: $vgpr0_vgpr1
                                        ; implicit-def: $sgpr16
                                        ; implicit-def: $vgpr2
	s_xor_b64 exec, exec, s[28:29]
	s_cbranch_execz .LBB67_2138
; %bb.1111:
	v_cndmask_b32_e64 v0, 0, 1, s[42:43]
	v_cmp_ne_u32_e64 s[0:1], 1, v0
	s_andn2_b64 vcc, exec, s[42:43]
	s_cbranch_vccnz .LBB67_1117
; %bb.1112:
	s_cmp_lg_u32 s33, 0
	s_mov_b32 s36, 0
	s_cbranch_scc0 .LBB67_1118
; %bb.1113:
	s_min_u32 s37, s72, 15
	s_add_i32 s37, s37, 1
	s_cmp_eq_u32 s72, 2
	s_cbranch_scc1 .LBB67_1119
; %bb.1114:
	s_and_b32 s36, s37, 28
	s_add_u32 s2, s34, 0xc4
	s_addc_u32 s3, s35, 0
	v_mov_b32_e32 v13, 0
	s_mov_b32 s38, 0
	s_mov_b64 s[30:31], s[34:35]
	v_mov_b32_e32 v6, 0
	v_mov_b32_e32 v0, v8
.LBB67_1115:                            ; =>This Inner Loop Header: Depth=1
	s_load_dwordx8 s[16:23], s[30:31], 0x4
	s_load_dwordx4 s[24:27], s[30:31], 0x24
	s_load_dwordx8 s[8:15], s[2:3], 0x0
	s_add_u32 s30, s30, 48
	s_addc_u32 s31, s31, 0
	s_waitcnt lgkmcnt(0)
	v_mul_hi_u32 v1, s17, v0
	s_add_i32 s38, s38, 4
	s_add_u32 s2, s2, 32
	s_addc_u32 s3, s3, 0
	v_add_u32_e32 v1, v0, v1
	v_lshrrev_b32_e32 v1, s18, v1
	v_mul_lo_u32 v2, v1, s16
	s_waitcnt vmcnt(0)
	v_mul_hi_u32 v3, s20, v1
	s_cmp_lg_u32 s36, s38
	v_sub_u32_e32 v0, v0, v2
	v_add_u32_e32 v2, v1, v3
	v_mul_lo_u32 v3, v0, s8
	v_mul_lo_u32 v4, v0, s9
	v_lshrrev_b32_e32 v0, s21, v2
	v_mul_lo_u32 v2, v0, s19
	v_mul_hi_u32 v5, s23, v0
	v_sub_u32_e32 v1, v1, v2
	v_add_u32_e32 v2, v0, v5
	v_lshrrev_b32_e32 v2, s24, v2
	v_mul_hi_u32 v7, s26, v2
	v_mul_lo_u32 v9, v2, s22
	v_mul_lo_u32 v5, v1, s10
	;; [unrolled: 1-line block ×3, first 2 shown]
	v_sub_u32_e32 v9, v0, v9
	v_add_u32_e32 v0, v2, v7
	v_lshrrev_b32_e32 v0, s27, v0
	v_mul_lo_u32 v7, v0, s25
	v_mul_lo_u32 v10, v9, s12
	v_mul_lo_u32 v9, v9, s13
	v_add3_u32 v3, v3, v6, v5
	v_sub_u32_e32 v2, v2, v7
	v_mul_lo_u32 v7, v2, s14
	v_mul_lo_u32 v2, v2, s15
	v_add3_u32 v1, v4, v13, v1
	v_add3_u32 v6, v10, v3, v7
	;; [unrolled: 1-line block ×3, first 2 shown]
	s_cbranch_scc1 .LBB67_1115
; %bb.1116:
	s_and_b32 s10, s37, 3
	s_cmp_eq_u32 s10, 0
	s_cbranch_scc0 .LBB67_1120
	s_branch .LBB67_1122
.LBB67_1117:
                                        ; implicit-def: $vgpr6
                                        ; implicit-def: $vgpr13
	s_branch .LBB67_1123
.LBB67_1118:
	v_mov_b32_e32 v6, 0
	v_mov_b32_e32 v13, 0
	s_branch .LBB67_1122
.LBB67_1119:
	v_mov_b32_e32 v6, 0
	v_mov_b32_e32 v13, 0
	;; [unrolled: 1-line block ×3, first 2 shown]
	s_and_b32 s10, s37, 3
	s_cmp_eq_u32 s10, 0
	s_cbranch_scc1 .LBB67_1122
.LBB67_1120:
	s_lshl_b32 s2, s36, 3
	s_add_u32 s2, s34, s2
	s_addc_u32 s3, s35, 0
	s_add_u32 s2, s2, 0xc4
	s_addc_u32 s3, s3, 0
	s_mul_i32 s8, s36, 12
	s_add_u32 s8, s34, s8
	s_addc_u32 s9, s35, 0
.LBB67_1121:                            ; =>This Inner Loop Header: Depth=1
	s_load_dwordx2 s[12:13], s[8:9], 0x4
	s_load_dword s11, s[8:9], 0xc
	s_load_dwordx2 s[14:15], s[2:3], 0x0
	s_add_u32 s8, s8, 12
	s_addc_u32 s9, s9, 0
	s_waitcnt lgkmcnt(0)
	v_mul_hi_u32 v1, s13, v0
	s_add_u32 s2, s2, 8
	s_addc_u32 s3, s3, 0
	s_add_i32 s10, s10, -1
	v_add_u32_e32 v1, v0, v1
	v_lshrrev_b32_e32 v1, s11, v1
	v_mul_lo_u32 v2, v1, s12
	s_cmp_lg_u32 s10, 0
	v_sub_u32_e32 v0, v0, v2
	v_mad_u64_u32 v[6:7], s[12:13], v0, s14, v[6:7]
	v_mad_u64_u32 v[13:14], s[12:13], v0, s15, v[13:14]
	v_mov_b32_e32 v0, v1
	s_cbranch_scc1 .LBB67_1121
.LBB67_1122:
	s_cbranch_execnz .LBB67_1125
.LBB67_1123:
	s_load_dwordx4 s[8:11], s[34:35], 0x4
	s_load_dwordx2 s[2:3], s[34:35], 0xc4
	s_cmp_lt_u32 s33, 2
	s_waitcnt lgkmcnt(0)
	v_mul_hi_u32 v0, s9, v8
	v_add_u32_e32 v0, v8, v0
	v_lshrrev_b32_e32 v0, s10, v0
	v_mul_lo_u32 v1, v0, s8
	v_sub_u32_e32 v1, v8, v1
	v_mul_lo_u32 v6, v1, s2
	v_mul_lo_u32 v13, v1, s3
	s_cbranch_scc1 .LBB67_1125
; %bb.1124:
	s_load_dwordx4 s[8:11], s[34:35], 0x10
	s_load_dwordx2 s[2:3], s[34:35], 0xcc
	s_waitcnt lgkmcnt(0)
	v_mul_hi_u32 v1, s9, v0
	v_add_u32_e32 v1, v0, v1
	v_lshrrev_b32_e32 v1, s10, v1
	v_mul_lo_u32 v1, v1, s8
	v_sub_u32_e32 v0, v0, v1
	v_mad_u64_u32 v[6:7], s[8:9], v0, s2, v[6:7]
	v_mad_u64_u32 v[13:14], s[2:3], v0, s3, v[13:14]
.LBB67_1125:
	s_and_b64 vcc, exec, s[0:1]
	v_add_u32_e32 v0, 0x80, v8
	s_cbranch_vccnz .LBB67_1131
; %bb.1126:
	s_cmp_lg_u32 s33, 0
	s_mov_b32 s36, 0
	s_cbranch_scc0 .LBB67_1132
; %bb.1127:
	s_min_u32 s37, s72, 15
	s_add_i32 s37, s37, 1
	s_cmp_eq_u32 s72, 2
	s_cbranch_scc1 .LBB67_1133
; %bb.1128:
	s_and_b32 s36, s37, 28
	s_add_u32 s2, s34, 0xc4
	s_addc_u32 s3, s35, 0
	v_mov_b32_e32 v11, 0
	s_mov_b32 s38, 0
	s_mov_b64 s[30:31], s[34:35]
	s_waitcnt vmcnt(0)
	v_mov_b32_e32 v4, 0
	v_mov_b32_e32 v1, v0
.LBB67_1129:                            ; =>This Inner Loop Header: Depth=1
	s_load_dwordx8 s[16:23], s[30:31], 0x4
	s_load_dwordx4 s[24:27], s[30:31], 0x24
	s_load_dwordx8 s[8:15], s[2:3], 0x0
	s_add_u32 s30, s30, 48
	s_addc_u32 s31, s31, 0
	s_waitcnt lgkmcnt(0)
	v_mul_hi_u32 v2, s17, v1
	s_add_i32 s38, s38, 4
	s_add_u32 s2, s2, 32
	s_addc_u32 s3, s3, 0
	v_add_u32_e32 v2, v1, v2
	v_lshrrev_b32_e32 v2, s18, v2
	v_mul_lo_u32 v3, v2, s16
	v_mul_hi_u32 v5, s20, v2
	s_cmp_lg_u32 s36, s38
	v_sub_u32_e32 v1, v1, v3
	v_add_u32_e32 v3, v2, v5
	v_mul_lo_u32 v5, v1, s8
	v_mul_lo_u32 v7, v1, s9
	v_lshrrev_b32_e32 v1, s21, v3
	v_mul_lo_u32 v3, v1, s19
	v_mul_hi_u32 v9, s23, v1
	v_sub_u32_e32 v2, v2, v3
	v_add_u32_e32 v3, v1, v9
	v_lshrrev_b32_e32 v3, s24, v3
	v_mul_hi_u32 v10, s26, v3
	v_mul_lo_u32 v12, v3, s22
	v_mul_lo_u32 v9, v2, s10
	v_mul_lo_u32 v2, v2, s11
	v_sub_u32_e32 v12, v1, v12
	v_add_u32_e32 v1, v3, v10
	v_lshrrev_b32_e32 v1, s27, v1
	v_mul_lo_u32 v10, v1, s25
	v_mul_lo_u32 v14, v12, s12
	;; [unrolled: 1-line block ×3, first 2 shown]
	v_add3_u32 v4, v5, v4, v9
	v_sub_u32_e32 v3, v3, v10
	v_mul_lo_u32 v10, v3, s14
	v_mul_lo_u32 v3, v3, s15
	v_add3_u32 v2, v7, v11, v2
	v_add3_u32 v4, v14, v4, v10
	;; [unrolled: 1-line block ×3, first 2 shown]
	s_cbranch_scc1 .LBB67_1129
; %bb.1130:
	s_and_b32 s10, s37, 3
	s_cmp_eq_u32 s10, 0
	s_cbranch_scc0 .LBB67_1134
	s_branch .LBB67_1136
.LBB67_1131:
                                        ; implicit-def: $vgpr4
                                        ; implicit-def: $vgpr11
	s_branch .LBB67_1137
.LBB67_1132:
	s_waitcnt vmcnt(0)
	v_mov_b32_e32 v4, 0
	v_mov_b32_e32 v11, 0
	s_branch .LBB67_1136
.LBB67_1133:
	s_waitcnt vmcnt(0)
	v_mov_b32_e32 v4, 0
	v_mov_b32_e32 v11, 0
	;; [unrolled: 1-line block ×3, first 2 shown]
	s_and_b32 s10, s37, 3
	s_cmp_eq_u32 s10, 0
	s_cbranch_scc1 .LBB67_1136
.LBB67_1134:
	s_lshl_b32 s2, s36, 3
	s_add_u32 s2, s34, s2
	s_addc_u32 s3, s35, 0
	s_add_u32 s2, s2, 0xc4
	s_addc_u32 s3, s3, 0
	s_mul_i32 s8, s36, 12
	s_add_u32 s8, s34, s8
	s_addc_u32 s9, s35, 0
.LBB67_1135:                            ; =>This Inner Loop Header: Depth=1
	s_load_dwordx2 s[12:13], s[8:9], 0x4
	s_load_dword s11, s[8:9], 0xc
	s_load_dwordx2 s[14:15], s[2:3], 0x0
	s_add_u32 s8, s8, 12
	s_addc_u32 s9, s9, 0
	s_waitcnt lgkmcnt(0)
	v_mul_hi_u32 v2, s13, v1
	s_add_u32 s2, s2, 8
	s_addc_u32 s3, s3, 0
	s_add_i32 s10, s10, -1
	v_add_u32_e32 v2, v1, v2
	v_lshrrev_b32_e32 v2, s11, v2
	v_mul_lo_u32 v3, v2, s12
	s_cmp_lg_u32 s10, 0
	v_sub_u32_e32 v1, v1, v3
	v_mad_u64_u32 v[4:5], s[12:13], v1, s14, v[4:5]
	v_mad_u64_u32 v[11:12], s[12:13], v1, s15, v[11:12]
	v_mov_b32_e32 v1, v2
	s_cbranch_scc1 .LBB67_1135
.LBB67_1136:
	s_cbranch_execnz .LBB67_1139
.LBB67_1137:
	s_load_dwordx4 s[8:11], s[34:35], 0x4
	s_load_dwordx2 s[2:3], s[34:35], 0xc4
	s_cmp_lt_u32 s33, 2
	s_waitcnt lgkmcnt(0)
	v_mul_hi_u32 v1, s9, v0
	v_add_u32_e32 v1, v0, v1
	v_lshrrev_b32_e32 v1, s10, v1
	v_mul_lo_u32 v2, v1, s8
	v_sub_u32_e32 v0, v0, v2
	s_waitcnt vmcnt(0)
	v_mul_lo_u32 v4, v0, s2
	v_mul_lo_u32 v11, v0, s3
	s_cbranch_scc1 .LBB67_1139
; %bb.1138:
	s_load_dwordx4 s[8:11], s[34:35], 0x10
	s_load_dwordx2 s[2:3], s[34:35], 0xcc
	s_waitcnt lgkmcnt(0)
	v_mul_hi_u32 v0, s9, v1
	v_add_u32_e32 v0, v1, v0
	v_lshrrev_b32_e32 v0, s10, v0
	v_mul_lo_u32 v0, v0, s8
	v_sub_u32_e32 v0, v1, v0
	v_mad_u64_u32 v[4:5], s[8:9], v0, s2, v[4:5]
	v_mad_u64_u32 v[11:12], s[2:3], v0, s3, v[11:12]
.LBB67_1139:
	s_and_b64 vcc, exec, s[0:1]
	v_add_u32_e32 v0, 0x100, v8
	s_cbranch_vccnz .LBB67_1145
; %bb.1140:
	s_cmp_lg_u32 s33, 0
	s_mov_b32 s36, 0
	s_cbranch_scc0 .LBB67_1146
; %bb.1141:
	s_min_u32 s37, s72, 15
	s_add_i32 s37, s37, 1
	s_cmp_eq_u32 s72, 2
	s_cbranch_scc1 .LBB67_1147
; %bb.1142:
	s_and_b32 s36, s37, 28
	s_add_u32 s2, s34, 0xc4
	s_addc_u32 s3, s35, 0
	v_mov_b32_e32 v9, 0
	s_mov_b32 s38, 0
	s_mov_b64 s[30:31], s[34:35]
	v_mov_b32_e32 v2, 0
	v_mov_b32_e32 v1, v0
.LBB67_1143:                            ; =>This Inner Loop Header: Depth=1
	s_load_dwordx8 s[16:23], s[30:31], 0x4
	s_load_dwordx4 s[24:27], s[30:31], 0x24
	s_load_dwordx8 s[8:15], s[2:3], 0x0
	s_add_u32 s30, s30, 48
	s_addc_u32 s31, s31, 0
	s_waitcnt vmcnt(0) lgkmcnt(0)
	v_mul_hi_u32 v3, s17, v1
	s_add_i32 s38, s38, 4
	s_add_u32 s2, s2, 32
	s_addc_u32 s3, s3, 0
	v_add_u32_e32 v3, v1, v3
	v_lshrrev_b32_e32 v3, s18, v3
	v_mul_lo_u32 v5, v3, s16
	v_mul_hi_u32 v7, s20, v3
	s_cmp_lg_u32 s36, s38
	v_sub_u32_e32 v1, v1, v5
	v_add_u32_e32 v5, v3, v7
	v_mul_lo_u32 v7, v1, s8
	v_mul_lo_u32 v8, v1, s9
	v_lshrrev_b32_e32 v1, s21, v5
	v_mul_lo_u32 v5, v1, s19
	v_mul_hi_u32 v10, s23, v1
	v_sub_u32_e32 v3, v3, v5
	v_add_u32_e32 v5, v1, v10
	v_lshrrev_b32_e32 v5, s24, v5
	v_mul_hi_u32 v12, s26, v5
	v_mul_lo_u32 v14, v5, s22
	v_mul_lo_u32 v10, v3, s10
	;; [unrolled: 1-line block ×3, first 2 shown]
	v_sub_u32_e32 v14, v1, v14
	v_add_u32_e32 v1, v5, v12
	v_lshrrev_b32_e32 v1, s27, v1
	v_mul_lo_u32 v12, v1, s25
	v_mul_lo_u32 v16, v14, s12
	;; [unrolled: 1-line block ×3, first 2 shown]
	v_add3_u32 v2, v7, v2, v10
	v_sub_u32_e32 v5, v5, v12
	v_mul_lo_u32 v12, v5, s14
	v_mul_lo_u32 v5, v5, s15
	v_add3_u32 v3, v8, v9, v3
	v_add3_u32 v2, v16, v2, v12
	;; [unrolled: 1-line block ×3, first 2 shown]
	s_cbranch_scc1 .LBB67_1143
; %bb.1144:
	s_and_b32 s10, s37, 3
	s_cmp_eq_u32 s10, 0
	s_cbranch_scc0 .LBB67_1148
	s_branch .LBB67_1150
.LBB67_1145:
                                        ; implicit-def: $vgpr2
                                        ; implicit-def: $vgpr9
	s_branch .LBB67_1151
.LBB67_1146:
	v_mov_b32_e32 v2, 0
	v_mov_b32_e32 v9, 0
	s_branch .LBB67_1150
.LBB67_1147:
	v_mov_b32_e32 v2, 0
	v_mov_b32_e32 v9, 0
	;; [unrolled: 1-line block ×3, first 2 shown]
	s_and_b32 s10, s37, 3
	s_cmp_eq_u32 s10, 0
	s_cbranch_scc1 .LBB67_1150
.LBB67_1148:
	s_lshl_b32 s2, s36, 3
	s_add_u32 s2, s34, s2
	s_addc_u32 s3, s35, 0
	s_add_u32 s2, s2, 0xc4
	s_addc_u32 s3, s3, 0
	s_mul_i32 s8, s36, 12
	s_add_u32 s8, s34, s8
	s_addc_u32 s9, s35, 0
.LBB67_1149:                            ; =>This Inner Loop Header: Depth=1
	s_load_dwordx2 s[12:13], s[8:9], 0x4
	s_load_dword s11, s[8:9], 0xc
	s_load_dwordx2 s[14:15], s[2:3], 0x0
	s_add_u32 s8, s8, 12
	s_addc_u32 s9, s9, 0
	s_waitcnt vmcnt(0) lgkmcnt(0)
	v_mul_hi_u32 v3, s13, v1
	s_add_u32 s2, s2, 8
	s_addc_u32 s3, s3, 0
	s_add_i32 s10, s10, -1
	v_add_u32_e32 v3, v1, v3
	v_lshrrev_b32_e32 v5, s11, v3
	v_mul_lo_u32 v3, v5, s12
	s_cmp_lg_u32 s10, 0
	v_sub_u32_e32 v1, v1, v3
	v_mad_u64_u32 v[2:3], s[12:13], v1, s14, v[2:3]
	v_mad_u64_u32 v[9:10], s[12:13], v1, s15, v[9:10]
	v_mov_b32_e32 v1, v5
	s_cbranch_scc1 .LBB67_1149
.LBB67_1150:
	s_cbranch_execnz .LBB67_1153
.LBB67_1151:
	s_load_dwordx4 s[8:11], s[34:35], 0x4
	s_load_dwordx2 s[2:3], s[34:35], 0xc4
	s_cmp_lt_u32 s33, 2
	s_waitcnt lgkmcnt(0)
	v_mul_hi_u32 v1, s9, v0
	v_add_u32_e32 v1, v0, v1
	v_lshrrev_b32_e32 v1, s10, v1
	v_mul_lo_u32 v2, v1, s8
	v_sub_u32_e32 v0, v0, v2
	v_mul_lo_u32 v2, v0, s2
	v_mul_lo_u32 v9, v0, s3
	s_cbranch_scc1 .LBB67_1153
; %bb.1152:
	s_load_dwordx4 s[8:11], s[34:35], 0x10
	s_load_dwordx2 s[2:3], s[34:35], 0xcc
	s_waitcnt lgkmcnt(0)
	v_mul_hi_u32 v0, s9, v1
	v_add_u32_e32 v0, v1, v0
	v_lshrrev_b32_e32 v0, s10, v0
	v_mul_lo_u32 v0, v0, s8
	v_sub_u32_e32 v0, v1, v0
	s_waitcnt vmcnt(0)
	v_mad_u64_u32 v[2:3], s[8:9], v0, s2, v[2:3]
	v_mad_u64_u32 v[9:10], s[2:3], v0, s3, v[9:10]
.LBB67_1153:
	s_and_b64 vcc, exec, s[0:1]
	s_cbranch_vccnz .LBB67_1159
; %bb.1154:
	s_cmp_lg_u32 s33, 0
	s_mov_b32 s30, 0
	s_cbranch_scc0 .LBB67_1160
; %bb.1155:
	s_min_u32 s31, s72, 15
	s_add_i32 s31, s31, 1
	s_cmp_eq_u32 s72, 2
	s_cbranch_scc1 .LBB67_1161
; %bb.1156:
	s_and_b32 s30, s31, 28
	s_add_u32 s24, s34, 0xc4
	s_addc_u32 s25, s35, 0
	v_mov_b32_e32 v7, 0
	s_mov_b32 s36, 0
	s_mov_b64 s[26:27], s[34:35]
	v_mov_b32_e32 v0, 0
	v_mov_b32_e32 v1, v15
.LBB67_1157:                            ; =>This Inner Loop Header: Depth=1
	s_load_dwordx8 s[16:23], s[26:27], 0x4
	s_load_dwordx4 s[0:3], s[26:27], 0x24
	s_load_dwordx8 s[8:15], s[24:25], 0x0
	s_add_u32 s26, s26, 48
	s_addc_u32 s27, s27, 0
	s_waitcnt vmcnt(0) lgkmcnt(0)
	v_mul_hi_u32 v3, s17, v1
	s_add_i32 s36, s36, 4
	s_add_u32 s24, s24, 32
	s_addc_u32 s25, s25, 0
	v_add_u32_e32 v3, v1, v3
	v_lshrrev_b32_e32 v3, s18, v3
	v_mul_lo_u32 v5, v3, s16
	v_mul_hi_u32 v8, s20, v3
	s_cmp_lg_u32 s30, s36
	v_sub_u32_e32 v1, v1, v5
	v_add_u32_e32 v5, v3, v8
	v_mul_lo_u32 v8, v1, s8
	v_mul_lo_u32 v10, v1, s9
	v_lshrrev_b32_e32 v1, s21, v5
	v_mul_lo_u32 v5, v1, s19
	v_mul_hi_u32 v12, s23, v1
	v_sub_u32_e32 v3, v3, v5
	v_add_u32_e32 v5, v1, v12
	v_lshrrev_b32_e32 v5, s0, v5
	v_mul_hi_u32 v14, s2, v5
	v_mul_lo_u32 v16, v5, s22
	v_mul_lo_u32 v12, v3, s10
	;; [unrolled: 1-line block ×3, first 2 shown]
	v_sub_u32_e32 v16, v1, v16
	v_add_u32_e32 v1, v5, v14
	v_lshrrev_b32_e32 v1, s3, v1
	v_mul_lo_u32 v14, v1, s1
	v_mul_lo_u32 v17, v16, s12
	;; [unrolled: 1-line block ×3, first 2 shown]
	v_add3_u32 v0, v8, v0, v12
	v_sub_u32_e32 v5, v5, v14
	v_mul_lo_u32 v14, v5, s14
	v_mul_lo_u32 v5, v5, s15
	v_add3_u32 v3, v10, v7, v3
	v_add3_u32 v0, v17, v0, v14
	;; [unrolled: 1-line block ×3, first 2 shown]
	s_cbranch_scc1 .LBB67_1157
; %bb.1158:
	s_and_b32 s8, s31, 3
	s_cmp_eq_u32 s8, 0
	s_cbranch_scc0 .LBB67_1162
	s_branch .LBB67_1164
.LBB67_1159:
                                        ; implicit-def: $vgpr0
                                        ; implicit-def: $vgpr7
	s_branch .LBB67_1165
.LBB67_1160:
	v_mov_b32_e32 v0, 0
	v_mov_b32_e32 v7, 0
	s_branch .LBB67_1164
.LBB67_1161:
	v_mov_b32_e32 v0, 0
	v_mov_b32_e32 v7, 0
	;; [unrolled: 1-line block ×3, first 2 shown]
	s_and_b32 s8, s31, 3
	s_cmp_eq_u32 s8, 0
	s_cbranch_scc1 .LBB67_1164
.LBB67_1162:
	s_lshl_b32 s0, s30, 3
	s_add_u32 s0, s34, s0
	s_addc_u32 s1, s35, 0
	s_add_u32 s0, s0, 0xc4
	s_addc_u32 s1, s1, 0
	s_mul_i32 s2, s30, 12
	s_add_u32 s2, s34, s2
	s_addc_u32 s3, s35, 0
.LBB67_1163:                            ; =>This Inner Loop Header: Depth=1
	s_load_dwordx2 s[10:11], s[2:3], 0x4
	s_load_dword s9, s[2:3], 0xc
	s_load_dwordx2 s[12:13], s[0:1], 0x0
	s_add_u32 s2, s2, 12
	s_addc_u32 s3, s3, 0
	s_waitcnt vmcnt(0) lgkmcnt(0)
	v_mul_hi_u32 v3, s11, v1
	s_add_u32 s0, s0, 8
	s_addc_u32 s1, s1, 0
	s_add_i32 s8, s8, -1
	v_add_u32_e32 v3, v1, v3
	v_lshrrev_b32_e32 v3, s9, v3
	v_mul_lo_u32 v5, v3, s10
	s_cmp_lg_u32 s8, 0
	v_sub_u32_e32 v5, v1, v5
	v_mad_u64_u32 v[0:1], s[10:11], v5, s12, v[0:1]
	v_mad_u64_u32 v[7:8], s[10:11], v5, s13, v[7:8]
	v_mov_b32_e32 v1, v3
	s_cbranch_scc1 .LBB67_1163
.LBB67_1164:
	s_cbranch_execnz .LBB67_1167
.LBB67_1165:
	s_load_dwordx4 s[0:3], s[34:35], 0x4
	s_load_dwordx2 s[8:9], s[34:35], 0xc4
	s_cmp_lt_u32 s33, 2
	s_waitcnt lgkmcnt(0)
	v_mul_hi_u32 v0, s1, v15
	v_add_u32_e32 v0, v15, v0
	v_lshrrev_b32_e32 v1, s2, v0
	v_mul_lo_u32 v0, v1, s0
	s_waitcnt vmcnt(0)
	v_sub_u32_e32 v3, v15, v0
	v_mul_lo_u32 v0, v3, s8
	v_mul_lo_u32 v7, v3, s9
	s_cbranch_scc1 .LBB67_1167
; %bb.1166:
	s_load_dwordx4 s[0:3], s[34:35], 0x10
	s_load_dwordx2 s[8:9], s[34:35], 0xcc
	s_waitcnt lgkmcnt(0)
	v_mul_hi_u32 v3, s1, v1
	v_add_u32_e32 v3, v1, v3
	v_lshrrev_b32_e32 v3, s2, v3
	v_mul_lo_u32 v3, v3, s0
	v_sub_u32_e32 v3, v1, v3
	v_mad_u64_u32 v[0:1], s[0:1], v3, s8, v[0:1]
	v_mad_u64_u32 v[7:8], s[0:1], v3, s9, v[7:8]
.LBB67_1167:
	s_load_dwordx4 s[8:11], s[34:35], 0x148
	s_load_dword s18, s[4:5], 0x160
	s_waitcnt lgkmcnt(0)
	v_mov_b32_e32 v1, s11
	s_bfe_u32 s16, s18, 0x80010
	v_add_co_u32_e32 v12, vcc, s10, v13
	s_cmp_lt_i32 s16, 11
	v_addc_co_u32_e32 v13, vcc, 0, v1, vcc
	s_cbranch_scc1 .LBB67_1174
; %bb.1168:
	s_and_b32 s17, 0xffff, s16
	s_cmp_gt_i32 s17, 25
	s_mov_b64 s[2:3], 0
	s_cbranch_scc0 .LBB67_1176
; %bb.1169:
	s_cmp_gt_i32 s17, 28
	s_cbranch_scc0 .LBB67_1177
; %bb.1170:
	s_cmp_gt_i32 s17, 43
	;; [unrolled: 3-line block ×3, first 2 shown]
	s_cbranch_scc0 .LBB67_1179
; %bb.1172:
	s_cmp_eq_u32 s17, 46
	s_mov_b64 s[12:13], 0
	s_cbranch_scc0 .LBB67_1182
; %bb.1173:
	global_load_dword v1, v[12:13], off
	s_mov_b64 s[0:1], 0
	s_mov_b64 s[4:5], -1
	s_waitcnt vmcnt(0)
	v_lshlrev_b32_e32 v1, 16, v1
	v_cvt_f16_f32_e32 v1, v1
	s_branch .LBB67_1183
.LBB67_1174:
	s_mov_b64 s[4:5], 0
                                        ; implicit-def: $vgpr1
	s_mov_b64 s[12:13], s[6:7]
	s_cbranch_execnz .LBB67_1246
.LBB67_1175:
	s_andn2_b64 vcc, exec, s[4:5]
	s_cbranch_vccz .LBB67_1291
	s_branch .LBB67_2136
.LBB67_1176:
	s_mov_b64 s[4:5], 0
	s_mov_b64 s[0:1], 0
                                        ; implicit-def: $vgpr1
	s_cbranch_execnz .LBB67_1211
	s_branch .LBB67_1242
.LBB67_1177:
	s_mov_b64 s[12:13], -1
	s_mov_b64 s[4:5], 0
	s_mov_b64 s[0:1], 0
                                        ; implicit-def: $vgpr1
	s_branch .LBB67_1192
.LBB67_1178:
	s_mov_b64 s[4:5], 0
	s_mov_b64 s[0:1], 0
                                        ; implicit-def: $vgpr1
	s_cbranch_execnz .LBB67_1188
	s_branch .LBB67_1191
.LBB67_1179:
	s_mov_b64 s[12:13], -1
	s_mov_b64 s[4:5], 0
	s_mov_b64 s[0:1], 0
                                        ; implicit-def: $vgpr1
	s_branch .LBB67_1183
.LBB67_1180:
	s_andn2_saveexec_b64 s[12:13], s[12:13]
	s_cbranch_execz .LBB67_1023
.LBB67_1181:
	s_mov_b32 s14, 0x46000000
	v_add_f32_e64 v4, |v0|, s14
	v_and_b32_e32 v4, 0xff, v4
	v_cmp_ne_u32_e32 vcc, 0, v4
	s_andn2_b64 s[6:7], s[6:7], exec
	s_and_b64 s[14:15], vcc, exec
	s_or_b64 s[6:7], s[6:7], s[14:15]
	s_or_b64 exec, exec, s[12:13]
	v_mov_b32_e32 v5, 0
	s_and_saveexec_b64 s[12:13], s[6:7]
	s_cbranch_execnz .LBB67_1024
	s_branch .LBB67_1025
.LBB67_1182:
	s_mov_b64 s[0:1], -1
                                        ; implicit-def: $vgpr1
	s_mov_b64 s[4:5], 0
.LBB67_1183:
	s_and_b64 vcc, exec, s[12:13]
	s_cbranch_vccz .LBB67_1186
; %bb.1184:
	s_cmp_eq_u32 s17, 44
	s_cbranch_scc0 .LBB67_1187
; %bb.1185:
	global_load_ubyte v1, v[12:13], off
	s_movk_i32 s4, 0xff
	v_mov_b32_e32 v5, 0x7e00
	s_mov_b64 s[0:1], 0
	s_waitcnt vmcnt(0)
	v_lshlrev_b32_e32 v3, 23, v1
	v_cvt_f16_f32_e32 v3, v3
	v_cmp_ne_u32_e32 vcc, s4, v1
	s_mov_b64 s[4:5], -1
	v_cndmask_b32_e32 v3, v5, v3, vcc
	v_cmp_ne_u32_e32 vcc, 0, v1
	v_cndmask_b32_e32 v1, 0, v3, vcc
.LBB67_1186:
	s_branch .LBB67_1191
.LBB67_1187:
	s_mov_b64 s[0:1], -1
                                        ; implicit-def: $vgpr1
	s_branch .LBB67_1191
.LBB67_1188:
	s_cmp_eq_u32 s17, 29
	s_cbranch_scc0 .LBB67_1190
; %bb.1189:
	global_load_dwordx2 v[14:15], v[12:13], off
	s_mov_b64 s[0:1], 0
	s_mov_b64 s[4:5], -1
	s_mov_b64 s[12:13], 0
	s_waitcnt vmcnt(0)
	v_ffbh_u32_e32 v1, v15
	v_min_u32_e32 v1, 32, v1
	v_lshlrev_b64 v[14:15], v1, v[14:15]
	v_sub_u32_e32 v1, 32, v1
	v_min_u32_e32 v3, 1, v14
	v_or_b32_e32 v3, v15, v3
	v_cvt_f32_u32_e32 v3, v3
	v_ldexp_f32 v1, v3, v1
	v_cvt_f16_f32_e32 v1, v1
	s_branch .LBB67_1192
.LBB67_1190:
	s_mov_b64 s[0:1], -1
                                        ; implicit-def: $vgpr1
.LBB67_1191:
	s_mov_b64 s[12:13], 0
.LBB67_1192:
	s_and_b64 vcc, exec, s[12:13]
	s_cbranch_vccz .LBB67_1210
; %bb.1193:
	s_cmp_lt_i32 s17, 27
	s_cbranch_scc1 .LBB67_1196
; %bb.1194:
	s_cmp_gt_i32 s17, 27
	s_cbranch_scc0 .LBB67_1197
; %bb.1195:
	global_load_dword v1, v[12:13], off
	s_mov_b64 s[4:5], 0
	s_waitcnt vmcnt(0)
	v_cvt_f32_u32_e32 v1, v1
	v_cvt_f16_f32_e32 v1, v1
	s_branch .LBB67_1198
.LBB67_1196:
	s_mov_b64 s[4:5], -1
                                        ; implicit-def: $vgpr1
	s_branch .LBB67_1201
.LBB67_1197:
	s_mov_b64 s[4:5], -1
                                        ; implicit-def: $vgpr1
.LBB67_1198:
	s_andn2_b64 vcc, exec, s[4:5]
	s_cbranch_vccnz .LBB67_1200
; %bb.1199:
	global_load_ushort v1, v[12:13], off
	s_waitcnt vmcnt(0)
	v_cvt_f16_u16_e32 v1, v1
.LBB67_1200:
	s_mov_b64 s[4:5], 0
.LBB67_1201:
	s_andn2_b64 vcc, exec, s[4:5]
	s_cbranch_vccnz .LBB67_1209
; %bb.1202:
	global_load_ubyte v3, v[12:13], off
	s_movk_i32 s4, 0x7f
	s_waitcnt vmcnt(0)
	v_cmp_lt_i16_e32 vcc, s4, v3
	s_mov_b64 s[4:5], 0
	s_and_saveexec_b64 s[12:13], vcc
	s_xor_b64 s[12:13], exec, s[12:13]
	s_cbranch_execz .LBB67_1222
; %bb.1203:
	s_movk_i32 s4, 0x80
	v_cmp_eq_u16_e32 vcc, s4, v3
	s_mov_b64 s[4:5], -1
	s_and_saveexec_b64 s[14:15], vcc
; %bb.1204:
	s_xor_b64 s[4:5], exec, -1
; %bb.1205:
	s_or_b64 exec, exec, s[14:15]
	s_and_b64 s[4:5], s[4:5], exec
	s_or_saveexec_b64 s[12:13], s[12:13]
	v_mov_b32_e32 v1, 0x7e00
	s_xor_b64 exec, exec, s[12:13]
	s_cbranch_execnz .LBB67_1223
.LBB67_1206:
	s_or_b64 exec, exec, s[12:13]
	s_and_saveexec_b64 s[12:13], s[4:5]
	s_cbranch_execz .LBB67_1208
.LBB67_1207:
	v_lshlrev_b32_e32 v1, 24, v3
	v_and_b32_e32 v3, 0xffff, v3
	v_and_b32_e32 v5, 7, v3
	v_ffbh_u32_e32 v10, v5
	v_min_u32_e32 v10, 32, v10
	v_subrev_u32_e32 v14, 28, v10
	v_bfe_u32 v8, v3, 3, 4
	v_lshlrev_b32_e32 v3, v14, v3
	v_sub_u32_e32 v10, 29, v10
	v_and_b32_e32 v3, 7, v3
	v_cmp_eq_u32_e32 vcc, 0, v8
	v_cndmask_b32_e32 v8, v8, v10, vcc
	v_cndmask_b32_e32 v3, v5, v3, vcc
	v_mov_b32_e32 v5, 0x3b800000
	v_lshlrev_b32_e32 v3, 20, v3
	v_and_b32_e32 v1, 0x80000000, v1
	v_lshl_add_u32 v5, v8, 23, v5
	v_or3_b32 v1, v1, v5, v3
	v_cvt_f16_f32_e32 v1, v1
.LBB67_1208:
	s_or_b64 exec, exec, s[12:13]
.LBB67_1209:
	s_mov_b64 s[4:5], -1
.LBB67_1210:
	s_branch .LBB67_1242
.LBB67_1211:
	s_cmp_gt_i32 s17, 22
	s_cbranch_scc0 .LBB67_1221
; %bb.1212:
	s_cmp_lt_i32 s17, 24
	s_cbranch_scc1 .LBB67_1224
; %bb.1213:
	s_cmp_gt_i32 s17, 24
	s_cbranch_scc0 .LBB67_1225
; %bb.1214:
	global_load_ubyte v3, v[12:13], off
	s_movk_i32 s2, 0x7f
	s_waitcnt vmcnt(0)
	v_cmp_lt_i16_e32 vcc, s2, v3
	s_mov_b64 s[2:3], 0
	s_and_saveexec_b64 s[4:5], vcc
	s_xor_b64 s[4:5], exec, s[4:5]
	s_cbranch_execz .LBB67_1236
; %bb.1215:
	s_movk_i32 s2, 0x80
	v_cmp_eq_u16_e32 vcc, s2, v3
	s_mov_b64 s[2:3], -1
	s_and_saveexec_b64 s[12:13], vcc
; %bb.1216:
	s_xor_b64 s[2:3], exec, -1
; %bb.1217:
	s_or_b64 exec, exec, s[12:13]
	s_and_b64 s[2:3], s[2:3], exec
	s_or_saveexec_b64 s[4:5], s[4:5]
	v_mov_b32_e32 v1, 0x7e00
	s_xor_b64 exec, exec, s[4:5]
	s_cbranch_execnz .LBB67_1237
.LBB67_1218:
	s_or_b64 exec, exec, s[4:5]
	s_and_saveexec_b64 s[4:5], s[2:3]
	s_cbranch_execz .LBB67_1220
.LBB67_1219:
	v_lshlrev_b32_e32 v1, 24, v3
	v_and_b32_e32 v3, 0xffff, v3
	v_and_b32_e32 v5, 3, v3
	v_ffbh_u32_e32 v10, v5
	v_min_u32_e32 v10, 32, v10
	v_subrev_u32_e32 v14, 29, v10
	v_bfe_u32 v8, v3, 2, 5
	v_lshlrev_b32_e32 v3, v14, v3
	v_sub_u32_e32 v10, 30, v10
	v_and_b32_e32 v3, 3, v3
	v_cmp_eq_u32_e32 vcc, 0, v8
	v_cndmask_b32_e32 v8, v8, v10, vcc
	v_cndmask_b32_e32 v3, v5, v3, vcc
	v_mov_b32_e32 v5, 0x37800000
	v_lshlrev_b32_e32 v3, 21, v3
	v_and_b32_e32 v1, 0x80000000, v1
	v_lshl_add_u32 v5, v8, 23, v5
	v_or3_b32 v1, v1, v5, v3
	v_cvt_f16_f32_e32 v1, v1
.LBB67_1220:
	s_or_b64 exec, exec, s[4:5]
	s_mov_b64 s[2:3], 0
	s_branch .LBB67_1226
.LBB67_1221:
                                        ; implicit-def: $vgpr1
	s_mov_b64 s[2:3], 0
	s_branch .LBB67_1232
.LBB67_1222:
	s_or_saveexec_b64 s[12:13], s[12:13]
	v_mov_b32_e32 v1, 0x7e00
	s_xor_b64 exec, exec, s[12:13]
	s_cbranch_execz .LBB67_1206
.LBB67_1223:
	v_cmp_ne_u16_e32 vcc, 0, v3
	s_andn2_b64 s[4:5], s[4:5], exec
	s_and_b64 s[14:15], vcc, exec
	s_or_b64 s[4:5], s[4:5], s[14:15]
	v_mov_b32_e32 v1, v3
	s_or_b64 exec, exec, s[12:13]
	s_and_saveexec_b64 s[12:13], s[4:5]
	s_cbranch_execnz .LBB67_1207
	s_branch .LBB67_1208
.LBB67_1224:
	s_mov_b64 s[2:3], -1
                                        ; implicit-def: $vgpr1
	s_branch .LBB67_1229
.LBB67_1225:
	s_mov_b64 s[2:3], -1
                                        ; implicit-def: $vgpr1
.LBB67_1226:
	s_and_b64 vcc, exec, s[2:3]
	s_cbranch_vccz .LBB67_1228
; %bb.1227:
	global_load_ubyte v1, v[12:13], off
	s_mov_b32 s2, 0x7f800000
	s_waitcnt vmcnt(0)
	v_lshlrev_b32_e32 v1, 24, v1
	v_and_b32_e32 v3, 0x7f000000, v1
	v_ffbh_u32_e32 v5, v3
	v_min_u32_e32 v5, 32, v5
	v_sub_u32_e64 v5, v5, 4 clamp
	v_lshlrev_b32_e32 v10, v5, v3
	v_lshlrev_b32_e32 v5, 23, v5
	v_lshrrev_b32_e32 v10, 4, v10
	v_add_u32_e32 v8, 0x1000000, v3
	v_sub_u32_e32 v5, v10, v5
	v_ashrrev_i32_e32 v8, 8, v8
	v_add_u32_e32 v5, 0x3c000000, v5
	v_and_or_b32 v5, v8, s2, v5
	v_cmp_ne_u32_e32 vcc, 0, v3
	v_cndmask_b32_e32 v3, 0, v5, vcc
	s_brev_b32 s2, 1
	v_and_or_b32 v1, v1, s2, v3
	v_cvt_f16_f32_e32 v1, v1
.LBB67_1228:
	s_mov_b64 s[2:3], 0
.LBB67_1229:
	s_andn2_b64 vcc, exec, s[2:3]
	s_cbranch_vccnz .LBB67_1231
; %bb.1230:
	global_load_ubyte v1, v[12:13], off
	s_movk_i32 s2, 0x7f00
	s_brev_b32 s3, 16
	s_waitcnt vmcnt(0)
	v_lshlrev_b16_e32 v3, 8, v1
	v_lshlrev_b32_e32 v1, 25, v1
	v_lshrrev_b32_e32 v5, 4, v1
	v_and_or_b32 v8, v3, s2, 0.5
	v_or_b32_e32 v5, 0x70000000, v5
	v_add_f32_e32 v8, -0.5, v8
	v_mul_f32_e32 v5, 0x7800000, v5
	v_cmp_gt_u32_e32 vcc, s3, v1
	v_bfe_i32 v3, v3, 0, 16
	v_cndmask_b32_e32 v1, v5, v8, vcc
	s_brev_b32 s2, 1
	v_and_or_b32 v1, v3, s2, v1
	v_cvt_f16_f32_e32 v1, v1
.LBB67_1231:
	s_mov_b64 s[4:5], -1
	s_mov_b64 s[2:3], 0
	s_cbranch_execnz .LBB67_1242
.LBB67_1232:
	s_cmp_gt_i32 s17, 14
	s_cbranch_scc0 .LBB67_1235
; %bb.1233:
	s_cmp_eq_u32 s17, 15
	s_cbranch_scc0 .LBB67_1238
; %bb.1234:
	global_load_ushort v1, v[12:13], off
	s_mov_b64 s[0:1], 0
	s_mov_b64 s[4:5], -1
	s_waitcnt vmcnt(0)
	v_lshlrev_b32_e32 v1, 16, v1
	v_cvt_f16_f32_e32 v1, v1
	s_branch .LBB67_1239
.LBB67_1235:
	s_mov_b64 s[12:13], -1
                                        ; implicit-def: $vgpr1
	s_branch .LBB67_1240
.LBB67_1236:
	s_or_saveexec_b64 s[4:5], s[4:5]
	v_mov_b32_e32 v1, 0x7e00
	s_xor_b64 exec, exec, s[4:5]
	s_cbranch_execz .LBB67_1218
.LBB67_1237:
	v_cmp_ne_u16_e32 vcc, 0, v3
	s_andn2_b64 s[2:3], s[2:3], exec
	s_and_b64 s[12:13], vcc, exec
	s_or_b64 s[2:3], s[2:3], s[12:13]
	v_mov_b32_e32 v1, v3
	s_or_b64 exec, exec, s[4:5]
	s_and_saveexec_b64 s[4:5], s[2:3]
	s_cbranch_execnz .LBB67_1219
	s_branch .LBB67_1220
.LBB67_1238:
	s_mov_b64 s[0:1], -1
                                        ; implicit-def: $vgpr1
.LBB67_1239:
	s_mov_b64 s[12:13], 0
.LBB67_1240:
	s_and_b64 vcc, exec, s[12:13]
	s_cbranch_vccz .LBB67_1242
; %bb.1241:
	s_cmp_lg_u32 s17, 11
	s_mov_b64 s[2:3], -1
	s_cselect_b64 s[0:1], -1, 0
.LBB67_1242:
	s_and_b64 vcc, exec, s[0:1]
	s_mov_b64 s[12:13], s[6:7]
	s_cbranch_vccnz .LBB67_1309
; %bb.1243:
	s_andn2_b64 vcc, exec, s[2:3]
	s_cbranch_vccnz .LBB67_1245
.LBB67_1244:
	global_load_ubyte v1, v[12:13], off
	s_waitcnt vmcnt(1)
	v_mov_b32_e32 v3, 0x3c00
	s_mov_b64 s[4:5], -1
	s_waitcnt vmcnt(0)
	v_cmp_ne_u16_e32 vcc, 0, v1
	v_cndmask_b32_e32 v1, 0, v3, vcc
.LBB67_1245:
	s_branch .LBB67_1175
.LBB67_1246:
	s_and_b32 s2, 0xffff, s16
	s_cmp_lt_i32 s2, 5
	s_cbranch_scc1 .LBB67_1251
; %bb.1247:
	s_cmp_lt_i32 s2, 8
	s_cbranch_scc1 .LBB67_1252
; %bb.1248:
	;; [unrolled: 3-line block ×3, first 2 shown]
	s_cmp_gt_i32 s2, 9
	s_cbranch_scc0 .LBB67_1254
; %bb.1250:
	global_load_dwordx2 v[14:15], v[12:13], off
	s_movk_i32 s0, 0x1ff
	s_movk_i32 s1, 0xffe
	v_mov_b32_e32 v1, 0x7c00
	s_waitcnt vmcnt(1)
	v_mov_b32_e32 v3, 0x7e00
	s_movk_i32 s3, 0x40f
	s_mov_b32 s4, 0x8000
	s_waitcnt vmcnt(0)
	v_and_or_b32 v5, v15, s0, v14
	v_cmp_ne_u32_e32 vcc, 0, v5
	v_lshrrev_b32_e32 v8, 8, v15
	v_bfe_u32 v10, v15, 20, 11
	v_cndmask_b32_e64 v5, 0, 1, vcc
	v_lshrrev_b32_e32 v14, 16, v15
	v_sub_u32_e32 v15, 0x3f1, v10
	v_and_or_b32 v5, v8, s1, v5
	v_add_u32_e32 v10, 0xfffffc10, v10
	v_med3_i32 v8, v15, 0, 13
	v_or_b32_e32 v15, 0x1000, v5
	v_lshl_or_b32 v16, v10, 12, v5
	v_cmp_ne_u32_e32 vcc, 0, v5
	v_lshrrev_b32_e32 v5, v8, v15
	v_lshlrev_b32_e32 v8, v8, v5
	v_cndmask_b32_e32 v3, v1, v3, vcc
	v_cmp_ne_u32_e32 vcc, v8, v15
	v_cndmask_b32_e64 v8, 0, 1, vcc
	v_or_b32_e32 v5, v5, v8
	v_cmp_gt_i32_e32 vcc, 1, v10
	v_cndmask_b32_e32 v5, v16, v5, vcc
	v_and_b32_e32 v8, 7, v5
	v_cmp_lt_i32_e32 vcc, 5, v8
	v_cndmask_b32_e64 v15, 0, 1, vcc
	v_cmp_eq_u32_e32 vcc, 3, v8
	v_cndmask_b32_e64 v8, 0, 1, vcc
	v_lshrrev_b32_e32 v5, 2, v5
	v_or_b32_e32 v8, v8, v15
	v_add_u32_e32 v5, v5, v8
	v_cmp_gt_i32_e32 vcc, 31, v10
	v_cndmask_b32_e32 v1, v1, v5, vcc
	v_cmp_eq_u32_e32 vcc, s3, v10
	v_cndmask_b32_e32 v1, v1, v3, vcc
	v_and_or_b32 v1, v14, s4, v1
	s_mov_b64 s[0:1], 0
	s_branch .LBB67_1255
.LBB67_1251:
                                        ; implicit-def: $vgpr1
	s_branch .LBB67_1272
.LBB67_1252:
                                        ; implicit-def: $vgpr1
	s_branch .LBB67_1261
.LBB67_1253:
	s_mov_b64 s[0:1], -1
                                        ; implicit-def: $vgpr1
	s_branch .LBB67_1258
.LBB67_1254:
	s_mov_b64 s[0:1], -1
                                        ; implicit-def: $vgpr1
.LBB67_1255:
	s_andn2_b64 vcc, exec, s[0:1]
	s_cbranch_vccnz .LBB67_1257
; %bb.1256:
	global_load_dword v1, v[12:13], off
	s_waitcnt vmcnt(0)
	v_cvt_f16_f32_e32 v1, v1
.LBB67_1257:
	s_mov_b64 s[0:1], 0
.LBB67_1258:
	s_andn2_b64 vcc, exec, s[0:1]
	s_cbranch_vccnz .LBB67_1260
; %bb.1259:
	global_load_dword v1, v[12:13], off
.LBB67_1260:
	s_cbranch_execnz .LBB67_1271
.LBB67_1261:
	s_cmp_lt_i32 s2, 6
	s_cbranch_scc1 .LBB67_1264
; %bb.1262:
	s_cmp_gt_i32 s2, 6
	s_cbranch_scc0 .LBB67_1265
; %bb.1263:
	global_load_dwordx2 v[14:15], v[12:13], off
	s_movk_i32 s0, 0x1ff
	s_movk_i32 s1, 0xffe
	s_waitcnt vmcnt(1)
	v_mov_b32_e32 v1, 0x7c00
	v_mov_b32_e32 v3, 0x7e00
	s_movk_i32 s3, 0x40f
	s_mov_b32 s4, 0x8000
	s_waitcnt vmcnt(0)
	v_and_or_b32 v5, v15, s0, v14
	v_cmp_ne_u32_e32 vcc, 0, v5
	v_lshrrev_b32_e32 v8, 8, v15
	v_bfe_u32 v10, v15, 20, 11
	v_cndmask_b32_e64 v5, 0, 1, vcc
	v_lshrrev_b32_e32 v14, 16, v15
	v_sub_u32_e32 v15, 0x3f1, v10
	v_and_or_b32 v5, v8, s1, v5
	v_add_u32_e32 v10, 0xfffffc10, v10
	v_med3_i32 v8, v15, 0, 13
	v_or_b32_e32 v15, 0x1000, v5
	v_lshl_or_b32 v16, v10, 12, v5
	v_cmp_ne_u32_e32 vcc, 0, v5
	v_lshrrev_b32_e32 v5, v8, v15
	v_lshlrev_b32_e32 v8, v8, v5
	v_cndmask_b32_e32 v3, v1, v3, vcc
	v_cmp_ne_u32_e32 vcc, v8, v15
	v_cndmask_b32_e64 v8, 0, 1, vcc
	v_or_b32_e32 v5, v5, v8
	v_cmp_gt_i32_e32 vcc, 1, v10
	v_cndmask_b32_e32 v5, v16, v5, vcc
	v_and_b32_e32 v8, 7, v5
	v_cmp_lt_i32_e32 vcc, 5, v8
	v_cndmask_b32_e64 v15, 0, 1, vcc
	v_cmp_eq_u32_e32 vcc, 3, v8
	v_cndmask_b32_e64 v8, 0, 1, vcc
	v_lshrrev_b32_e32 v5, 2, v5
	v_or_b32_e32 v8, v8, v15
	v_add_u32_e32 v5, v5, v8
	v_cmp_gt_i32_e32 vcc, 31, v10
	v_cndmask_b32_e32 v1, v1, v5, vcc
	v_cmp_eq_u32_e32 vcc, s3, v10
	v_cndmask_b32_e32 v1, v1, v3, vcc
	v_and_or_b32 v1, v14, s4, v1
	s_mov_b64 s[0:1], 0
	s_branch .LBB67_1266
.LBB67_1264:
	s_mov_b64 s[0:1], -1
                                        ; implicit-def: $vgpr1
	s_branch .LBB67_1269
.LBB67_1265:
	s_mov_b64 s[0:1], -1
                                        ; implicit-def: $vgpr1
.LBB67_1266:
	s_andn2_b64 vcc, exec, s[0:1]
	s_cbranch_vccnz .LBB67_1268
; %bb.1267:
	global_load_dword v1, v[12:13], off
	s_waitcnt vmcnt(0)
	v_cvt_f16_f32_e32 v1, v1
.LBB67_1268:
	s_mov_b64 s[0:1], 0
.LBB67_1269:
	s_andn2_b64 vcc, exec, s[0:1]
	s_cbranch_vccnz .LBB67_1271
; %bb.1270:
	global_load_ushort v1, v[12:13], off
.LBB67_1271:
	s_cbranch_execnz .LBB67_1290
.LBB67_1272:
	s_cmp_lt_i32 s2, 2
	s_cbranch_scc1 .LBB67_1276
; %bb.1273:
	s_cmp_lt_i32 s2, 3
	s_cbranch_scc1 .LBB67_1277
; %bb.1274:
	s_cmp_gt_i32 s2, 3
	s_cbranch_scc0 .LBB67_1278
; %bb.1275:
	global_load_dwordx2 v[14:15], v[12:13], off
	s_mov_b64 s[0:1], 0
	s_waitcnt vmcnt(0)
	v_xor_b32_e32 v3, v14, v15
	v_ffbh_i32_e32 v1, v15
	v_ashrrev_i32_e32 v3, 31, v3
	v_add_u32_e32 v1, -1, v1
	v_add_u32_e32 v3, 32, v3
	v_min_u32_e32 v1, v1, v3
	v_lshlrev_b64 v[14:15], v1, v[14:15]
	v_sub_u32_e32 v1, 32, v1
	v_min_u32_e32 v3, 1, v14
	v_or_b32_e32 v3, v15, v3
	v_cvt_f32_i32_e32 v3, v3
	v_ldexp_f32 v1, v3, v1
	v_cvt_f16_f32_e32 v1, v1
	s_branch .LBB67_1279
.LBB67_1276:
                                        ; implicit-def: $vgpr1
	s_branch .LBB67_1285
.LBB67_1277:
	s_mov_b64 s[0:1], -1
                                        ; implicit-def: $vgpr1
	s_branch .LBB67_1282
.LBB67_1278:
	s_mov_b64 s[0:1], -1
                                        ; implicit-def: $vgpr1
.LBB67_1279:
	s_andn2_b64 vcc, exec, s[0:1]
	s_cbranch_vccnz .LBB67_1281
; %bb.1280:
	global_load_dword v1, v[12:13], off
	s_waitcnt vmcnt(0)
	v_cvt_f32_i32_e32 v1, v1
	v_cvt_f16_f32_e32 v1, v1
.LBB67_1281:
	s_mov_b64 s[0:1], 0
.LBB67_1282:
	s_andn2_b64 vcc, exec, s[0:1]
	s_cbranch_vccnz .LBB67_1284
; %bb.1283:
	global_load_ushort v1, v[12:13], off
	s_waitcnt vmcnt(0)
	v_cvt_f16_i16_e32 v1, v1
.LBB67_1284:
	s_cbranch_execnz .LBB67_1290
.LBB67_1285:
	s_cmp_gt_i32 s2, 0
	s_cbranch_scc0 .LBB67_1287
; %bb.1286:
	global_load_sbyte v1, v[12:13], off
	s_mov_b64 s[0:1], 0
	s_waitcnt vmcnt(0)
	v_cvt_f16_i16_e32 v1, v1
	s_branch .LBB67_1288
.LBB67_1287:
	s_mov_b64 s[0:1], -1
                                        ; implicit-def: $vgpr1
.LBB67_1288:
	s_andn2_b64 vcc, exec, s[0:1]
	s_cbranch_vccnz .LBB67_1290
; %bb.1289:
	global_load_ubyte v1, v[12:13], off
	s_waitcnt vmcnt(0)
	v_cvt_f16_u16_e32 v1, v1
.LBB67_1290:
.LBB67_1291:
	s_waitcnt vmcnt(0)
	v_cvt_f32_f16_e32 v3, v1
	v_cmp_gt_f16_e32 vcc, 0.5, v1
	v_mov_b32_e32 v5, 0
	v_mov_b32_e32 v1, 1.0
	s_and_saveexec_b64 s[14:15], vcc
	s_cbranch_execz .LBB67_1297
; %bb.1292:
	v_mul_f32_e32 v1, 0x40490fdb, v3
	s_brev_b32 s0, 18
	v_and_b32_e32 v5, 0x7fffffff, v1
	v_cmp_nlt_f32_e64 s[0:1], |v1|, s0
                                        ; implicit-def: $vgpr8
                                        ; implicit-def: $vgpr10
	s_and_saveexec_b64 s[2:3], s[0:1]
	s_xor_b64 s[16:17], exec, s[2:3]
	s_cbranch_execz .LBB67_1294
; %bb.1293:
	v_and_b32_e32 v8, 0x7fffff, v5
	v_or_b32_e32 v8, 0x800000, v8
	s_mov_b32 s0, 0xfe5163ab
	v_mad_u64_u32 v[12:13], s[0:1], v8, s0, 0
	v_mov_b32_e32 v14, 0
	s_mov_b32 s0, 0x3c439041
	v_mad_u64_u32 v[15:16], s[0:1], v8, s0, v[13:14]
	s_mov_b32 s0, 0xdb629599
	v_lshrrev_b32_e32 v10, 23, v5
	v_mov_b32_e32 v13, v16
	v_mad_u64_u32 v[16:17], s[0:1], v8, s0, v[13:14]
	s_mov_b32 s0, 0xf534ddc0
	v_add_u32_e32 v10, 0xffffff88, v10
	v_mov_b32_e32 v13, v17
	v_mad_u64_u32 v[17:18], s[0:1], v8, s0, v[13:14]
	s_mov_b32 s0, 0xfc2757d1
	v_not_b32_e32 v20, 63
	v_mov_b32_e32 v13, v18
	v_mad_u64_u32 v[18:19], s[0:1], v8, s0, v[13:14]
	v_cmp_lt_u32_e32 vcc, 63, v10
	v_cndmask_b32_e32 v13, 0, v20, vcc
	v_add_u32_e32 v10, v13, v10
	v_mov_b32_e32 v13, v19
	s_mov_b32 s0, 0x4e441529
	v_mad_u64_u32 v[19:20], s[0:1], v8, s0, v[13:14]
	v_not_b32_e32 v21, 31
	v_cmp_lt_u32_e64 s[0:1], 31, v10
	v_cndmask_b32_e64 v13, 0, v21, s[0:1]
	v_add_u32_e32 v10, v13, v10
	v_mov_b32_e32 v13, v20
	s_mov_b32 s2, 0xa2f9836e
	v_mad_u64_u32 v[13:14], s[2:3], v8, s2, v[13:14]
	v_cmp_lt_u32_e64 s[2:3], 31, v10
	v_cndmask_b32_e64 v8, 0, v21, s[2:3]
	v_add_u32_e32 v8, v8, v10
	v_cndmask_b32_e32 v10, v19, v17, vcc
	v_cndmask_b32_e32 v13, v13, v18, vcc
	;; [unrolled: 1-line block ×3, first 2 shown]
	v_cndmask_b32_e64 v20, v13, v10, s[0:1]
	v_cndmask_b32_e64 v13, v14, v13, s[0:1]
	v_cndmask_b32_e32 v14, v18, v16, vcc
	v_cndmask_b32_e64 v10, v10, v14, s[0:1]
	v_cndmask_b32_e64 v13, v13, v20, s[2:3]
	;; [unrolled: 1-line block ×3, first 2 shown]
	v_sub_u32_e32 v19, 32, v8
	v_alignbit_b32 v20, v13, v18, v19
	v_cmp_eq_u32_e64 s[4:5], 0, v8
	v_cndmask_b32_e64 v8, v20, v13, s[4:5]
	v_cndmask_b32_e32 v13, v17, v15, vcc
	v_cndmask_b32_e64 v14, v14, v13, s[0:1]
	v_cndmask_b32_e64 v10, v10, v14, s[2:3]
	v_alignbit_b32 v15, v18, v10, v19
	v_cndmask_b32_e32 v12, v16, v12, vcc
	v_cndmask_b32_e64 v15, v15, v18, s[4:5]
	v_bfe_u32 v20, v8, 29, 1
	v_cndmask_b32_e64 v12, v13, v12, s[0:1]
	v_alignbit_b32 v17, v8, v15, 30
	v_sub_u32_e32 v21, 0, v20
	v_cndmask_b32_e64 v12, v14, v12, s[2:3]
	v_xor_b32_e32 v17, v17, v21
	v_alignbit_b32 v13, v10, v12, v19
	v_cndmask_b32_e64 v10, v13, v10, s[4:5]
	v_ffbh_u32_e32 v14, v17
	v_alignbit_b32 v13, v15, v10, 30
	v_min_u32_e32 v14, 32, v14
	v_alignbit_b32 v10, v10, v12, 30
	v_xor_b32_e32 v13, v13, v21
	v_sub_u32_e32 v15, 31, v14
	v_xor_b32_e32 v10, v10, v21
	v_alignbit_b32 v16, v17, v13, v15
	v_alignbit_b32 v10, v13, v10, v15
	;; [unrolled: 1-line block ×3, first 2 shown]
	v_ffbh_u32_e32 v13, v12
	v_min_u32_e32 v13, 32, v13
	v_lshrrev_b32_e32 v18, 29, v8
	v_not_b32_e32 v15, v13
	v_alignbit_b32 v10, v12, v10, v15
	v_lshlrev_b32_e32 v12, 31, v18
	v_or_b32_e32 v15, 0x33000000, v12
	v_add_lshl_u32 v13, v13, v14, 23
	v_lshrrev_b32_e32 v10, 9, v10
	v_sub_u32_e32 v13, v15, v13
	v_or_b32_e32 v12, 0.5, v12
	v_lshlrev_b32_e32 v14, 23, v14
	v_or_b32_e32 v10, v13, v10
	v_lshrrev_b32_e32 v13, 9, v16
	v_sub_u32_e32 v12, v12, v14
	v_or_b32_e32 v12, v13, v12
	s_mov_b32 s0, 0x3fc90fda
	v_mul_f32_e32 v13, 0x3fc90fda, v12
	v_fma_f32 v14, v12, s0, -v13
	v_fmac_f32_e32 v14, 0x33a22168, v12
	v_fmac_f32_e32 v14, 0x3fc90fda, v10
	v_lshrrev_b32_e32 v8, 30, v8
	v_add_f32_e32 v10, v13, v14
	v_add_u32_e32 v8, v20, v8
.LBB67_1294:
	s_andn2_saveexec_b64 s[0:1], s[16:17]
	s_cbranch_execz .LBB67_1296
; %bb.1295:
	s_mov_b32 s2, 0x3f22f983
	v_mul_f32_e64 v8, |v1|, s2
	v_rndne_f32_e32 v12, v8
	s_mov_b32 s2, 0xbfc90fda
	v_cvt_i32_f32_e32 v8, v12
	v_fma_f32 v10, v12, s2, |v1|
	v_fmac_f32_e32 v10, 0xb3a22168, v12
	v_fmac_f32_e32 v10, 0xa7c234c4, v12
.LBB67_1296:
	s_or_b64 exec, exec, s[0:1]
	v_mul_f32_e32 v12, v10, v10
	v_mov_b32_e32 v13, 0x3c0881c4
	v_fmac_f32_e32 v13, 0xb94c1982, v12
	v_mov_b32_e32 v14, 0xbe2aaa9d
	v_fmac_f32_e32 v14, v12, v13
	v_mul_f32_e32 v13, v12, v14
	v_fmac_f32_e32 v10, v10, v13
	v_mov_b32_e32 v13, 0xbab64f3b
	v_fmac_f32_e32 v13, 0x37d75334, v12
	v_mov_b32_e32 v14, 0x3d2aabf7
	;; [unrolled: 2-line block ×3, first 2 shown]
	v_fmac_f32_e32 v13, v12, v14
	v_fma_f32 v12, v12, v13, 1.0
	v_and_b32_e32 v13, 1, v8
	v_lshlrev_b32_e32 v8, 30, v8
	v_cmp_eq_u32_e32 vcc, 0, v13
	v_and_b32_e32 v8, 0x80000000, v8
	v_xor_b32_e32 v5, v5, v1
	v_cndmask_b32_e32 v10, v12, v10, vcc
	v_xor_b32_e32 v5, v5, v8
	s_movk_i32 s0, 0x1f8
	v_xor_b32_e32 v5, v5, v10
	v_mov_b32_e32 v8, 0x7fc00000
	v_cmp_class_f32_e64 vcc, v1, s0
	v_cndmask_b32_e32 v1, v8, v5, vcc
	v_mul_f32_e32 v1, v1, v1
	s_mov_b32 s2, 0xc11de9e7
	v_div_scale_f32 v5, s[0:1], v1, v1, s2
	v_div_scale_f32 v8, vcc, s2, v1, s2
	v_sub_f32_e32 v3, 1.0, v3
	v_rcp_f32_e32 v10, v5
	v_fma_f32 v12, -v5, v10, 1.0
	v_fmac_f32_e32 v10, v12, v10
	v_mul_f32_e32 v12, v8, v10
	v_fma_f32 v13, -v5, v12, v8
	v_fmac_f32_e32 v12, v13, v10
	v_fma_f32 v5, -v5, v12, v8
	v_div_fmas_f32 v5, v5, v10, v12
	v_div_fixup_f32 v1, v5, v1, s2
	v_add_f32_e32 v5, 0, v1
	v_mov_b32_e32 v1, -1.0
.LBB67_1297:
	s_or_b64 exec, exec, s[14:15]
	s_lshr_b32 s0, s18, 16
	v_mov_b32_e32 v8, s11
	s_and_b32 s19, s0, 0xff
	v_add_co_u32_e32 v10, vcc, s10, v11
	s_cmp_lt_i32 s19, 11
	v_addc_co_u32_e32 v11, vcc, 0, v8, vcc
	s_cbranch_scc1 .LBB67_1304
; %bb.1298:
	s_and_b32 s20, 0xffff, s19
	s_cmp_gt_i32 s20, 25
	s_mov_b64 s[2:3], 0
	s_cbranch_scc0 .LBB67_1306
; %bb.1299:
	s_cmp_gt_i32 s20, 28
	s_cbranch_scc0 .LBB67_1307
; %bb.1300:
	s_cmp_gt_i32 s20, 43
	;; [unrolled: 3-line block ×3, first 2 shown]
	s_cbranch_scc0 .LBB67_1310
; %bb.1302:
	s_cmp_eq_u32 s20, 46
	s_mov_b64 s[14:15], 0
	s_cbranch_scc0 .LBB67_1313
; %bb.1303:
	global_load_dword v8, v[10:11], off
	s_mov_b64 s[0:1], 0
	s_mov_b64 s[4:5], -1
	s_waitcnt vmcnt(0)
	v_lshlrev_b32_e32 v8, 16, v8
	v_cvt_f16_f32_e32 v8, v8
	s_branch .LBB67_1314
.LBB67_1304:
	s_mov_b64 s[4:5], 0
                                        ; implicit-def: $vgpr8
	s_cbranch_execnz .LBB67_1379
.LBB67_1305:
	s_andn2_b64 vcc, exec, s[4:5]
	s_cbranch_vccnz .LBB67_2136
	s_branch .LBB67_1426
.LBB67_1306:
	s_mov_b64 s[4:5], 0
	s_mov_b64 s[0:1], 0
                                        ; implicit-def: $vgpr8
	s_cbranch_execnz .LBB67_1343
	s_branch .LBB67_1375
.LBB67_1307:
	s_mov_b64 s[14:15], -1
	s_mov_b64 s[4:5], 0
	s_mov_b64 s[0:1], 0
                                        ; implicit-def: $vgpr8
	s_branch .LBB67_1324
.LBB67_1308:
	s_mov_b64 s[14:15], -1
	s_mov_b64 s[4:5], 0
	s_mov_b64 s[0:1], 0
                                        ; implicit-def: $vgpr8
	s_branch .LBB67_1319
.LBB67_1309:
	s_or_b64 s[12:13], s[6:7], exec
	s_trap 2
	s_cbranch_execz .LBB67_1244
	s_branch .LBB67_1245
.LBB67_1310:
	s_mov_b64 s[14:15], -1
	s_mov_b64 s[4:5], 0
	s_mov_b64 s[0:1], 0
                                        ; implicit-def: $vgpr8
	s_branch .LBB67_1314
.LBB67_1311:
	s_andn2_saveexec_b64 s[14:15], s[14:15]
	s_cbranch_execz .LBB67_1035
.LBB67_1312:
	s_mov_b32 s18, 0x42800000
	v_add_f32_e64 v4, |v0|, s18
	v_and_b32_e32 v4, 0xff, v4
	v_cmp_ne_u32_e32 vcc, 0, v4
	s_andn2_b64 s[12:13], s[12:13], exec
	s_and_b64 s[18:19], vcc, exec
	s_or_b64 s[12:13], s[12:13], s[18:19]
	s_or_b64 exec, exec, s[14:15]
	v_mov_b32_e32 v5, 0
	s_and_saveexec_b64 s[14:15], s[12:13]
	s_cbranch_execnz .LBB67_1036
	s_branch .LBB67_1037
.LBB67_1313:
	s_mov_b64 s[0:1], -1
                                        ; implicit-def: $vgpr8
	s_mov_b64 s[4:5], 0
.LBB67_1314:
	s_and_b64 vcc, exec, s[14:15]
	s_cbranch_vccz .LBB67_1318
; %bb.1315:
	s_cmp_eq_u32 s20, 44
	s_cbranch_scc0 .LBB67_1317
; %bb.1316:
	global_load_ubyte v8, v[10:11], off
	s_movk_i32 s4, 0xff
	v_mov_b32_e32 v13, 0x7e00
	s_mov_b64 s[0:1], 0
	s_waitcnt vmcnt(0)
	v_lshlrev_b32_e32 v12, 23, v8
	v_cvt_f16_f32_e32 v12, v12
	v_cmp_ne_u32_e32 vcc, s4, v8
	s_mov_b64 s[4:5], -1
	v_cndmask_b32_e32 v12, v13, v12, vcc
	v_cmp_ne_u32_e32 vcc, 0, v8
	v_cndmask_b32_e32 v8, 0, v12, vcc
	s_branch .LBB67_1318
.LBB67_1317:
	s_mov_b64 s[0:1], -1
                                        ; implicit-def: $vgpr8
.LBB67_1318:
	s_mov_b64 s[14:15], 0
.LBB67_1319:
	s_and_b64 vcc, exec, s[14:15]
	s_cbranch_vccz .LBB67_1323
; %bb.1320:
	s_cmp_eq_u32 s20, 29
	s_cbranch_scc0 .LBB67_1322
; %bb.1321:
	global_load_dwordx2 v[12:13], v[10:11], off
	s_mov_b64 s[0:1], 0
	s_mov_b64 s[4:5], -1
	s_mov_b64 s[14:15], 0
	s_waitcnt vmcnt(0)
	v_ffbh_u32_e32 v8, v13
	v_min_u32_e32 v8, 32, v8
	v_lshlrev_b64 v[12:13], v8, v[12:13]
	v_sub_u32_e32 v8, 32, v8
	v_min_u32_e32 v12, 1, v12
	v_or_b32_e32 v12, v13, v12
	v_cvt_f32_u32_e32 v12, v12
	v_ldexp_f32 v8, v12, v8
	v_cvt_f16_f32_e32 v8, v8
	s_branch .LBB67_1324
.LBB67_1322:
	s_mov_b64 s[0:1], -1
                                        ; implicit-def: $vgpr8
.LBB67_1323:
	s_mov_b64 s[14:15], 0
.LBB67_1324:
	s_and_b64 vcc, exec, s[14:15]
	s_cbranch_vccz .LBB67_1342
; %bb.1325:
	s_cmp_lt_i32 s20, 27
	s_cbranch_scc1 .LBB67_1328
; %bb.1326:
	s_cmp_gt_i32 s20, 27
	s_cbranch_scc0 .LBB67_1329
; %bb.1327:
	global_load_dword v8, v[10:11], off
	s_mov_b64 s[4:5], 0
	s_waitcnt vmcnt(0)
	v_cvt_f32_u32_e32 v8, v8
	v_cvt_f16_f32_e32 v8, v8
	s_branch .LBB67_1330
.LBB67_1328:
	s_mov_b64 s[4:5], -1
                                        ; implicit-def: $vgpr8
	s_branch .LBB67_1333
.LBB67_1329:
	s_mov_b64 s[4:5], -1
                                        ; implicit-def: $vgpr8
.LBB67_1330:
	s_andn2_b64 vcc, exec, s[4:5]
	s_cbranch_vccnz .LBB67_1332
; %bb.1331:
	global_load_ushort v8, v[10:11], off
	s_waitcnt vmcnt(0)
	v_cvt_f16_u16_e32 v8, v8
.LBB67_1332:
	s_mov_b64 s[4:5], 0
.LBB67_1333:
	s_andn2_b64 vcc, exec, s[4:5]
	s_cbranch_vccnz .LBB67_1341
; %bb.1334:
	global_load_ubyte v12, v[10:11], off
	s_movk_i32 s4, 0x7f
	s_waitcnt vmcnt(0)
	v_cmp_lt_i16_e32 vcc, s4, v12
	s_mov_b64 s[4:5], 0
	s_and_saveexec_b64 s[14:15], vcc
	s_xor_b64 s[14:15], exec, s[14:15]
	s_cbranch_execz .LBB67_1354
; %bb.1335:
	s_movk_i32 s4, 0x80
	v_cmp_eq_u16_e32 vcc, s4, v12
	s_mov_b64 s[4:5], -1
	s_and_saveexec_b64 s[16:17], vcc
; %bb.1336:
	s_xor_b64 s[4:5], exec, -1
; %bb.1337:
	s_or_b64 exec, exec, s[16:17]
	s_and_b64 s[4:5], s[4:5], exec
	s_or_saveexec_b64 s[14:15], s[14:15]
	v_mov_b32_e32 v8, 0x7e00
	s_xor_b64 exec, exec, s[14:15]
	s_cbranch_execnz .LBB67_1355
.LBB67_1338:
	s_or_b64 exec, exec, s[14:15]
	s_and_saveexec_b64 s[14:15], s[4:5]
	s_cbranch_execz .LBB67_1340
.LBB67_1339:
	v_lshlrev_b32_e32 v8, 24, v12
	v_and_b32_e32 v12, 0xffff, v12
	v_and_b32_e32 v13, 7, v12
	v_ffbh_u32_e32 v15, v13
	v_min_u32_e32 v15, 32, v15
	v_subrev_u32_e32 v16, 28, v15
	v_bfe_u32 v14, v12, 3, 4
	v_lshlrev_b32_e32 v12, v16, v12
	v_sub_u32_e32 v15, 29, v15
	v_and_b32_e32 v12, 7, v12
	v_cmp_eq_u32_e32 vcc, 0, v14
	v_cndmask_b32_e32 v14, v14, v15, vcc
	v_cndmask_b32_e32 v12, v13, v12, vcc
	v_mov_b32_e32 v13, 0x3b800000
	v_lshlrev_b32_e32 v12, 20, v12
	v_and_b32_e32 v8, 0x80000000, v8
	v_lshl_add_u32 v13, v14, 23, v13
	v_or3_b32 v8, v8, v13, v12
	v_cvt_f16_f32_e32 v8, v8
.LBB67_1340:
	s_or_b64 exec, exec, s[14:15]
.LBB67_1341:
	s_mov_b64 s[4:5], -1
.LBB67_1342:
	s_branch .LBB67_1375
.LBB67_1343:
	s_cmp_gt_i32 s20, 22
	s_cbranch_scc0 .LBB67_1353
; %bb.1344:
	s_cmp_lt_i32 s20, 24
	s_cbranch_scc1 .LBB67_1356
; %bb.1345:
	s_cmp_gt_i32 s20, 24
	s_cbranch_scc0 .LBB67_1357
; %bb.1346:
	global_load_ubyte v12, v[10:11], off
	s_movk_i32 s2, 0x7f
	s_waitcnt vmcnt(0)
	v_cmp_lt_i16_e32 vcc, s2, v12
	s_mov_b64 s[2:3], 0
	s_and_saveexec_b64 s[4:5], vcc
	s_xor_b64 s[4:5], exec, s[4:5]
	s_cbranch_execz .LBB67_1369
; %bb.1347:
	s_movk_i32 s2, 0x80
	v_cmp_eq_u16_e32 vcc, s2, v12
	s_mov_b64 s[2:3], -1
	s_and_saveexec_b64 s[14:15], vcc
; %bb.1348:
	s_xor_b64 s[2:3], exec, -1
; %bb.1349:
	s_or_b64 exec, exec, s[14:15]
	s_and_b64 s[2:3], s[2:3], exec
	s_or_saveexec_b64 s[4:5], s[4:5]
	v_mov_b32_e32 v8, 0x7e00
	s_xor_b64 exec, exec, s[4:5]
	s_cbranch_execnz .LBB67_1370
.LBB67_1350:
	s_or_b64 exec, exec, s[4:5]
	s_and_saveexec_b64 s[4:5], s[2:3]
	s_cbranch_execz .LBB67_1352
.LBB67_1351:
	v_lshlrev_b32_e32 v8, 24, v12
	v_and_b32_e32 v12, 0xffff, v12
	v_and_b32_e32 v13, 3, v12
	v_ffbh_u32_e32 v15, v13
	v_min_u32_e32 v15, 32, v15
	v_subrev_u32_e32 v16, 29, v15
	v_bfe_u32 v14, v12, 2, 5
	v_lshlrev_b32_e32 v12, v16, v12
	v_sub_u32_e32 v15, 30, v15
	v_and_b32_e32 v12, 3, v12
	v_cmp_eq_u32_e32 vcc, 0, v14
	v_cndmask_b32_e32 v14, v14, v15, vcc
	v_cndmask_b32_e32 v12, v13, v12, vcc
	v_mov_b32_e32 v13, 0x37800000
	v_lshlrev_b32_e32 v12, 21, v12
	v_and_b32_e32 v8, 0x80000000, v8
	v_lshl_add_u32 v13, v14, 23, v13
	v_or3_b32 v8, v8, v13, v12
	v_cvt_f16_f32_e32 v8, v8
.LBB67_1352:
	s_or_b64 exec, exec, s[4:5]
	s_mov_b64 s[2:3], 0
	s_branch .LBB67_1358
.LBB67_1353:
	s_mov_b64 s[2:3], -1
                                        ; implicit-def: $vgpr8
	s_branch .LBB67_1364
.LBB67_1354:
	s_or_saveexec_b64 s[14:15], s[14:15]
	v_mov_b32_e32 v8, 0x7e00
	s_xor_b64 exec, exec, s[14:15]
	s_cbranch_execz .LBB67_1338
.LBB67_1355:
	v_cmp_ne_u16_e32 vcc, 0, v12
	s_andn2_b64 s[4:5], s[4:5], exec
	s_and_b64 s[16:17], vcc, exec
	s_or_b64 s[4:5], s[4:5], s[16:17]
	v_mov_b32_e32 v8, v12
	s_or_b64 exec, exec, s[14:15]
	s_and_saveexec_b64 s[14:15], s[4:5]
	s_cbranch_execnz .LBB67_1339
	s_branch .LBB67_1340
.LBB67_1356:
	s_mov_b64 s[2:3], -1
                                        ; implicit-def: $vgpr8
	s_branch .LBB67_1361
.LBB67_1357:
	s_mov_b64 s[2:3], -1
                                        ; implicit-def: $vgpr8
.LBB67_1358:
	s_and_b64 vcc, exec, s[2:3]
	s_cbranch_vccz .LBB67_1360
; %bb.1359:
	global_load_ubyte v8, v[10:11], off
	s_mov_b32 s2, 0x7f800000
	s_waitcnt vmcnt(0)
	v_lshlrev_b32_e32 v8, 24, v8
	v_and_b32_e32 v12, 0x7f000000, v8
	v_ffbh_u32_e32 v13, v12
	v_min_u32_e32 v13, 32, v13
	v_sub_u32_e64 v13, v13, 4 clamp
	v_lshlrev_b32_e32 v15, v13, v12
	v_lshlrev_b32_e32 v13, 23, v13
	v_lshrrev_b32_e32 v15, 4, v15
	v_add_u32_e32 v14, 0x1000000, v12
	v_sub_u32_e32 v13, v15, v13
	v_ashrrev_i32_e32 v14, 8, v14
	v_add_u32_e32 v13, 0x3c000000, v13
	v_and_or_b32 v13, v14, s2, v13
	v_cmp_ne_u32_e32 vcc, 0, v12
	v_cndmask_b32_e32 v12, 0, v13, vcc
	s_brev_b32 s2, 1
	v_and_or_b32 v8, v8, s2, v12
	v_cvt_f16_f32_e32 v8, v8
.LBB67_1360:
	s_mov_b64 s[2:3], 0
.LBB67_1361:
	s_andn2_b64 vcc, exec, s[2:3]
	s_cbranch_vccnz .LBB67_1363
; %bb.1362:
	global_load_ubyte v8, v[10:11], off
	s_movk_i32 s2, 0x7f00
	s_brev_b32 s3, 16
	s_waitcnt vmcnt(0)
	v_lshlrev_b16_e32 v12, 8, v8
	v_lshlrev_b32_e32 v8, 25, v8
	v_lshrrev_b32_e32 v13, 4, v8
	v_and_or_b32 v14, v12, s2, 0.5
	v_or_b32_e32 v13, 0x70000000, v13
	v_add_f32_e32 v14, -0.5, v14
	v_mul_f32_e32 v13, 0x7800000, v13
	v_cmp_gt_u32_e32 vcc, s3, v8
	v_bfe_i32 v12, v12, 0, 16
	v_cndmask_b32_e32 v8, v13, v14, vcc
	s_brev_b32 s2, 1
	v_and_or_b32 v8, v12, s2, v8
	v_cvt_f16_f32_e32 v8, v8
.LBB67_1363:
	s_mov_b64 s[2:3], 0
	s_mov_b64 s[4:5], -1
.LBB67_1364:
	s_andn2_b64 vcc, exec, s[2:3]
	s_mov_b64 s[2:3], 0
	s_cbranch_vccnz .LBB67_1375
; %bb.1365:
	s_cmp_gt_i32 s20, 14
	s_cbranch_scc0 .LBB67_1368
; %bb.1366:
	s_cmp_eq_u32 s20, 15
	s_cbranch_scc0 .LBB67_1371
; %bb.1367:
	global_load_ushort v8, v[10:11], off
	s_mov_b64 s[0:1], 0
	s_mov_b64 s[4:5], -1
	s_waitcnt vmcnt(0)
	v_lshlrev_b32_e32 v8, 16, v8
	v_cvt_f16_f32_e32 v8, v8
	s_branch .LBB67_1372
.LBB67_1368:
	s_mov_b64 s[14:15], -1
                                        ; implicit-def: $vgpr8
	s_branch .LBB67_1373
.LBB67_1369:
	s_or_saveexec_b64 s[4:5], s[4:5]
	v_mov_b32_e32 v8, 0x7e00
	s_xor_b64 exec, exec, s[4:5]
	s_cbranch_execz .LBB67_1350
.LBB67_1370:
	v_cmp_ne_u16_e32 vcc, 0, v12
	s_andn2_b64 s[2:3], s[2:3], exec
	s_and_b64 s[14:15], vcc, exec
	s_or_b64 s[2:3], s[2:3], s[14:15]
	v_mov_b32_e32 v8, v12
	s_or_b64 exec, exec, s[4:5]
	s_and_saveexec_b64 s[4:5], s[2:3]
	s_cbranch_execnz .LBB67_1351
	s_branch .LBB67_1352
.LBB67_1371:
	s_mov_b64 s[0:1], -1
                                        ; implicit-def: $vgpr8
.LBB67_1372:
	s_mov_b64 s[14:15], 0
.LBB67_1373:
	s_and_b64 vcc, exec, s[14:15]
	s_cbranch_vccz .LBB67_1375
; %bb.1374:
	s_cmp_lg_u32 s20, 11
	s_mov_b64 s[2:3], -1
	s_cselect_b64 s[0:1], -1, 0
.LBB67_1375:
	s_and_b64 vcc, exec, s[0:1]
	s_cbranch_vccnz .LBB67_1444
; %bb.1376:
	s_andn2_b64 vcc, exec, s[2:3]
	s_cbranch_vccnz .LBB67_1378
.LBB67_1377:
	global_load_ubyte v8, v[10:11], off
	v_mov_b32_e32 v12, 0x3c00
	s_mov_b64 s[4:5], -1
	s_waitcnt vmcnt(0)
	v_cmp_ne_u16_e32 vcc, 0, v8
	v_cndmask_b32_e32 v8, 0, v12, vcc
.LBB67_1378:
	s_branch .LBB67_1305
.LBB67_1379:
	s_and_b32 s2, 0xffff, s19
	s_cmp_lt_i32 s2, 5
	s_cbranch_scc1 .LBB67_1384
; %bb.1380:
	s_cmp_lt_i32 s2, 8
	s_cbranch_scc1 .LBB67_1385
; %bb.1381:
	;; [unrolled: 3-line block ×3, first 2 shown]
	s_cmp_gt_i32 s2, 9
	s_cbranch_scc0 .LBB67_1387
; %bb.1383:
	global_load_dwordx2 v[12:13], v[10:11], off
	s_movk_i32 s0, 0x1ff
	s_movk_i32 s1, 0xffe
	v_mov_b32_e32 v8, 0x7c00
	v_mov_b32_e32 v14, 0x7e00
	s_movk_i32 s3, 0x40f
	s_mov_b32 s4, 0x8000
	s_waitcnt vmcnt(0)
	v_and_or_b32 v12, v13, s0, v12
	v_cmp_ne_u32_e32 vcc, 0, v12
	v_lshrrev_b32_e32 v15, 8, v13
	v_bfe_u32 v16, v13, 20, 11
	v_cndmask_b32_e64 v12, 0, 1, vcc
	v_sub_u32_e32 v17, 0x3f1, v16
	v_and_or_b32 v12, v15, s1, v12
	v_add_u32_e32 v16, 0xfffffc10, v16
	v_med3_i32 v15, v17, 0, 13
	v_or_b32_e32 v17, 0x1000, v12
	v_cmp_ne_u32_e32 vcc, 0, v12
	v_lshl_or_b32 v18, v16, 12, v12
	v_cndmask_b32_e32 v12, v8, v14, vcc
	v_lshrrev_b32_e32 v14, v15, v17
	v_lshlrev_b32_e32 v15, v15, v14
	v_cmp_ne_u32_e32 vcc, v15, v17
	v_cndmask_b32_e64 v15, 0, 1, vcc
	v_or_b32_e32 v14, v14, v15
	v_cmp_gt_i32_e32 vcc, 1, v16
	v_cndmask_b32_e32 v14, v18, v14, vcc
	v_and_b32_e32 v15, 7, v14
	v_cmp_lt_i32_e32 vcc, 5, v15
	v_cndmask_b32_e64 v17, 0, 1, vcc
	v_cmp_eq_u32_e32 vcc, 3, v15
	v_cndmask_b32_e64 v15, 0, 1, vcc
	v_lshrrev_b32_e32 v14, 2, v14
	v_or_b32_e32 v15, v15, v17
	v_add_u32_e32 v14, v14, v15
	v_cmp_gt_i32_e32 vcc, 31, v16
	v_cndmask_b32_e32 v8, v8, v14, vcc
	v_cmp_eq_u32_e32 vcc, s3, v16
	v_lshrrev_b32_e32 v13, 16, v13
	v_cndmask_b32_e32 v8, v8, v12, vcc
	v_and_or_b32 v8, v13, s4, v8
	s_mov_b64 s[0:1], 0
	s_branch .LBB67_1388
.LBB67_1384:
                                        ; implicit-def: $vgpr8
	s_branch .LBB67_1406
.LBB67_1385:
	s_mov_b64 s[0:1], -1
                                        ; implicit-def: $vgpr8
	s_branch .LBB67_1394
.LBB67_1386:
	s_mov_b64 s[0:1], -1
                                        ; implicit-def: $vgpr8
	s_branch .LBB67_1391
.LBB67_1387:
	s_mov_b64 s[0:1], -1
                                        ; implicit-def: $vgpr8
.LBB67_1388:
	s_andn2_b64 vcc, exec, s[0:1]
	s_cbranch_vccnz .LBB67_1390
; %bb.1389:
	global_load_dword v8, v[10:11], off
	s_waitcnt vmcnt(0)
	v_cvt_f16_f32_e32 v8, v8
.LBB67_1390:
	s_mov_b64 s[0:1], 0
.LBB67_1391:
	s_andn2_b64 vcc, exec, s[0:1]
	s_cbranch_vccnz .LBB67_1393
; %bb.1392:
	global_load_dword v8, v[10:11], off
.LBB67_1393:
	s_mov_b64 s[0:1], 0
.LBB67_1394:
	s_andn2_b64 vcc, exec, s[0:1]
	s_cbranch_vccnz .LBB67_1405
; %bb.1395:
	s_cmp_lt_i32 s2, 6
	s_cbranch_scc1 .LBB67_1398
; %bb.1396:
	s_cmp_gt_i32 s2, 6
	s_cbranch_scc0 .LBB67_1399
; %bb.1397:
	global_load_dwordx2 v[12:13], v[10:11], off
	s_movk_i32 s0, 0x1ff
	s_movk_i32 s1, 0xffe
	s_waitcnt vmcnt(1)
	v_mov_b32_e32 v8, 0x7c00
	v_mov_b32_e32 v14, 0x7e00
	s_movk_i32 s3, 0x40f
	s_mov_b32 s4, 0x8000
	s_waitcnt vmcnt(0)
	v_and_or_b32 v12, v13, s0, v12
	v_cmp_ne_u32_e32 vcc, 0, v12
	v_lshrrev_b32_e32 v15, 8, v13
	v_bfe_u32 v16, v13, 20, 11
	v_cndmask_b32_e64 v12, 0, 1, vcc
	v_sub_u32_e32 v17, 0x3f1, v16
	v_and_or_b32 v12, v15, s1, v12
	v_add_u32_e32 v16, 0xfffffc10, v16
	v_med3_i32 v15, v17, 0, 13
	v_or_b32_e32 v17, 0x1000, v12
	v_cmp_ne_u32_e32 vcc, 0, v12
	v_lshl_or_b32 v18, v16, 12, v12
	v_cndmask_b32_e32 v12, v8, v14, vcc
	v_lshrrev_b32_e32 v14, v15, v17
	v_lshlrev_b32_e32 v15, v15, v14
	v_cmp_ne_u32_e32 vcc, v15, v17
	v_cndmask_b32_e64 v15, 0, 1, vcc
	v_or_b32_e32 v14, v14, v15
	v_cmp_gt_i32_e32 vcc, 1, v16
	v_cndmask_b32_e32 v14, v18, v14, vcc
	v_and_b32_e32 v15, 7, v14
	v_cmp_lt_i32_e32 vcc, 5, v15
	v_cndmask_b32_e64 v17, 0, 1, vcc
	v_cmp_eq_u32_e32 vcc, 3, v15
	v_cndmask_b32_e64 v15, 0, 1, vcc
	v_lshrrev_b32_e32 v14, 2, v14
	v_or_b32_e32 v15, v15, v17
	v_add_u32_e32 v14, v14, v15
	v_cmp_gt_i32_e32 vcc, 31, v16
	v_cndmask_b32_e32 v8, v8, v14, vcc
	v_cmp_eq_u32_e32 vcc, s3, v16
	v_lshrrev_b32_e32 v13, 16, v13
	v_cndmask_b32_e32 v8, v8, v12, vcc
	v_and_or_b32 v8, v13, s4, v8
	s_mov_b64 s[0:1], 0
	s_branch .LBB67_1400
.LBB67_1398:
	s_mov_b64 s[0:1], -1
                                        ; implicit-def: $vgpr8
	s_branch .LBB67_1403
.LBB67_1399:
	s_mov_b64 s[0:1], -1
                                        ; implicit-def: $vgpr8
.LBB67_1400:
	s_andn2_b64 vcc, exec, s[0:1]
	s_cbranch_vccnz .LBB67_1402
; %bb.1401:
	global_load_dword v8, v[10:11], off
	s_waitcnt vmcnt(0)
	v_cvt_f16_f32_e32 v8, v8
.LBB67_1402:
	s_mov_b64 s[0:1], 0
.LBB67_1403:
	s_andn2_b64 vcc, exec, s[0:1]
	s_cbranch_vccnz .LBB67_1405
; %bb.1404:
	global_load_ushort v8, v[10:11], off
.LBB67_1405:
	s_cbranch_execnz .LBB67_1425
.LBB67_1406:
	s_cmp_lt_i32 s2, 2
	s_cbranch_scc1 .LBB67_1410
; %bb.1407:
	s_cmp_lt_i32 s2, 3
	s_cbranch_scc1 .LBB67_1411
; %bb.1408:
	s_cmp_gt_i32 s2, 3
	s_cbranch_scc0 .LBB67_1412
; %bb.1409:
	global_load_dwordx2 v[12:13], v[10:11], off
	s_mov_b64 s[0:1], 0
	s_waitcnt vmcnt(0)
	v_xor_b32_e32 v14, v12, v13
	v_ffbh_i32_e32 v8, v13
	v_ashrrev_i32_e32 v14, 31, v14
	v_add_u32_e32 v8, -1, v8
	v_add_u32_e32 v14, 32, v14
	v_min_u32_e32 v8, v8, v14
	v_lshlrev_b64 v[12:13], v8, v[12:13]
	v_sub_u32_e32 v8, 32, v8
	v_min_u32_e32 v12, 1, v12
	v_or_b32_e32 v12, v13, v12
	v_cvt_f32_i32_e32 v12, v12
	v_ldexp_f32 v8, v12, v8
	v_cvt_f16_f32_e32 v8, v8
	s_branch .LBB67_1413
.LBB67_1410:
	s_mov_b64 s[0:1], -1
                                        ; implicit-def: $vgpr8
	s_branch .LBB67_1419
.LBB67_1411:
	s_mov_b64 s[0:1], -1
                                        ; implicit-def: $vgpr8
	s_branch .LBB67_1416
.LBB67_1412:
	s_mov_b64 s[0:1], -1
                                        ; implicit-def: $vgpr8
.LBB67_1413:
	s_andn2_b64 vcc, exec, s[0:1]
	s_cbranch_vccnz .LBB67_1415
; %bb.1414:
	global_load_dword v8, v[10:11], off
	s_waitcnt vmcnt(0)
	v_cvt_f32_i32_e32 v8, v8
	v_cvt_f16_f32_e32 v8, v8
.LBB67_1415:
	s_mov_b64 s[0:1], 0
.LBB67_1416:
	s_andn2_b64 vcc, exec, s[0:1]
	s_cbranch_vccnz .LBB67_1418
; %bb.1417:
	global_load_ushort v8, v[10:11], off
	s_waitcnt vmcnt(0)
	v_cvt_f16_i16_e32 v8, v8
.LBB67_1418:
	s_mov_b64 s[0:1], 0
.LBB67_1419:
	s_andn2_b64 vcc, exec, s[0:1]
	s_cbranch_vccnz .LBB67_1425
; %bb.1420:
	s_cmp_gt_i32 s2, 0
	s_cbranch_scc0 .LBB67_1422
; %bb.1421:
	global_load_sbyte v8, v[10:11], off
	s_mov_b64 s[0:1], 0
	s_waitcnt vmcnt(0)
	v_cvt_f16_i16_e32 v8, v8
	s_branch .LBB67_1423
.LBB67_1422:
	s_mov_b64 s[0:1], -1
                                        ; implicit-def: $vgpr8
.LBB67_1423:
	s_andn2_b64 vcc, exec, s[0:1]
	s_cbranch_vccnz .LBB67_1425
; %bb.1424:
	global_load_ubyte v8, v[10:11], off
	s_waitcnt vmcnt(0)
	v_cvt_f16_u16_e32 v8, v8
.LBB67_1425:
.LBB67_1426:
	s_waitcnt vmcnt(0)
	v_cvt_f32_f16_e32 v10, v8
	v_cmp_gt_f16_e32 vcc, 0.5, v8
	v_mov_b32_e32 v12, 0
	v_mov_b32_e32 v11, 1.0
	s_and_saveexec_b64 s[14:15], vcc
	s_cbranch_execz .LBB67_1432
; %bb.1427:
	v_mul_f32_e32 v8, 0x40490fdb, v10
	s_brev_b32 s0, 18
	v_and_b32_e32 v11, 0x7fffffff, v8
	v_cmp_nlt_f32_e64 s[0:1], |v8|, s0
                                        ; implicit-def: $vgpr12
                                        ; implicit-def: $vgpr13
	s_and_saveexec_b64 s[2:3], s[0:1]
	s_xor_b64 s[16:17], exec, s[2:3]
	s_cbranch_execz .LBB67_1429
; %bb.1428:
	v_and_b32_e32 v12, 0x7fffff, v11
	v_or_b32_e32 v21, 0x800000, v12
	s_mov_b32 s0, 0xfe5163ab
	v_mad_u64_u32 v[12:13], s[0:1], v21, s0, 0
	v_mov_b32_e32 v14, 0
	s_mov_b32 s0, 0x3c439041
	v_mad_u64_u32 v[15:16], s[0:1], v21, s0, v[13:14]
	s_mov_b32 s0, 0xdb629599
	v_not_b32_e32 v20, 63
	v_mov_b32_e32 v13, v16
	v_mad_u64_u32 v[16:17], s[0:1], v21, s0, v[13:14]
	s_mov_b32 s0, 0xf534ddc0
	v_not_b32_e32 v23, 31
	v_mov_b32_e32 v13, v17
	v_mad_u64_u32 v[17:18], s[0:1], v21, s0, v[13:14]
	v_lshrrev_b32_e32 v13, 23, v11
	v_add_u32_e32 v22, 0xffffff88, v13
	v_mov_b32_e32 v13, v18
	s_mov_b32 s0, 0xfc2757d1
	v_mad_u64_u32 v[18:19], s[0:1], v21, s0, v[13:14]
	v_cmp_lt_u32_e32 vcc, 63, v22
	v_cndmask_b32_e32 v13, 0, v20, vcc
	v_add_u32_e32 v22, v13, v22
	v_mov_b32_e32 v13, v19
	s_mov_b32 s0, 0x4e441529
	v_mad_u64_u32 v[19:20], s[0:1], v21, s0, v[13:14]
	v_cmp_lt_u32_e64 s[0:1], 31, v22
	v_cndmask_b32_e64 v13, 0, v23, s[0:1]
	v_add_u32_e32 v22, v13, v22
	v_mov_b32_e32 v13, v20
	s_mov_b32 s2, 0xa2f9836e
	v_mad_u64_u32 v[13:14], s[2:3], v21, s2, v[13:14]
	v_cmp_lt_u32_e64 s[2:3], 31, v22
	v_cndmask_b32_e64 v20, 0, v23, s[2:3]
	v_cndmask_b32_e32 v21, v19, v17, vcc
	v_cndmask_b32_e32 v13, v13, v18, vcc
	v_cndmask_b32_e32 v14, v14, v19, vcc
	v_add_u32_e32 v20, v20, v22
	v_cndmask_b32_e64 v22, v13, v21, s[0:1]
	v_cndmask_b32_e64 v13, v14, v13, s[0:1]
	v_cndmask_b32_e32 v14, v18, v16, vcc
	v_cndmask_b32_e64 v18, v21, v14, s[0:1]
	v_cndmask_b32_e64 v13, v13, v22, s[2:3]
	;; [unrolled: 1-line block ×3, first 2 shown]
	v_sub_u32_e32 v21, 32, v20
	v_alignbit_b32 v22, v13, v19, v21
	v_cmp_eq_u32_e64 s[4:5], 0, v20
	v_cndmask_b32_e64 v20, v22, v13, s[4:5]
	v_cndmask_b32_e32 v13, v17, v15, vcc
	v_cndmask_b32_e64 v14, v14, v13, s[0:1]
	v_cndmask_b32_e64 v15, v18, v14, s[2:3]
	v_alignbit_b32 v17, v19, v15, v21
	v_cndmask_b32_e32 v12, v16, v12, vcc
	v_cndmask_b32_e64 v17, v17, v19, s[4:5]
	v_bfe_u32 v22, v20, 29, 1
	v_cndmask_b32_e64 v12, v13, v12, s[0:1]
	v_alignbit_b32 v18, v20, v17, 30
	v_sub_u32_e32 v23, 0, v22
	v_cndmask_b32_e64 v12, v14, v12, s[2:3]
	v_xor_b32_e32 v18, v18, v23
	v_alignbit_b32 v13, v15, v12, v21
	v_cndmask_b32_e64 v13, v13, v15, s[4:5]
	v_ffbh_u32_e32 v15, v18
	v_alignbit_b32 v14, v17, v13, 30
	v_min_u32_e32 v15, 32, v15
	v_alignbit_b32 v12, v13, v12, 30
	v_xor_b32_e32 v14, v14, v23
	v_sub_u32_e32 v16, 31, v15
	v_xor_b32_e32 v12, v12, v23
	v_alignbit_b32 v17, v18, v14, v16
	v_alignbit_b32 v12, v14, v12, v16
	;; [unrolled: 1-line block ×3, first 2 shown]
	v_ffbh_u32_e32 v14, v13
	v_min_u32_e32 v14, 32, v14
	v_lshrrev_b32_e32 v19, 29, v20
	v_not_b32_e32 v16, v14
	v_alignbit_b32 v12, v13, v12, v16
	v_lshlrev_b32_e32 v13, 31, v19
	v_or_b32_e32 v16, 0x33000000, v13
	v_add_lshl_u32 v14, v14, v15, 23
	v_lshrrev_b32_e32 v12, 9, v12
	v_sub_u32_e32 v14, v16, v14
	v_or_b32_e32 v13, 0.5, v13
	v_lshlrev_b32_e32 v15, 23, v15
	v_or_b32_e32 v12, v14, v12
	v_lshrrev_b32_e32 v14, 9, v17
	v_sub_u32_e32 v13, v13, v15
	v_or_b32_e32 v13, v14, v13
	s_mov_b32 s0, 0x3fc90fda
	v_mul_f32_e32 v14, 0x3fc90fda, v13
	v_fma_f32 v15, v13, s0, -v14
	v_fmac_f32_e32 v15, 0x33a22168, v13
	v_fmac_f32_e32 v15, 0x3fc90fda, v12
	v_lshrrev_b32_e32 v12, 30, v20
	v_add_f32_e32 v13, v14, v15
	v_add_u32_e32 v12, v22, v12
.LBB67_1429:
	s_andn2_saveexec_b64 s[0:1], s[16:17]
	s_cbranch_execz .LBB67_1431
; %bb.1430:
	s_mov_b32 s2, 0x3f22f983
	v_mul_f32_e64 v12, |v8|, s2
	v_rndne_f32_e32 v14, v12
	s_mov_b32 s2, 0xbfc90fda
	v_cvt_i32_f32_e32 v12, v14
	v_fma_f32 v13, v14, s2, |v8|
	v_fmac_f32_e32 v13, 0xb3a22168, v14
	v_fmac_f32_e32 v13, 0xa7c234c4, v14
.LBB67_1431:
	s_or_b64 exec, exec, s[0:1]
	v_mul_f32_e32 v14, v13, v13
	v_mov_b32_e32 v15, 0x3c0881c4
	v_fmac_f32_e32 v15, 0xb94c1982, v14
	v_mov_b32_e32 v16, 0xbe2aaa9d
	v_fmac_f32_e32 v16, v14, v15
	v_mul_f32_e32 v15, v14, v16
	v_fmac_f32_e32 v13, v13, v15
	v_mov_b32_e32 v15, 0xbab64f3b
	v_fmac_f32_e32 v15, 0x37d75334, v14
	v_mov_b32_e32 v16, 0x3d2aabf7
	;; [unrolled: 2-line block ×3, first 2 shown]
	v_fmac_f32_e32 v15, v14, v16
	v_fma_f32 v14, v14, v15, 1.0
	v_and_b32_e32 v15, 1, v12
	v_lshlrev_b32_e32 v12, 30, v12
	v_cmp_eq_u32_e32 vcc, 0, v15
	v_and_b32_e32 v12, 0x80000000, v12
	v_xor_b32_e32 v11, v11, v8
	v_cndmask_b32_e32 v13, v14, v13, vcc
	v_xor_b32_e32 v11, v11, v12
	s_movk_i32 s0, 0x1f8
	v_xor_b32_e32 v11, v11, v13
	v_mov_b32_e32 v12, 0x7fc00000
	v_cmp_class_f32_e64 vcc, v8, s0
	v_cndmask_b32_e32 v8, v12, v11, vcc
	v_mul_f32_e32 v8, v8, v8
	s_mov_b32 s2, 0xc11de9e7
	v_div_scale_f32 v11, s[0:1], v8, v8, s2
	v_div_scale_f32 v12, vcc, s2, v8, s2
	v_sub_f32_e32 v10, 1.0, v10
	v_rcp_f32_e32 v13, v11
	v_fma_f32 v14, -v11, v13, 1.0
	v_fmac_f32_e32 v13, v14, v13
	v_mul_f32_e32 v14, v12, v13
	v_fma_f32 v15, -v11, v14, v12
	v_fmac_f32_e32 v14, v15, v13
	v_fma_f32 v11, -v11, v14, v12
	v_div_fmas_f32 v11, v11, v13, v14
	v_div_fixup_f32 v8, v11, v8, s2
	v_add_f32_e32 v12, 0, v8
	v_mov_b32_e32 v11, -1.0
.LBB67_1432:
	s_or_b64 exec, exec, s[14:15]
	v_mov_b32_e32 v13, s11
	v_add_co_u32_e32 v8, vcc, s10, v9
	s_cmp_lt_i32 s19, 11
	v_addc_co_u32_e32 v9, vcc, 0, v13, vcc
	s_cbranch_scc1 .LBB67_1439
; %bb.1433:
	s_and_b32 s20, 0xffff, s19
	s_cmp_gt_i32 s20, 25
	s_mov_b64 s[2:3], 0
	s_cbranch_scc0 .LBB67_1441
; %bb.1434:
	s_cmp_gt_i32 s20, 28
	s_cbranch_scc0 .LBB67_1442
; %bb.1435:
	s_cmp_gt_i32 s20, 43
	;; [unrolled: 3-line block ×3, first 2 shown]
	s_cbranch_scc0 .LBB67_1445
; %bb.1437:
	s_cmp_eq_u32 s20, 46
	s_mov_b64 s[14:15], 0
	s_cbranch_scc0 .LBB67_1446
; %bb.1438:
	global_load_dword v13, v[8:9], off
	s_mov_b64 s[0:1], 0
	s_mov_b64 s[4:5], -1
	s_waitcnt vmcnt(0)
	v_lshlrev_b32_e32 v13, 16, v13
	v_cvt_f16_f32_e32 v13, v13
	s_branch .LBB67_1447
.LBB67_1439:
	s_mov_b64 s[4:5], 0
                                        ; implicit-def: $vgpr13
	s_cbranch_execnz .LBB67_1513
.LBB67_1440:
	s_andn2_b64 vcc, exec, s[4:5]
	s_cbranch_vccnz .LBB67_2136
	s_branch .LBB67_1561
.LBB67_1441:
	s_mov_b64 s[14:15], -1
	s_mov_b64 s[4:5], 0
	s_mov_b64 s[0:1], 0
                                        ; implicit-def: $vgpr13
	s_branch .LBB67_1476
.LBB67_1442:
	s_mov_b64 s[14:15], -1
	s_mov_b64 s[4:5], 0
	s_mov_b64 s[0:1], 0
                                        ; implicit-def: $vgpr13
	s_branch .LBB67_1457
.LBB67_1443:
	s_mov_b64 s[14:15], -1
	s_mov_b64 s[4:5], 0
	s_mov_b64 s[0:1], 0
                                        ; implicit-def: $vgpr13
	s_branch .LBB67_1452
.LBB67_1444:
	s_trap 2
	s_or_b64 s[12:13], s[12:13], exec
	s_cbranch_execz .LBB67_1377
	s_branch .LBB67_1378
.LBB67_1445:
	s_mov_b64 s[14:15], -1
	s_mov_b64 s[4:5], 0
	s_mov_b64 s[0:1], 0
                                        ; implicit-def: $vgpr13
	s_branch .LBB67_1447
.LBB67_1446:
	s_mov_b64 s[0:1], -1
                                        ; implicit-def: $vgpr13
	s_mov_b64 s[4:5], 0
.LBB67_1447:
	s_and_b64 vcc, exec, s[14:15]
	s_cbranch_vccz .LBB67_1451
; %bb.1448:
	s_cmp_eq_u32 s20, 44
	s_cbranch_scc0 .LBB67_1450
; %bb.1449:
	global_load_ubyte v13, v[8:9], off
	s_movk_i32 s4, 0xff
	v_mov_b32_e32 v15, 0x7e00
	s_mov_b64 s[0:1], 0
	s_waitcnt vmcnt(0)
	v_lshlrev_b32_e32 v14, 23, v13
	v_cvt_f16_f32_e32 v14, v14
	v_cmp_ne_u32_e32 vcc, s4, v13
	s_mov_b64 s[4:5], -1
	v_cndmask_b32_e32 v14, v15, v14, vcc
	v_cmp_ne_u32_e32 vcc, 0, v13
	v_cndmask_b32_e32 v13, 0, v14, vcc
	s_branch .LBB67_1451
.LBB67_1450:
	s_mov_b64 s[0:1], -1
                                        ; implicit-def: $vgpr13
.LBB67_1451:
	s_mov_b64 s[14:15], 0
.LBB67_1452:
	s_and_b64 vcc, exec, s[14:15]
	s_cbranch_vccz .LBB67_1456
; %bb.1453:
	s_cmp_eq_u32 s20, 29
	s_cbranch_scc0 .LBB67_1455
; %bb.1454:
	global_load_dwordx2 v[13:14], v[8:9], off
	s_mov_b64 s[0:1], 0
	s_mov_b64 s[4:5], -1
	s_mov_b64 s[14:15], 0
	s_waitcnt vmcnt(0)
	v_ffbh_u32_e32 v15, v14
	v_min_u32_e32 v15, 32, v15
	v_lshlrev_b64 v[13:14], v15, v[13:14]
	v_min_u32_e32 v13, 1, v13
	v_or_b32_e32 v13, v14, v13
	v_cvt_f32_u32_e32 v13, v13
	v_sub_u32_e32 v14, 32, v15
	v_ldexp_f32 v13, v13, v14
	v_cvt_f16_f32_e32 v13, v13
	s_branch .LBB67_1457
.LBB67_1455:
	s_mov_b64 s[0:1], -1
                                        ; implicit-def: $vgpr13
.LBB67_1456:
	s_mov_b64 s[14:15], 0
.LBB67_1457:
	s_and_b64 vcc, exec, s[14:15]
	s_cbranch_vccz .LBB67_1475
; %bb.1458:
	s_cmp_lt_i32 s20, 27
	s_cbranch_scc1 .LBB67_1461
; %bb.1459:
	s_cmp_gt_i32 s20, 27
	s_cbranch_scc0 .LBB67_1462
; %bb.1460:
	global_load_dword v13, v[8:9], off
	s_mov_b64 s[4:5], 0
	s_waitcnt vmcnt(0)
	v_cvt_f32_u32_e32 v13, v13
	v_cvt_f16_f32_e32 v13, v13
	s_branch .LBB67_1463
.LBB67_1461:
	s_mov_b64 s[4:5], -1
                                        ; implicit-def: $vgpr13
	s_branch .LBB67_1466
.LBB67_1462:
	s_mov_b64 s[4:5], -1
                                        ; implicit-def: $vgpr13
.LBB67_1463:
	s_andn2_b64 vcc, exec, s[4:5]
	s_cbranch_vccnz .LBB67_1465
; %bb.1464:
	global_load_ushort v13, v[8:9], off
	s_waitcnt vmcnt(0)
	v_cvt_f16_u16_e32 v13, v13
.LBB67_1465:
	s_mov_b64 s[4:5], 0
.LBB67_1466:
	s_andn2_b64 vcc, exec, s[4:5]
	s_cbranch_vccnz .LBB67_1474
; %bb.1467:
	global_load_ubyte v14, v[8:9], off
	s_movk_i32 s4, 0x7f
	s_waitcnt vmcnt(0)
	v_cmp_lt_i16_e32 vcc, s4, v14
	s_mov_b64 s[4:5], 0
	s_and_saveexec_b64 s[14:15], vcc
	s_xor_b64 s[14:15], exec, s[14:15]
	s_cbranch_execz .LBB67_1488
; %bb.1468:
	s_movk_i32 s4, 0x80
	v_cmp_eq_u16_e32 vcc, s4, v14
	s_mov_b64 s[4:5], -1
	s_and_saveexec_b64 s[16:17], vcc
; %bb.1469:
	s_xor_b64 s[4:5], exec, -1
; %bb.1470:
	s_or_b64 exec, exec, s[16:17]
	s_and_b64 s[4:5], s[4:5], exec
	s_or_saveexec_b64 s[14:15], s[14:15]
	v_mov_b32_e32 v13, 0x7e00
	s_xor_b64 exec, exec, s[14:15]
	s_cbranch_execnz .LBB67_1489
.LBB67_1471:
	s_or_b64 exec, exec, s[14:15]
	s_and_saveexec_b64 s[14:15], s[4:5]
	s_cbranch_execz .LBB67_1473
.LBB67_1472:
	v_lshlrev_b32_e32 v13, 24, v14
	v_and_b32_e32 v14, 0xffff, v14
	v_and_b32_e32 v15, 7, v14
	v_ffbh_u32_e32 v17, v15
	v_min_u32_e32 v17, 32, v17
	v_subrev_u32_e32 v18, 28, v17
	v_bfe_u32 v16, v14, 3, 4
	v_lshlrev_b32_e32 v14, v18, v14
	v_sub_u32_e32 v17, 29, v17
	v_and_b32_e32 v14, 7, v14
	v_cmp_eq_u32_e32 vcc, 0, v16
	v_cndmask_b32_e32 v16, v16, v17, vcc
	v_cndmask_b32_e32 v14, v15, v14, vcc
	v_mov_b32_e32 v15, 0x3b800000
	v_lshlrev_b32_e32 v14, 20, v14
	v_and_b32_e32 v13, 0x80000000, v13
	v_lshl_add_u32 v15, v16, 23, v15
	v_or3_b32 v13, v13, v15, v14
	v_cvt_f16_f32_e32 v13, v13
.LBB67_1473:
	s_or_b64 exec, exec, s[14:15]
.LBB67_1474:
	s_mov_b64 s[4:5], -1
.LBB67_1475:
	s_mov_b64 s[14:15], 0
.LBB67_1476:
	s_and_b64 vcc, exec, s[14:15]
	s_cbranch_vccz .LBB67_1509
; %bb.1477:
	s_cmp_gt_i32 s20, 22
	s_cbranch_scc0 .LBB67_1487
; %bb.1478:
	s_cmp_lt_i32 s20, 24
	s_cbranch_scc1 .LBB67_1490
; %bb.1479:
	s_cmp_gt_i32 s20, 24
	s_cbranch_scc0 .LBB67_1491
; %bb.1480:
	global_load_ubyte v14, v[8:9], off
	s_movk_i32 s2, 0x7f
	s_waitcnt vmcnt(0)
	v_cmp_lt_i16_e32 vcc, s2, v14
	s_mov_b64 s[2:3], 0
	s_and_saveexec_b64 s[4:5], vcc
	s_xor_b64 s[4:5], exec, s[4:5]
	s_cbranch_execz .LBB67_1503
; %bb.1481:
	s_movk_i32 s2, 0x80
	v_cmp_eq_u16_e32 vcc, s2, v14
	s_mov_b64 s[2:3], -1
	s_and_saveexec_b64 s[14:15], vcc
; %bb.1482:
	s_xor_b64 s[2:3], exec, -1
; %bb.1483:
	s_or_b64 exec, exec, s[14:15]
	s_and_b64 s[2:3], s[2:3], exec
	s_or_saveexec_b64 s[4:5], s[4:5]
	v_mov_b32_e32 v13, 0x7e00
	s_xor_b64 exec, exec, s[4:5]
	s_cbranch_execnz .LBB67_1504
.LBB67_1484:
	s_or_b64 exec, exec, s[4:5]
	s_and_saveexec_b64 s[4:5], s[2:3]
	s_cbranch_execz .LBB67_1486
.LBB67_1485:
	v_lshlrev_b32_e32 v13, 24, v14
	v_and_b32_e32 v14, 0xffff, v14
	v_and_b32_e32 v15, 3, v14
	v_ffbh_u32_e32 v17, v15
	v_min_u32_e32 v17, 32, v17
	v_subrev_u32_e32 v18, 29, v17
	v_bfe_u32 v16, v14, 2, 5
	v_lshlrev_b32_e32 v14, v18, v14
	v_sub_u32_e32 v17, 30, v17
	v_and_b32_e32 v14, 3, v14
	v_cmp_eq_u32_e32 vcc, 0, v16
	v_cndmask_b32_e32 v16, v16, v17, vcc
	v_cndmask_b32_e32 v14, v15, v14, vcc
	v_mov_b32_e32 v15, 0x37800000
	v_lshlrev_b32_e32 v14, 21, v14
	v_and_b32_e32 v13, 0x80000000, v13
	v_lshl_add_u32 v15, v16, 23, v15
	v_or3_b32 v13, v13, v15, v14
	v_cvt_f16_f32_e32 v13, v13
.LBB67_1486:
	s_or_b64 exec, exec, s[4:5]
	s_mov_b64 s[2:3], 0
	s_branch .LBB67_1492
.LBB67_1487:
	s_mov_b64 s[2:3], -1
                                        ; implicit-def: $vgpr13
	s_branch .LBB67_1498
.LBB67_1488:
	s_or_saveexec_b64 s[14:15], s[14:15]
	v_mov_b32_e32 v13, 0x7e00
	s_xor_b64 exec, exec, s[14:15]
	s_cbranch_execz .LBB67_1471
.LBB67_1489:
	v_cmp_ne_u16_e32 vcc, 0, v14
	s_andn2_b64 s[4:5], s[4:5], exec
	s_and_b64 s[16:17], vcc, exec
	s_or_b64 s[4:5], s[4:5], s[16:17]
	v_mov_b32_e32 v13, v14
	s_or_b64 exec, exec, s[14:15]
	s_and_saveexec_b64 s[14:15], s[4:5]
	s_cbranch_execnz .LBB67_1472
	s_branch .LBB67_1473
.LBB67_1490:
	s_mov_b64 s[2:3], -1
                                        ; implicit-def: $vgpr13
	s_branch .LBB67_1495
.LBB67_1491:
	s_mov_b64 s[2:3], -1
                                        ; implicit-def: $vgpr13
.LBB67_1492:
	s_and_b64 vcc, exec, s[2:3]
	s_cbranch_vccz .LBB67_1494
; %bb.1493:
	global_load_ubyte v13, v[8:9], off
	s_mov_b32 s2, 0x7f800000
	s_waitcnt vmcnt(0)
	v_lshlrev_b32_e32 v13, 24, v13
	v_and_b32_e32 v14, 0x7f000000, v13
	v_ffbh_u32_e32 v15, v14
	v_min_u32_e32 v15, 32, v15
	v_sub_u32_e64 v15, v15, 4 clamp
	v_lshlrev_b32_e32 v17, v15, v14
	v_lshlrev_b32_e32 v15, 23, v15
	v_lshrrev_b32_e32 v17, 4, v17
	v_add_u32_e32 v16, 0x1000000, v14
	v_sub_u32_e32 v15, v17, v15
	v_ashrrev_i32_e32 v16, 8, v16
	v_add_u32_e32 v15, 0x3c000000, v15
	v_and_or_b32 v15, v16, s2, v15
	v_cmp_ne_u32_e32 vcc, 0, v14
	v_cndmask_b32_e32 v14, 0, v15, vcc
	s_brev_b32 s2, 1
	v_and_or_b32 v13, v13, s2, v14
	v_cvt_f16_f32_e32 v13, v13
.LBB67_1494:
	s_mov_b64 s[2:3], 0
.LBB67_1495:
	s_andn2_b64 vcc, exec, s[2:3]
	s_cbranch_vccnz .LBB67_1497
; %bb.1496:
	global_load_ubyte v13, v[8:9], off
	s_movk_i32 s2, 0x7f00
	s_brev_b32 s3, 16
	s_waitcnt vmcnt(0)
	v_lshlrev_b16_e32 v14, 8, v13
	v_lshlrev_b32_e32 v13, 25, v13
	v_lshrrev_b32_e32 v15, 4, v13
	v_and_or_b32 v16, v14, s2, 0.5
	v_or_b32_e32 v15, 0x70000000, v15
	v_add_f32_e32 v16, -0.5, v16
	v_mul_f32_e32 v15, 0x7800000, v15
	v_cmp_gt_u32_e32 vcc, s3, v13
	v_bfe_i32 v14, v14, 0, 16
	v_cndmask_b32_e32 v13, v15, v16, vcc
	s_brev_b32 s2, 1
	v_and_or_b32 v13, v14, s2, v13
	v_cvt_f16_f32_e32 v13, v13
.LBB67_1497:
	s_mov_b64 s[2:3], 0
	s_mov_b64 s[4:5], -1
.LBB67_1498:
	s_andn2_b64 vcc, exec, s[2:3]
	s_mov_b64 s[2:3], 0
	s_cbranch_vccnz .LBB67_1509
; %bb.1499:
	s_cmp_gt_i32 s20, 14
	s_cbranch_scc0 .LBB67_1502
; %bb.1500:
	s_cmp_eq_u32 s20, 15
	s_cbranch_scc0 .LBB67_1505
; %bb.1501:
	global_load_ushort v13, v[8:9], off
	s_mov_b64 s[0:1], 0
	s_mov_b64 s[4:5], -1
	s_waitcnt vmcnt(0)
	v_lshlrev_b32_e32 v13, 16, v13
	v_cvt_f16_f32_e32 v13, v13
	s_branch .LBB67_1506
.LBB67_1502:
	s_mov_b64 s[14:15], -1
                                        ; implicit-def: $vgpr13
	s_branch .LBB67_1507
.LBB67_1503:
	s_or_saveexec_b64 s[4:5], s[4:5]
	v_mov_b32_e32 v13, 0x7e00
	s_xor_b64 exec, exec, s[4:5]
	s_cbranch_execz .LBB67_1484
.LBB67_1504:
	v_cmp_ne_u16_e32 vcc, 0, v14
	s_andn2_b64 s[2:3], s[2:3], exec
	s_and_b64 s[14:15], vcc, exec
	s_or_b64 s[2:3], s[2:3], s[14:15]
	v_mov_b32_e32 v13, v14
	s_or_b64 exec, exec, s[4:5]
	s_and_saveexec_b64 s[4:5], s[2:3]
	s_cbranch_execnz .LBB67_1485
	s_branch .LBB67_1486
.LBB67_1505:
	s_mov_b64 s[0:1], -1
                                        ; implicit-def: $vgpr13
.LBB67_1506:
	s_mov_b64 s[14:15], 0
.LBB67_1507:
	s_and_b64 vcc, exec, s[14:15]
	s_cbranch_vccz .LBB67_1509
; %bb.1508:
	s_cmp_lg_u32 s20, 11
	s_mov_b64 s[2:3], -1
	s_cselect_b64 s[0:1], -1, 0
.LBB67_1509:
	s_and_b64 vcc, exec, s[0:1]
	s_cbranch_vccnz .LBB67_1578
; %bb.1510:
	s_andn2_b64 vcc, exec, s[2:3]
	s_cbranch_vccnz .LBB67_1512
.LBB67_1511:
	global_load_ubyte v13, v[8:9], off
	v_mov_b32_e32 v14, 0x3c00
	s_mov_b64 s[4:5], -1
	s_waitcnt vmcnt(0)
	v_cmp_ne_u16_e32 vcc, 0, v13
	v_cndmask_b32_e32 v13, 0, v14, vcc
.LBB67_1512:
	s_branch .LBB67_1440
.LBB67_1513:
	s_and_b32 s2, 0xffff, s19
	s_cmp_lt_i32 s2, 5
	s_cbranch_scc1 .LBB67_1518
; %bb.1514:
	s_cmp_lt_i32 s2, 8
	s_cbranch_scc1 .LBB67_1519
; %bb.1515:
	s_cmp_lt_i32 s2, 9
	s_cbranch_scc1 .LBB67_1520
; %bb.1516:
	s_cmp_gt_i32 s2, 9
	s_cbranch_scc0 .LBB67_1521
; %bb.1517:
	global_load_dwordx2 v[13:14], v[8:9], off
	s_movk_i32 s0, 0x1ff
	s_movk_i32 s1, 0xffe
	v_mov_b32_e32 v15, 0x7c00
	v_mov_b32_e32 v16, 0x7e00
	s_movk_i32 s3, 0x40f
	s_mov_b32 s4, 0x8000
	s_waitcnt vmcnt(0)
	v_and_or_b32 v13, v14, s0, v13
	v_cmp_ne_u32_e32 vcc, 0, v13
	v_lshrrev_b32_e32 v17, 8, v14
	v_bfe_u32 v18, v14, 20, 11
	v_cndmask_b32_e64 v13, 0, 1, vcc
	v_sub_u32_e32 v19, 0x3f1, v18
	v_and_or_b32 v13, v17, s1, v13
	v_add_u32_e32 v18, 0xfffffc10, v18
	v_med3_i32 v17, v19, 0, 13
	v_or_b32_e32 v19, 0x1000, v13
	v_cmp_ne_u32_e32 vcc, 0, v13
	v_lshl_or_b32 v20, v18, 12, v13
	v_cndmask_b32_e32 v13, v15, v16, vcc
	v_lshrrev_b32_e32 v16, v17, v19
	v_lshlrev_b32_e32 v17, v17, v16
	v_cmp_ne_u32_e32 vcc, v17, v19
	v_cndmask_b32_e64 v17, 0, 1, vcc
	v_or_b32_e32 v16, v16, v17
	v_cmp_gt_i32_e32 vcc, 1, v18
	v_cndmask_b32_e32 v16, v20, v16, vcc
	v_and_b32_e32 v17, 7, v16
	v_cmp_lt_i32_e32 vcc, 5, v17
	v_cndmask_b32_e64 v19, 0, 1, vcc
	v_cmp_eq_u32_e32 vcc, 3, v17
	v_cndmask_b32_e64 v17, 0, 1, vcc
	v_lshrrev_b32_e32 v16, 2, v16
	v_or_b32_e32 v17, v17, v19
	v_add_u32_e32 v16, v16, v17
	v_cmp_gt_i32_e32 vcc, 31, v18
	v_cndmask_b32_e32 v15, v15, v16, vcc
	v_cmp_eq_u32_e32 vcc, s3, v18
	v_lshrrev_b32_e32 v14, 16, v14
	v_cndmask_b32_e32 v13, v15, v13, vcc
	v_and_or_b32 v13, v14, s4, v13
	s_mov_b64 s[0:1], 0
	s_branch .LBB67_1522
.LBB67_1518:
	s_mov_b64 s[0:1], -1
                                        ; implicit-def: $vgpr13
	s_branch .LBB67_1540
.LBB67_1519:
	s_mov_b64 s[0:1], -1
                                        ; implicit-def: $vgpr13
	s_branch .LBB67_1528
.LBB67_1520:
	s_mov_b64 s[0:1], -1
                                        ; implicit-def: $vgpr13
	s_branch .LBB67_1525
.LBB67_1521:
	s_mov_b64 s[0:1], -1
                                        ; implicit-def: $vgpr13
.LBB67_1522:
	s_andn2_b64 vcc, exec, s[0:1]
	s_cbranch_vccnz .LBB67_1524
; %bb.1523:
	global_load_dword v13, v[8:9], off
	s_waitcnt vmcnt(0)
	v_cvt_f16_f32_e32 v13, v13
.LBB67_1524:
	s_mov_b64 s[0:1], 0
.LBB67_1525:
	s_andn2_b64 vcc, exec, s[0:1]
	s_cbranch_vccnz .LBB67_1527
; %bb.1526:
	global_load_dword v13, v[8:9], off
.LBB67_1527:
	s_mov_b64 s[0:1], 0
.LBB67_1528:
	s_andn2_b64 vcc, exec, s[0:1]
	s_cbranch_vccnz .LBB67_1539
; %bb.1529:
	s_cmp_lt_i32 s2, 6
	s_cbranch_scc1 .LBB67_1532
; %bb.1530:
	s_cmp_gt_i32 s2, 6
	s_cbranch_scc0 .LBB67_1533
; %bb.1531:
	global_load_dwordx2 v[13:14], v[8:9], off
	s_movk_i32 s0, 0x1ff
	s_movk_i32 s1, 0xffe
	v_mov_b32_e32 v15, 0x7c00
	v_mov_b32_e32 v16, 0x7e00
	s_movk_i32 s3, 0x40f
	s_mov_b32 s4, 0x8000
	s_waitcnt vmcnt(0)
	v_and_or_b32 v13, v14, s0, v13
	v_cmp_ne_u32_e32 vcc, 0, v13
	v_lshrrev_b32_e32 v17, 8, v14
	v_bfe_u32 v18, v14, 20, 11
	v_cndmask_b32_e64 v13, 0, 1, vcc
	v_sub_u32_e32 v19, 0x3f1, v18
	v_and_or_b32 v13, v17, s1, v13
	v_add_u32_e32 v18, 0xfffffc10, v18
	v_med3_i32 v17, v19, 0, 13
	v_or_b32_e32 v19, 0x1000, v13
	v_cmp_ne_u32_e32 vcc, 0, v13
	v_lshl_or_b32 v20, v18, 12, v13
	v_cndmask_b32_e32 v13, v15, v16, vcc
	v_lshrrev_b32_e32 v16, v17, v19
	v_lshlrev_b32_e32 v17, v17, v16
	v_cmp_ne_u32_e32 vcc, v17, v19
	v_cndmask_b32_e64 v17, 0, 1, vcc
	v_or_b32_e32 v16, v16, v17
	v_cmp_gt_i32_e32 vcc, 1, v18
	v_cndmask_b32_e32 v16, v20, v16, vcc
	v_and_b32_e32 v17, 7, v16
	v_cmp_lt_i32_e32 vcc, 5, v17
	v_cndmask_b32_e64 v19, 0, 1, vcc
	v_cmp_eq_u32_e32 vcc, 3, v17
	v_cndmask_b32_e64 v17, 0, 1, vcc
	v_lshrrev_b32_e32 v16, 2, v16
	v_or_b32_e32 v17, v17, v19
	v_add_u32_e32 v16, v16, v17
	v_cmp_gt_i32_e32 vcc, 31, v18
	v_cndmask_b32_e32 v15, v15, v16, vcc
	v_cmp_eq_u32_e32 vcc, s3, v18
	v_lshrrev_b32_e32 v14, 16, v14
	v_cndmask_b32_e32 v13, v15, v13, vcc
	v_and_or_b32 v13, v14, s4, v13
	s_mov_b64 s[0:1], 0
	s_branch .LBB67_1534
.LBB67_1532:
	s_mov_b64 s[0:1], -1
                                        ; implicit-def: $vgpr13
	s_branch .LBB67_1537
.LBB67_1533:
	s_mov_b64 s[0:1], -1
                                        ; implicit-def: $vgpr13
.LBB67_1534:
	s_andn2_b64 vcc, exec, s[0:1]
	s_cbranch_vccnz .LBB67_1536
; %bb.1535:
	global_load_dword v13, v[8:9], off
	s_waitcnt vmcnt(0)
	v_cvt_f16_f32_e32 v13, v13
.LBB67_1536:
	s_mov_b64 s[0:1], 0
.LBB67_1537:
	s_andn2_b64 vcc, exec, s[0:1]
	s_cbranch_vccnz .LBB67_1539
; %bb.1538:
	global_load_ushort v13, v[8:9], off
.LBB67_1539:
	s_mov_b64 s[0:1], 0
.LBB67_1540:
	s_andn2_b64 vcc, exec, s[0:1]
	s_cbranch_vccnz .LBB67_1560
; %bb.1541:
	s_cmp_lt_i32 s2, 2
	s_cbranch_scc1 .LBB67_1545
; %bb.1542:
	s_cmp_lt_i32 s2, 3
	s_cbranch_scc1 .LBB67_1546
; %bb.1543:
	s_cmp_gt_i32 s2, 3
	s_cbranch_scc0 .LBB67_1547
; %bb.1544:
	global_load_dwordx2 v[13:14], v[8:9], off
	s_mov_b64 s[0:1], 0
	s_waitcnt vmcnt(0)
	v_xor_b32_e32 v16, v13, v14
	v_ffbh_i32_e32 v15, v14
	v_ashrrev_i32_e32 v16, 31, v16
	v_add_u32_e32 v15, -1, v15
	v_add_u32_e32 v16, 32, v16
	v_min_u32_e32 v15, v15, v16
	v_lshlrev_b64 v[13:14], v15, v[13:14]
	v_min_u32_e32 v13, 1, v13
	v_or_b32_e32 v13, v14, v13
	v_cvt_f32_i32_e32 v13, v13
	v_sub_u32_e32 v14, 32, v15
	v_ldexp_f32 v13, v13, v14
	v_cvt_f16_f32_e32 v13, v13
	s_branch .LBB67_1548
.LBB67_1545:
	s_mov_b64 s[0:1], -1
                                        ; implicit-def: $vgpr13
	s_branch .LBB67_1554
.LBB67_1546:
	s_mov_b64 s[0:1], -1
                                        ; implicit-def: $vgpr13
	s_branch .LBB67_1551
.LBB67_1547:
	s_mov_b64 s[0:1], -1
                                        ; implicit-def: $vgpr13
.LBB67_1548:
	s_andn2_b64 vcc, exec, s[0:1]
	s_cbranch_vccnz .LBB67_1550
; %bb.1549:
	global_load_dword v13, v[8:9], off
	s_waitcnt vmcnt(0)
	v_cvt_f32_i32_e32 v13, v13
	v_cvt_f16_f32_e32 v13, v13
.LBB67_1550:
	s_mov_b64 s[0:1], 0
.LBB67_1551:
	s_andn2_b64 vcc, exec, s[0:1]
	s_cbranch_vccnz .LBB67_1553
; %bb.1552:
	global_load_ushort v13, v[8:9], off
	s_waitcnt vmcnt(0)
	v_cvt_f16_i16_e32 v13, v13
.LBB67_1553:
	s_mov_b64 s[0:1], 0
.LBB67_1554:
	s_andn2_b64 vcc, exec, s[0:1]
	s_cbranch_vccnz .LBB67_1560
; %bb.1555:
	s_cmp_gt_i32 s2, 0
	s_cbranch_scc0 .LBB67_1557
; %bb.1556:
	global_load_sbyte v13, v[8:9], off
	s_mov_b64 s[0:1], 0
	s_waitcnt vmcnt(0)
	v_cvt_f16_i16_e32 v13, v13
	s_branch .LBB67_1558
.LBB67_1557:
	s_mov_b64 s[0:1], -1
                                        ; implicit-def: $vgpr13
.LBB67_1558:
	s_andn2_b64 vcc, exec, s[0:1]
	s_cbranch_vccnz .LBB67_1560
; %bb.1559:
	global_load_ubyte v8, v[8:9], off
	s_waitcnt vmcnt(0)
	v_cvt_f16_u16_e32 v13, v8
.LBB67_1560:
.LBB67_1561:
	s_waitcnt vmcnt(0)
	v_cvt_f32_f16_e32 v9, v13
	v_cmp_gt_f16_e32 vcc, 0.5, v13
	v_mov_b32_e32 v14, 0
	v_mov_b32_e32 v13, 1.0
	s_and_saveexec_b64 s[14:15], vcc
	s_cbranch_execz .LBB67_1567
; %bb.1562:
	v_mul_f32_e32 v8, 0x40490fdb, v9
	s_brev_b32 s0, 18
	v_and_b32_e32 v13, 0x7fffffff, v8
	v_cmp_nlt_f32_e64 s[0:1], |v8|, s0
                                        ; implicit-def: $vgpr14
                                        ; implicit-def: $vgpr15
	s_and_saveexec_b64 s[2:3], s[0:1]
	s_xor_b64 s[16:17], exec, s[2:3]
	s_cbranch_execz .LBB67_1564
; %bb.1563:
	v_and_b32_e32 v14, 0x7fffff, v13
	v_or_b32_e32 v23, 0x800000, v14
	s_mov_b32 s0, 0xfe5163ab
	v_mad_u64_u32 v[14:15], s[0:1], v23, s0, 0
	v_mov_b32_e32 v16, 0
	s_mov_b32 s0, 0x3c439041
	v_mad_u64_u32 v[17:18], s[0:1], v23, s0, v[15:16]
	s_mov_b32 s0, 0xdb629599
	v_not_b32_e32 v22, 63
	v_mov_b32_e32 v15, v18
	v_mad_u64_u32 v[18:19], s[0:1], v23, s0, v[15:16]
	s_mov_b32 s0, 0xf534ddc0
	v_not_b32_e32 v25, 31
	v_mov_b32_e32 v15, v19
	v_mad_u64_u32 v[19:20], s[0:1], v23, s0, v[15:16]
	v_lshrrev_b32_e32 v15, 23, v13
	v_add_u32_e32 v24, 0xffffff88, v15
	v_mov_b32_e32 v15, v20
	s_mov_b32 s0, 0xfc2757d1
	v_mad_u64_u32 v[20:21], s[0:1], v23, s0, v[15:16]
	v_cmp_lt_u32_e32 vcc, 63, v24
	v_cndmask_b32_e32 v15, 0, v22, vcc
	v_add_u32_e32 v24, v15, v24
	v_mov_b32_e32 v15, v21
	s_mov_b32 s0, 0x4e441529
	v_mad_u64_u32 v[21:22], s[0:1], v23, s0, v[15:16]
	v_cmp_lt_u32_e64 s[0:1], 31, v24
	v_cndmask_b32_e64 v15, 0, v25, s[0:1]
	v_add_u32_e32 v24, v15, v24
	v_mov_b32_e32 v15, v22
	s_mov_b32 s2, 0xa2f9836e
	v_mad_u64_u32 v[15:16], s[2:3], v23, s2, v[15:16]
	v_cmp_lt_u32_e64 s[2:3], 31, v24
	v_cndmask_b32_e64 v22, 0, v25, s[2:3]
	v_cndmask_b32_e32 v23, v21, v19, vcc
	v_cndmask_b32_e32 v15, v15, v20, vcc
	;; [unrolled: 1-line block ×3, first 2 shown]
	v_add_u32_e32 v22, v22, v24
	v_cndmask_b32_e64 v24, v15, v23, s[0:1]
	v_cndmask_b32_e64 v15, v16, v15, s[0:1]
	v_cndmask_b32_e32 v16, v20, v18, vcc
	v_cndmask_b32_e64 v20, v23, v16, s[0:1]
	v_cndmask_b32_e64 v15, v15, v24, s[2:3]
	;; [unrolled: 1-line block ×3, first 2 shown]
	v_sub_u32_e32 v23, 32, v22
	v_alignbit_b32 v24, v15, v21, v23
	v_cmp_eq_u32_e64 s[4:5], 0, v22
	v_cndmask_b32_e64 v22, v24, v15, s[4:5]
	v_cndmask_b32_e32 v15, v19, v17, vcc
	v_cndmask_b32_e64 v16, v16, v15, s[0:1]
	v_cndmask_b32_e64 v17, v20, v16, s[2:3]
	v_alignbit_b32 v19, v21, v17, v23
	v_cndmask_b32_e32 v14, v18, v14, vcc
	v_cndmask_b32_e64 v19, v19, v21, s[4:5]
	v_bfe_u32 v24, v22, 29, 1
	v_cndmask_b32_e64 v14, v15, v14, s[0:1]
	v_alignbit_b32 v20, v22, v19, 30
	v_sub_u32_e32 v25, 0, v24
	v_cndmask_b32_e64 v14, v16, v14, s[2:3]
	v_xor_b32_e32 v20, v20, v25
	v_alignbit_b32 v15, v17, v14, v23
	v_cndmask_b32_e64 v15, v15, v17, s[4:5]
	v_ffbh_u32_e32 v17, v20
	v_alignbit_b32 v16, v19, v15, 30
	v_min_u32_e32 v17, 32, v17
	v_alignbit_b32 v14, v15, v14, 30
	v_xor_b32_e32 v16, v16, v25
	v_sub_u32_e32 v18, 31, v17
	v_xor_b32_e32 v14, v14, v25
	v_alignbit_b32 v19, v20, v16, v18
	v_alignbit_b32 v14, v16, v14, v18
	;; [unrolled: 1-line block ×3, first 2 shown]
	v_ffbh_u32_e32 v16, v15
	v_min_u32_e32 v16, 32, v16
	v_lshrrev_b32_e32 v21, 29, v22
	v_not_b32_e32 v18, v16
	v_alignbit_b32 v14, v15, v14, v18
	v_lshlrev_b32_e32 v15, 31, v21
	v_or_b32_e32 v18, 0x33000000, v15
	v_add_lshl_u32 v16, v16, v17, 23
	v_lshrrev_b32_e32 v14, 9, v14
	v_sub_u32_e32 v16, v18, v16
	v_or_b32_e32 v15, 0.5, v15
	v_lshlrev_b32_e32 v17, 23, v17
	v_or_b32_e32 v14, v16, v14
	v_lshrrev_b32_e32 v16, 9, v19
	v_sub_u32_e32 v15, v15, v17
	v_or_b32_e32 v15, v16, v15
	s_mov_b32 s0, 0x3fc90fda
	v_mul_f32_e32 v16, 0x3fc90fda, v15
	v_fma_f32 v17, v15, s0, -v16
	v_fmac_f32_e32 v17, 0x33a22168, v15
	v_fmac_f32_e32 v17, 0x3fc90fda, v14
	v_lshrrev_b32_e32 v14, 30, v22
	v_add_f32_e32 v15, v16, v17
	v_add_u32_e32 v14, v24, v14
.LBB67_1564:
	s_andn2_saveexec_b64 s[0:1], s[16:17]
	s_cbranch_execz .LBB67_1566
; %bb.1565:
	s_mov_b32 s2, 0x3f22f983
	v_mul_f32_e64 v14, |v8|, s2
	v_rndne_f32_e32 v16, v14
	s_mov_b32 s2, 0xbfc90fda
	v_cvt_i32_f32_e32 v14, v16
	v_fma_f32 v15, v16, s2, |v8|
	v_fmac_f32_e32 v15, 0xb3a22168, v16
	v_fmac_f32_e32 v15, 0xa7c234c4, v16
.LBB67_1566:
	s_or_b64 exec, exec, s[0:1]
	v_mul_f32_e32 v16, v15, v15
	v_mov_b32_e32 v17, 0x3c0881c4
	v_fmac_f32_e32 v17, 0xb94c1982, v16
	v_mov_b32_e32 v18, 0xbe2aaa9d
	v_fmac_f32_e32 v18, v16, v17
	v_mul_f32_e32 v17, v16, v18
	v_fmac_f32_e32 v15, v15, v17
	v_mov_b32_e32 v17, 0xbab64f3b
	v_fmac_f32_e32 v17, 0x37d75334, v16
	v_mov_b32_e32 v18, 0x3d2aabf7
	;; [unrolled: 2-line block ×3, first 2 shown]
	v_fmac_f32_e32 v17, v16, v18
	v_fma_f32 v16, v16, v17, 1.0
	v_and_b32_e32 v17, 1, v14
	v_lshlrev_b32_e32 v14, 30, v14
	v_cmp_eq_u32_e32 vcc, 0, v17
	v_and_b32_e32 v14, 0x80000000, v14
	v_xor_b32_e32 v13, v13, v8
	v_cndmask_b32_e32 v15, v16, v15, vcc
	v_xor_b32_e32 v13, v13, v14
	s_movk_i32 s0, 0x1f8
	v_xor_b32_e32 v13, v13, v15
	v_mov_b32_e32 v14, 0x7fc00000
	v_cmp_class_f32_e64 vcc, v8, s0
	v_cndmask_b32_e32 v8, v14, v13, vcc
	v_mul_f32_e32 v8, v8, v8
	s_mov_b32 s2, 0xc11de9e7
	v_div_scale_f32 v13, s[0:1], v8, v8, s2
	v_div_scale_f32 v14, vcc, s2, v8, s2
	v_sub_f32_e32 v9, 1.0, v9
	v_rcp_f32_e32 v15, v13
	v_fma_f32 v16, -v13, v15, 1.0
	v_fmac_f32_e32 v15, v16, v15
	v_mul_f32_e32 v16, v14, v15
	v_fma_f32 v17, -v13, v16, v14
	v_fmac_f32_e32 v16, v17, v15
	v_fma_f32 v13, -v13, v16, v14
	v_div_fmas_f32 v13, v13, v15, v16
	v_div_fixup_f32 v8, v13, v8, s2
	v_add_f32_e32 v14, 0, v8
	v_mov_b32_e32 v13, -1.0
.LBB67_1567:
	s_or_b64 exec, exec, s[14:15]
	v_mov_b32_e32 v8, s11
	v_add_co_u32_e32 v7, vcc, s10, v7
	s_cmp_lt_i32 s19, 11
	v_addc_co_u32_e32 v8, vcc, 0, v8, vcc
	s_cbranch_scc1 .LBB67_1574
; %bb.1568:
	s_and_b32 s16, 0xffff, s19
	s_cmp_gt_i32 s16, 25
	s_mov_b64 s[2:3], 0
	s_cbranch_scc0 .LBB67_1575
; %bb.1569:
	s_cmp_gt_i32 s16, 28
	s_cbranch_scc0 .LBB67_1576
; %bb.1570:
	s_cmp_gt_i32 s16, 43
	;; [unrolled: 3-line block ×3, first 2 shown]
	s_cbranch_scc0 .LBB67_1579
; %bb.1572:
	s_cmp_eq_u32 s16, 46
	s_mov_b64 s[10:11], 0
	s_cbranch_scc0 .LBB67_1580
; %bb.1573:
	global_load_dword v15, v[7:8], off
	s_mov_b64 s[0:1], 0
	s_mov_b64 s[4:5], -1
	s_waitcnt vmcnt(0)
	v_lshlrev_b32_e32 v15, 16, v15
	v_cvt_f16_f32_e32 v15, v15
	s_branch .LBB67_1581
.LBB67_1574:
	s_mov_b64 s[0:1], -1
	s_mov_b64 s[4:5], 0
                                        ; implicit-def: $vgpr15
	s_branch .LBB67_1647
.LBB67_1575:
	s_mov_b64 s[10:11], -1
	s_mov_b64 s[4:5], 0
	s_mov_b64 s[0:1], 0
                                        ; implicit-def: $vgpr15
	s_branch .LBB67_1610
.LBB67_1576:
	s_mov_b64 s[10:11], -1
	s_mov_b64 s[4:5], 0
	s_mov_b64 s[0:1], 0
                                        ; implicit-def: $vgpr15
	s_branch .LBB67_1591
.LBB67_1577:
	s_mov_b64 s[10:11], -1
	s_mov_b64 s[4:5], 0
	s_mov_b64 s[0:1], 0
                                        ; implicit-def: $vgpr15
	s_branch .LBB67_1586
.LBB67_1578:
	s_trap 2
	s_or_b64 s[12:13], s[12:13], exec
	s_cbranch_execz .LBB67_1511
	s_branch .LBB67_1512
.LBB67_1579:
	s_mov_b64 s[10:11], -1
	s_mov_b64 s[4:5], 0
	s_mov_b64 s[0:1], 0
                                        ; implicit-def: $vgpr15
	s_branch .LBB67_1581
.LBB67_1580:
	s_mov_b64 s[0:1], -1
                                        ; implicit-def: $vgpr15
	s_mov_b64 s[4:5], 0
.LBB67_1581:
	s_and_b64 vcc, exec, s[10:11]
	s_cbranch_vccz .LBB67_1585
; %bb.1582:
	s_cmp_eq_u32 s16, 44
	s_cbranch_scc0 .LBB67_1584
; %bb.1583:
	global_load_ubyte v15, v[7:8], off
	s_movk_i32 s4, 0xff
	v_mov_b32_e32 v17, 0x7e00
	s_mov_b64 s[0:1], 0
	s_waitcnt vmcnt(0)
	v_lshlrev_b32_e32 v16, 23, v15
	v_cvt_f16_f32_e32 v16, v16
	v_cmp_ne_u32_e32 vcc, s4, v15
	s_mov_b64 s[4:5], -1
	v_cndmask_b32_e32 v16, v17, v16, vcc
	v_cmp_ne_u32_e32 vcc, 0, v15
	v_cndmask_b32_e32 v15, 0, v16, vcc
	s_branch .LBB67_1585
.LBB67_1584:
	s_mov_b64 s[0:1], -1
                                        ; implicit-def: $vgpr15
.LBB67_1585:
	s_mov_b64 s[10:11], 0
.LBB67_1586:
	s_and_b64 vcc, exec, s[10:11]
	s_cbranch_vccz .LBB67_1590
; %bb.1587:
	s_cmp_eq_u32 s16, 29
	s_cbranch_scc0 .LBB67_1589
; %bb.1588:
	global_load_dwordx2 v[15:16], v[7:8], off
	s_mov_b64 s[0:1], 0
	s_mov_b64 s[4:5], -1
	s_mov_b64 s[10:11], 0
	s_waitcnt vmcnt(0)
	v_ffbh_u32_e32 v17, v16
	v_min_u32_e32 v17, 32, v17
	v_lshlrev_b64 v[15:16], v17, v[15:16]
	v_min_u32_e32 v15, 1, v15
	v_or_b32_e32 v15, v16, v15
	v_cvt_f32_u32_e32 v15, v15
	v_sub_u32_e32 v16, 32, v17
	v_ldexp_f32 v15, v15, v16
	v_cvt_f16_f32_e32 v15, v15
	s_branch .LBB67_1591
.LBB67_1589:
	s_mov_b64 s[0:1], -1
                                        ; implicit-def: $vgpr15
.LBB67_1590:
	s_mov_b64 s[10:11], 0
.LBB67_1591:
	s_and_b64 vcc, exec, s[10:11]
	s_cbranch_vccz .LBB67_1609
; %bb.1592:
	s_cmp_lt_i32 s16, 27
	s_cbranch_scc1 .LBB67_1595
; %bb.1593:
	s_cmp_gt_i32 s16, 27
	s_cbranch_scc0 .LBB67_1596
; %bb.1594:
	global_load_dword v15, v[7:8], off
	s_mov_b64 s[4:5], 0
	s_waitcnt vmcnt(0)
	v_cvt_f32_u32_e32 v15, v15
	v_cvt_f16_f32_e32 v15, v15
	s_branch .LBB67_1597
.LBB67_1595:
	s_mov_b64 s[4:5], -1
                                        ; implicit-def: $vgpr15
	s_branch .LBB67_1600
.LBB67_1596:
	s_mov_b64 s[4:5], -1
                                        ; implicit-def: $vgpr15
.LBB67_1597:
	s_andn2_b64 vcc, exec, s[4:5]
	s_cbranch_vccnz .LBB67_1599
; %bb.1598:
	global_load_ushort v15, v[7:8], off
	s_waitcnt vmcnt(0)
	v_cvt_f16_u16_e32 v15, v15
.LBB67_1599:
	s_mov_b64 s[4:5], 0
.LBB67_1600:
	s_andn2_b64 vcc, exec, s[4:5]
	s_cbranch_vccnz .LBB67_1608
; %bb.1601:
	global_load_ubyte v16, v[7:8], off
	s_movk_i32 s4, 0x7f
	s_waitcnt vmcnt(0)
	v_cmp_lt_i16_e32 vcc, s4, v16
	s_mov_b64 s[4:5], 0
	s_and_saveexec_b64 s[10:11], vcc
	s_xor_b64 s[10:11], exec, s[10:11]
	s_cbranch_execz .LBB67_1622
; %bb.1602:
	s_movk_i32 s4, 0x80
	v_cmp_eq_u16_e32 vcc, s4, v16
	s_mov_b64 s[4:5], -1
	s_and_saveexec_b64 s[14:15], vcc
; %bb.1603:
	s_xor_b64 s[4:5], exec, -1
; %bb.1604:
	s_or_b64 exec, exec, s[14:15]
	s_and_b64 s[4:5], s[4:5], exec
	s_or_saveexec_b64 s[10:11], s[10:11]
	v_mov_b32_e32 v15, 0x7e00
	s_xor_b64 exec, exec, s[10:11]
	s_cbranch_execnz .LBB67_1623
.LBB67_1605:
	s_or_b64 exec, exec, s[10:11]
	s_and_saveexec_b64 s[10:11], s[4:5]
	s_cbranch_execz .LBB67_1607
.LBB67_1606:
	v_lshlrev_b32_e32 v15, 24, v16
	v_and_b32_e32 v16, 0xffff, v16
	v_and_b32_e32 v17, 7, v16
	v_ffbh_u32_e32 v19, v17
	v_min_u32_e32 v19, 32, v19
	v_subrev_u32_e32 v20, 28, v19
	v_bfe_u32 v18, v16, 3, 4
	v_lshlrev_b32_e32 v16, v20, v16
	v_sub_u32_e32 v19, 29, v19
	v_and_b32_e32 v16, 7, v16
	v_cmp_eq_u32_e32 vcc, 0, v18
	v_cndmask_b32_e32 v18, v18, v19, vcc
	v_cndmask_b32_e32 v16, v17, v16, vcc
	v_mov_b32_e32 v17, 0x3b800000
	v_lshlrev_b32_e32 v16, 20, v16
	v_and_b32_e32 v15, 0x80000000, v15
	v_lshl_add_u32 v17, v18, 23, v17
	v_or3_b32 v15, v15, v17, v16
	v_cvt_f16_f32_e32 v15, v15
.LBB67_1607:
	s_or_b64 exec, exec, s[10:11]
.LBB67_1608:
	s_mov_b64 s[4:5], -1
.LBB67_1609:
	s_mov_b64 s[10:11], 0
.LBB67_1610:
	s_and_b64 vcc, exec, s[10:11]
	s_cbranch_vccz .LBB67_1643
; %bb.1611:
	s_cmp_gt_i32 s16, 22
	s_cbranch_scc0 .LBB67_1621
; %bb.1612:
	s_cmp_lt_i32 s16, 24
	s_cbranch_scc1 .LBB67_1624
; %bb.1613:
	s_cmp_gt_i32 s16, 24
	s_cbranch_scc0 .LBB67_1625
; %bb.1614:
	global_load_ubyte v16, v[7:8], off
	s_movk_i32 s2, 0x7f
	s_waitcnt vmcnt(0)
	v_cmp_lt_i16_e32 vcc, s2, v16
	s_mov_b64 s[2:3], 0
	s_and_saveexec_b64 s[4:5], vcc
	s_xor_b64 s[4:5], exec, s[4:5]
	s_cbranch_execz .LBB67_1637
; %bb.1615:
	s_movk_i32 s2, 0x80
	v_cmp_eq_u16_e32 vcc, s2, v16
	s_mov_b64 s[2:3], -1
	s_and_saveexec_b64 s[10:11], vcc
; %bb.1616:
	s_xor_b64 s[2:3], exec, -1
; %bb.1617:
	s_or_b64 exec, exec, s[10:11]
	s_and_b64 s[2:3], s[2:3], exec
	s_or_saveexec_b64 s[4:5], s[4:5]
	v_mov_b32_e32 v15, 0x7e00
	s_xor_b64 exec, exec, s[4:5]
	s_cbranch_execnz .LBB67_1638
.LBB67_1618:
	s_or_b64 exec, exec, s[4:5]
	s_and_saveexec_b64 s[4:5], s[2:3]
	s_cbranch_execz .LBB67_1620
.LBB67_1619:
	v_lshlrev_b32_e32 v15, 24, v16
	v_and_b32_e32 v16, 0xffff, v16
	v_and_b32_e32 v17, 3, v16
	v_ffbh_u32_e32 v19, v17
	v_min_u32_e32 v19, 32, v19
	v_subrev_u32_e32 v20, 29, v19
	v_bfe_u32 v18, v16, 2, 5
	v_lshlrev_b32_e32 v16, v20, v16
	v_sub_u32_e32 v19, 30, v19
	v_and_b32_e32 v16, 3, v16
	v_cmp_eq_u32_e32 vcc, 0, v18
	v_cndmask_b32_e32 v18, v18, v19, vcc
	v_cndmask_b32_e32 v16, v17, v16, vcc
	v_mov_b32_e32 v17, 0x37800000
	v_lshlrev_b32_e32 v16, 21, v16
	v_and_b32_e32 v15, 0x80000000, v15
	v_lshl_add_u32 v17, v18, 23, v17
	v_or3_b32 v15, v15, v17, v16
	v_cvt_f16_f32_e32 v15, v15
.LBB67_1620:
	s_or_b64 exec, exec, s[4:5]
	s_mov_b64 s[2:3], 0
	s_branch .LBB67_1626
.LBB67_1621:
	s_mov_b64 s[2:3], -1
                                        ; implicit-def: $vgpr15
	s_branch .LBB67_1632
.LBB67_1622:
	s_or_saveexec_b64 s[10:11], s[10:11]
	v_mov_b32_e32 v15, 0x7e00
	s_xor_b64 exec, exec, s[10:11]
	s_cbranch_execz .LBB67_1605
.LBB67_1623:
	v_cmp_ne_u16_e32 vcc, 0, v16
	s_andn2_b64 s[4:5], s[4:5], exec
	s_and_b64 s[14:15], vcc, exec
	s_or_b64 s[4:5], s[4:5], s[14:15]
	v_mov_b32_e32 v15, v16
	s_or_b64 exec, exec, s[10:11]
	s_and_saveexec_b64 s[10:11], s[4:5]
	s_cbranch_execnz .LBB67_1606
	s_branch .LBB67_1607
.LBB67_1624:
	s_mov_b64 s[2:3], -1
                                        ; implicit-def: $vgpr15
	s_branch .LBB67_1629
.LBB67_1625:
	s_mov_b64 s[2:3], -1
                                        ; implicit-def: $vgpr15
.LBB67_1626:
	s_and_b64 vcc, exec, s[2:3]
	s_cbranch_vccz .LBB67_1628
; %bb.1627:
	global_load_ubyte v15, v[7:8], off
	s_mov_b32 s2, 0x7f800000
	s_waitcnt vmcnt(0)
	v_lshlrev_b32_e32 v15, 24, v15
	v_and_b32_e32 v16, 0x7f000000, v15
	v_ffbh_u32_e32 v17, v16
	v_min_u32_e32 v17, 32, v17
	v_sub_u32_e64 v17, v17, 4 clamp
	v_lshlrev_b32_e32 v19, v17, v16
	v_lshlrev_b32_e32 v17, 23, v17
	v_lshrrev_b32_e32 v19, 4, v19
	v_add_u32_e32 v18, 0x1000000, v16
	v_sub_u32_e32 v17, v19, v17
	v_ashrrev_i32_e32 v18, 8, v18
	v_add_u32_e32 v17, 0x3c000000, v17
	v_and_or_b32 v17, v18, s2, v17
	v_cmp_ne_u32_e32 vcc, 0, v16
	v_cndmask_b32_e32 v16, 0, v17, vcc
	s_brev_b32 s2, 1
	v_and_or_b32 v15, v15, s2, v16
	v_cvt_f16_f32_e32 v15, v15
.LBB67_1628:
	s_mov_b64 s[2:3], 0
.LBB67_1629:
	s_andn2_b64 vcc, exec, s[2:3]
	s_cbranch_vccnz .LBB67_1631
; %bb.1630:
	global_load_ubyte v15, v[7:8], off
	s_movk_i32 s2, 0x7f00
	s_brev_b32 s3, 16
	s_waitcnt vmcnt(0)
	v_lshlrev_b16_e32 v16, 8, v15
	v_lshlrev_b32_e32 v15, 25, v15
	v_lshrrev_b32_e32 v17, 4, v15
	v_and_or_b32 v18, v16, s2, 0.5
	v_or_b32_e32 v17, 0x70000000, v17
	v_add_f32_e32 v18, -0.5, v18
	v_mul_f32_e32 v17, 0x7800000, v17
	v_cmp_gt_u32_e32 vcc, s3, v15
	v_bfe_i32 v16, v16, 0, 16
	v_cndmask_b32_e32 v15, v17, v18, vcc
	s_brev_b32 s2, 1
	v_and_or_b32 v15, v16, s2, v15
	v_cvt_f16_f32_e32 v15, v15
.LBB67_1631:
	s_mov_b64 s[2:3], 0
	s_mov_b64 s[4:5], -1
.LBB67_1632:
	s_andn2_b64 vcc, exec, s[2:3]
	s_mov_b64 s[2:3], 0
	s_cbranch_vccnz .LBB67_1643
; %bb.1633:
	s_cmp_gt_i32 s16, 14
	s_cbranch_scc0 .LBB67_1636
; %bb.1634:
	s_cmp_eq_u32 s16, 15
	s_cbranch_scc0 .LBB67_1639
; %bb.1635:
	global_load_ushort v15, v[7:8], off
	s_mov_b64 s[0:1], 0
	s_mov_b64 s[4:5], -1
	s_waitcnt vmcnt(0)
	v_lshlrev_b32_e32 v15, 16, v15
	v_cvt_f16_f32_e32 v15, v15
	s_branch .LBB67_1640
.LBB67_1636:
	s_mov_b64 s[10:11], -1
                                        ; implicit-def: $vgpr15
	s_branch .LBB67_1641
.LBB67_1637:
	s_or_saveexec_b64 s[4:5], s[4:5]
	v_mov_b32_e32 v15, 0x7e00
	s_xor_b64 exec, exec, s[4:5]
	s_cbranch_execz .LBB67_1618
.LBB67_1638:
	v_cmp_ne_u16_e32 vcc, 0, v16
	s_andn2_b64 s[2:3], s[2:3], exec
	s_and_b64 s[10:11], vcc, exec
	s_or_b64 s[2:3], s[2:3], s[10:11]
	v_mov_b32_e32 v15, v16
	s_or_b64 exec, exec, s[4:5]
	s_and_saveexec_b64 s[4:5], s[2:3]
	s_cbranch_execnz .LBB67_1619
	s_branch .LBB67_1620
.LBB67_1639:
	s_mov_b64 s[0:1], -1
                                        ; implicit-def: $vgpr15
.LBB67_1640:
	s_mov_b64 s[10:11], 0
.LBB67_1641:
	s_and_b64 vcc, exec, s[10:11]
	s_cbranch_vccz .LBB67_1643
; %bb.1642:
	s_cmp_lg_u32 s16, 11
	s_mov_b64 s[2:3], -1
	s_cselect_b64 s[0:1], -1, 0
.LBB67_1643:
	s_and_b64 vcc, exec, s[0:1]
	s_cbranch_vccnz .LBB67_2182
; %bb.1644:
	s_andn2_b64 vcc, exec, s[2:3]
	s_cbranch_vccnz .LBB67_1646
.LBB67_1645:
	global_load_ubyte v15, v[7:8], off
	v_mov_b32_e32 v16, 0x3c00
	s_mov_b64 s[4:5], -1
	s_waitcnt vmcnt(0)
	v_cmp_ne_u16_e32 vcc, 0, v15
	v_cndmask_b32_e32 v15, 0, v16, vcc
.LBB67_1646:
	s_mov_b64 s[0:1], 0
.LBB67_1647:
	s_and_b64 vcc, exec, s[0:1]
	s_cbranch_vccz .LBB67_1696
; %bb.1648:
	s_and_b32 s2, 0xffff, s19
	s_cmp_lt_i32 s2, 5
	s_cbranch_scc1 .LBB67_1653
; %bb.1649:
	s_cmp_lt_i32 s2, 8
	s_cbranch_scc1 .LBB67_1654
; %bb.1650:
	;; [unrolled: 3-line block ×3, first 2 shown]
	s_cmp_gt_i32 s2, 9
	s_cbranch_scc0 .LBB67_1656
; %bb.1652:
	global_load_dwordx2 v[15:16], v[7:8], off
	s_movk_i32 s0, 0x1ff
	s_movk_i32 s1, 0xffe
	v_mov_b32_e32 v17, 0x7c00
	v_mov_b32_e32 v18, 0x7e00
	s_movk_i32 s3, 0x40f
	s_mov_b32 s4, 0x8000
	s_waitcnt vmcnt(0)
	v_and_or_b32 v15, v16, s0, v15
	v_cmp_ne_u32_e32 vcc, 0, v15
	v_lshrrev_b32_e32 v19, 8, v16
	v_bfe_u32 v20, v16, 20, 11
	v_cndmask_b32_e64 v15, 0, 1, vcc
	v_sub_u32_e32 v21, 0x3f1, v20
	v_and_or_b32 v15, v19, s1, v15
	v_add_u32_e32 v20, 0xfffffc10, v20
	v_med3_i32 v19, v21, 0, 13
	v_or_b32_e32 v21, 0x1000, v15
	v_cmp_ne_u32_e32 vcc, 0, v15
	v_lshl_or_b32 v22, v20, 12, v15
	v_cndmask_b32_e32 v15, v17, v18, vcc
	v_lshrrev_b32_e32 v18, v19, v21
	v_lshlrev_b32_e32 v19, v19, v18
	v_cmp_ne_u32_e32 vcc, v19, v21
	v_cndmask_b32_e64 v19, 0, 1, vcc
	v_or_b32_e32 v18, v18, v19
	v_cmp_gt_i32_e32 vcc, 1, v20
	v_cndmask_b32_e32 v18, v22, v18, vcc
	v_and_b32_e32 v19, 7, v18
	v_cmp_lt_i32_e32 vcc, 5, v19
	v_cndmask_b32_e64 v21, 0, 1, vcc
	v_cmp_eq_u32_e32 vcc, 3, v19
	v_cndmask_b32_e64 v19, 0, 1, vcc
	v_lshrrev_b32_e32 v18, 2, v18
	v_or_b32_e32 v19, v19, v21
	v_add_u32_e32 v18, v18, v19
	v_cmp_gt_i32_e32 vcc, 31, v20
	v_cndmask_b32_e32 v17, v17, v18, vcc
	v_cmp_eq_u32_e32 vcc, s3, v20
	v_lshrrev_b32_e32 v16, 16, v16
	v_cndmask_b32_e32 v15, v17, v15, vcc
	v_and_or_b32 v15, v16, s4, v15
	s_mov_b64 s[0:1], 0
	s_branch .LBB67_1657
.LBB67_1653:
	s_mov_b64 s[0:1], -1
                                        ; implicit-def: $vgpr15
	s_branch .LBB67_1675
.LBB67_1654:
	s_mov_b64 s[0:1], -1
                                        ; implicit-def: $vgpr15
	s_branch .LBB67_1663
.LBB67_1655:
	s_mov_b64 s[0:1], -1
                                        ; implicit-def: $vgpr15
	s_branch .LBB67_1660
.LBB67_1656:
	s_mov_b64 s[0:1], -1
                                        ; implicit-def: $vgpr15
.LBB67_1657:
	s_andn2_b64 vcc, exec, s[0:1]
	s_cbranch_vccnz .LBB67_1659
; %bb.1658:
	global_load_dword v15, v[7:8], off
	s_waitcnt vmcnt(0)
	v_cvt_f16_f32_e32 v15, v15
.LBB67_1659:
	s_mov_b64 s[0:1], 0
.LBB67_1660:
	s_andn2_b64 vcc, exec, s[0:1]
	s_cbranch_vccnz .LBB67_1662
; %bb.1661:
	global_load_dword v15, v[7:8], off
.LBB67_1662:
	s_mov_b64 s[0:1], 0
.LBB67_1663:
	s_andn2_b64 vcc, exec, s[0:1]
	s_cbranch_vccnz .LBB67_1674
; %bb.1664:
	s_cmp_lt_i32 s2, 6
	s_cbranch_scc1 .LBB67_1667
; %bb.1665:
	s_cmp_gt_i32 s2, 6
	s_cbranch_scc0 .LBB67_1668
; %bb.1666:
	global_load_dwordx2 v[15:16], v[7:8], off
	s_movk_i32 s0, 0x1ff
	s_movk_i32 s1, 0xffe
	v_mov_b32_e32 v17, 0x7c00
	v_mov_b32_e32 v18, 0x7e00
	s_movk_i32 s3, 0x40f
	s_mov_b32 s4, 0x8000
	s_waitcnt vmcnt(0)
	v_and_or_b32 v15, v16, s0, v15
	v_cmp_ne_u32_e32 vcc, 0, v15
	v_lshrrev_b32_e32 v19, 8, v16
	v_bfe_u32 v20, v16, 20, 11
	v_cndmask_b32_e64 v15, 0, 1, vcc
	v_sub_u32_e32 v21, 0x3f1, v20
	v_and_or_b32 v15, v19, s1, v15
	v_add_u32_e32 v20, 0xfffffc10, v20
	v_med3_i32 v19, v21, 0, 13
	v_or_b32_e32 v21, 0x1000, v15
	v_cmp_ne_u32_e32 vcc, 0, v15
	v_lshl_or_b32 v22, v20, 12, v15
	v_cndmask_b32_e32 v15, v17, v18, vcc
	v_lshrrev_b32_e32 v18, v19, v21
	v_lshlrev_b32_e32 v19, v19, v18
	v_cmp_ne_u32_e32 vcc, v19, v21
	v_cndmask_b32_e64 v19, 0, 1, vcc
	v_or_b32_e32 v18, v18, v19
	v_cmp_gt_i32_e32 vcc, 1, v20
	v_cndmask_b32_e32 v18, v22, v18, vcc
	v_and_b32_e32 v19, 7, v18
	v_cmp_lt_i32_e32 vcc, 5, v19
	v_cndmask_b32_e64 v21, 0, 1, vcc
	v_cmp_eq_u32_e32 vcc, 3, v19
	v_cndmask_b32_e64 v19, 0, 1, vcc
	v_lshrrev_b32_e32 v18, 2, v18
	v_or_b32_e32 v19, v19, v21
	v_add_u32_e32 v18, v18, v19
	v_cmp_gt_i32_e32 vcc, 31, v20
	v_cndmask_b32_e32 v17, v17, v18, vcc
	v_cmp_eq_u32_e32 vcc, s3, v20
	v_lshrrev_b32_e32 v16, 16, v16
	v_cndmask_b32_e32 v15, v17, v15, vcc
	v_and_or_b32 v15, v16, s4, v15
	s_mov_b64 s[0:1], 0
	s_branch .LBB67_1669
.LBB67_1667:
	s_mov_b64 s[0:1], -1
                                        ; implicit-def: $vgpr15
	s_branch .LBB67_1672
.LBB67_1668:
	s_mov_b64 s[0:1], -1
                                        ; implicit-def: $vgpr15
.LBB67_1669:
	s_andn2_b64 vcc, exec, s[0:1]
	s_cbranch_vccnz .LBB67_1671
; %bb.1670:
	global_load_dword v15, v[7:8], off
	s_waitcnt vmcnt(0)
	v_cvt_f16_f32_e32 v15, v15
.LBB67_1671:
	s_mov_b64 s[0:1], 0
.LBB67_1672:
	s_andn2_b64 vcc, exec, s[0:1]
	s_cbranch_vccnz .LBB67_1674
; %bb.1673:
	global_load_ushort v15, v[7:8], off
.LBB67_1674:
	s_mov_b64 s[0:1], 0
.LBB67_1675:
	s_andn2_b64 vcc, exec, s[0:1]
	s_cbranch_vccnz .LBB67_1695
; %bb.1676:
	s_cmp_lt_i32 s2, 2
	s_cbranch_scc1 .LBB67_1680
; %bb.1677:
	s_cmp_lt_i32 s2, 3
	s_cbranch_scc1 .LBB67_1681
; %bb.1678:
	s_cmp_gt_i32 s2, 3
	s_cbranch_scc0 .LBB67_1682
; %bb.1679:
	global_load_dwordx2 v[15:16], v[7:8], off
	s_mov_b64 s[0:1], 0
	s_waitcnt vmcnt(0)
	v_xor_b32_e32 v18, v15, v16
	v_ffbh_i32_e32 v17, v16
	v_ashrrev_i32_e32 v18, 31, v18
	v_add_u32_e32 v17, -1, v17
	v_add_u32_e32 v18, 32, v18
	v_min_u32_e32 v17, v17, v18
	v_lshlrev_b64 v[15:16], v17, v[15:16]
	v_min_u32_e32 v15, 1, v15
	v_or_b32_e32 v15, v16, v15
	v_cvt_f32_i32_e32 v15, v15
	v_sub_u32_e32 v16, 32, v17
	v_ldexp_f32 v15, v15, v16
	v_cvt_f16_f32_e32 v15, v15
	s_branch .LBB67_1683
.LBB67_1680:
	s_mov_b64 s[0:1], -1
                                        ; implicit-def: $vgpr15
	s_branch .LBB67_1689
.LBB67_1681:
	s_mov_b64 s[0:1], -1
                                        ; implicit-def: $vgpr15
	s_branch .LBB67_1686
.LBB67_1682:
	s_mov_b64 s[0:1], -1
                                        ; implicit-def: $vgpr15
.LBB67_1683:
	s_andn2_b64 vcc, exec, s[0:1]
	s_cbranch_vccnz .LBB67_1685
; %bb.1684:
	global_load_dword v15, v[7:8], off
	s_waitcnt vmcnt(0)
	v_cvt_f32_i32_e32 v15, v15
	v_cvt_f16_f32_e32 v15, v15
.LBB67_1685:
	s_mov_b64 s[0:1], 0
.LBB67_1686:
	s_andn2_b64 vcc, exec, s[0:1]
	s_cbranch_vccnz .LBB67_1688
; %bb.1687:
	global_load_ushort v15, v[7:8], off
	s_waitcnt vmcnt(0)
	v_cvt_f16_i16_e32 v15, v15
.LBB67_1688:
	s_mov_b64 s[0:1], 0
.LBB67_1689:
	s_andn2_b64 vcc, exec, s[0:1]
	s_cbranch_vccnz .LBB67_1695
; %bb.1690:
	s_cmp_gt_i32 s2, 0
	s_cbranch_scc0 .LBB67_1692
; %bb.1691:
	global_load_sbyte v15, v[7:8], off
	s_mov_b64 s[0:1], 0
	s_waitcnt vmcnt(0)
	v_cvt_f16_i16_e32 v15, v15
	s_branch .LBB67_1693
.LBB67_1692:
	s_mov_b64 s[0:1], -1
                                        ; implicit-def: $vgpr15
.LBB67_1693:
	s_andn2_b64 vcc, exec, s[0:1]
	s_cbranch_vccnz .LBB67_1695
; %bb.1694:
	global_load_ubyte v7, v[7:8], off
	s_waitcnt vmcnt(0)
	v_cvt_f16_u16_e32 v15, v7
.LBB67_1695:
	s_mov_b64 s[4:5], -1
.LBB67_1696:
	s_andn2_b64 vcc, exec, s[4:5]
	s_cbranch_vccnz .LBB67_2136
; %bb.1697:
	s_waitcnt vmcnt(0)
	v_cvt_f32_f16_e32 v7, v15
	v_cmp_gt_f16_e32 vcc, 0.5, v15
	v_mov_b32_e32 v15, 0
	v_mov_b32_e32 v8, 1.0
	s_and_saveexec_b64 s[10:11], vcc
	s_cbranch_execz .LBB67_1703
; %bb.1698:
	v_mul_f32_e32 v8, 0x40490fdb, v7
	s_brev_b32 s0, 18
	v_and_b32_e32 v15, 0x7fffffff, v8
	v_cmp_nlt_f32_e64 s[0:1], |v8|, s0
                                        ; implicit-def: $vgpr16
                                        ; implicit-def: $vgpr17
	s_and_saveexec_b64 s[2:3], s[0:1]
	s_xor_b64 s[14:15], exec, s[2:3]
	s_cbranch_execz .LBB67_1700
; %bb.1699:
	v_and_b32_e32 v16, 0x7fffff, v15
	v_or_b32_e32 v25, 0x800000, v16
	s_mov_b32 s0, 0xfe5163ab
	v_mad_u64_u32 v[16:17], s[0:1], v25, s0, 0
	v_mov_b32_e32 v18, 0
	s_mov_b32 s0, 0x3c439041
	v_mad_u64_u32 v[19:20], s[0:1], v25, s0, v[17:18]
	s_mov_b32 s0, 0xdb629599
	v_not_b32_e32 v24, 63
	v_mov_b32_e32 v17, v20
	v_mad_u64_u32 v[20:21], s[0:1], v25, s0, v[17:18]
	s_mov_b32 s0, 0xf534ddc0
	v_not_b32_e32 v27, 31
	v_mov_b32_e32 v17, v21
	v_mad_u64_u32 v[21:22], s[0:1], v25, s0, v[17:18]
	v_lshrrev_b32_e32 v17, 23, v15
	v_add_u32_e32 v26, 0xffffff88, v17
	v_mov_b32_e32 v17, v22
	s_mov_b32 s0, 0xfc2757d1
	v_mad_u64_u32 v[22:23], s[0:1], v25, s0, v[17:18]
	v_cmp_lt_u32_e32 vcc, 63, v26
	v_cndmask_b32_e32 v17, 0, v24, vcc
	v_add_u32_e32 v26, v17, v26
	v_mov_b32_e32 v17, v23
	s_mov_b32 s0, 0x4e441529
	v_mad_u64_u32 v[23:24], s[0:1], v25, s0, v[17:18]
	v_cmp_lt_u32_e64 s[0:1], 31, v26
	v_cndmask_b32_e64 v17, 0, v27, s[0:1]
	v_add_u32_e32 v26, v17, v26
	v_mov_b32_e32 v17, v24
	s_mov_b32 s2, 0xa2f9836e
	v_mad_u64_u32 v[17:18], s[2:3], v25, s2, v[17:18]
	v_cmp_lt_u32_e64 s[2:3], 31, v26
	v_cndmask_b32_e64 v24, 0, v27, s[2:3]
	v_cndmask_b32_e32 v25, v23, v21, vcc
	v_cndmask_b32_e32 v17, v17, v22, vcc
	;; [unrolled: 1-line block ×3, first 2 shown]
	v_add_u32_e32 v24, v24, v26
	v_cndmask_b32_e64 v26, v17, v25, s[0:1]
	v_cndmask_b32_e64 v17, v18, v17, s[0:1]
	v_cndmask_b32_e32 v18, v22, v20, vcc
	v_cndmask_b32_e64 v22, v25, v18, s[0:1]
	v_cndmask_b32_e64 v17, v17, v26, s[2:3]
	;; [unrolled: 1-line block ×3, first 2 shown]
	v_sub_u32_e32 v25, 32, v24
	v_alignbit_b32 v26, v17, v23, v25
	v_cmp_eq_u32_e64 s[4:5], 0, v24
	v_cndmask_b32_e64 v24, v26, v17, s[4:5]
	v_cndmask_b32_e32 v17, v21, v19, vcc
	v_cndmask_b32_e64 v18, v18, v17, s[0:1]
	v_cndmask_b32_e64 v19, v22, v18, s[2:3]
	v_alignbit_b32 v21, v23, v19, v25
	v_cndmask_b32_e32 v16, v20, v16, vcc
	v_cndmask_b32_e64 v21, v21, v23, s[4:5]
	v_bfe_u32 v26, v24, 29, 1
	v_cndmask_b32_e64 v16, v17, v16, s[0:1]
	v_alignbit_b32 v22, v24, v21, 30
	v_sub_u32_e32 v27, 0, v26
	v_cndmask_b32_e64 v16, v18, v16, s[2:3]
	v_xor_b32_e32 v22, v22, v27
	v_alignbit_b32 v17, v19, v16, v25
	v_cndmask_b32_e64 v17, v17, v19, s[4:5]
	v_ffbh_u32_e32 v19, v22
	v_alignbit_b32 v18, v21, v17, 30
	v_min_u32_e32 v19, 32, v19
	v_alignbit_b32 v16, v17, v16, 30
	v_xor_b32_e32 v18, v18, v27
	v_sub_u32_e32 v20, 31, v19
	v_xor_b32_e32 v16, v16, v27
	v_alignbit_b32 v21, v22, v18, v20
	v_alignbit_b32 v16, v18, v16, v20
	;; [unrolled: 1-line block ×3, first 2 shown]
	v_ffbh_u32_e32 v18, v17
	v_min_u32_e32 v18, 32, v18
	v_lshrrev_b32_e32 v23, 29, v24
	v_not_b32_e32 v20, v18
	v_alignbit_b32 v16, v17, v16, v20
	v_lshlrev_b32_e32 v17, 31, v23
	v_or_b32_e32 v20, 0x33000000, v17
	v_add_lshl_u32 v18, v18, v19, 23
	v_lshrrev_b32_e32 v16, 9, v16
	v_sub_u32_e32 v18, v20, v18
	v_or_b32_e32 v17, 0.5, v17
	v_lshlrev_b32_e32 v19, 23, v19
	v_or_b32_e32 v16, v18, v16
	v_lshrrev_b32_e32 v18, 9, v21
	v_sub_u32_e32 v17, v17, v19
	v_or_b32_e32 v17, v18, v17
	s_mov_b32 s0, 0x3fc90fda
	v_mul_f32_e32 v18, 0x3fc90fda, v17
	v_fma_f32 v19, v17, s0, -v18
	v_fmac_f32_e32 v19, 0x33a22168, v17
	v_fmac_f32_e32 v19, 0x3fc90fda, v16
	v_lshrrev_b32_e32 v16, 30, v24
	v_add_f32_e32 v17, v18, v19
	v_add_u32_e32 v16, v26, v16
.LBB67_1700:
	s_andn2_saveexec_b64 s[0:1], s[14:15]
	s_cbranch_execz .LBB67_1702
; %bb.1701:
	s_mov_b32 s2, 0x3f22f983
	v_mul_f32_e64 v16, |v8|, s2
	v_rndne_f32_e32 v18, v16
	s_mov_b32 s2, 0xbfc90fda
	v_cvt_i32_f32_e32 v16, v18
	v_fma_f32 v17, v18, s2, |v8|
	v_fmac_f32_e32 v17, 0xb3a22168, v18
	v_fmac_f32_e32 v17, 0xa7c234c4, v18
.LBB67_1702:
	s_or_b64 exec, exec, s[0:1]
	v_mul_f32_e32 v18, v17, v17
	v_mov_b32_e32 v19, 0x3c0881c4
	v_fmac_f32_e32 v19, 0xb94c1982, v18
	v_mov_b32_e32 v20, 0xbe2aaa9d
	v_fmac_f32_e32 v20, v18, v19
	v_mul_f32_e32 v19, v18, v20
	v_fmac_f32_e32 v17, v17, v19
	v_mov_b32_e32 v19, 0xbab64f3b
	v_fmac_f32_e32 v19, 0x37d75334, v18
	v_mov_b32_e32 v20, 0x3d2aabf7
	;; [unrolled: 2-line block ×3, first 2 shown]
	v_fmac_f32_e32 v19, v18, v20
	v_fma_f32 v18, v18, v19, 1.0
	v_and_b32_e32 v19, 1, v16
	v_lshlrev_b32_e32 v16, 30, v16
	v_cmp_eq_u32_e32 vcc, 0, v19
	v_and_b32_e32 v16, 0x80000000, v16
	v_xor_b32_e32 v15, v15, v8
	v_cndmask_b32_e32 v17, v18, v17, vcc
	v_xor_b32_e32 v15, v15, v16
	s_movk_i32 s0, 0x1f8
	v_xor_b32_e32 v15, v15, v17
	v_mov_b32_e32 v16, 0x7fc00000
	v_cmp_class_f32_e64 vcc, v8, s0
	v_cndmask_b32_e32 v8, v16, v15, vcc
	v_mul_f32_e32 v8, v8, v8
	s_mov_b32 s2, 0xc11de9e7
	v_div_scale_f32 v15, s[0:1], v8, v8, s2
	v_div_scale_f32 v16, vcc, s2, v8, s2
	v_sub_f32_e32 v7, 1.0, v7
	v_rcp_f32_e32 v17, v15
	v_fma_f32 v18, -v15, v17, 1.0
	v_fmac_f32_e32 v17, v18, v17
	v_mul_f32_e32 v18, v16, v17
	v_fma_f32 v19, -v15, v18, v16
	v_fmac_f32_e32 v18, v19, v17
	v_fma_f32 v15, -v15, v18, v16
	v_div_fmas_f32 v15, v15, v17, v18
	v_div_fixup_f32 v8, v15, v8, s2
	v_add_f32_e32 v15, 0, v8
	v_mov_b32_e32 v8, -1.0
.LBB67_1703:
	s_or_b64 exec, exec, s[10:11]
	v_mul_f32_e32 v16, v3, v3
	v_div_scale_f32 v18, s[0:1], v16, v16, 1.0
	v_add_f32_e32 v17, 1.0, v3
	v_mul_f32_e32 v3, v17, v17
	v_div_scale_f32 v20, s[0:1], v3, v3, 1.0
	v_div_scale_f32 v19, vcc, 1.0, v16, 1.0
	v_add_f32_e32 v21, 1.0, v17
	v_div_scale_f32 v22, s[0:1], 1.0, v3, 1.0
	v_mul_f32_e32 v17, v21, v21
	v_div_scale_f32 v23, s[2:3], v17, v17, 1.0
	v_div_scale_f32 v26, s[2:3], 1.0, v17, 1.0
	v_rcp_f32_e32 v24, v18
	v_add_f32_e32 v21, 1.0, v21
	s_bfe_u32 s16, s18, 0x80008
	s_cmp_lt_i32 s16, 11
	v_rcp_f32_e32 v25, v20
	v_fma_f32 v27, -v18, v24, 1.0
	v_fmac_f32_e32 v24, v27, v24
	v_mul_f32_e32 v28, v19, v24
	v_fma_f32 v29, -v18, v28, v19
	v_fma_f32 v27, -v20, v25, 1.0
	v_fmac_f32_e32 v28, v29, v24
	v_fma_f32 v18, -v18, v28, v19
	v_fmac_f32_e32 v25, v27, v25
	v_div_fmas_f32 v18, v18, v24, v28
	v_mul_f32_e32 v24, v22, v25
	v_fma_f32 v19, -v20, v24, v22
	v_rcp_f32_e32 v27, v23
	v_fmac_f32_e32 v24, v19, v25
	v_mul_f32_e32 v19, v21, v21
	v_div_scale_f32 v28, s[4:5], v19, v19, 1.0
	v_fma_f32 v20, -v20, v24, v22
	v_fma_f32 v22, -v23, v27, 1.0
	v_fmac_f32_e32 v27, v22, v27
	s_mov_b64 vcc, s[0:1]
	v_mul_f32_e32 v22, v26, v27
	v_div_fmas_f32 v20, v20, v25, v24
	v_fma_f32 v24, -v23, v22, v26
	v_fmac_f32_e32 v22, v24, v27
	v_div_scale_f32 v24, s[0:1], 1.0, v19, 1.0
	v_add_f32_e32 v25, 1.0, v21
	v_mul_f32_e32 v21, v25, v25
	v_div_scale_f32 v29, s[4:5], v21, v21, 1.0
	v_fma_f32 v23, -v23, v22, v26
	v_rcp_f32_e32 v26, v28
	s_mov_b64 vcc, s[2:3]
	v_div_fmas_f32 v22, v23, v27, v22
	v_div_scale_f32 v27, s[2:3], 1.0, v21, 1.0
	v_fma_f32 v30, -v28, v26, 1.0
	v_add_f32_e32 v25, 1.0, v25
	v_fmac_f32_e32 v26, v30, v26
	v_mul_f32_e32 v23, v25, v25
	v_mul_f32_e32 v30, v24, v26
	v_div_scale_f32 v31, s[4:5], v23, v23, 1.0
	v_fma_f32 v32, -v28, v30, v24
	v_fmac_f32_e32 v30, v32, v26
	v_rcp_f32_e32 v32, v29
	v_fma_f32 v24, -v28, v30, v24
	s_mov_b64 vcc, s[0:1]
	v_div_fmas_f32 v24, v24, v26, v30
	v_fma_f32 v26, -v29, v32, 1.0
	v_fmac_f32_e32 v32, v26, v32
	v_div_scale_f32 v26, s[0:1], 1.0, v23, 1.0
	v_add_f32_e32 v25, 1.0, v25
	v_mul_f32_e32 v28, v25, v25
	v_div_scale_f32 v30, s[4:5], v28, v28, 1.0
	v_mul_f32_e32 v33, v27, v32
	v_fma_f32 v34, -v29, v33, v27
	v_fmac_f32_e32 v33, v34, v32
	v_rcp_f32_e32 v34, v31
	v_fma_f32 v27, -v29, v33, v27
	v_div_scale_f32 v29, s[4:5], 1.0, v28, 1.0
	s_mov_b64 vcc, s[2:3]
	v_div_fmas_f32 v27, v27, v32, v33
	v_add_f32_e32 v33, v25, v25
	v_div_scale_f32 v35, s[2:3], v33, v33, 1.0
	v_fma_f32 v32, -v31, v34, 1.0
	v_fmac_f32_e32 v34, v32, v34
	v_mul_f32_e32 v32, v26, v34
	v_fma_f32 v36, -v31, v32, v26
	v_fmac_f32_e32 v32, v36, v34
	v_div_scale_f32 v36, s[2:3], 1.0, v33, 1.0
	v_rcp_f32_e32 v37, v30
	v_fma_f32 v26, -v31, v32, v26
	s_mov_b64 vcc, s[0:1]
	v_div_fmas_f32 v26, v26, v34, v32
	v_fma_f32 v31, -v30, v37, 1.0
	v_fmac_f32_e32 v37, v31, v37
	v_mul_f32_e32 v31, v29, v37
	v_fma_f32 v32, -v30, v31, v29
	v_fmac_f32_e32 v31, v32, v37
	v_rcp_f32_e32 v32, v35
	v_fma_f32 v29, -v30, v31, v29
	s_mov_b64 vcc, s[4:5]
	v_div_fmas_f32 v29, v29, v37, v31
	v_fma_f32 v30, -v35, v32, 1.0
	v_fmac_f32_e32 v32, v30, v32
	v_mul_f32_e32 v30, v36, v32
	v_fma_f32 v31, -v35, v30, v36
	v_fmac_f32_e32 v30, v31, v32
	v_fma_f32 v31, -v35, v30, v36
	s_mov_b64 vcc, s[2:3]
	v_div_fmas_f32 v30, v31, v32, v30
	s_mov_b32 s0, 0x3e2aaaab
	v_div_fixup_f32 v16, v18, v16, 1.0
	v_add_f32_e32 v5, v5, v16
	v_div_fixup_f32 v3, v20, v3, 1.0
	v_add_f32_e32 v3, v5, v3
	;; [unrolled: 2-line block ×3, first 2 shown]
	v_div_fixup_f32 v28, v29, v28, 1.0
	v_div_fixup_f32 v5, v24, v19, 1.0
	v_add_f32_e32 v3, v3, v5
	v_div_fixup_f32 v5, v27, v21, 1.0
	v_add_f32_e32 v3, v3, v5
	;; [unrolled: 2-line block ×3, first 2 shown]
	v_div_fixup_f32 v29, v30, v33, 1.0
	v_mov_b32_e32 v30, 0x3d088889
	v_fmac_f32_e32 v30, 0xbcc30c31, v28
	v_add_f32_e32 v29, 1.0, v29
	v_fma_f32 v30, -v28, v30, s0
	v_fmac_f32_e32 v29, v28, v30
	v_div_scale_f32 v28, s[0:1], v25, v25, v29
	v_div_scale_f32 v30, vcc, v29, v25, v29
	v_rcp_f32_e32 v31, v28
	v_fma_f32 v32, -v28, v31, 1.0
	v_fmac_f32_e32 v31, v32, v31
	v_mul_f32_e32 v32, v30, v31
	v_fma_f32 v33, -v28, v32, v30
	v_fmac_f32_e32 v32, v33, v31
	v_fma_f32 v28, -v28, v32, v30
	v_div_fmas_f32 v28, v28, v31, v32
	v_div_fixup_f32 v5, v28, v25, v29
	v_add_f32_e32 v3, v3, v5
	v_fma_mixlo_f16 v1, v1, v3, 0
	v_mov_b32_e32 v3, s9
	v_add_co_u32_e32 v5, vcc, s8, v6
	v_addc_co_u32_e32 v6, vcc, 0, v3, vcc
	s_cbranch_scc1 .LBB67_1781
; %bb.1704:
	s_and_b32 s17, 0xffff, s16
	s_mov_b64 s[10:11], -1
	s_mov_b64 s[2:3], 0
	s_cmp_gt_i32 s17, 25
	s_mov_b64 s[4:5], 0
	s_mov_b64 s[0:1], 0
	s_cbranch_scc0 .LBB67_1737
; %bb.1705:
	s_cmp_gt_i32 s17, 28
	s_cbranch_scc0 .LBB67_1720
; %bb.1706:
	s_cmp_gt_i32 s17, 43
	;; [unrolled: 3-line block ×3, first 2 shown]
	s_cbranch_scc0 .LBB67_1710
; %bb.1708:
	s_mov_b64 s[0:1], -1
	s_mov_b64 s[10:11], 0
	s_cmp_eq_u32 s17, 46
	s_cbranch_scc0 .LBB67_1710
; %bb.1709:
	v_cvt_f32_f16_e32 v3, v1
	s_movk_i32 s0, 0x7fff
	v_cmp_o_f16_e32 vcc, v1, v1
	v_mov_b32_e32 v16, 0x7fc0
	v_bfe_u32 v17, v3, 16, 1
	v_add3_u32 v3, v3, v17, s0
	v_cndmask_b32_sdwa v3, v16, v3, vcc dst_sel:DWORD dst_unused:UNUSED_PAD src0_sel:DWORD src1_sel:WORD_1
	global_store_dword v[5:6], v3, off
	s_mov_b64 s[0:1], 0
	s_mov_b64 s[4:5], -1
.LBB67_1710:
	s_and_b64 vcc, exec, s[10:11]
	s_cbranch_vccz .LBB67_1715
; %bb.1711:
	s_cmp_eq_u32 s17, 44
	s_mov_b64 s[0:1], -1
	s_cbranch_scc0 .LBB67_1715
; %bb.1712:
	v_cvt_f32_f16_e32 v3, v1
	s_movk_i32 s0, 0xff
	v_mov_b32_e32 v17, 0xff
	v_bfe_u32 v16, v3, 23, 8
	v_cmp_ne_u32_e32 vcc, s0, v16
	s_and_saveexec_b64 s[4:5], vcc
; %bb.1713:
	s_mov_b32 s0, 0x3fffff
	v_lshrrev_b32_e32 v17, 23, v3
	v_and_b32_e32 v18, 0x400000, v3
	v_and_or_b32 v3, v3, s0, v16
	v_cmp_ne_u32_e32 vcc, 0, v18
	v_cmp_ne_u32_e64 s[0:1], 0, v3
	s_and_b64 s[0:1], vcc, s[0:1]
	v_cndmask_b32_e64 v3, 0, 1, s[0:1]
	v_add_u32_e32 v17, v17, v3
; %bb.1714:
	s_or_b64 exec, exec, s[4:5]
	s_mov_b64 s[0:1], 0
	s_mov_b64 s[4:5], -1
	global_store_byte v[5:6], v17, off
.LBB67_1715:
	s_mov_b64 s[10:11], 0
.LBB67_1716:
	s_and_b64 vcc, exec, s[10:11]
	s_cbranch_vccz .LBB67_1719
; %bb.1717:
	s_cmp_eq_u32 s17, 29
	s_mov_b64 s[0:1], -1
	s_cbranch_scc0 .LBB67_1719
; %bb.1718:
	v_cvt_f32_f16_e32 v3, v1
	v_mov_b32_e32 v17, 0
	s_mov_b64 s[0:1], 0
	s_mov_b64 s[4:5], -1
	v_cvt_u32_f32_e32 v16, v3
	global_store_dwordx2 v[5:6], v[16:17], off
.LBB67_1719:
	s_mov_b64 s[10:11], 0
.LBB67_1720:
	s_and_b64 vcc, exec, s[10:11]
	s_cbranch_vccz .LBB67_1736
; %bb.1721:
	s_cmp_lt_i32 s17, 27
	s_mov_b64 s[4:5], -1
	s_cbranch_scc1 .LBB67_1727
; %bb.1722:
	s_cmp_gt_i32 s17, 27
	s_cbranch_scc0 .LBB67_1724
; %bb.1723:
	v_cvt_f32_f16_e32 v3, v1
	s_mov_b64 s[4:5], 0
	v_cvt_u32_f32_e32 v3, v3
	global_store_dword v[5:6], v3, off
.LBB67_1724:
	s_andn2_b64 vcc, exec, s[4:5]
	s_cbranch_vccnz .LBB67_1726
; %bb.1725:
	v_cvt_u16_f16_e32 v3, v1
	global_store_short v[5:6], v3, off
.LBB67_1726:
	s_mov_b64 s[4:5], 0
.LBB67_1727:
	s_andn2_b64 vcc, exec, s[4:5]
	s_cbranch_vccnz .LBB67_1735
; %bb.1728:
	v_cvt_f32_f16_e32 v3, v1
	s_mov_b32 s4, 0x43800000
	v_mov_b32_e32 v17, 0x80
	v_and_b32_e32 v16, 0x7fffffff, v3
	v_cmp_gt_u32_e32 vcc, s4, v16
	s_and_saveexec_b64 s[4:5], vcc
	s_cbranch_execz .LBB67_1734
; %bb.1729:
	s_mov_b32 s10, 0x3bffffff
	v_cmp_lt_u32_e32 vcc, s10, v16
	s_mov_b64 s[10:11], 0
                                        ; implicit-def: $vgpr16
	s_and_saveexec_b64 s[14:15], vcc
	s_xor_b64 s[14:15], exec, s[14:15]
	s_cbranch_execz .LBB67_2183
; %bb.1730:
	v_bfe_u32 v16, v3, 20, 1
	s_mov_b32 s19, 0x487ffff
	v_add3_u32 v16, v3, v16, s19
	s_mov_b64 s[10:11], exec
	v_lshrrev_b32_e32 v16, 20, v16
	s_andn2_saveexec_b64 s[14:15], s[14:15]
	s_cbranch_execnz .LBB67_2184
.LBB67_1731:
	s_or_b64 exec, exec, s[14:15]
	v_mov_b32_e32 v17, 0
	s_and_saveexec_b64 s[14:15], s[10:11]
.LBB67_1732:
	v_lshrrev_b32_e32 v3, 24, v3
	s_movk_i32 s10, 0x80
	v_and_or_b32 v17, v3, s10, v16
.LBB67_1733:
	s_or_b64 exec, exec, s[14:15]
.LBB67_1734:
	s_or_b64 exec, exec, s[4:5]
	global_store_byte v[5:6], v17, off
.LBB67_1735:
	s_mov_b64 s[4:5], -1
.LBB67_1736:
	s_mov_b64 s[10:11], 0
.LBB67_1737:
	s_and_b64 vcc, exec, s[10:11]
	s_cbranch_vccz .LBB67_1777
; %bb.1738:
	s_cmp_gt_i32 s17, 22
	s_mov_b64 s[2:3], -1
	s_cbranch_scc0 .LBB67_1770
; %bb.1739:
	s_cmp_lt_i32 s17, 24
	s_cbranch_scc1 .LBB67_1759
; %bb.1740:
	s_cmp_gt_i32 s17, 24
	s_cbranch_scc0 .LBB67_1748
; %bb.1741:
	v_cvt_f32_f16_e32 v3, v1
	s_mov_b32 s2, 0x47800000
	v_mov_b32_e32 v17, 0x80
	v_and_b32_e32 v16, 0x7fffffff, v3
	v_cmp_gt_u32_e32 vcc, s2, v16
	s_and_saveexec_b64 s[2:3], vcc
	s_cbranch_execz .LBB67_1747
; %bb.1742:
	s_mov_b32 s4, 0x37ffffff
	v_cmp_lt_u32_e32 vcc, s4, v16
	s_mov_b64 s[4:5], 0
                                        ; implicit-def: $vgpr16
	s_and_saveexec_b64 s[10:11], vcc
	s_xor_b64 s[10:11], exec, s[10:11]
	s_cbranch_execz .LBB67_2186
; %bb.1743:
	v_bfe_u32 v16, v3, 21, 1
	s_mov_b32 s14, 0x88fffff
	v_add3_u32 v16, v3, v16, s14
	s_mov_b64 s[4:5], exec
	v_lshrrev_b32_e32 v16, 21, v16
	s_andn2_saveexec_b64 s[10:11], s[10:11]
	s_cbranch_execnz .LBB67_2187
.LBB67_1744:
	s_or_b64 exec, exec, s[10:11]
	v_mov_b32_e32 v17, 0
	s_and_saveexec_b64 s[10:11], s[4:5]
.LBB67_1745:
	v_lshrrev_b32_e32 v3, 24, v3
	s_movk_i32 s4, 0x80
	v_and_or_b32 v17, v3, s4, v16
.LBB67_1746:
	s_or_b64 exec, exec, s[10:11]
.LBB67_1747:
	s_or_b64 exec, exec, s[2:3]
	s_mov_b64 s[2:3], 0
	global_store_byte v[5:6], v17, off
.LBB67_1748:
	s_and_b64 vcc, exec, s[2:3]
	s_cbranch_vccz .LBB67_1758
; %bb.1749:
	v_cvt_f32_f16_e32 v3, v1
	s_mov_b32 s2, 0x43f00000
                                        ; implicit-def: $vgpr16
	v_and_b32_e32 v17, 0x7fffffff, v3
	v_cmp_gt_u32_e32 vcc, s2, v17
	s_and_saveexec_b64 s[2:3], vcc
	s_xor_b64 s[2:3], exec, s[2:3]
	s_cbranch_execz .LBB67_1755
; %bb.1750:
	s_mov_b32 s4, 0x3c7fffff
	v_cmp_lt_u32_e32 vcc, s4, v17
                                        ; implicit-def: $vgpr16
	s_and_saveexec_b64 s[4:5], vcc
	s_xor_b64 s[4:5], exec, s[4:5]
; %bb.1751:
	v_bfe_u32 v16, v3, 20, 1
	s_mov_b32 s10, 0x407ffff
	v_add3_u32 v16, v3, v16, s10
	v_lshrrev_b32_e32 v17, 20, v16
	v_and_b32_e32 v16, 0xff00000, v16
	s_mov_b32 s10, 0x7f00000
	v_mov_b32_e32 v18, 0x7e
	v_cmp_ne_u32_e32 vcc, s10, v16
	v_cndmask_b32_e32 v16, v18, v17, vcc
; %bb.1752:
	s_andn2_saveexec_b64 s[4:5], s[4:5]
; %bb.1753:
	s_mov_b32 s10, 0x46800000
	v_add_f32_e64 v16, |v3|, s10
; %bb.1754:
	s_or_b64 exec, exec, s[4:5]
                                        ; implicit-def: $vgpr17
.LBB67_1755:
	s_andn2_saveexec_b64 s[2:3], s[2:3]
; %bb.1756:
	s_mov_b32 s4, 0x7f800000
	v_mov_b32_e32 v16, 0x7e
	v_mov_b32_e32 v18, 0x7f
	v_cmp_lt_u32_e32 vcc, s4, v17
	v_cndmask_b32_e32 v16, v16, v18, vcc
; %bb.1757:
	s_or_b64 exec, exec, s[2:3]
	v_lshrrev_b32_e32 v3, 24, v3
	s_movk_i32 s2, 0x80
	v_and_or_b32 v3, v3, s2, v16
	global_store_byte v[5:6], v3, off
.LBB67_1758:
	s_mov_b64 s[2:3], 0
.LBB67_1759:
	s_andn2_b64 vcc, exec, s[2:3]
	s_cbranch_vccnz .LBB67_1769
; %bb.1760:
	v_cvt_f32_f16_e32 v3, v1
	s_mov_b32 s2, 0x47800000
                                        ; implicit-def: $vgpr16
	v_and_b32_e32 v17, 0x7fffffff, v3
	v_cmp_gt_u32_e32 vcc, s2, v17
	s_and_saveexec_b64 s[2:3], vcc
	s_xor_b64 s[2:3], exec, s[2:3]
	s_cbranch_execz .LBB67_1766
; %bb.1761:
	s_mov_b32 s4, 0x387fffff
	v_cmp_lt_u32_e32 vcc, s4, v17
                                        ; implicit-def: $vgpr16
	s_and_saveexec_b64 s[4:5], vcc
	s_xor_b64 s[4:5], exec, s[4:5]
; %bb.1762:
	v_bfe_u32 v16, v3, 21, 1
	s_mov_b32 s10, 0x80fffff
	v_add3_u32 v16, v3, v16, s10
	v_lshrrev_b32_e32 v16, 21, v16
; %bb.1763:
	s_andn2_saveexec_b64 s[4:5], s[4:5]
; %bb.1764:
	s_mov_b32 s10, 0x43000000
	v_add_f32_e64 v16, |v3|, s10
; %bb.1765:
	s_or_b64 exec, exec, s[4:5]
                                        ; implicit-def: $vgpr17
.LBB67_1766:
	s_andn2_saveexec_b64 s[2:3], s[2:3]
; %bb.1767:
	s_mov_b32 s4, 0x7f800000
	v_mov_b32_e32 v16, 0x7c
	v_mov_b32_e32 v18, 0x7f
	v_cmp_lt_u32_e32 vcc, s4, v17
	v_cndmask_b32_e32 v16, v16, v18, vcc
; %bb.1768:
	s_or_b64 exec, exec, s[2:3]
	v_lshrrev_b32_e32 v3, 24, v3
	s_movk_i32 s2, 0x80
	v_and_or_b32 v3, v3, s2, v16
	global_store_byte v[5:6], v3, off
.LBB67_1769:
	s_mov_b64 s[2:3], 0
	s_mov_b64 s[4:5], -1
.LBB67_1770:
	s_andn2_b64 vcc, exec, s[2:3]
	s_mov_b64 s[2:3], 0
	s_cbranch_vccnz .LBB67_1777
; %bb.1771:
	s_cmp_gt_i32 s17, 14
	s_mov_b64 s[10:11], -1
	s_cbranch_scc0 .LBB67_1775
; %bb.1772:
	s_cmp_eq_u32 s17, 15
	s_mov_b64 s[0:1], -1
	s_cbranch_scc0 .LBB67_1774
; %bb.1773:
	v_cvt_f32_f16_e32 v3, v1
	s_movk_i32 s0, 0x7fff
	v_cmp_o_f16_e32 vcc, v1, v1
	v_mov_b32_e32 v16, 0x7fc0
	v_bfe_u32 v17, v3, 16, 1
	v_add3_u32 v3, v3, v17, s0
	v_cndmask_b32_sdwa v3, v16, v3, vcc dst_sel:DWORD dst_unused:UNUSED_PAD src0_sel:DWORD src1_sel:WORD_1
	global_store_short v[5:6], v3, off
	s_mov_b64 s[0:1], 0
	s_mov_b64 s[4:5], -1
.LBB67_1774:
	s_mov_b64 s[10:11], 0
.LBB67_1775:
	s_and_b64 vcc, exec, s[10:11]
	s_cbranch_vccz .LBB67_1777
; %bb.1776:
	s_cmp_lg_u32 s17, 11
	s_mov_b64 s[2:3], -1
	s_cselect_b64 s[0:1], -1, 0
.LBB67_1777:
	s_and_b64 vcc, exec, s[0:1]
	s_cbranch_vccnz .LBB67_2185
; %bb.1778:
	s_andn2_b64 vcc, exec, s[2:3]
	s_cbranch_vccnz .LBB67_1780
.LBB67_1779:
	v_cmp_neq_f16_e32 vcc, 0, v1
	v_cndmask_b32_e64 v3, 0, 1, vcc
	s_mov_b64 s[4:5], -1
	global_store_byte v[5:6], v3, off
.LBB67_1780:
	s_mov_b64 s[0:1], 0
	s_branch .LBB67_1782
.LBB67_1781:
	s_mov_b64 s[0:1], -1
	s_mov_b64 s[4:5], 0
.LBB67_1782:
	s_and_b64 vcc, exec, s[0:1]
	s_cbranch_vccz .LBB67_1821
; %bb.1783:
	s_and_b32 s2, 0xffff, s16
	s_cmp_lt_i32 s2, 5
	s_mov_b64 s[0:1], -1
	s_cbranch_scc1 .LBB67_1804
; %bb.1784:
	s_cmp_lt_i32 s2, 8
	s_cbranch_scc1 .LBB67_1794
; %bb.1785:
	s_cmp_lt_i32 s2, 9
	s_cbranch_scc1 .LBB67_1791
; %bb.1786:
	s_cmp_gt_i32 s2, 9
	s_cbranch_scc0 .LBB67_1788
; %bb.1787:
	v_cvt_f32_f16_e32 v3, v1
	v_mov_b32_e32 v18, 0
	v_mov_b32_e32 v19, v18
	s_mov_b64 s[0:1], 0
	v_cvt_f64_f32_e32 v[16:17], v3
	global_store_dwordx4 v[5:6], v[16:19], off
.LBB67_1788:
	s_andn2_b64 vcc, exec, s[0:1]
	s_cbranch_vccnz .LBB67_1790
; %bb.1789:
	v_cvt_f32_f16_e32 v16, v1
	v_mov_b32_e32 v17, 0
	global_store_dwordx2 v[5:6], v[16:17], off
.LBB67_1790:
	s_mov_b64 s[0:1], 0
.LBB67_1791:
	s_andn2_b64 vcc, exec, s[0:1]
	s_cbranch_vccnz .LBB67_1793
; %bb.1792:
	v_and_b32_e32 v3, 0xffff, v1
	global_store_dword v[5:6], v3, off
.LBB67_1793:
	s_mov_b64 s[0:1], 0
.LBB67_1794:
	s_andn2_b64 vcc, exec, s[0:1]
	s_cbranch_vccnz .LBB67_1803
; %bb.1795:
	s_cmp_lt_i32 s2, 6
	s_mov_b64 s[0:1], -1
	s_cbranch_scc1 .LBB67_1801
; %bb.1796:
	s_cmp_gt_i32 s2, 6
	s_cbranch_scc0 .LBB67_1798
; %bb.1797:
	v_cvt_f32_f16_e32 v3, v1
	s_mov_b64 s[0:1], 0
	v_cvt_f64_f32_e32 v[16:17], v3
	global_store_dwordx2 v[5:6], v[16:17], off
.LBB67_1798:
	s_andn2_b64 vcc, exec, s[0:1]
	s_cbranch_vccnz .LBB67_1800
; %bb.1799:
	v_cvt_f32_f16_e32 v3, v1
	global_store_dword v[5:6], v3, off
.LBB67_1800:
	s_mov_b64 s[0:1], 0
.LBB67_1801:
	s_andn2_b64 vcc, exec, s[0:1]
	s_cbranch_vccnz .LBB67_1803
; %bb.1802:
	global_store_short v[5:6], v1, off
.LBB67_1803:
	s_mov_b64 s[0:1], 0
.LBB67_1804:
	s_andn2_b64 vcc, exec, s[0:1]
	s_cbranch_vccnz .LBB67_1820
; %bb.1805:
	s_cmp_lt_i32 s2, 2
	s_mov_b64 s[0:1], -1
	s_cbranch_scc1 .LBB67_1815
; %bb.1806:
	s_cmp_lt_i32 s2, 3
	s_cbranch_scc1 .LBB67_1812
; %bb.1807:
	s_cmp_gt_i32 s2, 3
	s_cbranch_scc0 .LBB67_1809
; %bb.1808:
	v_cvt_f32_f16_e32 v3, v1
	s_mov_b64 s[0:1], 0
	v_cvt_i32_f32_e32 v16, v3
	v_ashrrev_i32_e32 v17, 31, v16
	global_store_dwordx2 v[5:6], v[16:17], off
.LBB67_1809:
	s_andn2_b64 vcc, exec, s[0:1]
	s_cbranch_vccnz .LBB67_1811
; %bb.1810:
	v_cvt_f32_f16_e32 v3, v1
	v_cvt_i32_f32_e32 v3, v3
	global_store_dword v[5:6], v3, off
.LBB67_1811:
	s_mov_b64 s[0:1], 0
.LBB67_1812:
	s_andn2_b64 vcc, exec, s[0:1]
	s_cbranch_vccnz .LBB67_1814
; %bb.1813:
	v_cvt_i16_f16_e32 v3, v1
	global_store_short v[5:6], v3, off
.LBB67_1814:
	s_mov_b64 s[0:1], 0
.LBB67_1815:
	s_andn2_b64 vcc, exec, s[0:1]
	s_cbranch_vccnz .LBB67_1820
; %bb.1816:
	s_cmp_gt_i32 s2, 0
	s_mov_b64 s[0:1], -1
	s_cbranch_scc0 .LBB67_1818
; %bb.1817:
	v_cvt_i16_f16_e32 v3, v1
	global_store_byte v[5:6], v3, off
	s_mov_b64 s[0:1], 0
.LBB67_1818:
	s_andn2_b64 vcc, exec, s[0:1]
	s_cbranch_vccnz .LBB67_1820
; %bb.1819:
	v_cvt_f32_f16_e32 v1, v1
	v_cvt_i32_f32_e32 v1, v1
	global_store_byte v[5:6], v1, off
.LBB67_1820:
	s_mov_b64 s[4:5], -1
.LBB67_1821:
	s_andn2_b64 vcc, exec, s[4:5]
	s_cbranch_vccnz .LBB67_2136
; %bb.1822:
	v_mul_f32_e32 v1, v10, v10
	v_div_scale_f32 v6, s[0:1], v1, v1, 1.0
	v_add_f32_e32 v5, 1.0, v10
	v_mul_f32_e32 v3, v5, v5
	v_div_scale_f32 v16, s[0:1], v3, v3, 1.0
	v_div_scale_f32 v10, vcc, 1.0, v1, 1.0
	v_add_f32_e32 v17, 1.0, v5
	v_div_scale_f32 v18, s[0:1], 1.0, v3, 1.0
	v_mul_f32_e32 v5, v17, v17
	v_div_scale_f32 v19, s[2:3], v5, v5, 1.0
	v_div_scale_f32 v22, s[2:3], 1.0, v5, 1.0
	v_rcp_f32_e32 v20, v6
	v_add_f32_e32 v17, 1.0, v17
	v_rcp_f32_e32 v21, v16
	v_fma_f32 v23, -v6, v20, 1.0
	v_fmac_f32_e32 v20, v23, v20
	v_mul_f32_e32 v24, v10, v20
	v_fma_f32 v25, -v6, v24, v10
	v_fma_f32 v23, -v16, v21, 1.0
	v_fmac_f32_e32 v24, v25, v20
	v_fma_f32 v6, -v6, v24, v10
	v_fmac_f32_e32 v21, v23, v21
	v_div_fmas_f32 v6, v6, v20, v24
	v_mul_f32_e32 v20, v18, v21
	v_fma_f32 v10, -v16, v20, v18
	v_rcp_f32_e32 v23, v19
	v_fmac_f32_e32 v20, v10, v21
	v_mul_f32_e32 v10, v17, v17
	v_div_scale_f32 v24, s[4:5], v10, v10, 1.0
	v_fma_f32 v16, -v16, v20, v18
	v_fma_f32 v18, -v19, v23, 1.0
	v_fmac_f32_e32 v23, v18, v23
	s_mov_b64 vcc, s[0:1]
	v_mul_f32_e32 v18, v22, v23
	v_div_fmas_f32 v16, v16, v21, v20
	v_fma_f32 v20, -v19, v18, v22
	v_fmac_f32_e32 v18, v20, v23
	v_div_scale_f32 v20, s[0:1], 1.0, v10, 1.0
	v_add_f32_e32 v21, 1.0, v17
	v_mul_f32_e32 v17, v21, v21
	v_div_scale_f32 v25, s[4:5], v17, v17, 1.0
	v_fma_f32 v19, -v19, v18, v22
	s_mov_b64 vcc, s[2:3]
	v_div_fmas_f32 v18, v19, v23, v18
	v_div_scale_f32 v19, s[2:3], 1.0, v17, 1.0
	v_rcp_f32_e32 v22, v24
	v_add_f32_e32 v21, 1.0, v21
	v_mul_f32_e32 v26, v21, v21
	v_div_scale_f32 v27, s[4:5], v26, v26, 1.0
	v_fma_f32 v23, -v24, v22, 1.0
	v_fmac_f32_e32 v22, v23, v22
	v_mul_f32_e32 v23, v20, v22
	v_fma_f32 v28, -v24, v23, v20
	v_fmac_f32_e32 v23, v28, v22
	v_rcp_f32_e32 v28, v25
	v_fma_f32 v20, -v24, v23, v20
	s_mov_b64 vcc, s[0:1]
	v_div_fmas_f32 v20, v20, v22, v23
	v_fma_f32 v22, -v25, v28, 1.0
	v_fmac_f32_e32 v28, v22, v28
	v_mul_f32_e32 v22, v19, v28
	v_fma_f32 v23, -v25, v22, v19
	v_fmac_f32_e32 v22, v23, v28
	v_div_scale_f32 v23, s[0:1], 1.0, v26, 1.0
	v_add_f32_e32 v21, 1.0, v21
	v_mul_f32_e32 v29, v21, v21
	v_div_scale_f32 v30, s[4:5], v29, v29, 1.0
	v_rcp_f32_e32 v24, v27
	v_fma_f32 v19, -v25, v22, v19
	s_mov_b64 vcc, s[2:3]
	v_div_scale_f32 v25, s[2:3], 1.0, v29, 1.0
	v_div_fmas_f32 v19, v19, v28, v22
	v_add_f32_e32 v28, v21, v21
	v_div_scale_f32 v31, s[4:5], v28, v28, 1.0
	v_fma_f32 v22, -v27, v24, 1.0
	v_fmac_f32_e32 v24, v22, v24
	v_mul_f32_e32 v22, v23, v24
	v_fma_f32 v32, -v27, v22, v23
	v_fmac_f32_e32 v22, v32, v24
	v_div_scale_f32 v32, s[4:5], 1.0, v28, 1.0
	v_rcp_f32_e32 v33, v30
	v_fma_f32 v23, -v27, v22, v23
	s_mov_b64 vcc, s[0:1]
	v_div_fmas_f32 v22, v23, v24, v22
	v_fma_f32 v23, -v30, v33, 1.0
	v_fmac_f32_e32 v33, v23, v33
	v_mul_f32_e32 v23, v25, v33
	v_fma_f32 v24, -v30, v23, v25
	v_fmac_f32_e32 v23, v24, v33
	v_rcp_f32_e32 v24, v31
	v_fma_f32 v25, -v30, v23, v25
	s_mov_b64 vcc, s[2:3]
	v_div_fmas_f32 v23, v25, v33, v23
	v_fma_f32 v25, -v31, v24, 1.0
	v_fmac_f32_e32 v24, v25, v24
	v_mul_f32_e32 v25, v32, v24
	v_fma_f32 v27, -v31, v25, v32
	v_fmac_f32_e32 v25, v27, v24
	v_fma_f32 v27, -v31, v25, v32
	s_mov_b64 vcc, s[4:5]
	v_div_fmas_f32 v24, v27, v24, v25
	v_mov_b32_e32 v25, 0x3d088889
	s_mov_b32 s0, 0x3e2aaaab
	v_div_fixup_f32 v1, v6, v1, 1.0
	v_add_f32_e32 v1, v12, v1
	v_div_fixup_f32 v3, v16, v3, 1.0
	v_add_f32_e32 v1, v1, v3
	v_div_fixup_f32 v3, v18, v5, 1.0
	v_div_fixup_f32 v23, v23, v29, 1.0
	v_fmac_f32_e32 v25, 0xbcc30c31, v23
	v_fma_f32 v25, -v23, v25, s0
	v_add_f32_e32 v1, v1, v3
	v_div_fixup_f32 v3, v20, v10, 1.0
	v_add_f32_e32 v1, v1, v3
	v_div_fixup_f32 v3, v19, v17, 1.0
	;; [unrolled: 2-line block ×3, first 2 shown]
	v_add_f32_e32 v24, 1.0, v24
	v_fmac_f32_e32 v24, v23, v25
	v_div_scale_f32 v23, s[0:1], v21, v21, v24
	v_div_scale_f32 v25, vcc, v24, v21, v24
	v_div_fixup_f32 v3, v22, v26, 1.0
	s_lshr_b32 s0, s18, 8
	v_add_f32_e32 v1, v1, v3
	s_and_b32 s16, s0, 0xff
	v_mov_b32_e32 v5, s9
	s_cmp_lt_i32 s16, 11
	v_rcp_f32_e32 v27, v23
	v_fma_f32 v28, -v23, v27, 1.0
	v_fmac_f32_e32 v27, v28, v27
	v_mul_f32_e32 v28, v25, v27
	v_fma_f32 v29, -v23, v28, v25
	v_fmac_f32_e32 v28, v29, v27
	v_fma_f32 v23, -v23, v28, v25
	v_div_fmas_f32 v23, v23, v27, v28
	v_div_fixup_f32 v3, v23, v21, v24
	v_add_f32_e32 v1, v1, v3
	v_add_co_u32_e32 v3, vcc, s8, v4
	v_fma_mixlo_f16 v1, v11, v1, 0
	v_addc_co_u32_e32 v4, vcc, 0, v5, vcc
	s_cbranch_scc1 .LBB67_1900
; %bb.1823:
	s_and_b32 s17, 0xffff, s16
	s_mov_b64 s[10:11], -1
	s_mov_b64 s[2:3], 0
	s_cmp_gt_i32 s17, 25
	s_mov_b64 s[4:5], 0
	s_mov_b64 s[0:1], 0
	s_cbranch_scc0 .LBB67_1856
; %bb.1824:
	s_cmp_gt_i32 s17, 28
	s_cbranch_scc0 .LBB67_1839
; %bb.1825:
	s_cmp_gt_i32 s17, 43
	;; [unrolled: 3-line block ×3, first 2 shown]
	s_cbranch_scc0 .LBB67_1829
; %bb.1827:
	s_mov_b64 s[0:1], -1
	s_mov_b64 s[10:11], 0
	s_cmp_eq_u32 s17, 46
	s_cbranch_scc0 .LBB67_1829
; %bb.1828:
	v_cvt_f32_f16_e32 v5, v1
	s_movk_i32 s0, 0x7fff
	v_cmp_o_f16_e32 vcc, v1, v1
	v_mov_b32_e32 v6, 0x7fc0
	v_bfe_u32 v10, v5, 16, 1
	v_add3_u32 v5, v5, v10, s0
	v_cndmask_b32_sdwa v5, v6, v5, vcc dst_sel:DWORD dst_unused:UNUSED_PAD src0_sel:DWORD src1_sel:WORD_1
	global_store_dword v[3:4], v5, off
	s_mov_b64 s[0:1], 0
	s_mov_b64 s[4:5], -1
.LBB67_1829:
	s_and_b64 vcc, exec, s[10:11]
	s_cbranch_vccz .LBB67_1834
; %bb.1830:
	s_cmp_eq_u32 s17, 44
	s_mov_b64 s[0:1], -1
	s_cbranch_scc0 .LBB67_1834
; %bb.1831:
	v_cvt_f32_f16_e32 v5, v1
	s_movk_i32 s0, 0xff
	v_mov_b32_e32 v10, 0xff
	v_bfe_u32 v6, v5, 23, 8
	v_cmp_ne_u32_e32 vcc, s0, v6
	s_and_saveexec_b64 s[4:5], vcc
; %bb.1832:
	s_mov_b32 s0, 0x3fffff
	v_lshrrev_b32_e32 v10, 23, v5
	v_and_b32_e32 v11, 0x400000, v5
	v_and_or_b32 v5, v5, s0, v6
	v_cmp_ne_u32_e32 vcc, 0, v11
	v_cmp_ne_u32_e64 s[0:1], 0, v5
	s_and_b64 s[0:1], vcc, s[0:1]
	v_cndmask_b32_e64 v5, 0, 1, s[0:1]
	v_add_u32_e32 v10, v10, v5
; %bb.1833:
	s_or_b64 exec, exec, s[4:5]
	s_mov_b64 s[0:1], 0
	s_mov_b64 s[4:5], -1
	global_store_byte v[3:4], v10, off
.LBB67_1834:
	s_mov_b64 s[10:11], 0
.LBB67_1835:
	s_and_b64 vcc, exec, s[10:11]
	s_cbranch_vccz .LBB67_1838
; %bb.1836:
	s_cmp_eq_u32 s17, 29
	s_mov_b64 s[0:1], -1
	s_cbranch_scc0 .LBB67_1838
; %bb.1837:
	v_cvt_f32_f16_e32 v5, v1
	v_mov_b32_e32 v6, 0
	s_mov_b64 s[0:1], 0
	s_mov_b64 s[4:5], -1
	v_cvt_u32_f32_e32 v5, v5
	global_store_dwordx2 v[3:4], v[5:6], off
.LBB67_1838:
	s_mov_b64 s[10:11], 0
.LBB67_1839:
	s_and_b64 vcc, exec, s[10:11]
	s_cbranch_vccz .LBB67_1855
; %bb.1840:
	s_cmp_lt_i32 s17, 27
	s_mov_b64 s[4:5], -1
	s_cbranch_scc1 .LBB67_1846
; %bb.1841:
	s_cmp_gt_i32 s17, 27
	s_cbranch_scc0 .LBB67_1843
; %bb.1842:
	v_cvt_f32_f16_e32 v5, v1
	s_mov_b64 s[4:5], 0
	v_cvt_u32_f32_e32 v5, v5
	global_store_dword v[3:4], v5, off
.LBB67_1843:
	s_andn2_b64 vcc, exec, s[4:5]
	s_cbranch_vccnz .LBB67_1845
; %bb.1844:
	v_cvt_u16_f16_e32 v5, v1
	global_store_short v[3:4], v5, off
.LBB67_1845:
	s_mov_b64 s[4:5], 0
.LBB67_1846:
	s_andn2_b64 vcc, exec, s[4:5]
	s_cbranch_vccnz .LBB67_1854
; %bb.1847:
	v_cvt_f32_f16_e32 v5, v1
	s_mov_b32 s4, 0x43800000
	v_mov_b32_e32 v10, 0x80
	v_and_b32_e32 v6, 0x7fffffff, v5
	v_cmp_gt_u32_e32 vcc, s4, v6
	s_and_saveexec_b64 s[4:5], vcc
	s_cbranch_execz .LBB67_1853
; %bb.1848:
	s_mov_b32 s10, 0x3bffffff
	v_cmp_lt_u32_e32 vcc, s10, v6
	s_mov_b64 s[10:11], 0
                                        ; implicit-def: $vgpr6
	s_and_saveexec_b64 s[14:15], vcc
	s_xor_b64 s[14:15], exec, s[14:15]
	s_cbranch_execz .LBB67_2188
; %bb.1849:
	v_bfe_u32 v6, v5, 20, 1
	s_mov_b32 s18, 0x487ffff
	v_add3_u32 v6, v5, v6, s18
	s_mov_b64 s[10:11], exec
	v_lshrrev_b32_e32 v6, 20, v6
	s_andn2_saveexec_b64 s[14:15], s[14:15]
	s_cbranch_execnz .LBB67_2189
.LBB67_1850:
	s_or_b64 exec, exec, s[14:15]
	v_mov_b32_e32 v10, 0
	s_and_saveexec_b64 s[14:15], s[10:11]
.LBB67_1851:
	v_lshrrev_b32_e32 v5, 24, v5
	s_movk_i32 s10, 0x80
	v_and_or_b32 v10, v5, s10, v6
.LBB67_1852:
	s_or_b64 exec, exec, s[14:15]
.LBB67_1853:
	s_or_b64 exec, exec, s[4:5]
	global_store_byte v[3:4], v10, off
.LBB67_1854:
	s_mov_b64 s[4:5], -1
.LBB67_1855:
	s_mov_b64 s[10:11], 0
.LBB67_1856:
	s_and_b64 vcc, exec, s[10:11]
	s_cbranch_vccz .LBB67_1896
; %bb.1857:
	s_cmp_gt_i32 s17, 22
	s_mov_b64 s[2:3], -1
	s_cbranch_scc0 .LBB67_1889
; %bb.1858:
	s_cmp_lt_i32 s17, 24
	s_cbranch_scc1 .LBB67_1878
; %bb.1859:
	s_cmp_gt_i32 s17, 24
	s_cbranch_scc0 .LBB67_1867
; %bb.1860:
	v_cvt_f32_f16_e32 v5, v1
	s_mov_b32 s2, 0x47800000
	v_mov_b32_e32 v10, 0x80
	v_and_b32_e32 v6, 0x7fffffff, v5
	v_cmp_gt_u32_e32 vcc, s2, v6
	s_and_saveexec_b64 s[2:3], vcc
	s_cbranch_execz .LBB67_1866
; %bb.1861:
	s_mov_b32 s4, 0x37ffffff
	v_cmp_lt_u32_e32 vcc, s4, v6
	s_mov_b64 s[4:5], 0
                                        ; implicit-def: $vgpr6
	s_and_saveexec_b64 s[10:11], vcc
	s_xor_b64 s[10:11], exec, s[10:11]
	s_cbranch_execz .LBB67_2191
; %bb.1862:
	v_bfe_u32 v6, v5, 21, 1
	s_mov_b32 s14, 0x88fffff
	v_add3_u32 v6, v5, v6, s14
	s_mov_b64 s[4:5], exec
	v_lshrrev_b32_e32 v6, 21, v6
	s_andn2_saveexec_b64 s[10:11], s[10:11]
	s_cbranch_execnz .LBB67_2192
.LBB67_1863:
	s_or_b64 exec, exec, s[10:11]
	v_mov_b32_e32 v10, 0
	s_and_saveexec_b64 s[10:11], s[4:5]
.LBB67_1864:
	v_lshrrev_b32_e32 v5, 24, v5
	s_movk_i32 s4, 0x80
	v_and_or_b32 v10, v5, s4, v6
.LBB67_1865:
	s_or_b64 exec, exec, s[10:11]
.LBB67_1866:
	s_or_b64 exec, exec, s[2:3]
	s_mov_b64 s[2:3], 0
	global_store_byte v[3:4], v10, off
.LBB67_1867:
	s_and_b64 vcc, exec, s[2:3]
	s_cbranch_vccz .LBB67_1877
; %bb.1868:
	v_cvt_f32_f16_e32 v5, v1
	s_mov_b32 s2, 0x43f00000
                                        ; implicit-def: $vgpr6
	v_and_b32_e32 v10, 0x7fffffff, v5
	v_cmp_gt_u32_e32 vcc, s2, v10
	s_and_saveexec_b64 s[2:3], vcc
	s_xor_b64 s[2:3], exec, s[2:3]
	s_cbranch_execz .LBB67_1874
; %bb.1869:
	s_mov_b32 s4, 0x3c7fffff
	v_cmp_lt_u32_e32 vcc, s4, v10
                                        ; implicit-def: $vgpr6
	s_and_saveexec_b64 s[4:5], vcc
	s_xor_b64 s[4:5], exec, s[4:5]
; %bb.1870:
	v_bfe_u32 v6, v5, 20, 1
	s_mov_b32 s10, 0x407ffff
	v_add3_u32 v6, v5, v6, s10
	v_lshrrev_b32_e32 v10, 20, v6
	v_and_b32_e32 v6, 0xff00000, v6
	s_mov_b32 s10, 0x7f00000
	v_mov_b32_e32 v11, 0x7e
	v_cmp_ne_u32_e32 vcc, s10, v6
	v_cndmask_b32_e32 v6, v11, v10, vcc
; %bb.1871:
	s_andn2_saveexec_b64 s[4:5], s[4:5]
; %bb.1872:
	s_mov_b32 s10, 0x46800000
	v_add_f32_e64 v6, |v5|, s10
; %bb.1873:
	s_or_b64 exec, exec, s[4:5]
                                        ; implicit-def: $vgpr10
.LBB67_1874:
	s_andn2_saveexec_b64 s[2:3], s[2:3]
; %bb.1875:
	s_mov_b32 s4, 0x7f800000
	v_mov_b32_e32 v6, 0x7e
	v_mov_b32_e32 v11, 0x7f
	v_cmp_lt_u32_e32 vcc, s4, v10
	v_cndmask_b32_e32 v6, v6, v11, vcc
; %bb.1876:
	s_or_b64 exec, exec, s[2:3]
	v_lshrrev_b32_e32 v5, 24, v5
	s_movk_i32 s2, 0x80
	v_and_or_b32 v5, v5, s2, v6
	global_store_byte v[3:4], v5, off
.LBB67_1877:
	s_mov_b64 s[2:3], 0
.LBB67_1878:
	s_andn2_b64 vcc, exec, s[2:3]
	s_cbranch_vccnz .LBB67_1888
; %bb.1879:
	v_cvt_f32_f16_e32 v5, v1
	s_mov_b32 s2, 0x47800000
                                        ; implicit-def: $vgpr6
	v_and_b32_e32 v10, 0x7fffffff, v5
	v_cmp_gt_u32_e32 vcc, s2, v10
	s_and_saveexec_b64 s[2:3], vcc
	s_xor_b64 s[2:3], exec, s[2:3]
	s_cbranch_execz .LBB67_1885
; %bb.1880:
	s_mov_b32 s4, 0x387fffff
	v_cmp_lt_u32_e32 vcc, s4, v10
                                        ; implicit-def: $vgpr6
	s_and_saveexec_b64 s[4:5], vcc
	s_xor_b64 s[4:5], exec, s[4:5]
; %bb.1881:
	v_bfe_u32 v6, v5, 21, 1
	s_mov_b32 s10, 0x80fffff
	v_add3_u32 v6, v5, v6, s10
	v_lshrrev_b32_e32 v6, 21, v6
; %bb.1882:
	s_andn2_saveexec_b64 s[4:5], s[4:5]
; %bb.1883:
	s_mov_b32 s10, 0x43000000
	v_add_f32_e64 v6, |v5|, s10
; %bb.1884:
	s_or_b64 exec, exec, s[4:5]
                                        ; implicit-def: $vgpr10
.LBB67_1885:
	s_andn2_saveexec_b64 s[2:3], s[2:3]
; %bb.1886:
	s_mov_b32 s4, 0x7f800000
	v_mov_b32_e32 v6, 0x7c
	v_mov_b32_e32 v11, 0x7f
	v_cmp_lt_u32_e32 vcc, s4, v10
	v_cndmask_b32_e32 v6, v6, v11, vcc
; %bb.1887:
	s_or_b64 exec, exec, s[2:3]
	v_lshrrev_b32_e32 v5, 24, v5
	s_movk_i32 s2, 0x80
	v_and_or_b32 v5, v5, s2, v6
	global_store_byte v[3:4], v5, off
.LBB67_1888:
	s_mov_b64 s[2:3], 0
	s_mov_b64 s[4:5], -1
.LBB67_1889:
	s_andn2_b64 vcc, exec, s[2:3]
	s_mov_b64 s[2:3], 0
	s_cbranch_vccnz .LBB67_1896
; %bb.1890:
	s_cmp_gt_i32 s17, 14
	s_mov_b64 s[10:11], -1
	s_cbranch_scc0 .LBB67_1894
; %bb.1891:
	s_cmp_eq_u32 s17, 15
	s_mov_b64 s[0:1], -1
	s_cbranch_scc0 .LBB67_1893
; %bb.1892:
	v_cvt_f32_f16_e32 v5, v1
	s_movk_i32 s0, 0x7fff
	v_cmp_o_f16_e32 vcc, v1, v1
	v_mov_b32_e32 v6, 0x7fc0
	v_bfe_u32 v10, v5, 16, 1
	v_add3_u32 v5, v5, v10, s0
	v_cndmask_b32_sdwa v5, v6, v5, vcc dst_sel:DWORD dst_unused:UNUSED_PAD src0_sel:DWORD src1_sel:WORD_1
	global_store_short v[3:4], v5, off
	s_mov_b64 s[0:1], 0
	s_mov_b64 s[4:5], -1
.LBB67_1893:
	s_mov_b64 s[10:11], 0
.LBB67_1894:
	s_and_b64 vcc, exec, s[10:11]
	s_cbranch_vccz .LBB67_1896
; %bb.1895:
	s_cmp_lg_u32 s17, 11
	s_mov_b64 s[2:3], -1
	s_cselect_b64 s[0:1], -1, 0
.LBB67_1896:
	s_and_b64 vcc, exec, s[0:1]
	s_cbranch_vccnz .LBB67_2190
; %bb.1897:
	s_andn2_b64 vcc, exec, s[2:3]
	s_cbranch_vccnz .LBB67_1899
.LBB67_1898:
	v_cmp_neq_f16_e32 vcc, 0, v1
	v_cndmask_b32_e64 v5, 0, 1, vcc
	s_mov_b64 s[4:5], -1
	global_store_byte v[3:4], v5, off
.LBB67_1899:
	s_mov_b64 s[0:1], 0
	s_branch .LBB67_1901
.LBB67_1900:
	s_mov_b64 s[0:1], -1
	s_mov_b64 s[4:5], 0
.LBB67_1901:
	s_and_b64 vcc, exec, s[0:1]
	s_cbranch_vccz .LBB67_1940
; %bb.1902:
	s_and_b32 s2, 0xffff, s16
	s_cmp_lt_i32 s2, 5
	s_mov_b64 s[0:1], -1
	s_cbranch_scc1 .LBB67_1923
; %bb.1903:
	s_cmp_lt_i32 s2, 8
	s_cbranch_scc1 .LBB67_1913
; %bb.1904:
	s_cmp_lt_i32 s2, 9
	s_cbranch_scc1 .LBB67_1910
; %bb.1905:
	s_cmp_gt_i32 s2, 9
	s_cbranch_scc0 .LBB67_1907
; %bb.1906:
	v_cvt_f32_f16_e32 v5, v1
	v_mov_b32_e32 v18, 0
	v_mov_b32_e32 v19, v18
	s_mov_b64 s[0:1], 0
	v_cvt_f64_f32_e32 v[16:17], v5
	global_store_dwordx4 v[3:4], v[16:19], off
.LBB67_1907:
	s_andn2_b64 vcc, exec, s[0:1]
	s_cbranch_vccnz .LBB67_1909
; %bb.1908:
	v_cvt_f32_f16_e32 v5, v1
	v_mov_b32_e32 v6, 0
	global_store_dwordx2 v[3:4], v[5:6], off
.LBB67_1909:
	s_mov_b64 s[0:1], 0
.LBB67_1910:
	s_andn2_b64 vcc, exec, s[0:1]
	s_cbranch_vccnz .LBB67_1912
; %bb.1911:
	v_and_b32_e32 v5, 0xffff, v1
	global_store_dword v[3:4], v5, off
.LBB67_1912:
	s_mov_b64 s[0:1], 0
.LBB67_1913:
	s_andn2_b64 vcc, exec, s[0:1]
	s_cbranch_vccnz .LBB67_1922
; %bb.1914:
	s_cmp_lt_i32 s2, 6
	s_mov_b64 s[0:1], -1
	s_cbranch_scc1 .LBB67_1920
; %bb.1915:
	s_cmp_gt_i32 s2, 6
	s_cbranch_scc0 .LBB67_1917
; %bb.1916:
	v_cvt_f32_f16_e32 v5, v1
	s_mov_b64 s[0:1], 0
	v_cvt_f64_f32_e32 v[5:6], v5
	global_store_dwordx2 v[3:4], v[5:6], off
.LBB67_1917:
	s_andn2_b64 vcc, exec, s[0:1]
	s_cbranch_vccnz .LBB67_1919
; %bb.1918:
	v_cvt_f32_f16_e32 v5, v1
	global_store_dword v[3:4], v5, off
.LBB67_1919:
	s_mov_b64 s[0:1], 0
.LBB67_1920:
	s_andn2_b64 vcc, exec, s[0:1]
	s_cbranch_vccnz .LBB67_1922
; %bb.1921:
	global_store_short v[3:4], v1, off
.LBB67_1922:
	s_mov_b64 s[0:1], 0
.LBB67_1923:
	s_andn2_b64 vcc, exec, s[0:1]
	s_cbranch_vccnz .LBB67_1939
; %bb.1924:
	s_cmp_lt_i32 s2, 2
	s_mov_b64 s[0:1], -1
	s_cbranch_scc1 .LBB67_1934
; %bb.1925:
	s_cmp_lt_i32 s2, 3
	s_cbranch_scc1 .LBB67_1931
; %bb.1926:
	s_cmp_gt_i32 s2, 3
	s_cbranch_scc0 .LBB67_1928
; %bb.1927:
	v_cvt_f32_f16_e32 v5, v1
	s_mov_b64 s[0:1], 0
	v_cvt_i32_f32_e32 v5, v5
	v_ashrrev_i32_e32 v6, 31, v5
	global_store_dwordx2 v[3:4], v[5:6], off
.LBB67_1928:
	s_andn2_b64 vcc, exec, s[0:1]
	s_cbranch_vccnz .LBB67_1930
; %bb.1929:
	v_cvt_f32_f16_e32 v5, v1
	v_cvt_i32_f32_e32 v5, v5
	global_store_dword v[3:4], v5, off
.LBB67_1930:
	s_mov_b64 s[0:1], 0
.LBB67_1931:
	s_andn2_b64 vcc, exec, s[0:1]
	s_cbranch_vccnz .LBB67_1933
; %bb.1932:
	v_cvt_i16_f16_e32 v5, v1
	global_store_short v[3:4], v5, off
.LBB67_1933:
	s_mov_b64 s[0:1], 0
.LBB67_1934:
	s_andn2_b64 vcc, exec, s[0:1]
	s_cbranch_vccnz .LBB67_1939
; %bb.1935:
	s_cmp_gt_i32 s2, 0
	s_mov_b64 s[0:1], -1
	s_cbranch_scc0 .LBB67_1937
; %bb.1936:
	v_cvt_i16_f16_e32 v5, v1
	global_store_byte v[3:4], v5, off
	s_mov_b64 s[0:1], 0
.LBB67_1937:
	s_andn2_b64 vcc, exec, s[0:1]
	s_cbranch_vccnz .LBB67_1939
; %bb.1938:
	v_cvt_f32_f16_e32 v1, v1
	v_cvt_i32_f32_e32 v1, v1
	global_store_byte v[3:4], v1, off
.LBB67_1939:
	s_mov_b64 s[4:5], -1
.LBB67_1940:
	s_andn2_b64 vcc, exec, s[4:5]
	s_cbranch_vccnz .LBB67_2136
; %bb.1941:
	v_mul_f32_e32 v1, v9, v9
	v_div_scale_f32 v5, s[0:1], v1, v1, 1.0
	v_add_f32_e32 v4, 1.0, v9
	v_mul_f32_e32 v3, v4, v4
	v_div_scale_f32 v9, s[0:1], v3, v3, 1.0
	v_div_scale_f32 v6, vcc, 1.0, v1, 1.0
	v_add_f32_e32 v10, 1.0, v4
	v_div_scale_f32 v11, s[0:1], 1.0, v3, 1.0
	v_mul_f32_e32 v4, v10, v10
	v_div_scale_f32 v12, s[2:3], v4, v4, 1.0
	v_div_scale_f32 v18, s[2:3], 1.0, v4, 1.0
	v_rcp_f32_e32 v16, v5
	v_add_f32_e32 v10, 1.0, v10
	s_cmp_lt_i32 s16, 11
	v_rcp_f32_e32 v17, v9
	v_fma_f32 v19, -v5, v16, 1.0
	v_fmac_f32_e32 v16, v19, v16
	v_mul_f32_e32 v20, v6, v16
	v_fma_f32 v21, -v5, v20, v6
	v_fma_f32 v19, -v9, v17, 1.0
	v_fmac_f32_e32 v20, v21, v16
	v_fma_f32 v5, -v5, v20, v6
	v_fmac_f32_e32 v17, v19, v17
	v_div_fmas_f32 v5, v5, v16, v20
	v_mul_f32_e32 v16, v11, v17
	v_fma_f32 v6, -v9, v16, v11
	v_rcp_f32_e32 v19, v12
	v_fmac_f32_e32 v16, v6, v17
	v_mul_f32_e32 v6, v10, v10
	v_div_scale_f32 v20, s[4:5], v6, v6, 1.0
	v_fma_f32 v9, -v9, v16, v11
	v_fma_f32 v11, -v12, v19, 1.0
	v_fmac_f32_e32 v19, v11, v19
	s_mov_b64 vcc, s[0:1]
	v_mul_f32_e32 v11, v18, v19
	v_div_fmas_f32 v9, v9, v17, v16
	v_fma_f32 v16, -v12, v11, v18
	v_fmac_f32_e32 v11, v16, v19
	v_div_scale_f32 v16, s[0:1], 1.0, v6, 1.0
	v_add_f32_e32 v17, 1.0, v10
	v_mul_f32_e32 v10, v17, v17
	v_div_scale_f32 v21, s[4:5], v10, v10, 1.0
	v_fma_f32 v12, -v12, v11, v18
	s_mov_b64 vcc, s[2:3]
	v_div_fmas_f32 v11, v12, v19, v11
	v_div_scale_f32 v12, s[2:3], 1.0, v10, 1.0
	v_rcp_f32_e32 v18, v20
	v_add_f32_e32 v17, 1.0, v17
	v_mul_f32_e32 v22, v17, v17
	v_div_scale_f32 v23, s[4:5], v22, v22, 1.0
	v_fma_f32 v19, -v20, v18, 1.0
	v_fmac_f32_e32 v18, v19, v18
	v_mul_f32_e32 v19, v16, v18
	v_fma_f32 v24, -v20, v19, v16
	v_fmac_f32_e32 v19, v24, v18
	v_rcp_f32_e32 v24, v21
	v_fma_f32 v16, -v20, v19, v16
	s_mov_b64 vcc, s[0:1]
	v_div_fmas_f32 v16, v16, v18, v19
	v_fma_f32 v18, -v21, v24, 1.0
	v_fmac_f32_e32 v24, v18, v24
	v_mul_f32_e32 v18, v12, v24
	v_fma_f32 v19, -v21, v18, v12
	v_fmac_f32_e32 v18, v19, v24
	v_div_scale_f32 v19, s[0:1], 1.0, v22, 1.0
	v_add_f32_e32 v17, 1.0, v17
	v_mul_f32_e32 v25, v17, v17
	v_div_scale_f32 v26, s[4:5], v25, v25, 1.0
	v_rcp_f32_e32 v20, v23
	v_fma_f32 v12, -v21, v18, v12
	s_mov_b64 vcc, s[2:3]
	v_div_scale_f32 v21, s[2:3], 1.0, v25, 1.0
	v_div_fmas_f32 v12, v12, v24, v18
	v_add_f32_e32 v24, v17, v17
	v_div_scale_f32 v27, s[4:5], v24, v24, 1.0
	v_fma_f32 v18, -v23, v20, 1.0
	v_fmac_f32_e32 v20, v18, v20
	v_mul_f32_e32 v18, v19, v20
	v_fma_f32 v28, -v23, v18, v19
	v_fmac_f32_e32 v18, v28, v20
	v_div_scale_f32 v28, s[4:5], 1.0, v24, 1.0
	v_rcp_f32_e32 v29, v26
	v_fma_f32 v19, -v23, v18, v19
	s_mov_b64 vcc, s[0:1]
	v_div_fmas_f32 v18, v19, v20, v18
	v_fma_f32 v19, -v26, v29, 1.0
	v_fmac_f32_e32 v29, v19, v29
	v_mul_f32_e32 v19, v21, v29
	v_fma_f32 v20, -v26, v19, v21
	v_fmac_f32_e32 v19, v20, v29
	v_rcp_f32_e32 v20, v27
	v_fma_f32 v21, -v26, v19, v21
	s_mov_b64 vcc, s[2:3]
	v_div_fmas_f32 v19, v21, v29, v19
	v_fma_f32 v21, -v27, v20, 1.0
	v_fmac_f32_e32 v20, v21, v20
	v_mul_f32_e32 v21, v28, v20
	v_fma_f32 v23, -v27, v21, v28
	v_fmac_f32_e32 v21, v23, v20
	v_fma_f32 v23, -v27, v21, v28
	s_mov_b64 vcc, s[4:5]
	v_div_fmas_f32 v20, v23, v20, v21
	v_mov_b32_e32 v21, 0x3d088889
	s_mov_b32 s0, 0x3e2aaaab
	v_div_fixup_f32 v1, v5, v1, 1.0
	v_add_f32_e32 v1, v14, v1
	v_div_fixup_f32 v3, v9, v3, 1.0
	v_add_f32_e32 v1, v1, v3
	v_div_fixup_f32 v3, v11, v4, 1.0
	v_div_fixup_f32 v19, v19, v25, 1.0
	v_fmac_f32_e32 v21, 0xbcc30c31, v19
	v_fma_f32 v21, -v19, v21, s0
	v_add_f32_e32 v1, v1, v3
	v_div_fixup_f32 v3, v16, v6, 1.0
	v_add_f32_e32 v1, v1, v3
	v_div_fixup_f32 v3, v12, v10, 1.0
	;; [unrolled: 2-line block ×3, first 2 shown]
	v_add_f32_e32 v20, 1.0, v20
	v_fmac_f32_e32 v20, v19, v21
	v_div_scale_f32 v19, s[0:1], v17, v17, v20
	v_div_scale_f32 v21, vcc, v20, v17, v20
	v_div_fixup_f32 v3, v18, v22, 1.0
	v_add_f32_e32 v1, v1, v3
	v_mov_b32_e32 v4, s9
	v_rcp_f32_e32 v23, v19
	v_fma_f32 v24, -v19, v23, 1.0
	v_fmac_f32_e32 v23, v24, v23
	v_mul_f32_e32 v24, v21, v23
	v_fma_f32 v25, -v19, v24, v21
	v_fmac_f32_e32 v24, v25, v23
	v_fma_f32 v19, -v19, v24, v21
	v_div_fmas_f32 v19, v19, v23, v24
	v_div_fixup_f32 v3, v19, v17, v20
	v_add_f32_e32 v1, v1, v3
	v_fma_mixlo_f16 v3, v13, v1, 0
	v_add_co_u32_e32 v1, vcc, s8, v2
	v_addc_co_u32_e32 v2, vcc, 0, v4, vcc
	s_cbranch_scc1 .LBB67_2019
; %bb.1942:
	s_and_b32 s17, 0xffff, s16
	s_mov_b64 s[10:11], -1
	s_mov_b64 s[2:3], 0
	s_cmp_gt_i32 s17, 25
	s_mov_b64 s[4:5], 0
	s_mov_b64 s[0:1], 0
	s_cbranch_scc0 .LBB67_1975
; %bb.1943:
	s_cmp_gt_i32 s17, 28
	s_cbranch_scc0 .LBB67_1958
; %bb.1944:
	s_cmp_gt_i32 s17, 43
	;; [unrolled: 3-line block ×3, first 2 shown]
	s_cbranch_scc0 .LBB67_1948
; %bb.1946:
	s_mov_b64 s[0:1], -1
	s_mov_b64 s[10:11], 0
	s_cmp_eq_u32 s17, 46
	s_cbranch_scc0 .LBB67_1948
; %bb.1947:
	v_cvt_f32_f16_e32 v4, v3
	s_movk_i32 s0, 0x7fff
	v_cmp_o_f16_e32 vcc, v3, v3
	v_mov_b32_e32 v5, 0x7fc0
	v_bfe_u32 v6, v4, 16, 1
	v_add3_u32 v4, v4, v6, s0
	v_cndmask_b32_sdwa v4, v5, v4, vcc dst_sel:DWORD dst_unused:UNUSED_PAD src0_sel:DWORD src1_sel:WORD_1
	global_store_dword v[1:2], v4, off
	s_mov_b64 s[0:1], 0
	s_mov_b64 s[4:5], -1
.LBB67_1948:
	s_and_b64 vcc, exec, s[10:11]
	s_cbranch_vccz .LBB67_1953
; %bb.1949:
	s_cmp_eq_u32 s17, 44
	s_mov_b64 s[0:1], -1
	s_cbranch_scc0 .LBB67_1953
; %bb.1950:
	v_cvt_f32_f16_e32 v4, v3
	s_movk_i32 s0, 0xff
	v_mov_b32_e32 v6, 0xff
	v_bfe_u32 v5, v4, 23, 8
	v_cmp_ne_u32_e32 vcc, s0, v5
	s_and_saveexec_b64 s[4:5], vcc
; %bb.1951:
	s_mov_b32 s0, 0x3fffff
	v_lshrrev_b32_e32 v6, 23, v4
	v_and_b32_e32 v9, 0x400000, v4
	v_and_or_b32 v4, v4, s0, v5
	v_cmp_ne_u32_e32 vcc, 0, v9
	v_cmp_ne_u32_e64 s[0:1], 0, v4
	s_and_b64 s[0:1], vcc, s[0:1]
	v_cndmask_b32_e64 v4, 0, 1, s[0:1]
	v_add_u32_e32 v6, v6, v4
; %bb.1952:
	s_or_b64 exec, exec, s[4:5]
	s_mov_b64 s[0:1], 0
	s_mov_b64 s[4:5], -1
	global_store_byte v[1:2], v6, off
.LBB67_1953:
	s_mov_b64 s[10:11], 0
.LBB67_1954:
	s_and_b64 vcc, exec, s[10:11]
	s_cbranch_vccz .LBB67_1957
; %bb.1955:
	s_cmp_eq_u32 s17, 29
	s_mov_b64 s[0:1], -1
	s_cbranch_scc0 .LBB67_1957
; %bb.1956:
	v_cvt_f32_f16_e32 v4, v3
	v_mov_b32_e32 v5, 0
	s_mov_b64 s[0:1], 0
	s_mov_b64 s[4:5], -1
	v_cvt_u32_f32_e32 v4, v4
	global_store_dwordx2 v[1:2], v[4:5], off
.LBB67_1957:
	s_mov_b64 s[10:11], 0
.LBB67_1958:
	s_and_b64 vcc, exec, s[10:11]
	s_cbranch_vccz .LBB67_1974
; %bb.1959:
	s_cmp_lt_i32 s17, 27
	s_mov_b64 s[4:5], -1
	s_cbranch_scc1 .LBB67_1965
; %bb.1960:
	s_cmp_gt_i32 s17, 27
	s_cbranch_scc0 .LBB67_1962
; %bb.1961:
	v_cvt_f32_f16_e32 v4, v3
	s_mov_b64 s[4:5], 0
	v_cvt_u32_f32_e32 v4, v4
	global_store_dword v[1:2], v4, off
.LBB67_1962:
	s_andn2_b64 vcc, exec, s[4:5]
	s_cbranch_vccnz .LBB67_1964
; %bb.1963:
	v_cvt_u16_f16_e32 v4, v3
	global_store_short v[1:2], v4, off
.LBB67_1964:
	s_mov_b64 s[4:5], 0
.LBB67_1965:
	s_andn2_b64 vcc, exec, s[4:5]
	s_cbranch_vccnz .LBB67_1973
; %bb.1966:
	v_cvt_f32_f16_e32 v4, v3
	s_mov_b32 s4, 0x43800000
	v_mov_b32_e32 v6, 0x80
	v_and_b32_e32 v5, 0x7fffffff, v4
	v_cmp_gt_u32_e32 vcc, s4, v5
	s_and_saveexec_b64 s[4:5], vcc
	s_cbranch_execz .LBB67_1972
; %bb.1967:
	s_mov_b32 s10, 0x3bffffff
	v_cmp_lt_u32_e32 vcc, s10, v5
	s_mov_b64 s[10:11], 0
                                        ; implicit-def: $vgpr5
	s_and_saveexec_b64 s[14:15], vcc
	s_xor_b64 s[14:15], exec, s[14:15]
	s_cbranch_execz .LBB67_2193
; %bb.1968:
	v_bfe_u32 v5, v4, 20, 1
	s_mov_b32 s18, 0x487ffff
	v_add3_u32 v5, v4, v5, s18
	s_mov_b64 s[10:11], exec
	v_lshrrev_b32_e32 v5, 20, v5
	s_andn2_saveexec_b64 s[14:15], s[14:15]
	s_cbranch_execnz .LBB67_2194
.LBB67_1969:
	s_or_b64 exec, exec, s[14:15]
	v_mov_b32_e32 v6, 0
	s_and_saveexec_b64 s[14:15], s[10:11]
.LBB67_1970:
	v_lshrrev_b32_e32 v4, 24, v4
	s_movk_i32 s10, 0x80
	v_and_or_b32 v6, v4, s10, v5
.LBB67_1971:
	s_or_b64 exec, exec, s[14:15]
.LBB67_1972:
	s_or_b64 exec, exec, s[4:5]
	global_store_byte v[1:2], v6, off
.LBB67_1973:
	s_mov_b64 s[4:5], -1
.LBB67_1974:
	s_mov_b64 s[10:11], 0
.LBB67_1975:
	s_and_b64 vcc, exec, s[10:11]
	s_cbranch_vccz .LBB67_2015
; %bb.1976:
	s_cmp_gt_i32 s17, 22
	s_mov_b64 s[2:3], -1
	s_cbranch_scc0 .LBB67_2008
; %bb.1977:
	s_cmp_lt_i32 s17, 24
	s_cbranch_scc1 .LBB67_1997
; %bb.1978:
	s_cmp_gt_i32 s17, 24
	s_cbranch_scc0 .LBB67_1986
; %bb.1979:
	v_cvt_f32_f16_e32 v4, v3
	s_mov_b32 s2, 0x47800000
	v_mov_b32_e32 v6, 0x80
	v_and_b32_e32 v5, 0x7fffffff, v4
	v_cmp_gt_u32_e32 vcc, s2, v5
	s_and_saveexec_b64 s[2:3], vcc
	s_cbranch_execz .LBB67_1985
; %bb.1980:
	s_mov_b32 s4, 0x37ffffff
	v_cmp_lt_u32_e32 vcc, s4, v5
	s_mov_b64 s[4:5], 0
                                        ; implicit-def: $vgpr5
	s_and_saveexec_b64 s[10:11], vcc
	s_xor_b64 s[10:11], exec, s[10:11]
	s_cbranch_execz .LBB67_2196
; %bb.1981:
	v_bfe_u32 v5, v4, 21, 1
	s_mov_b32 s14, 0x88fffff
	v_add3_u32 v5, v4, v5, s14
	s_mov_b64 s[4:5], exec
	v_lshrrev_b32_e32 v5, 21, v5
	s_andn2_saveexec_b64 s[10:11], s[10:11]
	s_cbranch_execnz .LBB67_2197
.LBB67_1982:
	s_or_b64 exec, exec, s[10:11]
	v_mov_b32_e32 v6, 0
	s_and_saveexec_b64 s[10:11], s[4:5]
.LBB67_1983:
	v_lshrrev_b32_e32 v4, 24, v4
	s_movk_i32 s4, 0x80
	v_and_or_b32 v6, v4, s4, v5
.LBB67_1984:
	s_or_b64 exec, exec, s[10:11]
.LBB67_1985:
	s_or_b64 exec, exec, s[2:3]
	s_mov_b64 s[2:3], 0
	global_store_byte v[1:2], v6, off
.LBB67_1986:
	s_and_b64 vcc, exec, s[2:3]
	s_cbranch_vccz .LBB67_1996
; %bb.1987:
	v_cvt_f32_f16_e32 v4, v3
	s_mov_b32 s2, 0x43f00000
                                        ; implicit-def: $vgpr5
	v_and_b32_e32 v6, 0x7fffffff, v4
	v_cmp_gt_u32_e32 vcc, s2, v6
	s_and_saveexec_b64 s[2:3], vcc
	s_xor_b64 s[2:3], exec, s[2:3]
	s_cbranch_execz .LBB67_1993
; %bb.1988:
	s_mov_b32 s4, 0x3c7fffff
	v_cmp_lt_u32_e32 vcc, s4, v6
                                        ; implicit-def: $vgpr5
	s_and_saveexec_b64 s[4:5], vcc
	s_xor_b64 s[4:5], exec, s[4:5]
; %bb.1989:
	v_bfe_u32 v5, v4, 20, 1
	s_mov_b32 s10, 0x407ffff
	v_add3_u32 v5, v4, v5, s10
	v_lshrrev_b32_e32 v6, 20, v5
	v_and_b32_e32 v5, 0xff00000, v5
	s_mov_b32 s10, 0x7f00000
	v_mov_b32_e32 v9, 0x7e
	v_cmp_ne_u32_e32 vcc, s10, v5
	v_cndmask_b32_e32 v5, v9, v6, vcc
; %bb.1990:
	s_andn2_saveexec_b64 s[4:5], s[4:5]
; %bb.1991:
	s_mov_b32 s10, 0x46800000
	v_add_f32_e64 v5, |v4|, s10
; %bb.1992:
	s_or_b64 exec, exec, s[4:5]
                                        ; implicit-def: $vgpr6
.LBB67_1993:
	s_andn2_saveexec_b64 s[2:3], s[2:3]
; %bb.1994:
	s_mov_b32 s4, 0x7f800000
	v_mov_b32_e32 v5, 0x7e
	v_mov_b32_e32 v9, 0x7f
	v_cmp_lt_u32_e32 vcc, s4, v6
	v_cndmask_b32_e32 v5, v5, v9, vcc
; %bb.1995:
	s_or_b64 exec, exec, s[2:3]
	v_lshrrev_b32_e32 v4, 24, v4
	s_movk_i32 s2, 0x80
	v_and_or_b32 v4, v4, s2, v5
	global_store_byte v[1:2], v4, off
.LBB67_1996:
	s_mov_b64 s[2:3], 0
.LBB67_1997:
	s_andn2_b64 vcc, exec, s[2:3]
	s_cbranch_vccnz .LBB67_2007
; %bb.1998:
	v_cvt_f32_f16_e32 v4, v3
	s_mov_b32 s2, 0x47800000
                                        ; implicit-def: $vgpr5
	v_and_b32_e32 v6, 0x7fffffff, v4
	v_cmp_gt_u32_e32 vcc, s2, v6
	s_and_saveexec_b64 s[2:3], vcc
	s_xor_b64 s[2:3], exec, s[2:3]
	s_cbranch_execz .LBB67_2004
; %bb.1999:
	s_mov_b32 s4, 0x387fffff
	v_cmp_lt_u32_e32 vcc, s4, v6
                                        ; implicit-def: $vgpr5
	s_and_saveexec_b64 s[4:5], vcc
	s_xor_b64 s[4:5], exec, s[4:5]
; %bb.2000:
	v_bfe_u32 v5, v4, 21, 1
	s_mov_b32 s10, 0x80fffff
	v_add3_u32 v5, v4, v5, s10
	v_lshrrev_b32_e32 v5, 21, v5
; %bb.2001:
	s_andn2_saveexec_b64 s[4:5], s[4:5]
; %bb.2002:
	s_mov_b32 s10, 0x43000000
	v_add_f32_e64 v5, |v4|, s10
; %bb.2003:
	s_or_b64 exec, exec, s[4:5]
                                        ; implicit-def: $vgpr6
.LBB67_2004:
	s_andn2_saveexec_b64 s[2:3], s[2:3]
; %bb.2005:
	s_mov_b32 s4, 0x7f800000
	v_mov_b32_e32 v5, 0x7c
	v_mov_b32_e32 v9, 0x7f
	v_cmp_lt_u32_e32 vcc, s4, v6
	v_cndmask_b32_e32 v5, v5, v9, vcc
; %bb.2006:
	s_or_b64 exec, exec, s[2:3]
	v_lshrrev_b32_e32 v4, 24, v4
	s_movk_i32 s2, 0x80
	v_and_or_b32 v4, v4, s2, v5
	global_store_byte v[1:2], v4, off
.LBB67_2007:
	s_mov_b64 s[2:3], 0
	s_mov_b64 s[4:5], -1
.LBB67_2008:
	s_andn2_b64 vcc, exec, s[2:3]
	s_mov_b64 s[2:3], 0
	s_cbranch_vccnz .LBB67_2015
; %bb.2009:
	s_cmp_gt_i32 s17, 14
	s_mov_b64 s[10:11], -1
	s_cbranch_scc0 .LBB67_2013
; %bb.2010:
	s_cmp_eq_u32 s17, 15
	s_mov_b64 s[0:1], -1
	s_cbranch_scc0 .LBB67_2012
; %bb.2011:
	v_cvt_f32_f16_e32 v4, v3
	s_movk_i32 s0, 0x7fff
	v_cmp_o_f16_e32 vcc, v3, v3
	v_mov_b32_e32 v5, 0x7fc0
	v_bfe_u32 v6, v4, 16, 1
	v_add3_u32 v4, v4, v6, s0
	v_cndmask_b32_sdwa v4, v5, v4, vcc dst_sel:DWORD dst_unused:UNUSED_PAD src0_sel:DWORD src1_sel:WORD_1
	global_store_short v[1:2], v4, off
	s_mov_b64 s[0:1], 0
	s_mov_b64 s[4:5], -1
.LBB67_2012:
	s_mov_b64 s[10:11], 0
.LBB67_2013:
	s_and_b64 vcc, exec, s[10:11]
	s_cbranch_vccz .LBB67_2015
; %bb.2014:
	s_cmp_lg_u32 s17, 11
	s_mov_b64 s[2:3], -1
	s_cselect_b64 s[0:1], -1, 0
.LBB67_2015:
	s_and_b64 vcc, exec, s[0:1]
	s_cbranch_vccnz .LBB67_2195
; %bb.2016:
	s_andn2_b64 vcc, exec, s[2:3]
	s_cbranch_vccnz .LBB67_2018
.LBB67_2017:
	v_cmp_neq_f16_e32 vcc, 0, v3
	v_cndmask_b32_e64 v4, 0, 1, vcc
	s_mov_b64 s[4:5], -1
	global_store_byte v[1:2], v4, off
.LBB67_2018:
	s_mov_b64 s[0:1], 0
	s_branch .LBB67_2020
.LBB67_2019:
	s_mov_b64 s[0:1], -1
	s_mov_b64 s[4:5], 0
.LBB67_2020:
	s_and_b64 vcc, exec, s[0:1]
	s_cbranch_vccz .LBB67_2059
; %bb.2021:
	s_and_b32 s2, 0xffff, s16
	s_cmp_lt_i32 s2, 5
	s_mov_b64 s[0:1], -1
	s_cbranch_scc1 .LBB67_2042
; %bb.2022:
	s_cmp_lt_i32 s2, 8
	s_cbranch_scc1 .LBB67_2032
; %bb.2023:
	s_cmp_lt_i32 s2, 9
	s_cbranch_scc1 .LBB67_2029
; %bb.2024:
	s_cmp_gt_i32 s2, 9
	s_cbranch_scc0 .LBB67_2026
; %bb.2025:
	v_cvt_f32_f16_e32 v4, v3
	v_mov_b32_e32 v11, 0
	v_mov_b32_e32 v12, v11
	s_mov_b64 s[0:1], 0
	v_cvt_f64_f32_e32 v[9:10], v4
	global_store_dwordx4 v[1:2], v[9:12], off
.LBB67_2026:
	s_andn2_b64 vcc, exec, s[0:1]
	s_cbranch_vccnz .LBB67_2028
; %bb.2027:
	v_cvt_f32_f16_e32 v4, v3
	v_mov_b32_e32 v5, 0
	global_store_dwordx2 v[1:2], v[4:5], off
.LBB67_2028:
	s_mov_b64 s[0:1], 0
.LBB67_2029:
	s_andn2_b64 vcc, exec, s[0:1]
	s_cbranch_vccnz .LBB67_2031
; %bb.2030:
	v_and_b32_e32 v4, 0xffff, v3
	global_store_dword v[1:2], v4, off
.LBB67_2031:
	s_mov_b64 s[0:1], 0
.LBB67_2032:
	s_andn2_b64 vcc, exec, s[0:1]
	s_cbranch_vccnz .LBB67_2041
; %bb.2033:
	s_cmp_lt_i32 s2, 6
	s_mov_b64 s[0:1], -1
	s_cbranch_scc1 .LBB67_2039
; %bb.2034:
	s_cmp_gt_i32 s2, 6
	s_cbranch_scc0 .LBB67_2036
; %bb.2035:
	v_cvt_f32_f16_e32 v4, v3
	s_mov_b64 s[0:1], 0
	v_cvt_f64_f32_e32 v[4:5], v4
	global_store_dwordx2 v[1:2], v[4:5], off
.LBB67_2036:
	s_andn2_b64 vcc, exec, s[0:1]
	s_cbranch_vccnz .LBB67_2038
; %bb.2037:
	v_cvt_f32_f16_e32 v4, v3
	global_store_dword v[1:2], v4, off
.LBB67_2038:
	s_mov_b64 s[0:1], 0
.LBB67_2039:
	s_andn2_b64 vcc, exec, s[0:1]
	s_cbranch_vccnz .LBB67_2041
; %bb.2040:
	global_store_short v[1:2], v3, off
.LBB67_2041:
	s_mov_b64 s[0:1], 0
.LBB67_2042:
	s_andn2_b64 vcc, exec, s[0:1]
	s_cbranch_vccnz .LBB67_2058
; %bb.2043:
	s_cmp_lt_i32 s2, 2
	s_mov_b64 s[0:1], -1
	s_cbranch_scc1 .LBB67_2053
; %bb.2044:
	s_cmp_lt_i32 s2, 3
	s_cbranch_scc1 .LBB67_2050
; %bb.2045:
	s_cmp_gt_i32 s2, 3
	s_cbranch_scc0 .LBB67_2047
; %bb.2046:
	v_cvt_f32_f16_e32 v4, v3
	s_mov_b64 s[0:1], 0
	v_cvt_i32_f32_e32 v4, v4
	v_ashrrev_i32_e32 v5, 31, v4
	global_store_dwordx2 v[1:2], v[4:5], off
.LBB67_2047:
	s_andn2_b64 vcc, exec, s[0:1]
	s_cbranch_vccnz .LBB67_2049
; %bb.2048:
	v_cvt_f32_f16_e32 v4, v3
	v_cvt_i32_f32_e32 v4, v4
	global_store_dword v[1:2], v4, off
.LBB67_2049:
	s_mov_b64 s[0:1], 0
.LBB67_2050:
	s_andn2_b64 vcc, exec, s[0:1]
	s_cbranch_vccnz .LBB67_2052
; %bb.2051:
	v_cvt_i16_f16_e32 v4, v3
	global_store_short v[1:2], v4, off
.LBB67_2052:
	s_mov_b64 s[0:1], 0
.LBB67_2053:
	s_andn2_b64 vcc, exec, s[0:1]
	s_cbranch_vccnz .LBB67_2058
; %bb.2054:
	s_cmp_gt_i32 s2, 0
	s_mov_b64 s[0:1], -1
	s_cbranch_scc0 .LBB67_2056
; %bb.2055:
	v_cvt_i16_f16_e32 v4, v3
	global_store_byte v[1:2], v4, off
	s_mov_b64 s[0:1], 0
.LBB67_2056:
	s_andn2_b64 vcc, exec, s[0:1]
	s_cbranch_vccnz .LBB67_2058
; %bb.2057:
	v_cvt_f32_f16_e32 v3, v3
	v_cvt_i32_f32_e32 v3, v3
	global_store_byte v[1:2], v3, off
.LBB67_2058:
	s_mov_b64 s[4:5], -1
.LBB67_2059:
	s_andn2_b64 vcc, exec, s[4:5]
	s_cbranch_vccnz .LBB67_2136
; %bb.2060:
	v_mul_f32_e32 v1, v7, v7
	v_div_scale_f32 v4, s[0:1], v1, v1, 1.0
	v_add_f32_e32 v3, 1.0, v7
	v_mul_f32_e32 v2, v3, v3
	v_div_scale_f32 v6, s[0:1], v2, v2, 1.0
	v_div_scale_f32 v5, vcc, 1.0, v1, 1.0
	v_add_f32_e32 v7, 1.0, v3
	v_div_scale_f32 v9, s[0:1], 1.0, v2, 1.0
	v_mul_f32_e32 v3, v7, v7
	v_div_scale_f32 v10, s[2:3], v3, v3, 1.0
	v_div_scale_f32 v13, s[2:3], 1.0, v3, 1.0
	v_rcp_f32_e32 v11, v4
	v_add_f32_e32 v7, 1.0, v7
	s_cmp_lt_i32 s16, 11
	v_rcp_f32_e32 v12, v6
	v_fma_f32 v14, -v4, v11, 1.0
	v_fmac_f32_e32 v11, v14, v11
	v_mul_f32_e32 v16, v5, v11
	v_fma_f32 v17, -v4, v16, v5
	v_fma_f32 v14, -v6, v12, 1.0
	v_fmac_f32_e32 v16, v17, v11
	v_fma_f32 v4, -v4, v16, v5
	v_fmac_f32_e32 v12, v14, v12
	v_div_fmas_f32 v4, v4, v11, v16
	v_mul_f32_e32 v11, v9, v12
	v_fma_f32 v5, -v6, v11, v9
	v_rcp_f32_e32 v14, v10
	v_fmac_f32_e32 v11, v5, v12
	v_mul_f32_e32 v5, v7, v7
	v_div_scale_f32 v16, s[4:5], v5, v5, 1.0
	v_fma_f32 v6, -v6, v11, v9
	v_fma_f32 v9, -v10, v14, 1.0
	v_fmac_f32_e32 v14, v9, v14
	s_mov_b64 vcc, s[0:1]
	v_mul_f32_e32 v9, v13, v14
	v_div_fmas_f32 v6, v6, v12, v11
	v_fma_f32 v11, -v10, v9, v13
	v_fmac_f32_e32 v9, v11, v14
	v_div_scale_f32 v11, s[0:1], 1.0, v5, 1.0
	v_add_f32_e32 v12, 1.0, v7
	v_mul_f32_e32 v7, v12, v12
	v_div_scale_f32 v17, s[4:5], v7, v7, 1.0
	v_fma_f32 v10, -v10, v9, v13
	s_mov_b64 vcc, s[2:3]
	v_div_fmas_f32 v9, v10, v14, v9
	v_div_scale_f32 v10, s[2:3], 1.0, v7, 1.0
	v_rcp_f32_e32 v13, v16
	v_add_f32_e32 v12, 1.0, v12
	v_mul_f32_e32 v18, v12, v12
	v_div_scale_f32 v19, s[4:5], v18, v18, 1.0
	v_fma_f32 v14, -v16, v13, 1.0
	v_fmac_f32_e32 v13, v14, v13
	v_mul_f32_e32 v14, v11, v13
	v_fma_f32 v20, -v16, v14, v11
	v_fmac_f32_e32 v14, v20, v13
	v_rcp_f32_e32 v20, v17
	v_fma_f32 v11, -v16, v14, v11
	s_mov_b64 vcc, s[0:1]
	v_div_fmas_f32 v11, v11, v13, v14
	v_fma_f32 v13, -v17, v20, 1.0
	v_fmac_f32_e32 v20, v13, v20
	v_mul_f32_e32 v13, v10, v20
	v_fma_f32 v14, -v17, v13, v10
	v_fmac_f32_e32 v13, v14, v20
	v_div_scale_f32 v14, s[0:1], 1.0, v18, 1.0
	v_add_f32_e32 v12, 1.0, v12
	v_mul_f32_e32 v21, v12, v12
	v_div_scale_f32 v22, s[4:5], v21, v21, 1.0
	v_rcp_f32_e32 v16, v19
	v_fma_f32 v10, -v17, v13, v10
	s_mov_b64 vcc, s[2:3]
	v_div_scale_f32 v17, s[2:3], 1.0, v21, 1.0
	v_div_fmas_f32 v10, v10, v20, v13
	v_add_f32_e32 v20, v12, v12
	v_div_scale_f32 v23, s[4:5], v20, v20, 1.0
	v_fma_f32 v13, -v19, v16, 1.0
	v_fmac_f32_e32 v16, v13, v16
	v_mul_f32_e32 v13, v14, v16
	v_fma_f32 v24, -v19, v13, v14
	v_fmac_f32_e32 v13, v24, v16
	v_div_scale_f32 v24, s[4:5], 1.0, v20, 1.0
	v_rcp_f32_e32 v25, v22
	v_fma_f32 v14, -v19, v13, v14
	s_mov_b64 vcc, s[0:1]
	v_div_fmas_f32 v13, v14, v16, v13
	v_fma_f32 v14, -v22, v25, 1.0
	v_fmac_f32_e32 v25, v14, v25
	v_mul_f32_e32 v14, v17, v25
	v_fma_f32 v16, -v22, v14, v17
	v_fmac_f32_e32 v14, v16, v25
	v_rcp_f32_e32 v16, v23
	v_fma_f32 v17, -v22, v14, v17
	s_mov_b64 vcc, s[2:3]
	v_div_fmas_f32 v14, v17, v25, v14
	v_fma_f32 v17, -v23, v16, 1.0
	v_fmac_f32_e32 v16, v17, v16
	v_mul_f32_e32 v17, v24, v16
	v_fma_f32 v19, -v23, v17, v24
	v_fmac_f32_e32 v17, v19, v16
	v_fma_f32 v19, -v23, v17, v24
	s_mov_b64 vcc, s[4:5]
	v_div_fmas_f32 v16, v19, v16, v17
	v_mov_b32_e32 v17, 0x3d088889
	s_mov_b32 s0, 0x3e2aaaab
	v_div_fixup_f32 v1, v4, v1, 1.0
	v_add_f32_e32 v1, v15, v1
	v_div_fixup_f32 v2, v6, v2, 1.0
	v_add_f32_e32 v1, v1, v2
	v_div_fixup_f32 v2, v9, v3, 1.0
	v_div_fixup_f32 v14, v14, v21, 1.0
	v_fmac_f32_e32 v17, 0xbcc30c31, v14
	v_fma_f32 v17, -v14, v17, s0
	v_add_f32_e32 v1, v1, v2
	v_div_fixup_f32 v2, v11, v5, 1.0
	v_add_f32_e32 v1, v1, v2
	v_div_fixup_f32 v2, v10, v7, 1.0
	;; [unrolled: 2-line block ×3, first 2 shown]
	v_add_f32_e32 v16, 1.0, v16
	v_fmac_f32_e32 v16, v14, v17
	v_div_scale_f32 v14, s[0:1], v12, v12, v16
	v_div_scale_f32 v17, vcc, v16, v12, v16
	v_div_fixup_f32 v2, v13, v18, 1.0
	v_add_f32_e32 v1, v1, v2
	v_rcp_f32_e32 v19, v14
	v_fma_f32 v20, -v14, v19, 1.0
	v_fmac_f32_e32 v19, v20, v19
	v_mul_f32_e32 v20, v17, v19
	v_fma_f32 v21, -v14, v20, v17
	v_fmac_f32_e32 v20, v21, v19
	v_fma_f32 v14, -v14, v20, v17
	v_div_fmas_f32 v14, v14, v19, v20
	v_add_co_u32_e32 v0, vcc, s8, v0
	v_div_fixup_f32 v2, v14, v12, v16
	v_add_f32_e32 v1, v1, v2
	v_fma_mixlo_f16 v2, v8, v1, 0
	v_mov_b32_e32 v1, s9
	v_addc_co_u32_e32 v1, vcc, 0, v1, vcc
	s_cbranch_scc1 .LBB67_2181
; %bb.2061:
	s_and_b32 s14, 0xffff, s16
	s_mov_b64 s[4:5], -1
	s_mov_b64 s[2:3], 0
	s_cmp_gt_i32 s14, 25
	s_mov_b64 s[0:1], 0
	s_cbranch_scc0 .LBB67_2094
; %bb.2062:
	s_cmp_gt_i32 s14, 28
	s_cbranch_scc0 .LBB67_2078
; %bb.2063:
	s_cmp_gt_i32 s14, 43
	;; [unrolled: 3-line block ×3, first 2 shown]
	s_cbranch_scc0 .LBB67_2068
; %bb.2065:
	s_cmp_eq_u32 s14, 46
	s_mov_b64 s[0:1], -1
	s_cbranch_scc0 .LBB67_2067
; %bb.2066:
	v_cvt_f32_f16_e32 v3, v2
	s_movk_i32 s0, 0x7fff
	v_cmp_o_f16_e32 vcc, v2, v2
	v_mov_b32_e32 v4, 0x7fc0
	v_bfe_u32 v5, v3, 16, 1
	v_add3_u32 v3, v3, v5, s0
	v_cndmask_b32_sdwa v3, v4, v3, vcc dst_sel:DWORD dst_unused:UNUSED_PAD src0_sel:DWORD src1_sel:WORD_1
	global_store_dword v[0:1], v3, off
	s_mov_b64 s[0:1], 0
.LBB67_2067:
	s_mov_b64 s[4:5], 0
.LBB67_2068:
	s_and_b64 vcc, exec, s[4:5]
	s_cbranch_vccz .LBB67_2073
; %bb.2069:
	s_cmp_eq_u32 s14, 44
	s_mov_b64 s[0:1], -1
	s_cbranch_scc0 .LBB67_2073
; %bb.2070:
	v_cvt_f32_f16_e32 v3, v2
	s_movk_i32 s0, 0xff
	v_mov_b32_e32 v5, 0xff
	v_bfe_u32 v4, v3, 23, 8
	v_cmp_ne_u32_e32 vcc, s0, v4
	s_and_saveexec_b64 s[4:5], vcc
; %bb.2071:
	s_mov_b32 s0, 0x3fffff
	v_lshrrev_b32_e32 v5, 23, v3
	v_and_b32_e32 v6, 0x400000, v3
	v_and_or_b32 v3, v3, s0, v4
	v_cmp_ne_u32_e32 vcc, 0, v6
	v_cmp_ne_u32_e64 s[0:1], 0, v3
	s_and_b64 s[0:1], vcc, s[0:1]
	v_cndmask_b32_e64 v3, 0, 1, s[0:1]
	v_add_u32_e32 v5, v5, v3
; %bb.2072:
	s_or_b64 exec, exec, s[4:5]
	s_mov_b64 s[0:1], 0
	global_store_byte v[0:1], v5, off
.LBB67_2073:
	s_mov_b64 s[4:5], 0
.LBB67_2074:
	s_and_b64 vcc, exec, s[4:5]
	s_cbranch_vccz .LBB67_2077
; %bb.2075:
	s_cmp_eq_u32 s14, 29
	s_mov_b64 s[0:1], -1
	s_cbranch_scc0 .LBB67_2077
; %bb.2076:
	v_cvt_f32_f16_e32 v3, v2
	v_mov_b32_e32 v4, 0
	s_mov_b64 s[0:1], 0
	v_cvt_u32_f32_e32 v3, v3
	global_store_dwordx2 v[0:1], v[3:4], off
.LBB67_2077:
	s_mov_b64 s[4:5], 0
.LBB67_2078:
	s_and_b64 vcc, exec, s[4:5]
	s_cbranch_vccz .LBB67_2093
; %bb.2079:
	s_cmp_lt_i32 s14, 27
	s_mov_b64 s[4:5], -1
	s_cbranch_scc1 .LBB67_2085
; %bb.2080:
	s_cmp_gt_i32 s14, 27
	s_cbranch_scc0 .LBB67_2082
; %bb.2081:
	v_cvt_f32_f16_e32 v3, v2
	s_mov_b64 s[4:5], 0
	v_cvt_u32_f32_e32 v3, v3
	global_store_dword v[0:1], v3, off
.LBB67_2082:
	s_andn2_b64 vcc, exec, s[4:5]
	s_cbranch_vccnz .LBB67_2084
; %bb.2083:
	v_cvt_u16_f16_e32 v3, v2
	global_store_short v[0:1], v3, off
.LBB67_2084:
	s_mov_b64 s[4:5], 0
.LBB67_2085:
	s_andn2_b64 vcc, exec, s[4:5]
	s_cbranch_vccnz .LBB67_2093
; %bb.2086:
	v_cvt_f32_f16_e32 v3, v2
	s_mov_b32 s4, 0x43800000
	v_mov_b32_e32 v5, 0x80
	v_and_b32_e32 v4, 0x7fffffff, v3
	v_cmp_gt_u32_e32 vcc, s4, v4
	s_and_saveexec_b64 s[4:5], vcc
	s_cbranch_execz .LBB67_2092
; %bb.2087:
	s_mov_b32 s8, 0x3bffffff
	v_cmp_lt_u32_e32 vcc, s8, v4
	s_mov_b64 s[8:9], 0
                                        ; implicit-def: $vgpr4
	s_and_saveexec_b64 s[10:11], vcc
	s_xor_b64 s[10:11], exec, s[10:11]
	s_cbranch_execz .LBB67_2198
; %bb.2088:
	v_bfe_u32 v4, v3, 20, 1
	s_mov_b32 s15, 0x487ffff
	v_add3_u32 v4, v3, v4, s15
	s_mov_b64 s[8:9], exec
	v_lshrrev_b32_e32 v4, 20, v4
	s_andn2_saveexec_b64 s[10:11], s[10:11]
	s_cbranch_execnz .LBB67_2199
.LBB67_2089:
	s_or_b64 exec, exec, s[10:11]
	v_mov_b32_e32 v5, 0
	s_and_saveexec_b64 s[10:11], s[8:9]
.LBB67_2090:
	v_lshrrev_b32_e32 v3, 24, v3
	s_movk_i32 s8, 0x80
	v_and_or_b32 v5, v3, s8, v4
.LBB67_2091:
	s_or_b64 exec, exec, s[10:11]
.LBB67_2092:
	s_or_b64 exec, exec, s[4:5]
	global_store_byte v[0:1], v5, off
.LBB67_2093:
	s_mov_b64 s[4:5], 0
.LBB67_2094:
	s_and_b64 vcc, exec, s[4:5]
	s_cbranch_vccz .LBB67_2134
; %bb.2095:
	s_cmp_gt_i32 s14, 22
	s_mov_b64 s[2:3], -1
	s_cbranch_scc0 .LBB67_2127
; %bb.2096:
	s_cmp_lt_i32 s14, 24
	s_cbranch_scc1 .LBB67_2116
; %bb.2097:
	s_cmp_gt_i32 s14, 24
	s_cbranch_scc0 .LBB67_2105
; %bb.2098:
	v_cvt_f32_f16_e32 v3, v2
	s_mov_b32 s2, 0x47800000
	v_mov_b32_e32 v5, 0x80
	v_and_b32_e32 v4, 0x7fffffff, v3
	v_cmp_gt_u32_e32 vcc, s2, v4
	s_and_saveexec_b64 s[2:3], vcc
	s_cbranch_execz .LBB67_2104
; %bb.2099:
	s_mov_b32 s4, 0x37ffffff
	v_cmp_lt_u32_e32 vcc, s4, v4
	s_mov_b64 s[4:5], 0
                                        ; implicit-def: $vgpr4
	s_and_saveexec_b64 s[8:9], vcc
	s_xor_b64 s[8:9], exec, s[8:9]
	s_cbranch_execz .LBB67_2201
; %bb.2100:
	v_bfe_u32 v4, v3, 21, 1
	s_mov_b32 s10, 0x88fffff
	v_add3_u32 v4, v3, v4, s10
	s_mov_b64 s[4:5], exec
	v_lshrrev_b32_e32 v4, 21, v4
	s_andn2_saveexec_b64 s[8:9], s[8:9]
	s_cbranch_execnz .LBB67_2202
.LBB67_2101:
	s_or_b64 exec, exec, s[8:9]
	v_mov_b32_e32 v5, 0
	s_and_saveexec_b64 s[8:9], s[4:5]
.LBB67_2102:
	v_lshrrev_b32_e32 v3, 24, v3
	s_movk_i32 s4, 0x80
	v_and_or_b32 v5, v3, s4, v4
.LBB67_2103:
	s_or_b64 exec, exec, s[8:9]
.LBB67_2104:
	s_or_b64 exec, exec, s[2:3]
	s_mov_b64 s[2:3], 0
	global_store_byte v[0:1], v5, off
.LBB67_2105:
	s_and_b64 vcc, exec, s[2:3]
	s_cbranch_vccz .LBB67_2115
; %bb.2106:
	v_cvt_f32_f16_e32 v3, v2
	s_mov_b32 s2, 0x43f00000
                                        ; implicit-def: $vgpr4
	v_and_b32_e32 v5, 0x7fffffff, v3
	v_cmp_gt_u32_e32 vcc, s2, v5
	s_and_saveexec_b64 s[2:3], vcc
	s_xor_b64 s[2:3], exec, s[2:3]
	s_cbranch_execz .LBB67_2112
; %bb.2107:
	s_mov_b32 s4, 0x3c7fffff
	v_cmp_lt_u32_e32 vcc, s4, v5
                                        ; implicit-def: $vgpr4
	s_and_saveexec_b64 s[4:5], vcc
	s_xor_b64 s[4:5], exec, s[4:5]
; %bb.2108:
	v_bfe_u32 v4, v3, 20, 1
	s_mov_b32 s8, 0x407ffff
	v_add3_u32 v4, v3, v4, s8
	v_lshrrev_b32_e32 v5, 20, v4
	v_and_b32_e32 v4, 0xff00000, v4
	s_mov_b32 s8, 0x7f00000
	v_mov_b32_e32 v6, 0x7e
	v_cmp_ne_u32_e32 vcc, s8, v4
	v_cndmask_b32_e32 v4, v6, v5, vcc
; %bb.2109:
	s_andn2_saveexec_b64 s[4:5], s[4:5]
; %bb.2110:
	s_mov_b32 s8, 0x46800000
	v_add_f32_e64 v4, |v3|, s8
; %bb.2111:
	s_or_b64 exec, exec, s[4:5]
                                        ; implicit-def: $vgpr5
.LBB67_2112:
	s_andn2_saveexec_b64 s[2:3], s[2:3]
; %bb.2113:
	s_mov_b32 s4, 0x7f800000
	v_mov_b32_e32 v4, 0x7e
	v_mov_b32_e32 v6, 0x7f
	v_cmp_lt_u32_e32 vcc, s4, v5
	v_cndmask_b32_e32 v4, v4, v6, vcc
; %bb.2114:
	s_or_b64 exec, exec, s[2:3]
	v_lshrrev_b32_e32 v3, 24, v3
	s_movk_i32 s2, 0x80
	v_and_or_b32 v3, v3, s2, v4
	global_store_byte v[0:1], v3, off
.LBB67_2115:
	s_mov_b64 s[2:3], 0
.LBB67_2116:
	s_andn2_b64 vcc, exec, s[2:3]
	s_cbranch_vccnz .LBB67_2126
; %bb.2117:
	v_cvt_f32_f16_e32 v3, v2
	s_mov_b32 s2, 0x47800000
                                        ; implicit-def: $vgpr4
	v_and_b32_e32 v5, 0x7fffffff, v3
	v_cmp_gt_u32_e32 vcc, s2, v5
	s_and_saveexec_b64 s[2:3], vcc
	s_xor_b64 s[2:3], exec, s[2:3]
	s_cbranch_execz .LBB67_2123
; %bb.2118:
	s_mov_b32 s4, 0x387fffff
	v_cmp_lt_u32_e32 vcc, s4, v5
                                        ; implicit-def: $vgpr4
	s_and_saveexec_b64 s[4:5], vcc
	s_xor_b64 s[4:5], exec, s[4:5]
; %bb.2119:
	v_bfe_u32 v4, v3, 21, 1
	s_mov_b32 s8, 0x80fffff
	v_add3_u32 v4, v3, v4, s8
	v_lshrrev_b32_e32 v4, 21, v4
; %bb.2120:
	s_andn2_saveexec_b64 s[4:5], s[4:5]
; %bb.2121:
	s_mov_b32 s8, 0x43000000
	v_add_f32_e64 v4, |v3|, s8
; %bb.2122:
	s_or_b64 exec, exec, s[4:5]
                                        ; implicit-def: $vgpr5
.LBB67_2123:
	s_andn2_saveexec_b64 s[2:3], s[2:3]
; %bb.2124:
	s_mov_b32 s4, 0x7f800000
	v_mov_b32_e32 v4, 0x7c
	v_mov_b32_e32 v6, 0x7f
	v_cmp_lt_u32_e32 vcc, s4, v5
	v_cndmask_b32_e32 v4, v4, v6, vcc
; %bb.2125:
	s_or_b64 exec, exec, s[2:3]
	v_lshrrev_b32_e32 v3, 24, v3
	s_movk_i32 s2, 0x80
	v_and_or_b32 v3, v3, s2, v4
	global_store_byte v[0:1], v3, off
.LBB67_2126:
	s_mov_b64 s[2:3], 0
.LBB67_2127:
	s_andn2_b64 vcc, exec, s[2:3]
	s_mov_b64 s[2:3], 0
	s_cbranch_vccnz .LBB67_2134
; %bb.2128:
	s_cmp_gt_i32 s14, 14
	s_mov_b64 s[4:5], -1
	s_cbranch_scc0 .LBB67_2132
; %bb.2129:
	s_cmp_eq_u32 s14, 15
	s_mov_b64 s[0:1], -1
	s_cbranch_scc0 .LBB67_2131
; %bb.2130:
	v_cvt_f32_f16_e32 v3, v2
	s_movk_i32 s0, 0x7fff
	v_cmp_o_f16_e32 vcc, v2, v2
	v_mov_b32_e32 v4, 0x7fc0
	v_bfe_u32 v5, v3, 16, 1
	v_add3_u32 v3, v3, v5, s0
	v_cndmask_b32_sdwa v3, v4, v3, vcc dst_sel:DWORD dst_unused:UNUSED_PAD src0_sel:DWORD src1_sel:WORD_1
	global_store_short v[0:1], v3, off
	s_mov_b64 s[0:1], 0
.LBB67_2131:
	s_mov_b64 s[4:5], 0
.LBB67_2132:
	s_and_b64 vcc, exec, s[4:5]
	s_cbranch_vccz .LBB67_2134
; %bb.2133:
	s_cmp_lg_u32 s14, 11
	s_mov_b64 s[2:3], -1
	s_cselect_b64 s[0:1], -1, 0
.LBB67_2134:
	s_and_b64 vcc, exec, s[0:1]
	s_cbranch_vccnz .LBB67_2200
.LBB67_2135:
	s_mov_b64 s[0:1], 0
	s_branch .LBB67_2137
.LBB67_2136:
	s_mov_b64 s[0:1], 0
	s_mov_b64 s[2:3], 0
                                        ; implicit-def: $vgpr0_vgpr1
                                        ; implicit-def: $sgpr16
                                        ; implicit-def: $vgpr2
.LBB67_2137:
	s_and_b64 s[40:41], s[2:3], exec
	s_andn2_b64 s[2:3], s[6:7], exec
	s_and_b64 s[4:5], s[12:13], exec
	s_and_b64 s[0:1], s[0:1], exec
	s_or_b64 s[6:7], s[2:3], s[4:5]
.LBB67_2138:
	s_or_b64 exec, exec, s[28:29]
	s_and_saveexec_b64 s[2:3], s[6:7]
	s_cbranch_execz .LBB67_2141
; %bb.2139:
	; divergent unreachable
	s_or_b64 exec, exec, s[2:3]
	s_and_saveexec_b64 s[2:3], s[40:41]
	s_xor_b64 s[2:3], exec, s[2:3]
	s_cbranch_execnz .LBB67_2142
.LBB67_2140:
	s_or_b64 exec, exec, s[2:3]
	s_and_saveexec_b64 s[2:3], s[0:1]
	s_cbranch_execnz .LBB67_2143
	s_branch .LBB67_2180
.LBB67_2141:
	s_or_b64 exec, exec, s[2:3]
	s_and_saveexec_b64 s[2:3], s[40:41]
	s_xor_b64 s[2:3], exec, s[2:3]
	s_cbranch_execz .LBB67_2140
.LBB67_2142:
	v_cmp_neq_f16_e32 vcc, 0, v2
	s_waitcnt vmcnt(0)
	v_cndmask_b32_e64 v3, 0, 1, vcc
	global_store_byte v[0:1], v3, off
	s_or_b64 exec, exec, s[2:3]
	s_and_saveexec_b64 s[2:3], s[0:1]
	s_cbranch_execz .LBB67_2180
.LBB67_2143:
	s_sext_i32_i16 s2, s16
	s_cmp_lt_i32 s2, 5
	s_mov_b64 s[0:1], -1
	s_cbranch_scc1 .LBB67_2164
; %bb.2144:
	s_cmp_lt_i32 s2, 8
	s_cbranch_scc1 .LBB67_2154
; %bb.2145:
	s_cmp_lt_i32 s2, 9
	s_cbranch_scc1 .LBB67_2151
; %bb.2146:
	s_cmp_gt_i32 s2, 9
	s_cbranch_scc0 .LBB67_2148
; %bb.2147:
	s_waitcnt vmcnt(0)
	v_cvt_f32_f16_e32 v3, v2
	v_mov_b32_e32 v5, 0
	v_mov_b32_e32 v6, v5
	s_mov_b64 s[0:1], 0
	v_cvt_f64_f32_e32 v[3:4], v3
	global_store_dwordx4 v[0:1], v[3:6], off
.LBB67_2148:
	s_andn2_b64 vcc, exec, s[0:1]
	s_cbranch_vccnz .LBB67_2150
; %bb.2149:
	s_waitcnt vmcnt(0)
	v_cvt_f32_f16_e32 v3, v2
	v_mov_b32_e32 v4, 0
	global_store_dwordx2 v[0:1], v[3:4], off
.LBB67_2150:
	s_mov_b64 s[0:1], 0
.LBB67_2151:
	s_andn2_b64 vcc, exec, s[0:1]
	s_cbranch_vccnz .LBB67_2153
; %bb.2152:
	s_waitcnt vmcnt(0)
	v_and_b32_e32 v3, 0xffff, v2
	global_store_dword v[0:1], v3, off
.LBB67_2153:
	s_mov_b64 s[0:1], 0
.LBB67_2154:
	s_andn2_b64 vcc, exec, s[0:1]
	s_cbranch_vccnz .LBB67_2163
; %bb.2155:
	s_sext_i32_i16 s2, s16
	s_cmp_lt_i32 s2, 6
	s_mov_b64 s[0:1], -1
	s_cbranch_scc1 .LBB67_2161
; %bb.2156:
	s_cmp_gt_i32 s2, 6
	s_cbranch_scc0 .LBB67_2158
; %bb.2157:
	s_waitcnt vmcnt(0)
	v_cvt_f32_f16_e32 v3, v2
	s_mov_b64 s[0:1], 0
	v_cvt_f64_f32_e32 v[3:4], v3
	global_store_dwordx2 v[0:1], v[3:4], off
.LBB67_2158:
	s_andn2_b64 vcc, exec, s[0:1]
	s_cbranch_vccnz .LBB67_2160
; %bb.2159:
	s_waitcnt vmcnt(0)
	v_cvt_f32_f16_e32 v3, v2
	global_store_dword v[0:1], v3, off
.LBB67_2160:
	s_mov_b64 s[0:1], 0
.LBB67_2161:
	s_andn2_b64 vcc, exec, s[0:1]
	s_cbranch_vccnz .LBB67_2163
; %bb.2162:
	s_waitcnt vmcnt(0)
	global_store_short v[0:1], v2, off
.LBB67_2163:
	s_mov_b64 s[0:1], 0
.LBB67_2164:
	s_andn2_b64 vcc, exec, s[0:1]
	s_cbranch_vccnz .LBB67_2180
; %bb.2165:
	s_sext_i32_i16 s2, s16
	s_cmp_lt_i32 s2, 2
	s_mov_b64 s[0:1], -1
	s_cbranch_scc1 .LBB67_2175
; %bb.2166:
	s_cmp_lt_i32 s2, 3
	s_cbranch_scc1 .LBB67_2172
; %bb.2167:
	s_cmp_gt_i32 s2, 3
	s_cbranch_scc0 .LBB67_2169
; %bb.2168:
	s_waitcnt vmcnt(0)
	v_cvt_f32_f16_e32 v3, v2
	s_mov_b64 s[0:1], 0
	v_cvt_i32_f32_e32 v3, v3
	v_ashrrev_i32_e32 v4, 31, v3
	global_store_dwordx2 v[0:1], v[3:4], off
.LBB67_2169:
	s_andn2_b64 vcc, exec, s[0:1]
	s_cbranch_vccnz .LBB67_2171
; %bb.2170:
	s_waitcnt vmcnt(0)
	v_cvt_f32_f16_e32 v3, v2
	v_cvt_i32_f32_e32 v3, v3
	global_store_dword v[0:1], v3, off
.LBB67_2171:
	s_mov_b64 s[0:1], 0
.LBB67_2172:
	s_andn2_b64 vcc, exec, s[0:1]
	s_cbranch_vccnz .LBB67_2174
; %bb.2173:
	s_waitcnt vmcnt(0)
	v_cvt_i16_f16_e32 v3, v2
	global_store_short v[0:1], v3, off
.LBB67_2174:
	s_mov_b64 s[0:1], 0
.LBB67_2175:
	s_andn2_b64 vcc, exec, s[0:1]
	s_cbranch_vccnz .LBB67_2180
; %bb.2176:
	s_sext_i32_i16 s0, s16
	s_cmp_gt_i32 s0, 0
	s_mov_b64 s[0:1], -1
	s_cbranch_scc0 .LBB67_2178
; %bb.2177:
	s_waitcnt vmcnt(0)
	v_cvt_i16_f16_e32 v3, v2
	global_store_byte v[0:1], v3, off
	s_mov_b64 s[0:1], 0
.LBB67_2178:
	s_andn2_b64 vcc, exec, s[0:1]
	s_cbranch_vccnz .LBB67_2180
; %bb.2179:
	v_cvt_f32_f16_e32 v2, v2
	v_cvt_i32_f32_e32 v2, v2
	s_waitcnt vmcnt(0)
	global_store_byte v[0:1], v2, off
	s_endpgm
.LBB67_2180:
	s_endpgm
.LBB67_2181:
	s_mov_b64 s[2:3], 0
	s_mov_b64 s[0:1], -1
	s_branch .LBB67_2137
.LBB67_2182:
	s_trap 2
	s_or_b64 s[12:13], s[12:13], exec
	s_cbranch_execz .LBB67_1645
	s_branch .LBB67_1646
.LBB67_2183:
	s_andn2_saveexec_b64 s[14:15], s[14:15]
	s_cbranch_execz .LBB67_1731
.LBB67_2184:
	s_mov_b32 s19, 0x46000000
	v_add_f32_e64 v16, |v3|, s19
	v_and_b32_e32 v16, 0xff, v16
	v_cmp_ne_u32_e32 vcc, 0, v16
	s_andn2_b64 s[10:11], s[10:11], exec
	s_and_b64 s[20:21], vcc, exec
	s_or_b64 s[10:11], s[10:11], s[20:21]
	s_or_b64 exec, exec, s[14:15]
	v_mov_b32_e32 v17, 0
	s_and_saveexec_b64 s[14:15], s[10:11]
	s_cbranch_execnz .LBB67_1732
	s_branch .LBB67_1733
.LBB67_2185:
	s_trap 2
	s_or_b64 s[12:13], s[12:13], exec
	s_cbranch_execz .LBB67_1779
	s_branch .LBB67_1780
.LBB67_2186:
	s_andn2_saveexec_b64 s[10:11], s[10:11]
	s_cbranch_execz .LBB67_1744
.LBB67_2187:
	s_mov_b32 s14, 0x42800000
	v_add_f32_e64 v16, |v3|, s14
	v_and_b32_e32 v16, 0xff, v16
	v_cmp_ne_u32_e32 vcc, 0, v16
	s_andn2_b64 s[4:5], s[4:5], exec
	s_and_b64 s[14:15], vcc, exec
	s_or_b64 s[4:5], s[4:5], s[14:15]
	s_or_b64 exec, exec, s[10:11]
	v_mov_b32_e32 v17, 0
	s_and_saveexec_b64 s[10:11], s[4:5]
	s_cbranch_execnz .LBB67_1745
	s_branch .LBB67_1746
.LBB67_2188:
	s_andn2_saveexec_b64 s[14:15], s[14:15]
	s_cbranch_execz .LBB67_1850
.LBB67_2189:
	s_mov_b32 s18, 0x46000000
	v_add_f32_e64 v6, |v5|, s18
	v_and_b32_e32 v6, 0xff, v6
	v_cmp_ne_u32_e32 vcc, 0, v6
	s_andn2_b64 s[10:11], s[10:11], exec
	s_and_b64 s[18:19], vcc, exec
	s_or_b64 s[10:11], s[10:11], s[18:19]
	s_or_b64 exec, exec, s[14:15]
	v_mov_b32_e32 v10, 0
	s_and_saveexec_b64 s[14:15], s[10:11]
	s_cbranch_execnz .LBB67_1851
	s_branch .LBB67_1852
.LBB67_2190:
	s_trap 2
	s_or_b64 s[12:13], s[12:13], exec
	s_cbranch_execz .LBB67_1898
	s_branch .LBB67_1899
.LBB67_2191:
	s_andn2_saveexec_b64 s[10:11], s[10:11]
	s_cbranch_execz .LBB67_1863
.LBB67_2192:
	s_mov_b32 s14, 0x42800000
	v_add_f32_e64 v6, |v5|, s14
	v_and_b32_e32 v6, 0xff, v6
	v_cmp_ne_u32_e32 vcc, 0, v6
	s_andn2_b64 s[4:5], s[4:5], exec
	s_and_b64 s[14:15], vcc, exec
	s_or_b64 s[4:5], s[4:5], s[14:15]
	s_or_b64 exec, exec, s[10:11]
	v_mov_b32_e32 v10, 0
	s_and_saveexec_b64 s[10:11], s[4:5]
	s_cbranch_execnz .LBB67_1864
	s_branch .LBB67_1865
.LBB67_2193:
	s_andn2_saveexec_b64 s[14:15], s[14:15]
	s_cbranch_execz .LBB67_1969
.LBB67_2194:
	s_mov_b32 s18, 0x46000000
	v_add_f32_e64 v5, |v4|, s18
	v_and_b32_e32 v5, 0xff, v5
	v_cmp_ne_u32_e32 vcc, 0, v5
	s_andn2_b64 s[10:11], s[10:11], exec
	s_and_b64 s[18:19], vcc, exec
	s_or_b64 s[10:11], s[10:11], s[18:19]
	s_or_b64 exec, exec, s[14:15]
	v_mov_b32_e32 v6, 0
	s_and_saveexec_b64 s[14:15], s[10:11]
	s_cbranch_execnz .LBB67_1970
	s_branch .LBB67_1971
.LBB67_2195:
	s_trap 2
	s_or_b64 s[12:13], s[12:13], exec
	s_cbranch_execz .LBB67_2017
	s_branch .LBB67_2018
.LBB67_2196:
	s_andn2_saveexec_b64 s[10:11], s[10:11]
	s_cbranch_execz .LBB67_1982
.LBB67_2197:
	s_mov_b32 s14, 0x42800000
	v_add_f32_e64 v5, |v4|, s14
	v_and_b32_e32 v5, 0xff, v5
	v_cmp_ne_u32_e32 vcc, 0, v5
	s_andn2_b64 s[4:5], s[4:5], exec
	s_and_b64 s[14:15], vcc, exec
	s_or_b64 s[4:5], s[4:5], s[14:15]
	s_or_b64 exec, exec, s[10:11]
	v_mov_b32_e32 v6, 0
	s_and_saveexec_b64 s[10:11], s[4:5]
	s_cbranch_execnz .LBB67_1983
	s_branch .LBB67_1984
.LBB67_2198:
	s_andn2_saveexec_b64 s[10:11], s[10:11]
	s_cbranch_execz .LBB67_2089
.LBB67_2199:
	s_mov_b32 s15, 0x46000000
	v_add_f32_e64 v4, |v3|, s15
	v_and_b32_e32 v4, 0xff, v4
	v_cmp_ne_u32_e32 vcc, 0, v4
	s_andn2_b64 s[8:9], s[8:9], exec
	s_and_b64 s[18:19], vcc, exec
	s_or_b64 s[8:9], s[8:9], s[18:19]
	s_or_b64 exec, exec, s[10:11]
	v_mov_b32_e32 v5, 0
	s_and_saveexec_b64 s[10:11], s[8:9]
	s_cbranch_execnz .LBB67_2090
	s_branch .LBB67_2091
.LBB67_2200:
	s_mov_b64 s[2:3], 0
	s_or_b64 s[12:13], s[12:13], exec
	s_trap 2
	s_branch .LBB67_2135
.LBB67_2201:
	s_andn2_saveexec_b64 s[8:9], s[8:9]
	s_cbranch_execz .LBB67_2101
.LBB67_2202:
	s_mov_b32 s10, 0x42800000
	v_add_f32_e64 v4, |v3|, s10
	v_and_b32_e32 v4, 0xff, v4
	v_cmp_ne_u32_e32 vcc, 0, v4
	s_andn2_b64 s[4:5], s[4:5], exec
	s_and_b64 s[10:11], vcc, exec
	s_or_b64 s[4:5], s[4:5], s[10:11]
	s_or_b64 exec, exec, s[8:9]
	v_mov_b32_e32 v5, 0
	s_and_saveexec_b64 s[8:9], s[4:5]
	s_cbranch_execnz .LBB67_2102
	s_branch .LBB67_2103
	.section	.rodata,"a",@progbits
	.p2align	6, 0x0
	.amdhsa_kernel _ZN2at6native32elementwise_kernel_manual_unrollILi128ELi4EZNS0_15gpu_kernel_implIZZZNS0_20trigamma_kernel_cudaERNS_18TensorIteratorBaseEENKUlvE_clEvENKUlvE1_clEvEUlN3c104HalfEE_EEvS4_RKT_EUlibE0_EEviT1_
		.amdhsa_group_segment_fixed_size 0
		.amdhsa_private_segment_fixed_size 0
		.amdhsa_kernarg_size 360
		.amdhsa_user_sgpr_count 6
		.amdhsa_user_sgpr_private_segment_buffer 1
		.amdhsa_user_sgpr_dispatch_ptr 0
		.amdhsa_user_sgpr_queue_ptr 0
		.amdhsa_user_sgpr_kernarg_segment_ptr 1
		.amdhsa_user_sgpr_dispatch_id 0
		.amdhsa_user_sgpr_flat_scratch_init 0
		.amdhsa_user_sgpr_private_segment_size 0
		.amdhsa_uses_dynamic_stack 0
		.amdhsa_system_sgpr_private_segment_wavefront_offset 0
		.amdhsa_system_sgpr_workgroup_id_x 1
		.amdhsa_system_sgpr_workgroup_id_y 0
		.amdhsa_system_sgpr_workgroup_id_z 0
		.amdhsa_system_sgpr_workgroup_info 0
		.amdhsa_system_vgpr_workitem_id 0
		.amdhsa_next_free_vgpr 38
		.amdhsa_next_free_sgpr 78
		.amdhsa_reserve_vcc 1
		.amdhsa_reserve_flat_scratch 0
		.amdhsa_float_round_mode_32 0
		.amdhsa_float_round_mode_16_64 0
		.amdhsa_float_denorm_mode_32 3
		.amdhsa_float_denorm_mode_16_64 3
		.amdhsa_dx10_clamp 1
		.amdhsa_ieee_mode 1
		.amdhsa_fp16_overflow 0
		.amdhsa_exception_fp_ieee_invalid_op 0
		.amdhsa_exception_fp_denorm_src 0
		.amdhsa_exception_fp_ieee_div_zero 0
		.amdhsa_exception_fp_ieee_overflow 0
		.amdhsa_exception_fp_ieee_underflow 0
		.amdhsa_exception_fp_ieee_inexact 0
		.amdhsa_exception_int_div_zero 0
	.end_amdhsa_kernel
	.section	.text._ZN2at6native32elementwise_kernel_manual_unrollILi128ELi4EZNS0_15gpu_kernel_implIZZZNS0_20trigamma_kernel_cudaERNS_18TensorIteratorBaseEENKUlvE_clEvENKUlvE1_clEvEUlN3c104HalfEE_EEvS4_RKT_EUlibE0_EEviT1_,"axG",@progbits,_ZN2at6native32elementwise_kernel_manual_unrollILi128ELi4EZNS0_15gpu_kernel_implIZZZNS0_20trigamma_kernel_cudaERNS_18TensorIteratorBaseEENKUlvE_clEvENKUlvE1_clEvEUlN3c104HalfEE_EEvS4_RKT_EUlibE0_EEviT1_,comdat
.Lfunc_end67:
	.size	_ZN2at6native32elementwise_kernel_manual_unrollILi128ELi4EZNS0_15gpu_kernel_implIZZZNS0_20trigamma_kernel_cudaERNS_18TensorIteratorBaseEENKUlvE_clEvENKUlvE1_clEvEUlN3c104HalfEE_EEvS4_RKT_EUlibE0_EEviT1_, .Lfunc_end67-_ZN2at6native32elementwise_kernel_manual_unrollILi128ELi4EZNS0_15gpu_kernel_implIZZZNS0_20trigamma_kernel_cudaERNS_18TensorIteratorBaseEENKUlvE_clEvENKUlvE1_clEvEUlN3c104HalfEE_EEvS4_RKT_EUlibE0_EEviT1_
                                        ; -- End function
	.set _ZN2at6native32elementwise_kernel_manual_unrollILi128ELi4EZNS0_15gpu_kernel_implIZZZNS0_20trigamma_kernel_cudaERNS_18TensorIteratorBaseEENKUlvE_clEvENKUlvE1_clEvEUlN3c104HalfEE_EEvS4_RKT_EUlibE0_EEviT1_.num_vgpr, 38
	.set _ZN2at6native32elementwise_kernel_manual_unrollILi128ELi4EZNS0_15gpu_kernel_implIZZZNS0_20trigamma_kernel_cudaERNS_18TensorIteratorBaseEENKUlvE_clEvENKUlvE1_clEvEUlN3c104HalfEE_EEvS4_RKT_EUlibE0_EEviT1_.num_agpr, 0
	.set _ZN2at6native32elementwise_kernel_manual_unrollILi128ELi4EZNS0_15gpu_kernel_implIZZZNS0_20trigamma_kernel_cudaERNS_18TensorIteratorBaseEENKUlvE_clEvENKUlvE1_clEvEUlN3c104HalfEE_EEvS4_RKT_EUlibE0_EEviT1_.numbered_sgpr, 78
	.set _ZN2at6native32elementwise_kernel_manual_unrollILi128ELi4EZNS0_15gpu_kernel_implIZZZNS0_20trigamma_kernel_cudaERNS_18TensorIteratorBaseEENKUlvE_clEvENKUlvE1_clEvEUlN3c104HalfEE_EEvS4_RKT_EUlibE0_EEviT1_.num_named_barrier, 0
	.set _ZN2at6native32elementwise_kernel_manual_unrollILi128ELi4EZNS0_15gpu_kernel_implIZZZNS0_20trigamma_kernel_cudaERNS_18TensorIteratorBaseEENKUlvE_clEvENKUlvE1_clEvEUlN3c104HalfEE_EEvS4_RKT_EUlibE0_EEviT1_.private_seg_size, 0
	.set _ZN2at6native32elementwise_kernel_manual_unrollILi128ELi4EZNS0_15gpu_kernel_implIZZZNS0_20trigamma_kernel_cudaERNS_18TensorIteratorBaseEENKUlvE_clEvENKUlvE1_clEvEUlN3c104HalfEE_EEvS4_RKT_EUlibE0_EEviT1_.uses_vcc, 1
	.set _ZN2at6native32elementwise_kernel_manual_unrollILi128ELi4EZNS0_15gpu_kernel_implIZZZNS0_20trigamma_kernel_cudaERNS_18TensorIteratorBaseEENKUlvE_clEvENKUlvE1_clEvEUlN3c104HalfEE_EEvS4_RKT_EUlibE0_EEviT1_.uses_flat_scratch, 0
	.set _ZN2at6native32elementwise_kernel_manual_unrollILi128ELi4EZNS0_15gpu_kernel_implIZZZNS0_20trigamma_kernel_cudaERNS_18TensorIteratorBaseEENKUlvE_clEvENKUlvE1_clEvEUlN3c104HalfEE_EEvS4_RKT_EUlibE0_EEviT1_.has_dyn_sized_stack, 0
	.set _ZN2at6native32elementwise_kernel_manual_unrollILi128ELi4EZNS0_15gpu_kernel_implIZZZNS0_20trigamma_kernel_cudaERNS_18TensorIteratorBaseEENKUlvE_clEvENKUlvE1_clEvEUlN3c104HalfEE_EEvS4_RKT_EUlibE0_EEviT1_.has_recursion, 0
	.set _ZN2at6native32elementwise_kernel_manual_unrollILi128ELi4EZNS0_15gpu_kernel_implIZZZNS0_20trigamma_kernel_cudaERNS_18TensorIteratorBaseEENKUlvE_clEvENKUlvE1_clEvEUlN3c104HalfEE_EEvS4_RKT_EUlibE0_EEviT1_.has_indirect_call, 0
	.section	.AMDGPU.csdata,"",@progbits
; Kernel info:
; codeLenInByte = 55096
; TotalNumSgprs: 82
; NumVgprs: 38
; ScratchSize: 0
; MemoryBound: 0
; FloatMode: 240
; IeeeMode: 1
; LDSByteSize: 0 bytes/workgroup (compile time only)
; SGPRBlocks: 10
; VGPRBlocks: 9
; NumSGPRsForWavesPerEU: 82
; NumVGPRsForWavesPerEU: 38
; Occupancy: 6
; WaveLimiterHint : 1
; COMPUTE_PGM_RSRC2:SCRATCH_EN: 0
; COMPUTE_PGM_RSRC2:USER_SGPR: 6
; COMPUTE_PGM_RSRC2:TRAP_HANDLER: 0
; COMPUTE_PGM_RSRC2:TGID_X_EN: 1
; COMPUTE_PGM_RSRC2:TGID_Y_EN: 0
; COMPUTE_PGM_RSRC2:TGID_Z_EN: 0
; COMPUTE_PGM_RSRC2:TIDIG_COMP_CNT: 0
	.text
	.p2align	2                               ; -- Begin function _ZN2at6native25elementwise_kernel_helperILb0EZZZNS0_20trigamma_kernel_cudaERNS_18TensorIteratorBaseEENKUlvE_clEvENKUlvE2_clEvEUlN3c108BFloat16EE_NS0_6memory8policies11unroll_baseILi256ESt5arrayIPcLm2EE23TrivialOffsetCalculatorILi1EjESG_NS9_15LoadWithoutCastENS9_16StoreWithoutCastELi8ELi1EEEEEvT0_T1_
	.type	_ZN2at6native25elementwise_kernel_helperILb0EZZZNS0_20trigamma_kernel_cudaERNS_18TensorIteratorBaseEENKUlvE_clEvENKUlvE2_clEvEUlN3c108BFloat16EE_NS0_6memory8policies11unroll_baseILi256ESt5arrayIPcLm2EE23TrivialOffsetCalculatorILi1EjESG_NS9_15LoadWithoutCastENS9_16StoreWithoutCastELi8ELi1EEEEEvT0_T1_,@function
_ZN2at6native25elementwise_kernel_helperILb0EZZZNS0_20trigamma_kernel_cudaERNS_18TensorIteratorBaseEENKUlvE_clEvENKUlvE2_clEvEUlN3c108BFloat16EE_NS0_6memory8policies11unroll_baseILi256ESt5arrayIPcLm2EE23TrivialOffsetCalculatorILi1EjESG_NS9_15LoadWithoutCastENS9_16StoreWithoutCastELi8ELi1EEEEEvT0_T1_: ; @_ZN2at6native25elementwise_kernel_helperILb0EZZZNS0_20trigamma_kernel_cudaERNS_18TensorIteratorBaseEENKUlvE_clEvENKUlvE2_clEvEUlN3c108BFloat16EE_NS0_6memory8policies11unroll_baseILi256ESt5arrayIPcLm2EE23TrivialOffsetCalculatorILi1EjESG_NS9_15LoadWithoutCastENS9_16StoreWithoutCastELi8ELi1EEEEEvT0_T1_
; %bb.0:
	s_waitcnt vmcnt(0) expcnt(0) lgkmcnt(0)
	v_and_b32_e32 v7, 0x3ff, v31
	s_lshl_b32 s18, s12, 11
	v_cmp_lt_i32_e64 s[4:5], v7, v4
	v_mov_b32_e32 v11, 0
	v_or_b32_e32 v5, s18, v7
	v_mov_b32_e32 v9, 0
	v_mov_b32_e32 v15, v7
	s_and_saveexec_b64 s[6:7], s[4:5]
	s_cbranch_execz .LBB68_2
; %bb.1:
	v_mov_b32_e32 v6, 0
	v_lshlrev_b64 v[8:9], 1, v[5:6]
	v_add_u32_e32 v15, 0x100, v7
	v_add_co_u32_e32 v8, vcc, v2, v8
	v_addc_co_u32_e32 v9, vcc, v3, v9, vcc
	flat_load_ushort v6, v[8:9]
	s_waitcnt vmcnt(0) lgkmcnt(0)
	v_lshlrev_b32_e32 v9, 16, v6
.LBB68_2:
	s_or_b64 exec, exec, s[6:7]
	v_cmp_lt_i32_e32 vcc, v15, v4
	s_and_saveexec_b64 s[6:7], vcc
	s_cbranch_execz .LBB68_4
; %bb.3:
	v_add_u32_e32 v10, s18, v15
	v_mov_b32_e32 v11, 0
	v_lshlrev_b64 v[10:11], 1, v[10:11]
	v_add_u32_e32 v15, 0x100, v15
	v_add_co_u32_e32 v10, vcc, v2, v10
	v_addc_co_u32_e32 v11, vcc, v3, v11, vcc
	flat_load_ushort v6, v[10:11]
	s_waitcnt vmcnt(0) lgkmcnt(0)
	v_lshlrev_b32_e32 v11, 16, v6
.LBB68_4:
	s_or_b64 exec, exec, s[6:7]
	v_cmp_lt_i32_e32 vcc, v15, v4
	v_mov_b32_e32 v14, 0
	v_mov_b32_e32 v13, 0
	s_and_saveexec_b64 s[6:7], vcc
	s_cbranch_execz .LBB68_6
; %bb.5:
	v_add_u32_e32 v12, s18, v15
	v_mov_b32_e32 v13, 0
	v_lshlrev_b64 v[12:13], 1, v[12:13]
	v_add_u32_e32 v15, 0x100, v15
	v_add_co_u32_e32 v12, vcc, v2, v12
	v_addc_co_u32_e32 v13, vcc, v3, v13, vcc
	flat_load_ushort v6, v[12:13]
	s_waitcnt vmcnt(0) lgkmcnt(0)
	v_lshlrev_b32_e32 v13, 16, v6
.LBB68_6:
	s_or_b64 exec, exec, s[6:7]
	v_cmp_lt_i32_e32 vcc, v15, v4
	s_and_saveexec_b64 s[6:7], vcc
	s_cbranch_execz .LBB68_8
; %bb.7:
	v_add_u32_e32 v16, s18, v15
	v_mov_b32_e32 v17, 0
	v_lshlrev_b64 v[16:17], 1, v[16:17]
	v_add_u32_e32 v15, 0x100, v15
	v_add_co_u32_e32 v16, vcc, v2, v16
	v_addc_co_u32_e32 v17, vcc, v3, v17, vcc
	flat_load_ushort v6, v[16:17]
	s_waitcnt vmcnt(0) lgkmcnt(0)
	v_lshlrev_b32_e32 v14, 16, v6
.LBB68_8:
	s_or_b64 exec, exec, s[6:7]
	v_cmp_lt_i32_e32 vcc, v15, v4
	v_mov_b32_e32 v10, 0
	v_mov_b32_e32 v12, 0
	s_and_saveexec_b64 s[6:7], vcc
	s_cbranch_execz .LBB68_10
; %bb.9:
	v_add_u32_e32 v16, s18, v15
	v_mov_b32_e32 v17, 0
	v_lshlrev_b64 v[16:17], 1, v[16:17]
	v_add_u32_e32 v15, 0x100, v15
	v_add_co_u32_e32 v16, vcc, v2, v16
	v_addc_co_u32_e32 v17, vcc, v3, v17, vcc
	flat_load_ushort v6, v[16:17]
	s_waitcnt vmcnt(0) lgkmcnt(0)
	v_lshlrev_b32_e32 v12, 16, v6
.LBB68_10:
	s_or_b64 exec, exec, s[6:7]
	v_cmp_lt_i32_e32 vcc, v15, v4
	s_and_saveexec_b64 s[6:7], vcc
	s_cbranch_execz .LBB68_12
; %bb.11:
	v_add_u32_e32 v16, s18, v15
	v_mov_b32_e32 v17, 0
	v_lshlrev_b64 v[16:17], 1, v[16:17]
	v_add_u32_e32 v15, 0x100, v15
	v_add_co_u32_e32 v16, vcc, v2, v16
	v_addc_co_u32_e32 v17, vcc, v3, v17, vcc
	flat_load_ushort v6, v[16:17]
	s_waitcnt vmcnt(0) lgkmcnt(0)
	v_lshlrev_b32_e32 v10, 16, v6
.LBB68_12:
	s_or_b64 exec, exec, s[6:7]
	v_cmp_lt_i32_e32 vcc, v15, v4
	v_mov_b32_e32 v6, 0
	v_mov_b32_e32 v8, 0
	s_and_saveexec_b64 s[6:7], vcc
	s_cbranch_execnz .LBB68_15
; %bb.13:
	s_or_b64 exec, exec, s[6:7]
	v_cmp_lt_i32_e32 vcc, v15, v4
	s_and_saveexec_b64 s[6:7], vcc
	s_cbranch_execnz .LBB68_16
.LBB68_14:
	s_or_b64 exec, exec, s[6:7]
                                        ; implicit-def: $vgpr2
	s_and_saveexec_b64 s[12:13], s[4:5]
	s_cbranch_execnz .LBB68_17
	s_branch .LBB68_24
.LBB68_15:
	v_add_u32_e32 v16, s18, v15
	v_mov_b32_e32 v17, 0
	v_lshlrev_b64 v[16:17], 1, v[16:17]
	v_add_u32_e32 v15, 0x100, v15
	v_add_co_u32_e32 v16, vcc, v2, v16
	v_addc_co_u32_e32 v17, vcc, v3, v17, vcc
	flat_load_ushort v8, v[16:17]
	s_waitcnt vmcnt(0) lgkmcnt(0)
	v_lshlrev_b32_e32 v8, 16, v8
	s_or_b64 exec, exec, s[6:7]
	v_cmp_lt_i32_e32 vcc, v15, v4
	s_and_saveexec_b64 s[6:7], vcc
	s_cbranch_execz .LBB68_14
.LBB68_16:
	v_add_u32_e32 v15, s18, v15
	v_mov_b32_e32 v16, 0
	v_lshlrev_b64 v[15:16], 1, v[15:16]
	v_add_co_u32_e32 v2, vcc, v2, v15
	v_addc_co_u32_e32 v3, vcc, v3, v16, vcc
	flat_load_ushort v2, v[2:3]
	s_waitcnt vmcnt(0) lgkmcnt(0)
	v_lshlrev_b32_e32 v6, 16, v2
	s_or_b64 exec, exec, s[6:7]
                                        ; implicit-def: $vgpr2
	s_and_saveexec_b64 s[12:13], s[4:5]
	s_cbranch_execz .LBB68_24
.LBB68_17:
	v_cmp_gt_f32_e32 vcc, 0.5, v9
	v_mov_b32_e32 v3, 0
	v_mov_b32_e32 v2, 1.0
	s_and_saveexec_b64 s[14:15], vcc
	s_cbranch_execz .LBB68_23
; %bb.18:
	v_mul_f32_e32 v2, 0x40490fdb, v9
	s_brev_b32 s6, 18
	v_and_b32_e32 v3, 0x7fffffff, v2
	v_cmp_nlt_f32_e64 s[6:7], |v2|, s6
                                        ; implicit-def: $vgpr15
                                        ; implicit-def: $vgpr16
	s_and_saveexec_b64 s[8:9], s[6:7]
	s_xor_b64 s[16:17], exec, s[8:9]
	s_cbranch_execz .LBB68_20
; %bb.19:
	v_and_b32_e32 v15, 0x7fffff, v3
	v_or_b32_e32 v24, 0x800000, v15
	s_mov_b32 s6, 0xfe5163ab
	v_mad_u64_u32 v[15:16], s[6:7], v24, s6, 0
	v_mov_b32_e32 v17, 0
	s_mov_b32 s6, 0x3c439041
	v_mad_u64_u32 v[18:19], s[6:7], v24, s6, v[16:17]
	s_mov_b32 s6, 0xdb629599
	v_not_b32_e32 v23, 63
	v_mov_b32_e32 v16, v19
	v_mad_u64_u32 v[19:20], s[6:7], v24, s6, v[16:17]
	s_mov_b32 s6, 0xf534ddc0
	v_not_b32_e32 v26, 31
	v_mov_b32_e32 v16, v20
	v_mad_u64_u32 v[20:21], s[6:7], v24, s6, v[16:17]
	v_lshrrev_b32_e32 v16, 23, v3
	v_add_u32_e32 v25, 0xffffff88, v16
	v_mov_b32_e32 v16, v21
	s_mov_b32 s6, 0xfc2757d1
	v_mad_u64_u32 v[21:22], s[6:7], v24, s6, v[16:17]
	v_cmp_lt_u32_e32 vcc, 63, v25
	v_cndmask_b32_e32 v16, 0, v23, vcc
	v_add_u32_e32 v25, v16, v25
	v_mov_b32_e32 v16, v22
	s_mov_b32 s6, 0x4e441529
	v_mad_u64_u32 v[22:23], s[6:7], v24, s6, v[16:17]
	v_cmp_lt_u32_e64 s[6:7], 31, v25
	v_cndmask_b32_e64 v16, 0, v26, s[6:7]
	v_add_u32_e32 v25, v16, v25
	v_mov_b32_e32 v16, v23
	s_mov_b32 s8, 0xa2f9836e
	v_mad_u64_u32 v[16:17], s[8:9], v24, s8, v[16:17]
	v_cmp_lt_u32_e64 s[8:9], 31, v25
	v_cndmask_b32_e64 v23, 0, v26, s[8:9]
	v_cndmask_b32_e32 v24, v22, v20, vcc
	v_cndmask_b32_e32 v16, v16, v21, vcc
	;; [unrolled: 1-line block ×3, first 2 shown]
	v_add_u32_e32 v23, v23, v25
	v_cndmask_b32_e64 v25, v16, v24, s[6:7]
	v_cndmask_b32_e64 v16, v17, v16, s[6:7]
	v_cndmask_b32_e32 v17, v21, v19, vcc
	v_cndmask_b32_e64 v21, v24, v17, s[6:7]
	v_cndmask_b32_e64 v16, v16, v25, s[8:9]
	;; [unrolled: 1-line block ×3, first 2 shown]
	v_sub_u32_e32 v24, 32, v23
	v_alignbit_b32 v25, v16, v22, v24
	v_cmp_eq_u32_e64 s[10:11], 0, v23
	v_cndmask_b32_e64 v23, v25, v16, s[10:11]
	v_cndmask_b32_e32 v16, v20, v18, vcc
	v_cndmask_b32_e64 v17, v17, v16, s[6:7]
	v_cndmask_b32_e64 v18, v21, v17, s[8:9]
	v_alignbit_b32 v20, v22, v18, v24
	v_cndmask_b32_e32 v15, v19, v15, vcc
	v_cndmask_b32_e64 v20, v20, v22, s[10:11]
	v_bfe_u32 v25, v23, 29, 1
	v_cndmask_b32_e64 v15, v16, v15, s[6:7]
	v_alignbit_b32 v21, v23, v20, 30
	v_sub_u32_e32 v26, 0, v25
	v_cndmask_b32_e64 v15, v17, v15, s[8:9]
	v_xor_b32_e32 v21, v21, v26
	v_alignbit_b32 v16, v18, v15, v24
	v_cndmask_b32_e64 v16, v16, v18, s[10:11]
	v_ffbh_u32_e32 v18, v21
	v_alignbit_b32 v17, v20, v16, 30
	v_min_u32_e32 v18, 32, v18
	v_alignbit_b32 v15, v16, v15, 30
	v_xor_b32_e32 v17, v17, v26
	v_sub_u32_e32 v19, 31, v18
	v_xor_b32_e32 v15, v15, v26
	v_alignbit_b32 v20, v21, v17, v19
	v_alignbit_b32 v15, v17, v15, v19
	v_alignbit_b32 v16, v20, v15, 9
	v_ffbh_u32_e32 v17, v16
	v_min_u32_e32 v17, 32, v17
	v_lshrrev_b32_e32 v22, 29, v23
	v_not_b32_e32 v19, v17
	v_alignbit_b32 v15, v16, v15, v19
	v_lshlrev_b32_e32 v16, 31, v22
	v_or_b32_e32 v19, 0x33000000, v16
	v_add_lshl_u32 v17, v17, v18, 23
	v_lshrrev_b32_e32 v15, 9, v15
	v_sub_u32_e32 v17, v19, v17
	v_or_b32_e32 v16, 0.5, v16
	v_lshlrev_b32_e32 v18, 23, v18
	v_or_b32_e32 v15, v17, v15
	v_lshrrev_b32_e32 v17, 9, v20
	v_sub_u32_e32 v16, v16, v18
	v_or_b32_e32 v16, v17, v16
	s_mov_b32 s6, 0x3fc90fda
	v_mul_f32_e32 v17, 0x3fc90fda, v16
	v_fma_f32 v18, v16, s6, -v17
	v_fmac_f32_e32 v18, 0x33a22168, v16
	v_fmac_f32_e32 v18, 0x3fc90fda, v15
	v_lshrrev_b32_e32 v15, 30, v23
	v_add_f32_e32 v16, v17, v18
	v_add_u32_e32 v15, v25, v15
.LBB68_20:
	s_andn2_saveexec_b64 s[6:7], s[16:17]
	s_cbranch_execz .LBB68_22
; %bb.21:
	s_mov_b32 s8, 0x3f22f983
	v_mul_f32_e64 v15, |v2|, s8
	v_rndne_f32_e32 v17, v15
	s_mov_b32 s8, 0xbfc90fda
	v_cvt_i32_f32_e32 v15, v17
	v_fma_f32 v16, v17, s8, |v2|
	v_fmac_f32_e32 v16, 0xb3a22168, v17
	v_fmac_f32_e32 v16, 0xa7c234c4, v17
.LBB68_22:
	s_or_b64 exec, exec, s[6:7]
	v_mul_f32_e32 v17, v16, v16
	v_mov_b32_e32 v18, 0x3c0881c4
	v_fmac_f32_e32 v18, 0xb94c1982, v17
	v_mov_b32_e32 v19, 0xbe2aaa9d
	v_fmac_f32_e32 v19, v17, v18
	v_mul_f32_e32 v18, v17, v19
	v_fmac_f32_e32 v16, v16, v18
	v_mov_b32_e32 v18, 0xbab64f3b
	v_fmac_f32_e32 v18, 0x37d75334, v17
	v_mov_b32_e32 v19, 0x3d2aabf7
	;; [unrolled: 2-line block ×3, first 2 shown]
	v_fmac_f32_e32 v18, v17, v19
	v_fma_f32 v17, v17, v18, 1.0
	v_and_b32_e32 v18, 1, v15
	v_lshlrev_b32_e32 v15, 30, v15
	v_cmp_eq_u32_e32 vcc, 0, v18
	v_and_b32_e32 v15, 0x80000000, v15
	v_xor_b32_e32 v3, v3, v2
	v_cndmask_b32_e32 v16, v17, v16, vcc
	v_xor_b32_e32 v3, v3, v15
	s_movk_i32 s6, 0x1f8
	v_xor_b32_e32 v3, v3, v16
	v_mov_b32_e32 v15, 0x7fc00000
	v_cmp_class_f32_e64 vcc, v2, s6
	v_cndmask_b32_e32 v2, v15, v3, vcc
	v_mul_f32_e32 v2, v2, v2
	s_mov_b32 s8, 0xc11de9e7
	v_div_scale_f32 v3, s[6:7], v2, v2, s8
	v_div_scale_f32 v15, vcc, s8, v2, s8
	v_sub_f32_e32 v9, 1.0, v9
	v_rcp_f32_e32 v16, v3
	v_fma_f32 v17, -v3, v16, 1.0
	v_fmac_f32_e32 v16, v17, v16
	v_mul_f32_e32 v17, v15, v16
	v_fma_f32 v18, -v3, v17, v15
	v_fmac_f32_e32 v17, v18, v16
	v_fma_f32 v3, -v3, v17, v15
	v_div_fmas_f32 v3, v3, v16, v17
	v_div_fixup_f32 v2, v3, v2, s8
	v_add_f32_e32 v3, 0, v2
	v_mov_b32_e32 v2, -1.0
.LBB68_23:
	s_or_b64 exec, exec, s[14:15]
	v_mul_f32_e32 v15, v9, v9
	v_div_scale_f32 v16, s[6:7], v15, v15, 1.0
	v_add_f32_e32 v9, 1.0, v9
	v_rcp_f32_e32 v17, v16
	v_fma_f32 v18, -v16, v17, 1.0
	v_fmac_f32_e32 v17, v18, v17
	v_div_scale_f32 v18, vcc, 1.0, v15, 1.0
	v_mul_f32_e32 v19, v18, v17
	v_fma_f32 v20, -v16, v19, v18
	v_fmac_f32_e32 v19, v20, v17
	v_fma_f32 v16, -v16, v19, v18
	v_div_fmas_f32 v16, v16, v17, v19
	v_div_fixup_f32 v15, v16, v15, 1.0
	v_add_f32_e32 v3, v3, v15
	v_mul_f32_e32 v15, v9, v9
	v_div_scale_f32 v16, s[6:7], v15, v15, 1.0
	v_add_f32_e32 v9, 1.0, v9
	v_rcp_f32_e32 v17, v16
	v_fma_f32 v18, -v16, v17, 1.0
	v_fmac_f32_e32 v17, v18, v17
	v_div_scale_f32 v18, vcc, 1.0, v15, 1.0
	v_mul_f32_e32 v19, v18, v17
	v_fma_f32 v20, -v16, v19, v18
	v_fmac_f32_e32 v19, v20, v17
	v_fma_f32 v16, -v16, v19, v18
	v_div_fmas_f32 v16, v16, v17, v19
	v_div_fixup_f32 v15, v16, v15, 1.0
	v_add_f32_e32 v3, v3, v15
	;; [unrolled: 14-line block ×6, first 2 shown]
	v_mul_f32_e32 v15, v9, v9
	v_div_scale_f32 v16, s[6:7], v15, v15, 1.0
	v_rcp_f32_e32 v17, v16
	v_fma_f32 v18, -v16, v17, 1.0
	v_fmac_f32_e32 v17, v18, v17
	v_div_scale_f32 v18, vcc, 1.0, v15, 1.0
	v_mul_f32_e32 v19, v18, v17
	v_fma_f32 v20, -v16, v19, v18
	v_fmac_f32_e32 v19, v20, v17
	v_fma_f32 v16, -v16, v19, v18
	v_div_fmas_f32 v16, v16, v17, v19
	v_div_fixup_f32 v15, v16, v15, 1.0
	v_add_f32_e32 v16, v9, v9
	v_div_scale_f32 v17, s[6:7], v16, v16, 1.0
	s_mov_b32 s6, 0x3e2aaaab
	v_rcp_f32_e32 v18, v17
	v_fma_f32 v19, -v17, v18, 1.0
	v_fmac_f32_e32 v18, v19, v18
	v_div_scale_f32 v19, vcc, 1.0, v16, 1.0
	v_mul_f32_e32 v20, v19, v18
	v_fma_f32 v21, -v17, v20, v19
	v_fmac_f32_e32 v20, v21, v18
	v_fma_f32 v17, -v17, v20, v19
	v_div_fmas_f32 v17, v17, v18, v20
	v_div_fixup_f32 v16, v17, v16, 1.0
	v_mov_b32_e32 v17, 0x3d088889
	v_fmac_f32_e32 v17, 0xbcc30c31, v15
	v_add_f32_e32 v16, 1.0, v16
	v_fma_f32 v17, -v15, v17, s6
	v_fmac_f32_e32 v16, v15, v17
	v_div_scale_f32 v15, s[6:7], v9, v9, v16
	s_movk_i32 s6, 0x7fff
	v_rcp_f32_e32 v17, v15
	v_fma_f32 v18, -v15, v17, 1.0
	v_fmac_f32_e32 v17, v18, v17
	v_div_scale_f32 v18, vcc, v16, v9, v16
	v_mul_f32_e32 v19, v18, v17
	v_fma_f32 v20, -v15, v19, v18
	v_fmac_f32_e32 v19, v20, v17
	v_fma_f32 v15, -v15, v19, v18
	v_div_fmas_f32 v15, v15, v17, v19
	v_div_fixup_f32 v9, v15, v9, v16
	v_add_f32_e32 v3, v3, v9
	v_mul_f32_e32 v2, v2, v3
	v_bfe_u32 v3, v2, 16, 1
	v_add3_u32 v3, v2, v3, s6
	v_cmp_o_f32_e32 vcc, v2, v2
	v_mov_b32_e32 v2, 0x7fc0
	v_cndmask_b32_sdwa v2, v2, v3, vcc dst_sel:DWORD dst_unused:UNUSED_PAD src0_sel:DWORD src1_sel:WORD_1
.LBB68_24:
	s_or_b64 exec, exec, s[12:13]
	v_add_u32_e32 v3, 0x100, v7
	v_cmp_lt_i32_e32 vcc, v3, v4
                                        ; implicit-def: $vgpr9
	s_and_saveexec_b64 s[12:13], vcc
	s_cbranch_execz .LBB68_32
; %bb.25:
	v_cmp_gt_f32_e32 vcc, 0.5, v11
	v_mov_b32_e32 v15, 0
	v_mov_b32_e32 v9, 1.0
	s_and_saveexec_b64 s[14:15], vcc
	s_cbranch_execz .LBB68_31
; %bb.26:
	v_mul_f32_e32 v9, 0x40490fdb, v11
	s_brev_b32 s6, 18
	v_and_b32_e32 v15, 0x7fffffff, v9
	v_cmp_nlt_f32_e64 s[6:7], |v9|, s6
                                        ; implicit-def: $vgpr16
                                        ; implicit-def: $vgpr17
	s_and_saveexec_b64 s[8:9], s[6:7]
	s_xor_b64 s[16:17], exec, s[8:9]
	s_cbranch_execz .LBB68_28
; %bb.27:
	v_and_b32_e32 v16, 0x7fffff, v15
	v_or_b32_e32 v25, 0x800000, v16
	s_mov_b32 s6, 0xfe5163ab
	v_mad_u64_u32 v[16:17], s[6:7], v25, s6, 0
	v_mov_b32_e32 v18, 0
	s_mov_b32 s6, 0x3c439041
	v_mad_u64_u32 v[19:20], s[6:7], v25, s6, v[17:18]
	s_mov_b32 s6, 0xdb629599
	v_not_b32_e32 v24, 63
	v_mov_b32_e32 v17, v20
	v_mad_u64_u32 v[20:21], s[6:7], v25, s6, v[17:18]
	s_mov_b32 s6, 0xf534ddc0
	v_not_b32_e32 v27, 31
	v_mov_b32_e32 v17, v21
	v_mad_u64_u32 v[21:22], s[6:7], v25, s6, v[17:18]
	v_lshrrev_b32_e32 v17, 23, v15
	v_add_u32_e32 v26, 0xffffff88, v17
	v_mov_b32_e32 v17, v22
	s_mov_b32 s6, 0xfc2757d1
	v_mad_u64_u32 v[22:23], s[6:7], v25, s6, v[17:18]
	v_cmp_lt_u32_e32 vcc, 63, v26
	v_cndmask_b32_e32 v17, 0, v24, vcc
	v_add_u32_e32 v26, v17, v26
	v_mov_b32_e32 v17, v23
	s_mov_b32 s6, 0x4e441529
	v_mad_u64_u32 v[23:24], s[6:7], v25, s6, v[17:18]
	v_cmp_lt_u32_e64 s[6:7], 31, v26
	v_cndmask_b32_e64 v17, 0, v27, s[6:7]
	v_add_u32_e32 v26, v17, v26
	v_mov_b32_e32 v17, v24
	s_mov_b32 s8, 0xa2f9836e
	v_mad_u64_u32 v[17:18], s[8:9], v25, s8, v[17:18]
	v_cmp_lt_u32_e64 s[8:9], 31, v26
	v_cndmask_b32_e32 v25, v23, v21, vcc
	v_cndmask_b32_e32 v18, v18, v23, vcc
	v_cndmask_b32_e32 v17, v17, v22, vcc
	v_cndmask_b32_e64 v24, 0, v27, s[8:9]
	v_cndmask_b32_e64 v23, v17, v25, s[6:7]
	;; [unrolled: 1-line block ×3, first 2 shown]
	v_cndmask_b32_e32 v18, v22, v20, vcc
	v_add_u32_e32 v24, v24, v26
	v_cndmask_b32_e64 v22, v25, v18, s[6:7]
	v_cndmask_b32_e64 v17, v17, v23, s[8:9]
	;; [unrolled: 1-line block ×3, first 2 shown]
	v_sub_u32_e32 v25, 32, v24
	v_alignbit_b32 v26, v17, v23, v25
	v_cmp_eq_u32_e64 s[10:11], 0, v24
	v_cndmask_b32_e64 v24, v26, v17, s[10:11]
	v_cndmask_b32_e32 v17, v21, v19, vcc
	v_cndmask_b32_e64 v18, v18, v17, s[6:7]
	v_cndmask_b32_e64 v19, v22, v18, s[8:9]
	v_alignbit_b32 v21, v23, v19, v25
	v_cndmask_b32_e32 v16, v20, v16, vcc
	v_cndmask_b32_e64 v21, v21, v23, s[10:11]
	v_bfe_u32 v26, v24, 29, 1
	v_cndmask_b32_e64 v16, v17, v16, s[6:7]
	v_alignbit_b32 v22, v24, v21, 30
	v_sub_u32_e32 v27, 0, v26
	v_cndmask_b32_e64 v16, v18, v16, s[8:9]
	v_xor_b32_e32 v22, v22, v27
	v_alignbit_b32 v17, v19, v16, v25
	v_cndmask_b32_e64 v17, v17, v19, s[10:11]
	v_ffbh_u32_e32 v19, v22
	v_alignbit_b32 v18, v21, v17, 30
	v_min_u32_e32 v19, 32, v19
	v_alignbit_b32 v16, v17, v16, 30
	v_xor_b32_e32 v18, v18, v27
	v_sub_u32_e32 v20, 31, v19
	v_xor_b32_e32 v16, v16, v27
	v_alignbit_b32 v21, v22, v18, v20
	v_alignbit_b32 v16, v18, v16, v20
	;; [unrolled: 1-line block ×3, first 2 shown]
	v_ffbh_u32_e32 v18, v17
	v_min_u32_e32 v18, 32, v18
	v_lshrrev_b32_e32 v23, 29, v24
	v_not_b32_e32 v20, v18
	v_alignbit_b32 v16, v17, v16, v20
	v_lshlrev_b32_e32 v17, 31, v23
	v_or_b32_e32 v20, 0x33000000, v17
	v_add_lshl_u32 v18, v18, v19, 23
	v_lshrrev_b32_e32 v16, 9, v16
	v_sub_u32_e32 v18, v20, v18
	v_or_b32_e32 v17, 0.5, v17
	v_lshlrev_b32_e32 v19, 23, v19
	v_or_b32_e32 v16, v18, v16
	v_lshrrev_b32_e32 v18, 9, v21
	v_sub_u32_e32 v17, v17, v19
	v_or_b32_e32 v17, v18, v17
	s_mov_b32 s6, 0x3fc90fda
	v_mul_f32_e32 v18, 0x3fc90fda, v17
	v_fma_f32 v19, v17, s6, -v18
	v_fmac_f32_e32 v19, 0x33a22168, v17
	v_fmac_f32_e32 v19, 0x3fc90fda, v16
	v_lshrrev_b32_e32 v16, 30, v24
	v_add_f32_e32 v17, v18, v19
	v_add_u32_e32 v16, v26, v16
.LBB68_28:
	s_andn2_saveexec_b64 s[6:7], s[16:17]
	s_cbranch_execz .LBB68_30
; %bb.29:
	s_mov_b32 s8, 0x3f22f983
	v_mul_f32_e64 v16, |v9|, s8
	v_rndne_f32_e32 v18, v16
	s_mov_b32 s8, 0xbfc90fda
	v_cvt_i32_f32_e32 v16, v18
	v_fma_f32 v17, v18, s8, |v9|
	v_fmac_f32_e32 v17, 0xb3a22168, v18
	v_fmac_f32_e32 v17, 0xa7c234c4, v18
.LBB68_30:
	s_or_b64 exec, exec, s[6:7]
	v_mul_f32_e32 v18, v17, v17
	v_mov_b32_e32 v19, 0x3c0881c4
	v_fmac_f32_e32 v19, 0xb94c1982, v18
	v_mov_b32_e32 v20, 0xbe2aaa9d
	v_fmac_f32_e32 v20, v18, v19
	v_mul_f32_e32 v19, v18, v20
	v_fmac_f32_e32 v17, v17, v19
	v_mov_b32_e32 v19, 0xbab64f3b
	v_fmac_f32_e32 v19, 0x37d75334, v18
	v_mov_b32_e32 v20, 0x3d2aabf7
	;; [unrolled: 2-line block ×3, first 2 shown]
	v_fmac_f32_e32 v19, v18, v20
	v_fma_f32 v18, v18, v19, 1.0
	v_and_b32_e32 v19, 1, v16
	v_lshlrev_b32_e32 v16, 30, v16
	v_cmp_eq_u32_e32 vcc, 0, v19
	v_and_b32_e32 v16, 0x80000000, v16
	v_xor_b32_e32 v15, v15, v9
	v_cndmask_b32_e32 v17, v18, v17, vcc
	v_xor_b32_e32 v15, v15, v16
	s_movk_i32 s6, 0x1f8
	v_xor_b32_e32 v15, v15, v17
	v_mov_b32_e32 v16, 0x7fc00000
	v_cmp_class_f32_e64 vcc, v9, s6
	v_cndmask_b32_e32 v9, v16, v15, vcc
	v_mul_f32_e32 v9, v9, v9
	s_mov_b32 s8, 0xc11de9e7
	v_div_scale_f32 v15, s[6:7], v9, v9, s8
	v_div_scale_f32 v16, vcc, s8, v9, s8
	v_sub_f32_e32 v11, 1.0, v11
	v_rcp_f32_e32 v17, v15
	v_fma_f32 v18, -v15, v17, 1.0
	v_fmac_f32_e32 v17, v18, v17
	v_mul_f32_e32 v18, v16, v17
	v_fma_f32 v19, -v15, v18, v16
	v_fmac_f32_e32 v18, v19, v17
	v_fma_f32 v15, -v15, v18, v16
	v_div_fmas_f32 v15, v15, v17, v18
	v_div_fixup_f32 v9, v15, v9, s8
	v_add_f32_e32 v15, 0, v9
	v_mov_b32_e32 v9, -1.0
.LBB68_31:
	s_or_b64 exec, exec, s[14:15]
	v_mul_f32_e32 v16, v11, v11
	v_div_scale_f32 v17, s[6:7], v16, v16, 1.0
	v_add_f32_e32 v11, 1.0, v11
	v_rcp_f32_e32 v18, v17
	v_fma_f32 v19, -v17, v18, 1.0
	v_fmac_f32_e32 v18, v19, v18
	v_div_scale_f32 v19, vcc, 1.0, v16, 1.0
	v_mul_f32_e32 v20, v19, v18
	v_fma_f32 v21, -v17, v20, v19
	v_fmac_f32_e32 v20, v21, v18
	v_fma_f32 v17, -v17, v20, v19
	v_div_fmas_f32 v17, v17, v18, v20
	v_div_fixup_f32 v16, v17, v16, 1.0
	v_add_f32_e32 v15, v15, v16
	v_mul_f32_e32 v16, v11, v11
	v_div_scale_f32 v17, s[6:7], v16, v16, 1.0
	v_add_f32_e32 v11, 1.0, v11
	v_rcp_f32_e32 v18, v17
	v_fma_f32 v19, -v17, v18, 1.0
	v_fmac_f32_e32 v18, v19, v18
	v_div_scale_f32 v19, vcc, 1.0, v16, 1.0
	v_mul_f32_e32 v20, v19, v18
	v_fma_f32 v21, -v17, v20, v19
	v_fmac_f32_e32 v20, v21, v18
	v_fma_f32 v17, -v17, v20, v19
	v_div_fmas_f32 v17, v17, v18, v20
	v_div_fixup_f32 v16, v17, v16, 1.0
	v_add_f32_e32 v15, v15, v16
	;; [unrolled: 14-line block ×6, first 2 shown]
	v_mul_f32_e32 v16, v11, v11
	v_div_scale_f32 v17, s[6:7], v16, v16, 1.0
	v_rcp_f32_e32 v18, v17
	v_fma_f32 v19, -v17, v18, 1.0
	v_fmac_f32_e32 v18, v19, v18
	v_div_scale_f32 v19, vcc, 1.0, v16, 1.0
	v_mul_f32_e32 v20, v19, v18
	v_fma_f32 v21, -v17, v20, v19
	v_fmac_f32_e32 v20, v21, v18
	v_fma_f32 v17, -v17, v20, v19
	v_div_fmas_f32 v17, v17, v18, v20
	v_div_fixup_f32 v16, v17, v16, 1.0
	v_add_f32_e32 v17, v11, v11
	v_div_scale_f32 v18, s[6:7], v17, v17, 1.0
	s_mov_b32 s6, 0x3e2aaaab
	v_rcp_f32_e32 v19, v18
	v_fma_f32 v20, -v18, v19, 1.0
	v_fmac_f32_e32 v19, v20, v19
	v_div_scale_f32 v20, vcc, 1.0, v17, 1.0
	v_mul_f32_e32 v21, v20, v19
	v_fma_f32 v22, -v18, v21, v20
	v_fmac_f32_e32 v21, v22, v19
	v_fma_f32 v18, -v18, v21, v20
	v_div_fmas_f32 v18, v18, v19, v21
	v_div_fixup_f32 v17, v18, v17, 1.0
	v_mov_b32_e32 v18, 0x3d088889
	v_fmac_f32_e32 v18, 0xbcc30c31, v16
	v_add_f32_e32 v17, 1.0, v17
	v_fma_f32 v18, -v16, v18, s6
	v_fmac_f32_e32 v17, v16, v18
	v_div_scale_f32 v16, s[6:7], v11, v11, v17
	s_movk_i32 s6, 0x7fff
	v_rcp_f32_e32 v18, v16
	v_fma_f32 v19, -v16, v18, 1.0
	v_fmac_f32_e32 v18, v19, v18
	v_div_scale_f32 v19, vcc, v17, v11, v17
	v_mul_f32_e32 v20, v19, v18
	v_fma_f32 v21, -v16, v20, v19
	v_fmac_f32_e32 v20, v21, v18
	v_fma_f32 v16, -v16, v20, v19
	v_div_fmas_f32 v16, v16, v18, v20
	v_div_fixup_f32 v11, v16, v11, v17
	v_add_f32_e32 v11, v15, v11
	v_mul_f32_e32 v9, v9, v11
	v_bfe_u32 v11, v9, 16, 1
	v_add3_u32 v11, v9, v11, s6
	v_cmp_o_f32_e32 vcc, v9, v9
	v_mov_b32_e32 v9, 0x7fc0
	v_cndmask_b32_sdwa v9, v9, v11, vcc dst_sel:DWORD dst_unused:UNUSED_PAD src0_sel:DWORD src1_sel:WORD_1
.LBB68_32:
	s_or_b64 exec, exec, s[12:13]
	v_add_u32_e32 v11, 0x200, v7
	v_cmp_lt_i32_e32 vcc, v11, v4
                                        ; implicit-def: $vgpr11
	s_and_saveexec_b64 s[12:13], vcc
	s_cbranch_execz .LBB68_40
; %bb.33:
	v_cmp_gt_f32_e32 vcc, 0.5, v13
	v_mov_b32_e32 v15, 0
	v_mov_b32_e32 v11, 1.0
	s_and_saveexec_b64 s[14:15], vcc
	s_cbranch_execz .LBB68_39
; %bb.34:
	v_mul_f32_e32 v11, 0x40490fdb, v13
	s_brev_b32 s6, 18
	v_and_b32_e32 v15, 0x7fffffff, v11
	v_cmp_nlt_f32_e64 s[6:7], |v11|, s6
                                        ; implicit-def: $vgpr16
                                        ; implicit-def: $vgpr17
	s_and_saveexec_b64 s[8:9], s[6:7]
	s_xor_b64 s[16:17], exec, s[8:9]
	s_cbranch_execz .LBB68_36
; %bb.35:
	v_and_b32_e32 v16, 0x7fffff, v15
	v_or_b32_e32 v25, 0x800000, v16
	s_mov_b32 s6, 0xfe5163ab
	v_mad_u64_u32 v[16:17], s[6:7], v25, s6, 0
	v_mov_b32_e32 v18, 0
	s_mov_b32 s6, 0x3c439041
	v_mad_u64_u32 v[19:20], s[6:7], v25, s6, v[17:18]
	s_mov_b32 s6, 0xdb629599
	v_not_b32_e32 v24, 63
	v_mov_b32_e32 v17, v20
	v_mad_u64_u32 v[20:21], s[6:7], v25, s6, v[17:18]
	s_mov_b32 s6, 0xf534ddc0
	v_not_b32_e32 v27, 31
	v_mov_b32_e32 v17, v21
	v_mad_u64_u32 v[21:22], s[6:7], v25, s6, v[17:18]
	v_lshrrev_b32_e32 v17, 23, v15
	v_add_u32_e32 v26, 0xffffff88, v17
	v_mov_b32_e32 v17, v22
	s_mov_b32 s6, 0xfc2757d1
	v_mad_u64_u32 v[22:23], s[6:7], v25, s6, v[17:18]
	v_cmp_lt_u32_e32 vcc, 63, v26
	v_cndmask_b32_e32 v17, 0, v24, vcc
	v_add_u32_e32 v26, v17, v26
	v_mov_b32_e32 v17, v23
	s_mov_b32 s6, 0x4e441529
	v_mad_u64_u32 v[23:24], s[6:7], v25, s6, v[17:18]
	v_cmp_lt_u32_e64 s[6:7], 31, v26
	v_cndmask_b32_e64 v17, 0, v27, s[6:7]
	v_add_u32_e32 v26, v17, v26
	v_mov_b32_e32 v17, v24
	s_mov_b32 s8, 0xa2f9836e
	v_mad_u64_u32 v[17:18], s[8:9], v25, s8, v[17:18]
	v_cmp_lt_u32_e64 s[8:9], 31, v26
	v_cndmask_b32_e64 v24, 0, v27, s[8:9]
	v_cndmask_b32_e32 v25, v23, v21, vcc
	v_cndmask_b32_e32 v17, v17, v22, vcc
	;; [unrolled: 1-line block ×3, first 2 shown]
	v_add_u32_e32 v24, v24, v26
	v_cndmask_b32_e64 v26, v17, v25, s[6:7]
	v_cndmask_b32_e64 v17, v18, v17, s[6:7]
	v_cndmask_b32_e32 v18, v22, v20, vcc
	v_cndmask_b32_e64 v22, v25, v18, s[6:7]
	v_cndmask_b32_e64 v17, v17, v26, s[8:9]
	;; [unrolled: 1-line block ×3, first 2 shown]
	v_sub_u32_e32 v25, 32, v24
	v_alignbit_b32 v26, v17, v23, v25
	v_cmp_eq_u32_e64 s[10:11], 0, v24
	v_cndmask_b32_e64 v24, v26, v17, s[10:11]
	v_cndmask_b32_e32 v17, v21, v19, vcc
	v_cndmask_b32_e64 v18, v18, v17, s[6:7]
	v_cndmask_b32_e64 v19, v22, v18, s[8:9]
	v_alignbit_b32 v21, v23, v19, v25
	v_cndmask_b32_e32 v16, v20, v16, vcc
	v_cndmask_b32_e64 v21, v21, v23, s[10:11]
	v_bfe_u32 v26, v24, 29, 1
	v_cndmask_b32_e64 v16, v17, v16, s[6:7]
	v_alignbit_b32 v22, v24, v21, 30
	v_sub_u32_e32 v27, 0, v26
	v_cndmask_b32_e64 v16, v18, v16, s[8:9]
	v_xor_b32_e32 v22, v22, v27
	v_alignbit_b32 v17, v19, v16, v25
	v_cndmask_b32_e64 v17, v17, v19, s[10:11]
	v_ffbh_u32_e32 v19, v22
	v_alignbit_b32 v18, v21, v17, 30
	v_min_u32_e32 v19, 32, v19
	v_alignbit_b32 v16, v17, v16, 30
	v_xor_b32_e32 v18, v18, v27
	v_sub_u32_e32 v20, 31, v19
	v_xor_b32_e32 v16, v16, v27
	v_alignbit_b32 v21, v22, v18, v20
	v_alignbit_b32 v16, v18, v16, v20
	;; [unrolled: 1-line block ×3, first 2 shown]
	v_ffbh_u32_e32 v18, v17
	v_min_u32_e32 v18, 32, v18
	v_lshrrev_b32_e32 v23, 29, v24
	v_not_b32_e32 v20, v18
	v_alignbit_b32 v16, v17, v16, v20
	v_lshlrev_b32_e32 v17, 31, v23
	v_or_b32_e32 v20, 0x33000000, v17
	v_add_lshl_u32 v18, v18, v19, 23
	v_lshrrev_b32_e32 v16, 9, v16
	v_sub_u32_e32 v18, v20, v18
	v_or_b32_e32 v17, 0.5, v17
	v_lshlrev_b32_e32 v19, 23, v19
	v_or_b32_e32 v16, v18, v16
	v_lshrrev_b32_e32 v18, 9, v21
	v_sub_u32_e32 v17, v17, v19
	v_or_b32_e32 v17, v18, v17
	s_mov_b32 s6, 0x3fc90fda
	v_mul_f32_e32 v18, 0x3fc90fda, v17
	v_fma_f32 v19, v17, s6, -v18
	v_fmac_f32_e32 v19, 0x33a22168, v17
	v_fmac_f32_e32 v19, 0x3fc90fda, v16
	v_lshrrev_b32_e32 v16, 30, v24
	v_add_f32_e32 v17, v18, v19
	v_add_u32_e32 v16, v26, v16
.LBB68_36:
	s_andn2_saveexec_b64 s[6:7], s[16:17]
	s_cbranch_execz .LBB68_38
; %bb.37:
	s_mov_b32 s8, 0x3f22f983
	v_mul_f32_e64 v16, |v11|, s8
	v_rndne_f32_e32 v18, v16
	s_mov_b32 s8, 0xbfc90fda
	v_cvt_i32_f32_e32 v16, v18
	v_fma_f32 v17, v18, s8, |v11|
	v_fmac_f32_e32 v17, 0xb3a22168, v18
	v_fmac_f32_e32 v17, 0xa7c234c4, v18
.LBB68_38:
	s_or_b64 exec, exec, s[6:7]
	v_mul_f32_e32 v18, v17, v17
	v_mov_b32_e32 v19, 0x3c0881c4
	v_fmac_f32_e32 v19, 0xb94c1982, v18
	v_mov_b32_e32 v20, 0xbe2aaa9d
	v_fmac_f32_e32 v20, v18, v19
	v_mul_f32_e32 v19, v18, v20
	v_fmac_f32_e32 v17, v17, v19
	v_mov_b32_e32 v19, 0xbab64f3b
	v_fmac_f32_e32 v19, 0x37d75334, v18
	v_mov_b32_e32 v20, 0x3d2aabf7
	;; [unrolled: 2-line block ×3, first 2 shown]
	v_fmac_f32_e32 v19, v18, v20
	v_fma_f32 v18, v18, v19, 1.0
	v_and_b32_e32 v19, 1, v16
	v_lshlrev_b32_e32 v16, 30, v16
	v_cmp_eq_u32_e32 vcc, 0, v19
	v_and_b32_e32 v16, 0x80000000, v16
	v_xor_b32_e32 v15, v15, v11
	v_cndmask_b32_e32 v17, v18, v17, vcc
	v_xor_b32_e32 v15, v15, v16
	s_movk_i32 s6, 0x1f8
	v_xor_b32_e32 v15, v15, v17
	v_mov_b32_e32 v16, 0x7fc00000
	v_cmp_class_f32_e64 vcc, v11, s6
	v_cndmask_b32_e32 v11, v16, v15, vcc
	v_mul_f32_e32 v11, v11, v11
	s_mov_b32 s8, 0xc11de9e7
	v_div_scale_f32 v15, s[6:7], v11, v11, s8
	v_div_scale_f32 v16, vcc, s8, v11, s8
	v_sub_f32_e32 v13, 1.0, v13
	v_rcp_f32_e32 v17, v15
	v_fma_f32 v18, -v15, v17, 1.0
	v_fmac_f32_e32 v17, v18, v17
	v_mul_f32_e32 v18, v16, v17
	v_fma_f32 v19, -v15, v18, v16
	v_fmac_f32_e32 v18, v19, v17
	v_fma_f32 v15, -v15, v18, v16
	v_div_fmas_f32 v15, v15, v17, v18
	v_div_fixup_f32 v11, v15, v11, s8
	v_add_f32_e32 v15, 0, v11
	v_mov_b32_e32 v11, -1.0
.LBB68_39:
	s_or_b64 exec, exec, s[14:15]
	v_mul_f32_e32 v16, v13, v13
	v_div_scale_f32 v17, s[6:7], v16, v16, 1.0
	v_add_f32_e32 v13, 1.0, v13
	v_rcp_f32_e32 v18, v17
	v_fma_f32 v19, -v17, v18, 1.0
	v_fmac_f32_e32 v18, v19, v18
	v_div_scale_f32 v19, vcc, 1.0, v16, 1.0
	v_mul_f32_e32 v20, v19, v18
	v_fma_f32 v21, -v17, v20, v19
	v_fmac_f32_e32 v20, v21, v18
	v_fma_f32 v17, -v17, v20, v19
	v_div_fmas_f32 v17, v17, v18, v20
	v_div_fixup_f32 v16, v17, v16, 1.0
	v_add_f32_e32 v15, v15, v16
	v_mul_f32_e32 v16, v13, v13
	v_div_scale_f32 v17, s[6:7], v16, v16, 1.0
	v_add_f32_e32 v13, 1.0, v13
	v_rcp_f32_e32 v18, v17
	v_fma_f32 v19, -v17, v18, 1.0
	v_fmac_f32_e32 v18, v19, v18
	v_div_scale_f32 v19, vcc, 1.0, v16, 1.0
	v_mul_f32_e32 v20, v19, v18
	v_fma_f32 v21, -v17, v20, v19
	v_fmac_f32_e32 v20, v21, v18
	v_fma_f32 v17, -v17, v20, v19
	v_div_fmas_f32 v17, v17, v18, v20
	v_div_fixup_f32 v16, v17, v16, 1.0
	v_add_f32_e32 v15, v15, v16
	;; [unrolled: 14-line block ×6, first 2 shown]
	v_mul_f32_e32 v16, v13, v13
	v_div_scale_f32 v17, s[6:7], v16, v16, 1.0
	v_rcp_f32_e32 v18, v17
	v_fma_f32 v19, -v17, v18, 1.0
	v_fmac_f32_e32 v18, v19, v18
	v_div_scale_f32 v19, vcc, 1.0, v16, 1.0
	v_mul_f32_e32 v20, v19, v18
	v_fma_f32 v21, -v17, v20, v19
	v_fmac_f32_e32 v20, v21, v18
	v_fma_f32 v17, -v17, v20, v19
	v_div_fmas_f32 v17, v17, v18, v20
	v_div_fixup_f32 v16, v17, v16, 1.0
	v_add_f32_e32 v17, v13, v13
	v_div_scale_f32 v18, s[6:7], v17, v17, 1.0
	s_mov_b32 s6, 0x3e2aaaab
	v_rcp_f32_e32 v19, v18
	v_fma_f32 v20, -v18, v19, 1.0
	v_fmac_f32_e32 v19, v20, v19
	v_div_scale_f32 v20, vcc, 1.0, v17, 1.0
	v_mul_f32_e32 v21, v20, v19
	v_fma_f32 v22, -v18, v21, v20
	v_fmac_f32_e32 v21, v22, v19
	v_fma_f32 v18, -v18, v21, v20
	v_div_fmas_f32 v18, v18, v19, v21
	v_div_fixup_f32 v17, v18, v17, 1.0
	v_mov_b32_e32 v18, 0x3d088889
	v_fmac_f32_e32 v18, 0xbcc30c31, v16
	v_add_f32_e32 v17, 1.0, v17
	v_fma_f32 v18, -v16, v18, s6
	v_fmac_f32_e32 v17, v16, v18
	v_div_scale_f32 v16, s[6:7], v13, v13, v17
	s_movk_i32 s6, 0x7fff
	v_rcp_f32_e32 v18, v16
	v_fma_f32 v19, -v16, v18, 1.0
	v_fmac_f32_e32 v18, v19, v18
	v_div_scale_f32 v19, vcc, v17, v13, v17
	v_mul_f32_e32 v20, v19, v18
	v_fma_f32 v21, -v16, v20, v19
	v_fmac_f32_e32 v20, v21, v18
	v_fma_f32 v16, -v16, v20, v19
	v_div_fmas_f32 v16, v16, v18, v20
	v_div_fixup_f32 v13, v16, v13, v17
	v_add_f32_e32 v13, v15, v13
	v_mul_f32_e32 v11, v11, v13
	v_bfe_u32 v13, v11, 16, 1
	v_add3_u32 v13, v11, v13, s6
	v_cmp_o_f32_e32 vcc, v11, v11
	v_mov_b32_e32 v11, 0x7fc0
	v_cndmask_b32_sdwa v11, v11, v13, vcc dst_sel:DWORD dst_unused:UNUSED_PAD src0_sel:DWORD src1_sel:WORD_1
.LBB68_40:
	s_or_b64 exec, exec, s[12:13]
	v_add_u32_e32 v13, 0x300, v7
	v_cmp_lt_i32_e32 vcc, v13, v4
                                        ; implicit-def: $vgpr13
	s_and_saveexec_b64 s[12:13], vcc
	s_cbranch_execz .LBB68_48
; %bb.41:
	v_cmp_gt_f32_e32 vcc, 0.5, v14
	v_mov_b32_e32 v15, 0
	v_mov_b32_e32 v13, 1.0
	s_and_saveexec_b64 s[14:15], vcc
	s_cbranch_execz .LBB68_47
; %bb.42:
	v_mul_f32_e32 v13, 0x40490fdb, v14
	s_brev_b32 s6, 18
	v_and_b32_e32 v15, 0x7fffffff, v13
	v_cmp_nlt_f32_e64 s[6:7], |v13|, s6
                                        ; implicit-def: $vgpr16
                                        ; implicit-def: $vgpr17
	s_and_saveexec_b64 s[8:9], s[6:7]
	s_xor_b64 s[16:17], exec, s[8:9]
	s_cbranch_execz .LBB68_44
; %bb.43:
	v_and_b32_e32 v16, 0x7fffff, v15
	v_or_b32_e32 v25, 0x800000, v16
	s_mov_b32 s6, 0xfe5163ab
	v_mad_u64_u32 v[16:17], s[6:7], v25, s6, 0
	v_mov_b32_e32 v18, 0
	s_mov_b32 s6, 0x3c439041
	v_mad_u64_u32 v[19:20], s[6:7], v25, s6, v[17:18]
	s_mov_b32 s6, 0xdb629599
	v_not_b32_e32 v24, 63
	v_mov_b32_e32 v17, v20
	v_mad_u64_u32 v[20:21], s[6:7], v25, s6, v[17:18]
	s_mov_b32 s6, 0xf534ddc0
	v_not_b32_e32 v27, 31
	v_mov_b32_e32 v17, v21
	v_mad_u64_u32 v[21:22], s[6:7], v25, s6, v[17:18]
	v_lshrrev_b32_e32 v17, 23, v15
	v_add_u32_e32 v26, 0xffffff88, v17
	v_mov_b32_e32 v17, v22
	s_mov_b32 s6, 0xfc2757d1
	v_mad_u64_u32 v[22:23], s[6:7], v25, s6, v[17:18]
	v_cmp_lt_u32_e32 vcc, 63, v26
	v_cndmask_b32_e32 v17, 0, v24, vcc
	v_add_u32_e32 v26, v17, v26
	v_mov_b32_e32 v17, v23
	s_mov_b32 s6, 0x4e441529
	v_mad_u64_u32 v[23:24], s[6:7], v25, s6, v[17:18]
	v_cmp_lt_u32_e64 s[6:7], 31, v26
	v_cndmask_b32_e64 v17, 0, v27, s[6:7]
	v_add_u32_e32 v26, v17, v26
	v_mov_b32_e32 v17, v24
	s_mov_b32 s8, 0xa2f9836e
	v_mad_u64_u32 v[17:18], s[8:9], v25, s8, v[17:18]
	v_cmp_lt_u32_e64 s[8:9], 31, v26
	v_cndmask_b32_e64 v24, 0, v27, s[8:9]
	v_cndmask_b32_e32 v25, v23, v21, vcc
	v_cndmask_b32_e32 v17, v17, v22, vcc
	;; [unrolled: 1-line block ×3, first 2 shown]
	v_add_u32_e32 v24, v24, v26
	v_cndmask_b32_e64 v26, v17, v25, s[6:7]
	v_cndmask_b32_e64 v17, v18, v17, s[6:7]
	v_cndmask_b32_e32 v18, v22, v20, vcc
	v_cndmask_b32_e64 v22, v25, v18, s[6:7]
	v_cndmask_b32_e64 v17, v17, v26, s[8:9]
	;; [unrolled: 1-line block ×3, first 2 shown]
	v_sub_u32_e32 v25, 32, v24
	v_alignbit_b32 v26, v17, v23, v25
	v_cmp_eq_u32_e64 s[10:11], 0, v24
	v_cndmask_b32_e64 v24, v26, v17, s[10:11]
	v_cndmask_b32_e32 v17, v21, v19, vcc
	v_cndmask_b32_e64 v18, v18, v17, s[6:7]
	v_cndmask_b32_e64 v19, v22, v18, s[8:9]
	v_alignbit_b32 v21, v23, v19, v25
	v_cndmask_b32_e32 v16, v20, v16, vcc
	v_cndmask_b32_e64 v21, v21, v23, s[10:11]
	v_bfe_u32 v26, v24, 29, 1
	v_cndmask_b32_e64 v16, v17, v16, s[6:7]
	v_alignbit_b32 v22, v24, v21, 30
	v_sub_u32_e32 v27, 0, v26
	v_cndmask_b32_e64 v16, v18, v16, s[8:9]
	v_xor_b32_e32 v22, v22, v27
	v_alignbit_b32 v17, v19, v16, v25
	v_cndmask_b32_e64 v17, v17, v19, s[10:11]
	v_ffbh_u32_e32 v19, v22
	v_alignbit_b32 v18, v21, v17, 30
	v_min_u32_e32 v19, 32, v19
	v_alignbit_b32 v16, v17, v16, 30
	v_xor_b32_e32 v18, v18, v27
	v_sub_u32_e32 v20, 31, v19
	v_xor_b32_e32 v16, v16, v27
	v_alignbit_b32 v21, v22, v18, v20
	v_alignbit_b32 v16, v18, v16, v20
	;; [unrolled: 1-line block ×3, first 2 shown]
	v_ffbh_u32_e32 v18, v17
	v_min_u32_e32 v18, 32, v18
	v_lshrrev_b32_e32 v23, 29, v24
	v_not_b32_e32 v20, v18
	v_alignbit_b32 v16, v17, v16, v20
	v_lshlrev_b32_e32 v17, 31, v23
	v_or_b32_e32 v20, 0x33000000, v17
	v_add_lshl_u32 v18, v18, v19, 23
	v_lshrrev_b32_e32 v16, 9, v16
	v_sub_u32_e32 v18, v20, v18
	v_or_b32_e32 v17, 0.5, v17
	v_lshlrev_b32_e32 v19, 23, v19
	v_or_b32_e32 v16, v18, v16
	v_lshrrev_b32_e32 v18, 9, v21
	v_sub_u32_e32 v17, v17, v19
	v_or_b32_e32 v17, v18, v17
	s_mov_b32 s6, 0x3fc90fda
	v_mul_f32_e32 v18, 0x3fc90fda, v17
	v_fma_f32 v19, v17, s6, -v18
	v_fmac_f32_e32 v19, 0x33a22168, v17
	v_fmac_f32_e32 v19, 0x3fc90fda, v16
	v_lshrrev_b32_e32 v16, 30, v24
	v_add_f32_e32 v17, v18, v19
	v_add_u32_e32 v16, v26, v16
.LBB68_44:
	s_andn2_saveexec_b64 s[6:7], s[16:17]
	s_cbranch_execz .LBB68_46
; %bb.45:
	s_mov_b32 s8, 0x3f22f983
	v_mul_f32_e64 v16, |v13|, s8
	v_rndne_f32_e32 v18, v16
	s_mov_b32 s8, 0xbfc90fda
	v_cvt_i32_f32_e32 v16, v18
	v_fma_f32 v17, v18, s8, |v13|
	v_fmac_f32_e32 v17, 0xb3a22168, v18
	v_fmac_f32_e32 v17, 0xa7c234c4, v18
.LBB68_46:
	s_or_b64 exec, exec, s[6:7]
	v_mul_f32_e32 v18, v17, v17
	v_mov_b32_e32 v19, 0x3c0881c4
	v_fmac_f32_e32 v19, 0xb94c1982, v18
	v_mov_b32_e32 v20, 0xbe2aaa9d
	v_fmac_f32_e32 v20, v18, v19
	v_mul_f32_e32 v19, v18, v20
	v_fmac_f32_e32 v17, v17, v19
	v_mov_b32_e32 v19, 0xbab64f3b
	v_fmac_f32_e32 v19, 0x37d75334, v18
	v_mov_b32_e32 v20, 0x3d2aabf7
	;; [unrolled: 2-line block ×3, first 2 shown]
	v_fmac_f32_e32 v19, v18, v20
	v_fma_f32 v18, v18, v19, 1.0
	v_and_b32_e32 v19, 1, v16
	v_lshlrev_b32_e32 v16, 30, v16
	v_cmp_eq_u32_e32 vcc, 0, v19
	v_and_b32_e32 v16, 0x80000000, v16
	v_xor_b32_e32 v15, v15, v13
	v_cndmask_b32_e32 v17, v18, v17, vcc
	v_xor_b32_e32 v15, v15, v16
	s_movk_i32 s6, 0x1f8
	v_xor_b32_e32 v15, v15, v17
	v_mov_b32_e32 v16, 0x7fc00000
	v_cmp_class_f32_e64 vcc, v13, s6
	v_cndmask_b32_e32 v13, v16, v15, vcc
	v_mul_f32_e32 v13, v13, v13
	s_mov_b32 s8, 0xc11de9e7
	v_div_scale_f32 v15, s[6:7], v13, v13, s8
	v_div_scale_f32 v16, vcc, s8, v13, s8
	v_sub_f32_e32 v14, 1.0, v14
	v_rcp_f32_e32 v17, v15
	v_fma_f32 v18, -v15, v17, 1.0
	v_fmac_f32_e32 v17, v18, v17
	v_mul_f32_e32 v18, v16, v17
	v_fma_f32 v19, -v15, v18, v16
	v_fmac_f32_e32 v18, v19, v17
	v_fma_f32 v15, -v15, v18, v16
	v_div_fmas_f32 v15, v15, v17, v18
	v_div_fixup_f32 v13, v15, v13, s8
	v_add_f32_e32 v15, 0, v13
	v_mov_b32_e32 v13, -1.0
.LBB68_47:
	s_or_b64 exec, exec, s[14:15]
	v_mul_f32_e32 v16, v14, v14
	v_div_scale_f32 v17, s[6:7], v16, v16, 1.0
	v_add_f32_e32 v14, 1.0, v14
	v_rcp_f32_e32 v18, v17
	v_fma_f32 v19, -v17, v18, 1.0
	v_fmac_f32_e32 v18, v19, v18
	v_div_scale_f32 v19, vcc, 1.0, v16, 1.0
	v_mul_f32_e32 v20, v19, v18
	v_fma_f32 v21, -v17, v20, v19
	v_fmac_f32_e32 v20, v21, v18
	v_fma_f32 v17, -v17, v20, v19
	v_div_fmas_f32 v17, v17, v18, v20
	v_div_fixup_f32 v16, v17, v16, 1.0
	v_add_f32_e32 v15, v15, v16
	v_mul_f32_e32 v16, v14, v14
	v_div_scale_f32 v17, s[6:7], v16, v16, 1.0
	v_add_f32_e32 v14, 1.0, v14
	v_rcp_f32_e32 v18, v17
	v_fma_f32 v19, -v17, v18, 1.0
	v_fmac_f32_e32 v18, v19, v18
	v_div_scale_f32 v19, vcc, 1.0, v16, 1.0
	v_mul_f32_e32 v20, v19, v18
	v_fma_f32 v21, -v17, v20, v19
	v_fmac_f32_e32 v20, v21, v18
	v_fma_f32 v17, -v17, v20, v19
	v_div_fmas_f32 v17, v17, v18, v20
	v_div_fixup_f32 v16, v17, v16, 1.0
	v_add_f32_e32 v15, v15, v16
	;; [unrolled: 14-line block ×6, first 2 shown]
	v_mul_f32_e32 v16, v14, v14
	v_div_scale_f32 v17, s[6:7], v16, v16, 1.0
	v_rcp_f32_e32 v18, v17
	v_fma_f32 v19, -v17, v18, 1.0
	v_fmac_f32_e32 v18, v19, v18
	v_div_scale_f32 v19, vcc, 1.0, v16, 1.0
	v_mul_f32_e32 v20, v19, v18
	v_fma_f32 v21, -v17, v20, v19
	v_fmac_f32_e32 v20, v21, v18
	v_fma_f32 v17, -v17, v20, v19
	v_div_fmas_f32 v17, v17, v18, v20
	v_div_fixup_f32 v16, v17, v16, 1.0
	v_add_f32_e32 v17, v14, v14
	v_div_scale_f32 v18, s[6:7], v17, v17, 1.0
	s_mov_b32 s6, 0x3e2aaaab
	v_rcp_f32_e32 v19, v18
	v_fma_f32 v20, -v18, v19, 1.0
	v_fmac_f32_e32 v19, v20, v19
	v_div_scale_f32 v20, vcc, 1.0, v17, 1.0
	v_mul_f32_e32 v21, v20, v19
	v_fma_f32 v22, -v18, v21, v20
	v_fmac_f32_e32 v21, v22, v19
	v_fma_f32 v18, -v18, v21, v20
	v_div_fmas_f32 v18, v18, v19, v21
	v_div_fixup_f32 v17, v18, v17, 1.0
	v_mov_b32_e32 v18, 0x3d088889
	v_fmac_f32_e32 v18, 0xbcc30c31, v16
	v_add_f32_e32 v17, 1.0, v17
	v_fma_f32 v18, -v16, v18, s6
	v_fmac_f32_e32 v17, v16, v18
	v_div_scale_f32 v16, s[6:7], v14, v14, v17
	s_movk_i32 s6, 0x7fff
	v_rcp_f32_e32 v18, v16
	v_fma_f32 v19, -v16, v18, 1.0
	v_fmac_f32_e32 v18, v19, v18
	v_div_scale_f32 v19, vcc, v17, v14, v17
	v_mul_f32_e32 v20, v19, v18
	v_fma_f32 v21, -v16, v20, v19
	v_fmac_f32_e32 v20, v21, v18
	v_fma_f32 v16, -v16, v20, v19
	v_div_fmas_f32 v16, v16, v18, v20
	v_div_fixup_f32 v14, v16, v14, v17
	v_add_f32_e32 v14, v15, v14
	v_mul_f32_e32 v13, v13, v14
	v_bfe_u32 v14, v13, 16, 1
	v_add3_u32 v14, v13, v14, s6
	v_cmp_o_f32_e32 vcc, v13, v13
	v_mov_b32_e32 v13, 0x7fc0
	v_cndmask_b32_sdwa v13, v13, v14, vcc dst_sel:DWORD dst_unused:UNUSED_PAD src0_sel:DWORD src1_sel:WORD_1
.LBB68_48:
	s_or_b64 exec, exec, s[12:13]
	v_or_b32_e32 v14, 0x400, v7
	v_cmp_lt_i32_e32 vcc, v14, v4
                                        ; implicit-def: $vgpr14
	s_and_saveexec_b64 s[12:13], vcc
	s_cbranch_execz .LBB68_56
; %bb.49:
	v_cmp_gt_f32_e32 vcc, 0.5, v12
	v_mov_b32_e32 v15, 0
	v_mov_b32_e32 v14, 1.0
	s_and_saveexec_b64 s[14:15], vcc
	s_cbranch_execz .LBB68_55
; %bb.50:
	v_mul_f32_e32 v14, 0x40490fdb, v12
	s_brev_b32 s6, 18
	v_and_b32_e32 v15, 0x7fffffff, v14
	v_cmp_nlt_f32_e64 s[6:7], |v14|, s6
                                        ; implicit-def: $vgpr16
                                        ; implicit-def: $vgpr17
	s_and_saveexec_b64 s[8:9], s[6:7]
	s_xor_b64 s[16:17], exec, s[8:9]
	s_cbranch_execz .LBB68_52
; %bb.51:
	v_and_b32_e32 v16, 0x7fffff, v15
	v_or_b32_e32 v25, 0x800000, v16
	s_mov_b32 s6, 0xfe5163ab
	v_mad_u64_u32 v[16:17], s[6:7], v25, s6, 0
	v_mov_b32_e32 v18, 0
	s_mov_b32 s6, 0x3c439041
	v_mad_u64_u32 v[19:20], s[6:7], v25, s6, v[17:18]
	s_mov_b32 s6, 0xdb629599
	v_not_b32_e32 v24, 63
	v_mov_b32_e32 v17, v20
	v_mad_u64_u32 v[20:21], s[6:7], v25, s6, v[17:18]
	s_mov_b32 s6, 0xf534ddc0
	v_not_b32_e32 v27, 31
	v_mov_b32_e32 v17, v21
	v_mad_u64_u32 v[21:22], s[6:7], v25, s6, v[17:18]
	v_lshrrev_b32_e32 v17, 23, v15
	v_add_u32_e32 v26, 0xffffff88, v17
	v_mov_b32_e32 v17, v22
	s_mov_b32 s6, 0xfc2757d1
	v_mad_u64_u32 v[22:23], s[6:7], v25, s6, v[17:18]
	v_cmp_lt_u32_e32 vcc, 63, v26
	v_cndmask_b32_e32 v17, 0, v24, vcc
	v_add_u32_e32 v26, v17, v26
	v_mov_b32_e32 v17, v23
	s_mov_b32 s6, 0x4e441529
	v_mad_u64_u32 v[23:24], s[6:7], v25, s6, v[17:18]
	v_cmp_lt_u32_e64 s[6:7], 31, v26
	v_cndmask_b32_e64 v17, 0, v27, s[6:7]
	v_add_u32_e32 v26, v17, v26
	v_mov_b32_e32 v17, v24
	s_mov_b32 s8, 0xa2f9836e
	v_mad_u64_u32 v[17:18], s[8:9], v25, s8, v[17:18]
	v_cmp_lt_u32_e64 s[8:9], 31, v26
	v_cndmask_b32_e64 v24, 0, v27, s[8:9]
	v_cndmask_b32_e32 v25, v23, v21, vcc
	v_cndmask_b32_e32 v17, v17, v22, vcc
	;; [unrolled: 1-line block ×3, first 2 shown]
	v_add_u32_e32 v24, v24, v26
	v_cndmask_b32_e64 v26, v17, v25, s[6:7]
	v_cndmask_b32_e64 v17, v18, v17, s[6:7]
	v_cndmask_b32_e32 v18, v22, v20, vcc
	v_cndmask_b32_e64 v22, v25, v18, s[6:7]
	v_cndmask_b32_e64 v17, v17, v26, s[8:9]
	;; [unrolled: 1-line block ×3, first 2 shown]
	v_sub_u32_e32 v25, 32, v24
	v_alignbit_b32 v26, v17, v23, v25
	v_cmp_eq_u32_e64 s[10:11], 0, v24
	v_cndmask_b32_e64 v24, v26, v17, s[10:11]
	v_cndmask_b32_e32 v17, v21, v19, vcc
	v_cndmask_b32_e64 v18, v18, v17, s[6:7]
	v_cndmask_b32_e64 v19, v22, v18, s[8:9]
	v_alignbit_b32 v21, v23, v19, v25
	v_cndmask_b32_e32 v16, v20, v16, vcc
	v_cndmask_b32_e64 v21, v21, v23, s[10:11]
	v_bfe_u32 v26, v24, 29, 1
	v_cndmask_b32_e64 v16, v17, v16, s[6:7]
	v_alignbit_b32 v22, v24, v21, 30
	v_sub_u32_e32 v27, 0, v26
	v_cndmask_b32_e64 v16, v18, v16, s[8:9]
	v_xor_b32_e32 v22, v22, v27
	v_alignbit_b32 v17, v19, v16, v25
	v_cndmask_b32_e64 v17, v17, v19, s[10:11]
	v_ffbh_u32_e32 v19, v22
	v_alignbit_b32 v18, v21, v17, 30
	v_min_u32_e32 v19, 32, v19
	v_alignbit_b32 v16, v17, v16, 30
	v_xor_b32_e32 v18, v18, v27
	v_sub_u32_e32 v20, 31, v19
	v_xor_b32_e32 v16, v16, v27
	v_alignbit_b32 v21, v22, v18, v20
	v_alignbit_b32 v16, v18, v16, v20
	;; [unrolled: 1-line block ×3, first 2 shown]
	v_ffbh_u32_e32 v18, v17
	v_min_u32_e32 v18, 32, v18
	v_lshrrev_b32_e32 v23, 29, v24
	v_not_b32_e32 v20, v18
	v_alignbit_b32 v16, v17, v16, v20
	v_lshlrev_b32_e32 v17, 31, v23
	v_or_b32_e32 v20, 0x33000000, v17
	v_add_lshl_u32 v18, v18, v19, 23
	v_lshrrev_b32_e32 v16, 9, v16
	v_sub_u32_e32 v18, v20, v18
	v_or_b32_e32 v17, 0.5, v17
	v_lshlrev_b32_e32 v19, 23, v19
	v_or_b32_e32 v16, v18, v16
	v_lshrrev_b32_e32 v18, 9, v21
	v_sub_u32_e32 v17, v17, v19
	v_or_b32_e32 v17, v18, v17
	s_mov_b32 s6, 0x3fc90fda
	v_mul_f32_e32 v18, 0x3fc90fda, v17
	v_fma_f32 v19, v17, s6, -v18
	v_fmac_f32_e32 v19, 0x33a22168, v17
	v_fmac_f32_e32 v19, 0x3fc90fda, v16
	v_lshrrev_b32_e32 v16, 30, v24
	v_add_f32_e32 v17, v18, v19
	v_add_u32_e32 v16, v26, v16
.LBB68_52:
	s_andn2_saveexec_b64 s[6:7], s[16:17]
	s_cbranch_execz .LBB68_54
; %bb.53:
	s_mov_b32 s8, 0x3f22f983
	v_mul_f32_e64 v16, |v14|, s8
	v_rndne_f32_e32 v18, v16
	s_mov_b32 s8, 0xbfc90fda
	v_cvt_i32_f32_e32 v16, v18
	v_fma_f32 v17, v18, s8, |v14|
	v_fmac_f32_e32 v17, 0xb3a22168, v18
	v_fmac_f32_e32 v17, 0xa7c234c4, v18
.LBB68_54:
	s_or_b64 exec, exec, s[6:7]
	v_mul_f32_e32 v18, v17, v17
	v_mov_b32_e32 v19, 0x3c0881c4
	v_fmac_f32_e32 v19, 0xb94c1982, v18
	v_mov_b32_e32 v20, 0xbe2aaa9d
	v_fmac_f32_e32 v20, v18, v19
	v_mul_f32_e32 v19, v18, v20
	v_fmac_f32_e32 v17, v17, v19
	v_mov_b32_e32 v19, 0xbab64f3b
	v_fmac_f32_e32 v19, 0x37d75334, v18
	v_mov_b32_e32 v20, 0x3d2aabf7
	;; [unrolled: 2-line block ×3, first 2 shown]
	v_fmac_f32_e32 v19, v18, v20
	v_fma_f32 v18, v18, v19, 1.0
	v_and_b32_e32 v19, 1, v16
	v_lshlrev_b32_e32 v16, 30, v16
	v_cmp_eq_u32_e32 vcc, 0, v19
	v_and_b32_e32 v16, 0x80000000, v16
	v_xor_b32_e32 v15, v15, v14
	v_cndmask_b32_e32 v17, v18, v17, vcc
	v_xor_b32_e32 v15, v15, v16
	s_movk_i32 s6, 0x1f8
	v_xor_b32_e32 v15, v15, v17
	v_mov_b32_e32 v16, 0x7fc00000
	v_cmp_class_f32_e64 vcc, v14, s6
	v_cndmask_b32_e32 v14, v16, v15, vcc
	v_mul_f32_e32 v14, v14, v14
	s_mov_b32 s8, 0xc11de9e7
	v_div_scale_f32 v15, s[6:7], v14, v14, s8
	v_div_scale_f32 v16, vcc, s8, v14, s8
	v_sub_f32_e32 v12, 1.0, v12
	v_rcp_f32_e32 v17, v15
	v_fma_f32 v18, -v15, v17, 1.0
	v_fmac_f32_e32 v17, v18, v17
	v_mul_f32_e32 v18, v16, v17
	v_fma_f32 v19, -v15, v18, v16
	v_fmac_f32_e32 v18, v19, v17
	v_fma_f32 v15, -v15, v18, v16
	v_div_fmas_f32 v15, v15, v17, v18
	v_div_fixup_f32 v14, v15, v14, s8
	v_add_f32_e32 v15, 0, v14
	v_mov_b32_e32 v14, -1.0
.LBB68_55:
	s_or_b64 exec, exec, s[14:15]
	v_mul_f32_e32 v16, v12, v12
	v_div_scale_f32 v17, s[6:7], v16, v16, 1.0
	v_add_f32_e32 v12, 1.0, v12
	v_rcp_f32_e32 v18, v17
	v_fma_f32 v19, -v17, v18, 1.0
	v_fmac_f32_e32 v18, v19, v18
	v_div_scale_f32 v19, vcc, 1.0, v16, 1.0
	v_mul_f32_e32 v20, v19, v18
	v_fma_f32 v21, -v17, v20, v19
	v_fmac_f32_e32 v20, v21, v18
	v_fma_f32 v17, -v17, v20, v19
	v_div_fmas_f32 v17, v17, v18, v20
	v_div_fixup_f32 v16, v17, v16, 1.0
	v_add_f32_e32 v15, v15, v16
	v_mul_f32_e32 v16, v12, v12
	v_div_scale_f32 v17, s[6:7], v16, v16, 1.0
	v_add_f32_e32 v12, 1.0, v12
	v_rcp_f32_e32 v18, v17
	v_fma_f32 v19, -v17, v18, 1.0
	v_fmac_f32_e32 v18, v19, v18
	v_div_scale_f32 v19, vcc, 1.0, v16, 1.0
	v_mul_f32_e32 v20, v19, v18
	v_fma_f32 v21, -v17, v20, v19
	v_fmac_f32_e32 v20, v21, v18
	v_fma_f32 v17, -v17, v20, v19
	v_div_fmas_f32 v17, v17, v18, v20
	v_div_fixup_f32 v16, v17, v16, 1.0
	v_add_f32_e32 v15, v15, v16
	;; [unrolled: 14-line block ×6, first 2 shown]
	v_mul_f32_e32 v16, v12, v12
	v_div_scale_f32 v17, s[6:7], v16, v16, 1.0
	v_rcp_f32_e32 v18, v17
	v_fma_f32 v19, -v17, v18, 1.0
	v_fmac_f32_e32 v18, v19, v18
	v_div_scale_f32 v19, vcc, 1.0, v16, 1.0
	v_mul_f32_e32 v20, v19, v18
	v_fma_f32 v21, -v17, v20, v19
	v_fmac_f32_e32 v20, v21, v18
	v_fma_f32 v17, -v17, v20, v19
	v_div_fmas_f32 v17, v17, v18, v20
	v_div_fixup_f32 v16, v17, v16, 1.0
	v_add_f32_e32 v17, v12, v12
	v_div_scale_f32 v18, s[6:7], v17, v17, 1.0
	s_mov_b32 s6, 0x3e2aaaab
	v_rcp_f32_e32 v19, v18
	v_fma_f32 v20, -v18, v19, 1.0
	v_fmac_f32_e32 v19, v20, v19
	v_div_scale_f32 v20, vcc, 1.0, v17, 1.0
	v_mul_f32_e32 v21, v20, v19
	v_fma_f32 v22, -v18, v21, v20
	v_fmac_f32_e32 v21, v22, v19
	v_fma_f32 v18, -v18, v21, v20
	v_div_fmas_f32 v18, v18, v19, v21
	v_div_fixup_f32 v17, v18, v17, 1.0
	v_mov_b32_e32 v18, 0x3d088889
	v_fmac_f32_e32 v18, 0xbcc30c31, v16
	v_add_f32_e32 v17, 1.0, v17
	v_fma_f32 v18, -v16, v18, s6
	v_fmac_f32_e32 v17, v16, v18
	v_div_scale_f32 v16, s[6:7], v12, v12, v17
	s_movk_i32 s6, 0x7fff
	v_rcp_f32_e32 v18, v16
	v_fma_f32 v19, -v16, v18, 1.0
	v_fmac_f32_e32 v18, v19, v18
	v_div_scale_f32 v19, vcc, v17, v12, v17
	v_mul_f32_e32 v20, v19, v18
	v_fma_f32 v21, -v16, v20, v19
	v_fmac_f32_e32 v20, v21, v18
	v_fma_f32 v16, -v16, v20, v19
	v_div_fmas_f32 v16, v16, v18, v20
	v_div_fixup_f32 v12, v16, v12, v17
	v_add_f32_e32 v12, v15, v12
	v_mul_f32_e32 v12, v14, v12
	v_bfe_u32 v14, v12, 16, 1
	v_add3_u32 v14, v12, v14, s6
	v_cmp_o_f32_e32 vcc, v12, v12
	v_mov_b32_e32 v12, 0x7fc0
	v_cndmask_b32_sdwa v14, v12, v14, vcc dst_sel:DWORD dst_unused:UNUSED_PAD src0_sel:DWORD src1_sel:WORD_1
.LBB68_56:
	s_or_b64 exec, exec, s[12:13]
	v_add_u32_e32 v12, 0x500, v7
	v_cmp_lt_i32_e32 vcc, v12, v4
                                        ; implicit-def: $vgpr12
	s_and_saveexec_b64 s[12:13], vcc
	s_cbranch_execz .LBB68_64
; %bb.57:
	v_cmp_gt_f32_e32 vcc, 0.5, v10
	v_mov_b32_e32 v15, 0
	v_mov_b32_e32 v12, 1.0
	s_and_saveexec_b64 s[14:15], vcc
	s_cbranch_execz .LBB68_63
; %bb.58:
	v_mul_f32_e32 v12, 0x40490fdb, v10
	s_brev_b32 s6, 18
	v_and_b32_e32 v15, 0x7fffffff, v12
	v_cmp_nlt_f32_e64 s[6:7], |v12|, s6
                                        ; implicit-def: $vgpr16
                                        ; implicit-def: $vgpr17
	s_and_saveexec_b64 s[8:9], s[6:7]
	s_xor_b64 s[16:17], exec, s[8:9]
	s_cbranch_execz .LBB68_60
; %bb.59:
	v_and_b32_e32 v16, 0x7fffff, v15
	v_or_b32_e32 v25, 0x800000, v16
	s_mov_b32 s6, 0xfe5163ab
	v_mad_u64_u32 v[16:17], s[6:7], v25, s6, 0
	v_mov_b32_e32 v18, 0
	s_mov_b32 s6, 0x3c439041
	v_mad_u64_u32 v[19:20], s[6:7], v25, s6, v[17:18]
	s_mov_b32 s6, 0xdb629599
	v_not_b32_e32 v24, 63
	v_mov_b32_e32 v17, v20
	v_mad_u64_u32 v[20:21], s[6:7], v25, s6, v[17:18]
	s_mov_b32 s6, 0xf534ddc0
	v_not_b32_e32 v27, 31
	v_mov_b32_e32 v17, v21
	v_mad_u64_u32 v[21:22], s[6:7], v25, s6, v[17:18]
	v_lshrrev_b32_e32 v17, 23, v15
	v_add_u32_e32 v26, 0xffffff88, v17
	v_mov_b32_e32 v17, v22
	s_mov_b32 s6, 0xfc2757d1
	v_mad_u64_u32 v[22:23], s[6:7], v25, s6, v[17:18]
	v_cmp_lt_u32_e32 vcc, 63, v26
	v_cndmask_b32_e32 v17, 0, v24, vcc
	v_add_u32_e32 v26, v17, v26
	v_mov_b32_e32 v17, v23
	s_mov_b32 s6, 0x4e441529
	v_mad_u64_u32 v[23:24], s[6:7], v25, s6, v[17:18]
	v_cmp_lt_u32_e64 s[6:7], 31, v26
	v_cndmask_b32_e64 v17, 0, v27, s[6:7]
	v_add_u32_e32 v26, v17, v26
	v_mov_b32_e32 v17, v24
	s_mov_b32 s8, 0xa2f9836e
	v_mad_u64_u32 v[17:18], s[8:9], v25, s8, v[17:18]
	v_cmp_lt_u32_e64 s[8:9], 31, v26
	v_cndmask_b32_e64 v24, 0, v27, s[8:9]
	v_cndmask_b32_e32 v25, v23, v21, vcc
	v_cndmask_b32_e32 v17, v17, v22, vcc
	;; [unrolled: 1-line block ×3, first 2 shown]
	v_add_u32_e32 v24, v24, v26
	v_cndmask_b32_e64 v26, v17, v25, s[6:7]
	v_cndmask_b32_e64 v17, v18, v17, s[6:7]
	v_cndmask_b32_e32 v18, v22, v20, vcc
	v_cndmask_b32_e64 v22, v25, v18, s[6:7]
	v_cndmask_b32_e64 v17, v17, v26, s[8:9]
	;; [unrolled: 1-line block ×3, first 2 shown]
	v_sub_u32_e32 v25, 32, v24
	v_alignbit_b32 v26, v17, v23, v25
	v_cmp_eq_u32_e64 s[10:11], 0, v24
	v_cndmask_b32_e64 v24, v26, v17, s[10:11]
	v_cndmask_b32_e32 v17, v21, v19, vcc
	v_cndmask_b32_e64 v18, v18, v17, s[6:7]
	v_cndmask_b32_e64 v19, v22, v18, s[8:9]
	v_alignbit_b32 v21, v23, v19, v25
	v_cndmask_b32_e32 v16, v20, v16, vcc
	v_cndmask_b32_e64 v21, v21, v23, s[10:11]
	v_bfe_u32 v26, v24, 29, 1
	v_cndmask_b32_e64 v16, v17, v16, s[6:7]
	v_alignbit_b32 v22, v24, v21, 30
	v_sub_u32_e32 v27, 0, v26
	v_cndmask_b32_e64 v16, v18, v16, s[8:9]
	v_xor_b32_e32 v22, v22, v27
	v_alignbit_b32 v17, v19, v16, v25
	v_cndmask_b32_e64 v17, v17, v19, s[10:11]
	v_ffbh_u32_e32 v19, v22
	v_alignbit_b32 v18, v21, v17, 30
	v_min_u32_e32 v19, 32, v19
	v_alignbit_b32 v16, v17, v16, 30
	v_xor_b32_e32 v18, v18, v27
	v_sub_u32_e32 v20, 31, v19
	v_xor_b32_e32 v16, v16, v27
	v_alignbit_b32 v21, v22, v18, v20
	v_alignbit_b32 v16, v18, v16, v20
	;; [unrolled: 1-line block ×3, first 2 shown]
	v_ffbh_u32_e32 v18, v17
	v_min_u32_e32 v18, 32, v18
	v_lshrrev_b32_e32 v23, 29, v24
	v_not_b32_e32 v20, v18
	v_alignbit_b32 v16, v17, v16, v20
	v_lshlrev_b32_e32 v17, 31, v23
	v_or_b32_e32 v20, 0x33000000, v17
	v_add_lshl_u32 v18, v18, v19, 23
	v_lshrrev_b32_e32 v16, 9, v16
	v_sub_u32_e32 v18, v20, v18
	v_or_b32_e32 v17, 0.5, v17
	v_lshlrev_b32_e32 v19, 23, v19
	v_or_b32_e32 v16, v18, v16
	v_lshrrev_b32_e32 v18, 9, v21
	v_sub_u32_e32 v17, v17, v19
	v_or_b32_e32 v17, v18, v17
	s_mov_b32 s6, 0x3fc90fda
	v_mul_f32_e32 v18, 0x3fc90fda, v17
	v_fma_f32 v19, v17, s6, -v18
	v_fmac_f32_e32 v19, 0x33a22168, v17
	v_fmac_f32_e32 v19, 0x3fc90fda, v16
	v_lshrrev_b32_e32 v16, 30, v24
	v_add_f32_e32 v17, v18, v19
	v_add_u32_e32 v16, v26, v16
.LBB68_60:
	s_andn2_saveexec_b64 s[6:7], s[16:17]
	s_cbranch_execz .LBB68_62
; %bb.61:
	s_mov_b32 s8, 0x3f22f983
	v_mul_f32_e64 v16, |v12|, s8
	v_rndne_f32_e32 v18, v16
	s_mov_b32 s8, 0xbfc90fda
	v_cvt_i32_f32_e32 v16, v18
	v_fma_f32 v17, v18, s8, |v12|
	v_fmac_f32_e32 v17, 0xb3a22168, v18
	v_fmac_f32_e32 v17, 0xa7c234c4, v18
.LBB68_62:
	s_or_b64 exec, exec, s[6:7]
	v_mul_f32_e32 v18, v17, v17
	v_mov_b32_e32 v19, 0x3c0881c4
	v_fmac_f32_e32 v19, 0xb94c1982, v18
	v_mov_b32_e32 v20, 0xbe2aaa9d
	v_fmac_f32_e32 v20, v18, v19
	v_mul_f32_e32 v19, v18, v20
	v_fmac_f32_e32 v17, v17, v19
	v_mov_b32_e32 v19, 0xbab64f3b
	v_fmac_f32_e32 v19, 0x37d75334, v18
	v_mov_b32_e32 v20, 0x3d2aabf7
	;; [unrolled: 2-line block ×3, first 2 shown]
	v_fmac_f32_e32 v19, v18, v20
	v_fma_f32 v18, v18, v19, 1.0
	v_and_b32_e32 v19, 1, v16
	v_lshlrev_b32_e32 v16, 30, v16
	v_cmp_eq_u32_e32 vcc, 0, v19
	v_and_b32_e32 v16, 0x80000000, v16
	v_xor_b32_e32 v15, v15, v12
	v_cndmask_b32_e32 v17, v18, v17, vcc
	v_xor_b32_e32 v15, v15, v16
	s_movk_i32 s6, 0x1f8
	v_xor_b32_e32 v15, v15, v17
	v_mov_b32_e32 v16, 0x7fc00000
	v_cmp_class_f32_e64 vcc, v12, s6
	v_cndmask_b32_e32 v12, v16, v15, vcc
	v_mul_f32_e32 v12, v12, v12
	s_mov_b32 s8, 0xc11de9e7
	v_div_scale_f32 v15, s[6:7], v12, v12, s8
	v_div_scale_f32 v16, vcc, s8, v12, s8
	v_sub_f32_e32 v10, 1.0, v10
	v_rcp_f32_e32 v17, v15
	v_fma_f32 v18, -v15, v17, 1.0
	v_fmac_f32_e32 v17, v18, v17
	v_mul_f32_e32 v18, v16, v17
	v_fma_f32 v19, -v15, v18, v16
	v_fmac_f32_e32 v18, v19, v17
	v_fma_f32 v15, -v15, v18, v16
	v_div_fmas_f32 v15, v15, v17, v18
	v_div_fixup_f32 v12, v15, v12, s8
	v_add_f32_e32 v15, 0, v12
	v_mov_b32_e32 v12, -1.0
.LBB68_63:
	s_or_b64 exec, exec, s[14:15]
	v_mul_f32_e32 v16, v10, v10
	v_div_scale_f32 v17, s[6:7], v16, v16, 1.0
	v_add_f32_e32 v10, 1.0, v10
	v_rcp_f32_e32 v18, v17
	v_fma_f32 v19, -v17, v18, 1.0
	v_fmac_f32_e32 v18, v19, v18
	v_div_scale_f32 v19, vcc, 1.0, v16, 1.0
	v_mul_f32_e32 v20, v19, v18
	v_fma_f32 v21, -v17, v20, v19
	v_fmac_f32_e32 v20, v21, v18
	v_fma_f32 v17, -v17, v20, v19
	v_div_fmas_f32 v17, v17, v18, v20
	v_div_fixup_f32 v16, v17, v16, 1.0
	v_add_f32_e32 v15, v15, v16
	v_mul_f32_e32 v16, v10, v10
	v_div_scale_f32 v17, s[6:7], v16, v16, 1.0
	v_add_f32_e32 v10, 1.0, v10
	v_rcp_f32_e32 v18, v17
	v_fma_f32 v19, -v17, v18, 1.0
	v_fmac_f32_e32 v18, v19, v18
	v_div_scale_f32 v19, vcc, 1.0, v16, 1.0
	v_mul_f32_e32 v20, v19, v18
	v_fma_f32 v21, -v17, v20, v19
	v_fmac_f32_e32 v20, v21, v18
	v_fma_f32 v17, -v17, v20, v19
	v_div_fmas_f32 v17, v17, v18, v20
	v_div_fixup_f32 v16, v17, v16, 1.0
	v_add_f32_e32 v15, v15, v16
	;; [unrolled: 14-line block ×6, first 2 shown]
	v_mul_f32_e32 v16, v10, v10
	v_div_scale_f32 v17, s[6:7], v16, v16, 1.0
	v_rcp_f32_e32 v18, v17
	v_fma_f32 v19, -v17, v18, 1.0
	v_fmac_f32_e32 v18, v19, v18
	v_div_scale_f32 v19, vcc, 1.0, v16, 1.0
	v_mul_f32_e32 v20, v19, v18
	v_fma_f32 v21, -v17, v20, v19
	v_fmac_f32_e32 v20, v21, v18
	v_fma_f32 v17, -v17, v20, v19
	v_div_fmas_f32 v17, v17, v18, v20
	v_div_fixup_f32 v16, v17, v16, 1.0
	v_add_f32_e32 v17, v10, v10
	v_div_scale_f32 v18, s[6:7], v17, v17, 1.0
	s_mov_b32 s6, 0x3e2aaaab
	v_rcp_f32_e32 v19, v18
	v_fma_f32 v20, -v18, v19, 1.0
	v_fmac_f32_e32 v19, v20, v19
	v_div_scale_f32 v20, vcc, 1.0, v17, 1.0
	v_mul_f32_e32 v21, v20, v19
	v_fma_f32 v22, -v18, v21, v20
	v_fmac_f32_e32 v21, v22, v19
	v_fma_f32 v18, -v18, v21, v20
	v_div_fmas_f32 v18, v18, v19, v21
	v_div_fixup_f32 v17, v18, v17, 1.0
	v_mov_b32_e32 v18, 0x3d088889
	v_fmac_f32_e32 v18, 0xbcc30c31, v16
	v_add_f32_e32 v17, 1.0, v17
	v_fma_f32 v18, -v16, v18, s6
	v_fmac_f32_e32 v17, v16, v18
	v_div_scale_f32 v16, s[6:7], v10, v10, v17
	s_movk_i32 s6, 0x7fff
	v_rcp_f32_e32 v18, v16
	v_fma_f32 v19, -v16, v18, 1.0
	v_fmac_f32_e32 v18, v19, v18
	v_div_scale_f32 v19, vcc, v17, v10, v17
	v_mul_f32_e32 v20, v19, v18
	v_fma_f32 v21, -v16, v20, v19
	v_fmac_f32_e32 v20, v21, v18
	v_fma_f32 v16, -v16, v20, v19
	v_div_fmas_f32 v16, v16, v18, v20
	v_div_fixup_f32 v10, v16, v10, v17
	v_add_f32_e32 v10, v15, v10
	v_mul_f32_e32 v10, v12, v10
	v_bfe_u32 v12, v10, 16, 1
	v_add3_u32 v12, v10, v12, s6
	v_cmp_o_f32_e32 vcc, v10, v10
	v_mov_b32_e32 v10, 0x7fc0
	v_cndmask_b32_sdwa v12, v10, v12, vcc dst_sel:DWORD dst_unused:UNUSED_PAD src0_sel:DWORD src1_sel:WORD_1
.LBB68_64:
	s_or_b64 exec, exec, s[12:13]
	v_add_u32_e32 v10, 0x600, v7
	v_cmp_lt_i32_e32 vcc, v10, v4
                                        ; implicit-def: $vgpr10
	s_and_saveexec_b64 s[12:13], vcc
	s_cbranch_execz .LBB68_72
; %bb.65:
	v_cmp_gt_f32_e32 vcc, 0.5, v8
	v_mov_b32_e32 v15, 0
	v_mov_b32_e32 v10, 1.0
	s_and_saveexec_b64 s[14:15], vcc
	s_cbranch_execz .LBB68_71
; %bb.66:
	v_mul_f32_e32 v10, 0x40490fdb, v8
	s_brev_b32 s6, 18
	v_and_b32_e32 v15, 0x7fffffff, v10
	v_cmp_nlt_f32_e64 s[6:7], |v10|, s6
                                        ; implicit-def: $vgpr16
                                        ; implicit-def: $vgpr17
	s_and_saveexec_b64 s[8:9], s[6:7]
	s_xor_b64 s[16:17], exec, s[8:9]
	s_cbranch_execz .LBB68_68
; %bb.67:
	v_and_b32_e32 v16, 0x7fffff, v15
	v_or_b32_e32 v25, 0x800000, v16
	s_mov_b32 s6, 0xfe5163ab
	v_mad_u64_u32 v[16:17], s[6:7], v25, s6, 0
	v_mov_b32_e32 v18, 0
	s_mov_b32 s6, 0x3c439041
	v_mad_u64_u32 v[19:20], s[6:7], v25, s6, v[17:18]
	s_mov_b32 s6, 0xdb629599
	v_not_b32_e32 v24, 63
	v_mov_b32_e32 v17, v20
	v_mad_u64_u32 v[20:21], s[6:7], v25, s6, v[17:18]
	s_mov_b32 s6, 0xf534ddc0
	v_not_b32_e32 v27, 31
	v_mov_b32_e32 v17, v21
	v_mad_u64_u32 v[21:22], s[6:7], v25, s6, v[17:18]
	v_lshrrev_b32_e32 v17, 23, v15
	v_add_u32_e32 v26, 0xffffff88, v17
	v_mov_b32_e32 v17, v22
	s_mov_b32 s6, 0xfc2757d1
	v_mad_u64_u32 v[22:23], s[6:7], v25, s6, v[17:18]
	v_cmp_lt_u32_e32 vcc, 63, v26
	v_cndmask_b32_e32 v17, 0, v24, vcc
	v_add_u32_e32 v26, v17, v26
	v_mov_b32_e32 v17, v23
	s_mov_b32 s6, 0x4e441529
	v_mad_u64_u32 v[23:24], s[6:7], v25, s6, v[17:18]
	v_cmp_lt_u32_e64 s[6:7], 31, v26
	v_cndmask_b32_e64 v17, 0, v27, s[6:7]
	v_add_u32_e32 v26, v17, v26
	v_mov_b32_e32 v17, v24
	s_mov_b32 s8, 0xa2f9836e
	v_mad_u64_u32 v[17:18], s[8:9], v25, s8, v[17:18]
	v_cmp_lt_u32_e64 s[8:9], 31, v26
	v_cndmask_b32_e64 v24, 0, v27, s[8:9]
	v_cndmask_b32_e32 v25, v23, v21, vcc
	v_cndmask_b32_e32 v17, v17, v22, vcc
	;; [unrolled: 1-line block ×3, first 2 shown]
	v_add_u32_e32 v24, v24, v26
	v_cndmask_b32_e64 v26, v17, v25, s[6:7]
	v_cndmask_b32_e64 v17, v18, v17, s[6:7]
	v_cndmask_b32_e32 v18, v22, v20, vcc
	v_cndmask_b32_e64 v22, v25, v18, s[6:7]
	v_cndmask_b32_e64 v17, v17, v26, s[8:9]
	;; [unrolled: 1-line block ×3, first 2 shown]
	v_sub_u32_e32 v25, 32, v24
	v_alignbit_b32 v26, v17, v23, v25
	v_cmp_eq_u32_e64 s[10:11], 0, v24
	v_cndmask_b32_e64 v24, v26, v17, s[10:11]
	v_cndmask_b32_e32 v17, v21, v19, vcc
	v_cndmask_b32_e64 v18, v18, v17, s[6:7]
	v_cndmask_b32_e64 v19, v22, v18, s[8:9]
	v_alignbit_b32 v21, v23, v19, v25
	v_cndmask_b32_e32 v16, v20, v16, vcc
	v_cndmask_b32_e64 v21, v21, v23, s[10:11]
	v_bfe_u32 v26, v24, 29, 1
	v_cndmask_b32_e64 v16, v17, v16, s[6:7]
	v_alignbit_b32 v22, v24, v21, 30
	v_sub_u32_e32 v27, 0, v26
	v_cndmask_b32_e64 v16, v18, v16, s[8:9]
	v_xor_b32_e32 v22, v22, v27
	v_alignbit_b32 v17, v19, v16, v25
	v_cndmask_b32_e64 v17, v17, v19, s[10:11]
	v_ffbh_u32_e32 v19, v22
	v_alignbit_b32 v18, v21, v17, 30
	v_min_u32_e32 v19, 32, v19
	v_alignbit_b32 v16, v17, v16, 30
	v_xor_b32_e32 v18, v18, v27
	v_sub_u32_e32 v20, 31, v19
	v_xor_b32_e32 v16, v16, v27
	v_alignbit_b32 v21, v22, v18, v20
	v_alignbit_b32 v16, v18, v16, v20
	v_alignbit_b32 v17, v21, v16, 9
	v_ffbh_u32_e32 v18, v17
	v_min_u32_e32 v18, 32, v18
	v_lshrrev_b32_e32 v23, 29, v24
	v_not_b32_e32 v20, v18
	v_alignbit_b32 v16, v17, v16, v20
	v_lshlrev_b32_e32 v17, 31, v23
	v_or_b32_e32 v20, 0x33000000, v17
	v_add_lshl_u32 v18, v18, v19, 23
	v_lshrrev_b32_e32 v16, 9, v16
	v_sub_u32_e32 v18, v20, v18
	v_or_b32_e32 v17, 0.5, v17
	v_lshlrev_b32_e32 v19, 23, v19
	v_or_b32_e32 v16, v18, v16
	v_lshrrev_b32_e32 v18, 9, v21
	v_sub_u32_e32 v17, v17, v19
	v_or_b32_e32 v17, v18, v17
	s_mov_b32 s6, 0x3fc90fda
	v_mul_f32_e32 v18, 0x3fc90fda, v17
	v_fma_f32 v19, v17, s6, -v18
	v_fmac_f32_e32 v19, 0x33a22168, v17
	v_fmac_f32_e32 v19, 0x3fc90fda, v16
	v_lshrrev_b32_e32 v16, 30, v24
	v_add_f32_e32 v17, v18, v19
	v_add_u32_e32 v16, v26, v16
.LBB68_68:
	s_andn2_saveexec_b64 s[6:7], s[16:17]
	s_cbranch_execz .LBB68_70
; %bb.69:
	s_mov_b32 s8, 0x3f22f983
	v_mul_f32_e64 v16, |v10|, s8
	v_rndne_f32_e32 v18, v16
	s_mov_b32 s8, 0xbfc90fda
	v_cvt_i32_f32_e32 v16, v18
	v_fma_f32 v17, v18, s8, |v10|
	v_fmac_f32_e32 v17, 0xb3a22168, v18
	v_fmac_f32_e32 v17, 0xa7c234c4, v18
.LBB68_70:
	s_or_b64 exec, exec, s[6:7]
	v_mul_f32_e32 v18, v17, v17
	v_mov_b32_e32 v19, 0x3c0881c4
	v_fmac_f32_e32 v19, 0xb94c1982, v18
	v_mov_b32_e32 v20, 0xbe2aaa9d
	v_fmac_f32_e32 v20, v18, v19
	v_mul_f32_e32 v19, v18, v20
	v_fmac_f32_e32 v17, v17, v19
	v_mov_b32_e32 v19, 0xbab64f3b
	v_fmac_f32_e32 v19, 0x37d75334, v18
	v_mov_b32_e32 v20, 0x3d2aabf7
	;; [unrolled: 2-line block ×3, first 2 shown]
	v_fmac_f32_e32 v19, v18, v20
	v_fma_f32 v18, v18, v19, 1.0
	v_and_b32_e32 v19, 1, v16
	v_lshlrev_b32_e32 v16, 30, v16
	v_cmp_eq_u32_e32 vcc, 0, v19
	v_and_b32_e32 v16, 0x80000000, v16
	v_xor_b32_e32 v15, v15, v10
	v_cndmask_b32_e32 v17, v18, v17, vcc
	v_xor_b32_e32 v15, v15, v16
	s_movk_i32 s6, 0x1f8
	v_xor_b32_e32 v15, v15, v17
	v_mov_b32_e32 v16, 0x7fc00000
	v_cmp_class_f32_e64 vcc, v10, s6
	v_cndmask_b32_e32 v10, v16, v15, vcc
	v_mul_f32_e32 v10, v10, v10
	s_mov_b32 s8, 0xc11de9e7
	v_div_scale_f32 v15, s[6:7], v10, v10, s8
	v_div_scale_f32 v16, vcc, s8, v10, s8
	v_sub_f32_e32 v8, 1.0, v8
	v_rcp_f32_e32 v17, v15
	v_fma_f32 v18, -v15, v17, 1.0
	v_fmac_f32_e32 v17, v18, v17
	v_mul_f32_e32 v18, v16, v17
	v_fma_f32 v19, -v15, v18, v16
	v_fmac_f32_e32 v18, v19, v17
	v_fma_f32 v15, -v15, v18, v16
	v_div_fmas_f32 v15, v15, v17, v18
	v_div_fixup_f32 v10, v15, v10, s8
	v_add_f32_e32 v15, 0, v10
	v_mov_b32_e32 v10, -1.0
.LBB68_71:
	s_or_b64 exec, exec, s[14:15]
	v_mul_f32_e32 v16, v8, v8
	v_div_scale_f32 v17, s[6:7], v16, v16, 1.0
	v_add_f32_e32 v8, 1.0, v8
	v_rcp_f32_e32 v18, v17
	v_fma_f32 v19, -v17, v18, 1.0
	v_fmac_f32_e32 v18, v19, v18
	v_div_scale_f32 v19, vcc, 1.0, v16, 1.0
	v_mul_f32_e32 v20, v19, v18
	v_fma_f32 v21, -v17, v20, v19
	v_fmac_f32_e32 v20, v21, v18
	v_fma_f32 v17, -v17, v20, v19
	v_div_fmas_f32 v17, v17, v18, v20
	v_div_fixup_f32 v16, v17, v16, 1.0
	v_add_f32_e32 v15, v15, v16
	v_mul_f32_e32 v16, v8, v8
	v_div_scale_f32 v17, s[6:7], v16, v16, 1.0
	v_add_f32_e32 v8, 1.0, v8
	v_rcp_f32_e32 v18, v17
	v_fma_f32 v19, -v17, v18, 1.0
	v_fmac_f32_e32 v18, v19, v18
	v_div_scale_f32 v19, vcc, 1.0, v16, 1.0
	v_mul_f32_e32 v20, v19, v18
	v_fma_f32 v21, -v17, v20, v19
	v_fmac_f32_e32 v20, v21, v18
	v_fma_f32 v17, -v17, v20, v19
	v_div_fmas_f32 v17, v17, v18, v20
	v_div_fixup_f32 v16, v17, v16, 1.0
	v_add_f32_e32 v15, v15, v16
	;; [unrolled: 14-line block ×6, first 2 shown]
	v_mul_f32_e32 v16, v8, v8
	v_div_scale_f32 v17, s[6:7], v16, v16, 1.0
	v_rcp_f32_e32 v18, v17
	v_fma_f32 v19, -v17, v18, 1.0
	v_fmac_f32_e32 v18, v19, v18
	v_div_scale_f32 v19, vcc, 1.0, v16, 1.0
	v_mul_f32_e32 v20, v19, v18
	v_fma_f32 v21, -v17, v20, v19
	v_fmac_f32_e32 v20, v21, v18
	v_fma_f32 v17, -v17, v20, v19
	v_div_fmas_f32 v17, v17, v18, v20
	v_div_fixup_f32 v16, v17, v16, 1.0
	v_add_f32_e32 v17, v8, v8
	v_div_scale_f32 v18, s[6:7], v17, v17, 1.0
	s_mov_b32 s6, 0x3e2aaaab
	v_rcp_f32_e32 v19, v18
	v_fma_f32 v20, -v18, v19, 1.0
	v_fmac_f32_e32 v19, v20, v19
	v_div_scale_f32 v20, vcc, 1.0, v17, 1.0
	v_mul_f32_e32 v21, v20, v19
	v_fma_f32 v22, -v18, v21, v20
	v_fmac_f32_e32 v21, v22, v19
	v_fma_f32 v18, -v18, v21, v20
	v_div_fmas_f32 v18, v18, v19, v21
	v_div_fixup_f32 v17, v18, v17, 1.0
	v_mov_b32_e32 v18, 0x3d088889
	v_fmac_f32_e32 v18, 0xbcc30c31, v16
	v_add_f32_e32 v17, 1.0, v17
	v_fma_f32 v18, -v16, v18, s6
	v_fmac_f32_e32 v17, v16, v18
	v_div_scale_f32 v16, s[6:7], v8, v8, v17
	s_movk_i32 s6, 0x7fff
	v_rcp_f32_e32 v18, v16
	v_fma_f32 v19, -v16, v18, 1.0
	v_fmac_f32_e32 v18, v19, v18
	v_div_scale_f32 v19, vcc, v17, v8, v17
	v_mul_f32_e32 v20, v19, v18
	v_fma_f32 v21, -v16, v20, v19
	v_fmac_f32_e32 v20, v21, v18
	v_fma_f32 v16, -v16, v20, v19
	v_div_fmas_f32 v16, v16, v18, v20
	v_div_fixup_f32 v8, v16, v8, v17
	v_add_f32_e32 v8, v15, v8
	v_mul_f32_e32 v8, v10, v8
	v_bfe_u32 v10, v8, 16, 1
	v_add3_u32 v10, v8, v10, s6
	v_cmp_o_f32_e32 vcc, v8, v8
	v_mov_b32_e32 v8, 0x7fc0
	v_cndmask_b32_sdwa v10, v8, v10, vcc dst_sel:DWORD dst_unused:UNUSED_PAD src0_sel:DWORD src1_sel:WORD_1
.LBB68_72:
	s_or_b64 exec, exec, s[12:13]
	v_add_u32_e32 v8, 0x700, v7
	v_cmp_lt_i32_e32 vcc, v8, v4
                                        ; implicit-def: $vgpr8
	s_and_saveexec_b64 s[12:13], vcc
	s_cbranch_execnz .LBB68_82
; %bb.73:
	s_or_b64 exec, exec, s[12:13]
	s_and_saveexec_b64 s[6:7], s[4:5]
	s_xor_b64 s[4:5], exec, s[6:7]
	s_cbranch_execnz .LBB68_89
.LBB68_74:
	s_or_b64 exec, exec, s[4:5]
	v_cmp_lt_i32_e32 vcc, v7, v4
	s_and_saveexec_b64 s[4:5], vcc
	s_cbranch_execnz .LBB68_90
.LBB68_75:
	s_or_b64 exec, exec, s[4:5]
	v_cmp_lt_i32_e32 vcc, v7, v4
	s_and_saveexec_b64 s[4:5], vcc
	s_cbranch_execnz .LBB68_91
.LBB68_76:
	s_or_b64 exec, exec, s[4:5]
	v_cmp_lt_i32_e32 vcc, v7, v4
	s_and_saveexec_b64 s[4:5], vcc
	s_cbranch_execnz .LBB68_92
.LBB68_77:
	s_or_b64 exec, exec, s[4:5]
	v_cmp_lt_i32_e32 vcc, v7, v4
	s_and_saveexec_b64 s[4:5], vcc
	s_cbranch_execnz .LBB68_93
.LBB68_78:
	s_or_b64 exec, exec, s[4:5]
	v_cmp_lt_i32_e32 vcc, v7, v4
	s_and_saveexec_b64 s[4:5], vcc
	s_cbranch_execnz .LBB68_94
.LBB68_79:
	s_or_b64 exec, exec, s[4:5]
	v_cmp_lt_i32_e32 vcc, v7, v4
	s_and_saveexec_b64 s[4:5], vcc
	s_cbranch_execnz .LBB68_95
.LBB68_80:
	s_or_b64 exec, exec, s[4:5]
	v_cmp_lt_i32_e32 vcc, v7, v4
	s_and_saveexec_b64 s[4:5], vcc
	s_cbranch_execnz .LBB68_96
.LBB68_81:
	s_or_b64 exec, exec, s[4:5]
	s_waitcnt vmcnt(0) lgkmcnt(0)
	s_setpc_b64 s[30:31]
.LBB68_82:
	v_cmp_gt_f32_e32 vcc, 0.5, v6
	v_mov_b32_e32 v15, 0
	v_mov_b32_e32 v8, 1.0
	s_and_saveexec_b64 s[14:15], vcc
	s_cbranch_execz .LBB68_88
; %bb.83:
	v_mul_f32_e32 v8, 0x40490fdb, v6
	s_brev_b32 s6, 18
	v_and_b32_e32 v15, 0x7fffffff, v8
	v_cmp_nlt_f32_e64 s[6:7], |v8|, s6
                                        ; implicit-def: $vgpr16
                                        ; implicit-def: $vgpr17
	s_and_saveexec_b64 s[8:9], s[6:7]
	s_xor_b64 s[16:17], exec, s[8:9]
	s_cbranch_execz .LBB68_85
; %bb.84:
	v_and_b32_e32 v16, 0x7fffff, v15
	v_or_b32_e32 v25, 0x800000, v16
	s_mov_b32 s6, 0xfe5163ab
	v_mad_u64_u32 v[16:17], s[6:7], v25, s6, 0
	v_mov_b32_e32 v18, 0
	s_mov_b32 s6, 0x3c439041
	v_mad_u64_u32 v[19:20], s[6:7], v25, s6, v[17:18]
	s_mov_b32 s6, 0xdb629599
	v_not_b32_e32 v24, 63
	v_mov_b32_e32 v17, v20
	v_mad_u64_u32 v[20:21], s[6:7], v25, s6, v[17:18]
	s_mov_b32 s6, 0xf534ddc0
	v_not_b32_e32 v27, 31
	v_mov_b32_e32 v17, v21
	v_mad_u64_u32 v[21:22], s[6:7], v25, s6, v[17:18]
	v_lshrrev_b32_e32 v17, 23, v15
	v_add_u32_e32 v26, 0xffffff88, v17
	v_mov_b32_e32 v17, v22
	s_mov_b32 s6, 0xfc2757d1
	v_mad_u64_u32 v[22:23], s[6:7], v25, s6, v[17:18]
	v_cmp_lt_u32_e32 vcc, 63, v26
	v_cndmask_b32_e32 v17, 0, v24, vcc
	v_add_u32_e32 v26, v17, v26
	v_mov_b32_e32 v17, v23
	s_mov_b32 s6, 0x4e441529
	v_mad_u64_u32 v[23:24], s[6:7], v25, s6, v[17:18]
	v_cmp_lt_u32_e64 s[6:7], 31, v26
	v_cndmask_b32_e64 v17, 0, v27, s[6:7]
	v_add_u32_e32 v26, v17, v26
	v_mov_b32_e32 v17, v24
	s_mov_b32 s8, 0xa2f9836e
	v_mad_u64_u32 v[17:18], s[8:9], v25, s8, v[17:18]
	v_cmp_lt_u32_e64 s[8:9], 31, v26
	v_cndmask_b32_e64 v24, 0, v27, s[8:9]
	v_cndmask_b32_e32 v25, v23, v21, vcc
	v_cndmask_b32_e32 v17, v17, v22, vcc
	;; [unrolled: 1-line block ×3, first 2 shown]
	v_add_u32_e32 v24, v24, v26
	v_cndmask_b32_e64 v26, v17, v25, s[6:7]
	v_cndmask_b32_e64 v17, v18, v17, s[6:7]
	v_cndmask_b32_e32 v18, v22, v20, vcc
	v_cndmask_b32_e64 v22, v25, v18, s[6:7]
	v_cndmask_b32_e64 v17, v17, v26, s[8:9]
	;; [unrolled: 1-line block ×3, first 2 shown]
	v_sub_u32_e32 v25, 32, v24
	v_alignbit_b32 v26, v17, v23, v25
	v_cmp_eq_u32_e64 s[10:11], 0, v24
	v_cndmask_b32_e64 v24, v26, v17, s[10:11]
	v_cndmask_b32_e32 v17, v21, v19, vcc
	v_cndmask_b32_e64 v18, v18, v17, s[6:7]
	v_cndmask_b32_e64 v19, v22, v18, s[8:9]
	v_alignbit_b32 v21, v23, v19, v25
	v_cndmask_b32_e32 v16, v20, v16, vcc
	v_cndmask_b32_e64 v21, v21, v23, s[10:11]
	v_bfe_u32 v26, v24, 29, 1
	v_cndmask_b32_e64 v16, v17, v16, s[6:7]
	v_alignbit_b32 v22, v24, v21, 30
	v_sub_u32_e32 v27, 0, v26
	v_cndmask_b32_e64 v16, v18, v16, s[8:9]
	v_xor_b32_e32 v22, v22, v27
	v_alignbit_b32 v17, v19, v16, v25
	v_cndmask_b32_e64 v17, v17, v19, s[10:11]
	v_ffbh_u32_e32 v19, v22
	v_alignbit_b32 v18, v21, v17, 30
	v_min_u32_e32 v19, 32, v19
	v_alignbit_b32 v16, v17, v16, 30
	v_xor_b32_e32 v18, v18, v27
	v_sub_u32_e32 v20, 31, v19
	v_xor_b32_e32 v16, v16, v27
	v_alignbit_b32 v21, v22, v18, v20
	v_alignbit_b32 v16, v18, v16, v20
	;; [unrolled: 1-line block ×3, first 2 shown]
	v_ffbh_u32_e32 v18, v17
	v_min_u32_e32 v18, 32, v18
	v_lshrrev_b32_e32 v23, 29, v24
	v_not_b32_e32 v20, v18
	v_alignbit_b32 v16, v17, v16, v20
	v_lshlrev_b32_e32 v17, 31, v23
	v_or_b32_e32 v20, 0x33000000, v17
	v_add_lshl_u32 v18, v18, v19, 23
	v_lshrrev_b32_e32 v16, 9, v16
	v_sub_u32_e32 v18, v20, v18
	v_or_b32_e32 v17, 0.5, v17
	v_lshlrev_b32_e32 v19, 23, v19
	v_or_b32_e32 v16, v18, v16
	v_lshrrev_b32_e32 v18, 9, v21
	v_sub_u32_e32 v17, v17, v19
	v_or_b32_e32 v17, v18, v17
	s_mov_b32 s6, 0x3fc90fda
	v_mul_f32_e32 v18, 0x3fc90fda, v17
	v_fma_f32 v19, v17, s6, -v18
	v_fmac_f32_e32 v19, 0x33a22168, v17
	v_fmac_f32_e32 v19, 0x3fc90fda, v16
	v_lshrrev_b32_e32 v16, 30, v24
	v_add_f32_e32 v17, v18, v19
	v_add_u32_e32 v16, v26, v16
.LBB68_85:
	s_andn2_saveexec_b64 s[6:7], s[16:17]
	s_cbranch_execz .LBB68_87
; %bb.86:
	s_mov_b32 s8, 0x3f22f983
	v_mul_f32_e64 v16, |v8|, s8
	v_rndne_f32_e32 v18, v16
	s_mov_b32 s8, 0xbfc90fda
	v_cvt_i32_f32_e32 v16, v18
	v_fma_f32 v17, v18, s8, |v8|
	v_fmac_f32_e32 v17, 0xb3a22168, v18
	v_fmac_f32_e32 v17, 0xa7c234c4, v18
.LBB68_87:
	s_or_b64 exec, exec, s[6:7]
	v_mul_f32_e32 v18, v17, v17
	v_mov_b32_e32 v19, 0x3c0881c4
	v_fmac_f32_e32 v19, 0xb94c1982, v18
	v_mov_b32_e32 v20, 0xbe2aaa9d
	v_fmac_f32_e32 v20, v18, v19
	v_mul_f32_e32 v19, v18, v20
	v_fmac_f32_e32 v17, v17, v19
	v_mov_b32_e32 v19, 0xbab64f3b
	v_fmac_f32_e32 v19, 0x37d75334, v18
	v_mov_b32_e32 v20, 0x3d2aabf7
	;; [unrolled: 2-line block ×3, first 2 shown]
	v_fmac_f32_e32 v19, v18, v20
	v_fma_f32 v18, v18, v19, 1.0
	v_and_b32_e32 v19, 1, v16
	v_lshlrev_b32_e32 v16, 30, v16
	v_cmp_eq_u32_e32 vcc, 0, v19
	v_and_b32_e32 v16, 0x80000000, v16
	v_xor_b32_e32 v15, v15, v8
	v_cndmask_b32_e32 v17, v18, v17, vcc
	v_xor_b32_e32 v15, v15, v16
	s_movk_i32 s6, 0x1f8
	v_xor_b32_e32 v15, v15, v17
	v_mov_b32_e32 v16, 0x7fc00000
	v_cmp_class_f32_e64 vcc, v8, s6
	v_cndmask_b32_e32 v8, v16, v15, vcc
	v_mul_f32_e32 v8, v8, v8
	s_mov_b32 s8, 0xc11de9e7
	v_div_scale_f32 v15, s[6:7], v8, v8, s8
	v_div_scale_f32 v16, vcc, s8, v8, s8
	v_sub_f32_e32 v6, 1.0, v6
	v_rcp_f32_e32 v17, v15
	v_fma_f32 v18, -v15, v17, 1.0
	v_fmac_f32_e32 v17, v18, v17
	v_mul_f32_e32 v18, v16, v17
	v_fma_f32 v19, -v15, v18, v16
	v_fmac_f32_e32 v18, v19, v17
	v_fma_f32 v15, -v15, v18, v16
	v_div_fmas_f32 v15, v15, v17, v18
	v_div_fixup_f32 v8, v15, v8, s8
	v_add_f32_e32 v15, 0, v8
	v_mov_b32_e32 v8, -1.0
.LBB68_88:
	s_or_b64 exec, exec, s[14:15]
	v_mul_f32_e32 v16, v6, v6
	v_div_scale_f32 v17, s[6:7], v16, v16, 1.0
	v_add_f32_e32 v6, 1.0, v6
	v_rcp_f32_e32 v18, v17
	v_fma_f32 v19, -v17, v18, 1.0
	v_fmac_f32_e32 v18, v19, v18
	v_div_scale_f32 v19, vcc, 1.0, v16, 1.0
	v_mul_f32_e32 v20, v19, v18
	v_fma_f32 v21, -v17, v20, v19
	v_fmac_f32_e32 v20, v21, v18
	v_fma_f32 v17, -v17, v20, v19
	v_div_fmas_f32 v17, v17, v18, v20
	v_div_fixup_f32 v16, v17, v16, 1.0
	v_add_f32_e32 v15, v15, v16
	v_mul_f32_e32 v16, v6, v6
	v_div_scale_f32 v17, s[6:7], v16, v16, 1.0
	v_add_f32_e32 v6, 1.0, v6
	v_rcp_f32_e32 v18, v17
	v_fma_f32 v19, -v17, v18, 1.0
	v_fmac_f32_e32 v18, v19, v18
	v_div_scale_f32 v19, vcc, 1.0, v16, 1.0
	v_mul_f32_e32 v20, v19, v18
	v_fma_f32 v21, -v17, v20, v19
	v_fmac_f32_e32 v20, v21, v18
	v_fma_f32 v17, -v17, v20, v19
	v_div_fmas_f32 v17, v17, v18, v20
	v_div_fixup_f32 v16, v17, v16, 1.0
	v_add_f32_e32 v15, v15, v16
	v_mul_f32_e32 v16, v6, v6
	v_div_scale_f32 v17, s[6:7], v16, v16, 1.0
	v_add_f32_e32 v6, 1.0, v6
	v_rcp_f32_e32 v18, v17
	v_fma_f32 v19, -v17, v18, 1.0
	v_fmac_f32_e32 v18, v19, v18
	v_div_scale_f32 v19, vcc, 1.0, v16, 1.0
	v_mul_f32_e32 v20, v19, v18
	v_fma_f32 v21, -v17, v20, v19
	v_fmac_f32_e32 v20, v21, v18
	v_fma_f32 v17, -v17, v20, v19
	v_div_fmas_f32 v17, v17, v18, v20
	v_div_fixup_f32 v16, v17, v16, 1.0
	v_add_f32_e32 v15, v15, v16
	v_mul_f32_e32 v16, v6, v6
	v_div_scale_f32 v17, s[6:7], v16, v16, 1.0
	v_add_f32_e32 v6, 1.0, v6
	v_rcp_f32_e32 v18, v17
	v_fma_f32 v19, -v17, v18, 1.0
	v_fmac_f32_e32 v18, v19, v18
	v_div_scale_f32 v19, vcc, 1.0, v16, 1.0
	v_mul_f32_e32 v20, v19, v18
	v_fma_f32 v21, -v17, v20, v19
	v_fmac_f32_e32 v20, v21, v18
	v_fma_f32 v17, -v17, v20, v19
	v_div_fmas_f32 v17, v17, v18, v20
	v_div_fixup_f32 v16, v17, v16, 1.0
	v_add_f32_e32 v15, v15, v16
	v_mul_f32_e32 v16, v6, v6
	v_div_scale_f32 v17, s[6:7], v16, v16, 1.0
	v_add_f32_e32 v6, 1.0, v6
	v_rcp_f32_e32 v18, v17
	v_fma_f32 v19, -v17, v18, 1.0
	v_fmac_f32_e32 v18, v19, v18
	v_div_scale_f32 v19, vcc, 1.0, v16, 1.0
	v_mul_f32_e32 v20, v19, v18
	v_fma_f32 v21, -v17, v20, v19
	v_fmac_f32_e32 v20, v21, v18
	v_fma_f32 v17, -v17, v20, v19
	v_div_fmas_f32 v17, v17, v18, v20
	v_div_fixup_f32 v16, v17, v16, 1.0
	v_add_f32_e32 v15, v15, v16
	v_mul_f32_e32 v16, v6, v6
	v_div_scale_f32 v17, s[6:7], v16, v16, 1.0
	v_add_f32_e32 v6, 1.0, v6
	v_rcp_f32_e32 v18, v17
	v_fma_f32 v19, -v17, v18, 1.0
	v_fmac_f32_e32 v18, v19, v18
	v_div_scale_f32 v19, vcc, 1.0, v16, 1.0
	v_mul_f32_e32 v20, v19, v18
	v_fma_f32 v21, -v17, v20, v19
	v_fmac_f32_e32 v20, v21, v18
	v_fma_f32 v17, -v17, v20, v19
	v_div_fmas_f32 v17, v17, v18, v20
	v_div_fixup_f32 v16, v17, v16, 1.0
	v_add_f32_e32 v15, v15, v16
	v_mul_f32_e32 v16, v6, v6
	v_div_scale_f32 v17, s[6:7], v16, v16, 1.0
	v_rcp_f32_e32 v18, v17
	v_fma_f32 v19, -v17, v18, 1.0
	v_fmac_f32_e32 v18, v19, v18
	v_div_scale_f32 v19, vcc, 1.0, v16, 1.0
	v_mul_f32_e32 v20, v19, v18
	v_fma_f32 v21, -v17, v20, v19
	v_fmac_f32_e32 v20, v21, v18
	v_fma_f32 v17, -v17, v20, v19
	v_div_fmas_f32 v17, v17, v18, v20
	v_div_fixup_f32 v16, v17, v16, 1.0
	v_add_f32_e32 v17, v6, v6
	v_div_scale_f32 v18, s[6:7], v17, v17, 1.0
	s_mov_b32 s6, 0x3e2aaaab
	v_rcp_f32_e32 v19, v18
	v_fma_f32 v20, -v18, v19, 1.0
	v_fmac_f32_e32 v19, v20, v19
	v_div_scale_f32 v20, vcc, 1.0, v17, 1.0
	v_mul_f32_e32 v21, v20, v19
	v_fma_f32 v22, -v18, v21, v20
	v_fmac_f32_e32 v21, v22, v19
	v_fma_f32 v18, -v18, v21, v20
	v_div_fmas_f32 v18, v18, v19, v21
	v_div_fixup_f32 v17, v18, v17, 1.0
	v_mov_b32_e32 v18, 0x3d088889
	v_fmac_f32_e32 v18, 0xbcc30c31, v16
	v_add_f32_e32 v17, 1.0, v17
	v_fma_f32 v18, -v16, v18, s6
	v_fmac_f32_e32 v17, v16, v18
	v_div_scale_f32 v16, s[6:7], v6, v6, v17
	s_movk_i32 s6, 0x7fff
	v_rcp_f32_e32 v18, v16
	v_fma_f32 v19, -v16, v18, 1.0
	v_fmac_f32_e32 v18, v19, v18
	v_div_scale_f32 v19, vcc, v17, v6, v17
	v_mul_f32_e32 v20, v19, v18
	v_fma_f32 v21, -v16, v20, v19
	v_fmac_f32_e32 v20, v21, v18
	v_fma_f32 v16, -v16, v20, v19
	v_div_fmas_f32 v16, v16, v18, v20
	v_div_fixup_f32 v6, v16, v6, v17
	v_add_f32_e32 v6, v15, v6
	v_mul_f32_e32 v6, v8, v6
	v_bfe_u32 v8, v6, 16, 1
	v_add3_u32 v8, v6, v8, s6
	v_cmp_o_f32_e32 vcc, v6, v6
	v_mov_b32_e32 v6, 0x7fc0
	v_cndmask_b32_sdwa v8, v6, v8, vcc dst_sel:DWORD dst_unused:UNUSED_PAD src0_sel:DWORD src1_sel:WORD_1
	s_or_b64 exec, exec, s[12:13]
	s_and_saveexec_b64 s[6:7], s[4:5]
	s_xor_b64 s[4:5], exec, s[6:7]
	s_cbranch_execz .LBB68_74
.LBB68_89:
	v_mov_b32_e32 v6, 0
	v_lshlrev_b64 v[5:6], 1, v[5:6]
	v_mov_b32_e32 v7, v3
	v_add_co_u32_e32 v5, vcc, v0, v5
	v_addc_co_u32_e32 v6, vcc, v1, v6, vcc
	flat_store_short v[5:6], v2
	s_or_b64 exec, exec, s[4:5]
	v_cmp_lt_i32_e32 vcc, v7, v4
	s_and_saveexec_b64 s[4:5], vcc
	s_cbranch_execz .LBB68_75
.LBB68_90:
	v_add_u32_e32 v2, s18, v7
	v_mov_b32_e32 v3, 0
	v_lshlrev_b64 v[2:3], 1, v[2:3]
	v_add_u32_e32 v7, 0x100, v7
	v_add_co_u32_e32 v2, vcc, v0, v2
	v_addc_co_u32_e32 v3, vcc, v1, v3, vcc
	flat_store_short v[2:3], v9
	s_or_b64 exec, exec, s[4:5]
	v_cmp_lt_i32_e32 vcc, v7, v4
	s_and_saveexec_b64 s[4:5], vcc
	s_cbranch_execz .LBB68_76
.LBB68_91:
	v_add_u32_e32 v2, s18, v7
	v_mov_b32_e32 v3, 0
	v_lshlrev_b64 v[2:3], 1, v[2:3]
	v_add_u32_e32 v7, 0x100, v7
	v_add_co_u32_e32 v2, vcc, v0, v2
	v_addc_co_u32_e32 v3, vcc, v1, v3, vcc
	flat_store_short v[2:3], v11
	s_or_b64 exec, exec, s[4:5]
	v_cmp_lt_i32_e32 vcc, v7, v4
	s_and_saveexec_b64 s[4:5], vcc
	s_cbranch_execz .LBB68_77
.LBB68_92:
	v_add_u32_e32 v2, s18, v7
	v_mov_b32_e32 v3, 0
	v_lshlrev_b64 v[2:3], 1, v[2:3]
	v_add_u32_e32 v7, 0x100, v7
	v_add_co_u32_e32 v2, vcc, v0, v2
	v_addc_co_u32_e32 v3, vcc, v1, v3, vcc
	flat_store_short v[2:3], v13
	s_or_b64 exec, exec, s[4:5]
	v_cmp_lt_i32_e32 vcc, v7, v4
	s_and_saveexec_b64 s[4:5], vcc
	s_cbranch_execz .LBB68_78
.LBB68_93:
	v_add_u32_e32 v2, s18, v7
	v_mov_b32_e32 v3, 0
	v_lshlrev_b64 v[2:3], 1, v[2:3]
	v_add_u32_e32 v7, 0x100, v7
	v_add_co_u32_e32 v2, vcc, v0, v2
	v_addc_co_u32_e32 v3, vcc, v1, v3, vcc
	flat_store_short v[2:3], v14
	s_or_b64 exec, exec, s[4:5]
	v_cmp_lt_i32_e32 vcc, v7, v4
	s_and_saveexec_b64 s[4:5], vcc
	s_cbranch_execz .LBB68_79
.LBB68_94:
	v_add_u32_e32 v2, s18, v7
	v_mov_b32_e32 v3, 0
	v_lshlrev_b64 v[2:3], 1, v[2:3]
	v_add_u32_e32 v7, 0x100, v7
	v_add_co_u32_e32 v2, vcc, v0, v2
	v_addc_co_u32_e32 v3, vcc, v1, v3, vcc
	flat_store_short v[2:3], v12
	s_or_b64 exec, exec, s[4:5]
	v_cmp_lt_i32_e32 vcc, v7, v4
	s_and_saveexec_b64 s[4:5], vcc
	s_cbranch_execz .LBB68_80
.LBB68_95:
	v_add_u32_e32 v2, s18, v7
	v_mov_b32_e32 v3, 0
	v_lshlrev_b64 v[2:3], 1, v[2:3]
	v_add_u32_e32 v7, 0x100, v7
	v_add_co_u32_e32 v2, vcc, v0, v2
	v_addc_co_u32_e32 v3, vcc, v1, v3, vcc
	flat_store_short v[2:3], v10
	s_or_b64 exec, exec, s[4:5]
	v_cmp_lt_i32_e32 vcc, v7, v4
	s_and_saveexec_b64 s[4:5], vcc
	s_cbranch_execz .LBB68_81
.LBB68_96:
	v_add_u32_e32 v2, s18, v7
	v_mov_b32_e32 v3, 0
	v_lshlrev_b64 v[2:3], 1, v[2:3]
	v_add_co_u32_e32 v0, vcc, v0, v2
	v_addc_co_u32_e32 v1, vcc, v1, v3, vcc
	flat_store_short v[0:1], v8
	s_or_b64 exec, exec, s[4:5]
	s_waitcnt vmcnt(0) lgkmcnt(0)
	s_setpc_b64 s[30:31]
.Lfunc_end68:
	.size	_ZN2at6native25elementwise_kernel_helperILb0EZZZNS0_20trigamma_kernel_cudaERNS_18TensorIteratorBaseEENKUlvE_clEvENKUlvE2_clEvEUlN3c108BFloat16EE_NS0_6memory8policies11unroll_baseILi256ESt5arrayIPcLm2EE23TrivialOffsetCalculatorILi1EjESG_NS9_15LoadWithoutCastENS9_16StoreWithoutCastELi8ELi1EEEEEvT0_T1_, .Lfunc_end68-_ZN2at6native25elementwise_kernel_helperILb0EZZZNS0_20trigamma_kernel_cudaERNS_18TensorIteratorBaseEENKUlvE_clEvENKUlvE2_clEvEUlN3c108BFloat16EE_NS0_6memory8policies11unroll_baseILi256ESt5arrayIPcLm2EE23TrivialOffsetCalculatorILi1EjESG_NS9_15LoadWithoutCastENS9_16StoreWithoutCastELi8ELi1EEEEEvT0_T1_
                                        ; -- End function
	.set .L_ZN2at6native25elementwise_kernel_helperILb0EZZZNS0_20trigamma_kernel_cudaERNS_18TensorIteratorBaseEENKUlvE_clEvENKUlvE2_clEvEUlN3c108BFloat16EE_NS0_6memory8policies11unroll_baseILi256ESt5arrayIPcLm2EE23TrivialOffsetCalculatorILi1EjESG_NS9_15LoadWithoutCastENS9_16StoreWithoutCastELi8ELi1EEEEEvT0_T1_.num_vgpr, 32
	.set .L_ZN2at6native25elementwise_kernel_helperILb0EZZZNS0_20trigamma_kernel_cudaERNS_18TensorIteratorBaseEENKUlvE_clEvENKUlvE2_clEvEUlN3c108BFloat16EE_NS0_6memory8policies11unroll_baseILi256ESt5arrayIPcLm2EE23TrivialOffsetCalculatorILi1EjESG_NS9_15LoadWithoutCastENS9_16StoreWithoutCastELi8ELi1EEEEEvT0_T1_.num_agpr, 0
	.set .L_ZN2at6native25elementwise_kernel_helperILb0EZZZNS0_20trigamma_kernel_cudaERNS_18TensorIteratorBaseEENKUlvE_clEvENKUlvE2_clEvEUlN3c108BFloat16EE_NS0_6memory8policies11unroll_baseILi256ESt5arrayIPcLm2EE23TrivialOffsetCalculatorILi1EjESG_NS9_15LoadWithoutCastENS9_16StoreWithoutCastELi8ELi1EEEEEvT0_T1_.numbered_sgpr, 32
	.set .L_ZN2at6native25elementwise_kernel_helperILb0EZZZNS0_20trigamma_kernel_cudaERNS_18TensorIteratorBaseEENKUlvE_clEvENKUlvE2_clEvEUlN3c108BFloat16EE_NS0_6memory8policies11unroll_baseILi256ESt5arrayIPcLm2EE23TrivialOffsetCalculatorILi1EjESG_NS9_15LoadWithoutCastENS9_16StoreWithoutCastELi8ELi1EEEEEvT0_T1_.num_named_barrier, 0
	.set .L_ZN2at6native25elementwise_kernel_helperILb0EZZZNS0_20trigamma_kernel_cudaERNS_18TensorIteratorBaseEENKUlvE_clEvENKUlvE2_clEvEUlN3c108BFloat16EE_NS0_6memory8policies11unroll_baseILi256ESt5arrayIPcLm2EE23TrivialOffsetCalculatorILi1EjESG_NS9_15LoadWithoutCastENS9_16StoreWithoutCastELi8ELi1EEEEEvT0_T1_.private_seg_size, 0
	.set .L_ZN2at6native25elementwise_kernel_helperILb0EZZZNS0_20trigamma_kernel_cudaERNS_18TensorIteratorBaseEENKUlvE_clEvENKUlvE2_clEvEUlN3c108BFloat16EE_NS0_6memory8policies11unroll_baseILi256ESt5arrayIPcLm2EE23TrivialOffsetCalculatorILi1EjESG_NS9_15LoadWithoutCastENS9_16StoreWithoutCastELi8ELi1EEEEEvT0_T1_.uses_vcc, 1
	.set .L_ZN2at6native25elementwise_kernel_helperILb0EZZZNS0_20trigamma_kernel_cudaERNS_18TensorIteratorBaseEENKUlvE_clEvENKUlvE2_clEvEUlN3c108BFloat16EE_NS0_6memory8policies11unroll_baseILi256ESt5arrayIPcLm2EE23TrivialOffsetCalculatorILi1EjESG_NS9_15LoadWithoutCastENS9_16StoreWithoutCastELi8ELi1EEEEEvT0_T1_.uses_flat_scratch, 0
	.set .L_ZN2at6native25elementwise_kernel_helperILb0EZZZNS0_20trigamma_kernel_cudaERNS_18TensorIteratorBaseEENKUlvE_clEvENKUlvE2_clEvEUlN3c108BFloat16EE_NS0_6memory8policies11unroll_baseILi256ESt5arrayIPcLm2EE23TrivialOffsetCalculatorILi1EjESG_NS9_15LoadWithoutCastENS9_16StoreWithoutCastELi8ELi1EEEEEvT0_T1_.has_dyn_sized_stack, 0
	.set .L_ZN2at6native25elementwise_kernel_helperILb0EZZZNS0_20trigamma_kernel_cudaERNS_18TensorIteratorBaseEENKUlvE_clEvENKUlvE2_clEvEUlN3c108BFloat16EE_NS0_6memory8policies11unroll_baseILi256ESt5arrayIPcLm2EE23TrivialOffsetCalculatorILi1EjESG_NS9_15LoadWithoutCastENS9_16StoreWithoutCastELi8ELi1EEEEEvT0_T1_.has_recursion, 0
	.set .L_ZN2at6native25elementwise_kernel_helperILb0EZZZNS0_20trigamma_kernel_cudaERNS_18TensorIteratorBaseEENKUlvE_clEvENKUlvE2_clEvEUlN3c108BFloat16EE_NS0_6memory8policies11unroll_baseILi256ESt5arrayIPcLm2EE23TrivialOffsetCalculatorILi1EjESG_NS9_15LoadWithoutCastENS9_16StoreWithoutCastELi8ELi1EEEEEvT0_T1_.has_indirect_call, 0
	.section	.AMDGPU.csdata,"",@progbits
; Function info:
; codeLenInByte = 15624
; TotalNumSgprs: 36
; NumVgprs: 32
; ScratchSize: 0
; MemoryBound: 0
	.text
	.p2align	2                               ; -- Begin function _ZN2at6native25elementwise_kernel_helperILb0EZZZNS0_20trigamma_kernel_cudaERNS_18TensorIteratorBaseEENKUlvE_clEvENKUlvE2_clEvEUlN3c108BFloat16EE_NS0_6memory8policies10vectorizedILi8ESt5arrayIPcLm2EELi8EEEEEvT0_T1_
	.type	_ZN2at6native25elementwise_kernel_helperILb0EZZZNS0_20trigamma_kernel_cudaERNS_18TensorIteratorBaseEENKUlvE_clEvENKUlvE2_clEvEUlN3c108BFloat16EE_NS0_6memory8policies10vectorizedILi8ESt5arrayIPcLm2EELi8EEEEEvT0_T1_,@function
_ZN2at6native25elementwise_kernel_helperILb0EZZZNS0_20trigamma_kernel_cudaERNS_18TensorIteratorBaseEENKUlvE_clEvENKUlvE2_clEvEUlN3c108BFloat16EE_NS0_6memory8policies10vectorizedILi8ESt5arrayIPcLm2EELi8EEEEEvT0_T1_: ; @_ZN2at6native25elementwise_kernel_helperILb0EZZZNS0_20trigamma_kernel_cudaERNS_18TensorIteratorBaseEENKUlvE_clEvENKUlvE2_clEvEUlN3c108BFloat16EE_NS0_6memory8policies10vectorizedILi8ESt5arrayIPcLm2EELi8EEEEEvT0_T1_
; %bb.0:
	s_waitcnt vmcnt(0) expcnt(0) lgkmcnt(0)
	s_lshl_b32 s4, s12, 11
	s_ashr_i32 s5, s4, 31
	s_lshl_b64 s[10:11], s[4:5], 1
	v_mov_b32_e32 v4, s11
	v_add_co_u32_e32 v2, vcc, s10, v2
	v_addc_co_u32_e32 v3, vcc, v3, v4, vcc
	v_and_b32_e32 v4, 0x3ff, v31
	v_lshlrev_b32_e32 v10, 4, v4
	v_add_co_u32_e32 v2, vcc, v2, v10
	v_addc_co_u32_e32 v3, vcc, 0, v3, vcc
	flat_load_dwordx4 v[2:5], v[2:3]
	v_mov_b32_e32 v15, 0
	v_mov_b32_e32 v12, 1.0
	s_waitcnt vmcnt(0) lgkmcnt(0)
	v_lshlrev_b32_e32 v19, 16, v2
	v_cmp_gt_f32_e32 vcc, 0.5, v19
	s_and_saveexec_b64 s[12:13], vcc
	s_cbranch_execz .LBB69_6
; %bb.1:
	v_mul_f32_e32 v6, 0x40490fdb, v19
	s_brev_b32 s4, 18
	v_and_b32_e32 v7, 0x7fffffff, v6
	v_cmp_nlt_f32_e64 s[4:5], |v6|, s4
                                        ; implicit-def: $vgpr8
                                        ; implicit-def: $vgpr9
	s_and_saveexec_b64 s[6:7], s[4:5]
	s_xor_b64 s[14:15], exec, s[6:7]
	s_cbranch_execz .LBB69_3
; %bb.2:
	v_and_b32_e32 v8, 0x7fffff, v7
	v_or_b32_e32 v20, 0x800000, v8
	s_mov_b32 s4, 0xfe5163ab
	v_mad_u64_u32 v[8:9], s[4:5], v20, s4, 0
	v_mov_b32_e32 v12, 0
	s_mov_b32 s4, 0x3c439041
	v_mov_b32_e32 v11, v9
	v_mad_u64_u32 v[13:14], s[4:5], v20, s4, v[11:12]
	s_mov_b32 s4, 0xdb629599
	v_lshrrev_b32_e32 v9, 23, v7
	v_mov_b32_e32 v11, v14
	v_mad_u64_u32 v[14:15], s[4:5], v20, s4, v[11:12]
	s_mov_b32 s4, 0xf534ddc0
	v_add_u32_e32 v9, 0xffffff88, v9
	v_mov_b32_e32 v11, v15
	v_mad_u64_u32 v[15:16], s[4:5], v20, s4, v[11:12]
	s_mov_b32 s4, 0xfc2757d1
	v_not_b32_e32 v18, 63
	v_mov_b32_e32 v11, v16
	v_mad_u64_u32 v[16:17], s[4:5], v20, s4, v[11:12]
	v_cmp_lt_u32_e32 vcc, 63, v9
	v_cndmask_b32_e32 v11, 0, v18, vcc
	v_add_u32_e32 v9, v11, v9
	v_mov_b32_e32 v11, v17
	s_mov_b32 s4, 0x4e441529
	v_mad_u64_u32 v[17:18], s[4:5], v20, s4, v[11:12]
	v_not_b32_e32 v21, 31
	v_cmp_lt_u32_e64 s[4:5], 31, v9
	v_cndmask_b32_e64 v11, 0, v21, s[4:5]
	v_add_u32_e32 v9, v11, v9
	v_mov_b32_e32 v11, v18
	s_mov_b32 s6, 0xa2f9836e
	v_mad_u64_u32 v[11:12], s[6:7], v20, s6, v[11:12]
	v_cmp_lt_u32_e64 s[6:7], 31, v9
	v_cndmask_b32_e64 v18, 0, v21, s[6:7]
	v_add_u32_e32 v9, v18, v9
	v_cndmask_b32_e32 v18, v17, v15, vcc
	v_cndmask_b32_e32 v11, v11, v16, vcc
	;; [unrolled: 1-line block ×3, first 2 shown]
	v_cndmask_b32_e64 v20, v11, v18, s[4:5]
	v_cndmask_b32_e64 v11, v12, v11, s[4:5]
	v_cndmask_b32_e32 v12, v16, v14, vcc
	v_cndmask_b32_e64 v16, v18, v12, s[4:5]
	v_sub_u32_e32 v18, 32, v9
	v_cmp_eq_u32_e64 s[8:9], 0, v9
	v_cndmask_b32_e32 v9, v15, v13, vcc
	v_cndmask_b32_e64 v11, v11, v20, s[6:7]
	v_cndmask_b32_e64 v17, v20, v16, s[6:7]
	;; [unrolled: 1-line block ×3, first 2 shown]
	v_alignbit_b32 v20, v11, v17, v18
	v_cndmask_b32_e64 v13, v16, v12, s[6:7]
	v_cndmask_b32_e64 v11, v20, v11, s[8:9]
	v_alignbit_b32 v15, v17, v13, v18
	v_cndmask_b32_e32 v8, v14, v8, vcc
	v_cndmask_b32_e64 v15, v15, v17, s[8:9]
	v_bfe_u32 v20, v11, 29, 1
	v_cndmask_b32_e64 v8, v9, v8, s[4:5]
	v_alignbit_b32 v16, v11, v15, 30
	v_sub_u32_e32 v21, 0, v20
	v_cndmask_b32_e64 v8, v12, v8, s[6:7]
	v_xor_b32_e32 v16, v16, v21
	v_alignbit_b32 v9, v13, v8, v18
	v_cndmask_b32_e64 v9, v9, v13, s[8:9]
	v_ffbh_u32_e32 v13, v16
	v_alignbit_b32 v12, v15, v9, 30
	v_min_u32_e32 v13, 32, v13
	v_alignbit_b32 v8, v9, v8, 30
	v_xor_b32_e32 v12, v12, v21
	v_sub_u32_e32 v14, 31, v13
	v_xor_b32_e32 v8, v8, v21
	v_alignbit_b32 v15, v16, v12, v14
	v_alignbit_b32 v8, v12, v8, v14
	v_alignbit_b32 v9, v15, v8, 9
	v_ffbh_u32_e32 v12, v9
	v_min_u32_e32 v12, 32, v12
	v_lshrrev_b32_e32 v17, 29, v11
	v_not_b32_e32 v14, v12
	v_alignbit_b32 v8, v9, v8, v14
	v_lshlrev_b32_e32 v9, 31, v17
	v_or_b32_e32 v14, 0x33000000, v9
	v_add_lshl_u32 v12, v12, v13, 23
	v_lshrrev_b32_e32 v8, 9, v8
	v_sub_u32_e32 v12, v14, v12
	v_or_b32_e32 v9, 0.5, v9
	v_lshlrev_b32_e32 v13, 23, v13
	v_or_b32_e32 v8, v12, v8
	v_lshrrev_b32_e32 v12, 9, v15
	v_sub_u32_e32 v9, v9, v13
	v_or_b32_e32 v9, v12, v9
	s_mov_b32 s4, 0x3fc90fda
	v_mul_f32_e32 v12, 0x3fc90fda, v9
	v_fma_f32 v13, v9, s4, -v12
	v_fmac_f32_e32 v13, 0x33a22168, v9
	v_fmac_f32_e32 v13, 0x3fc90fda, v8
	v_lshrrev_b32_e32 v8, 30, v11
	v_add_f32_e32 v9, v12, v13
	v_add_u32_e32 v8, v20, v8
.LBB69_3:
	s_andn2_saveexec_b64 s[4:5], s[14:15]
	s_cbranch_execz .LBB69_5
; %bb.4:
	s_mov_b32 s6, 0x3f22f983
	v_mul_f32_e64 v8, |v6|, s6
	v_rndne_f32_e32 v11, v8
	s_mov_b32 s6, 0xbfc90fda
	v_cvt_i32_f32_e32 v8, v11
	v_fma_f32 v9, v11, s6, |v6|
	v_fmac_f32_e32 v9, 0xb3a22168, v11
	v_fmac_f32_e32 v9, 0xa7c234c4, v11
.LBB69_5:
	s_or_b64 exec, exec, s[4:5]
	v_mul_f32_e32 v11, v9, v9
	v_mov_b32_e32 v12, 0x3c0881c4
	v_fmac_f32_e32 v12, 0xb94c1982, v11
	v_mov_b32_e32 v13, 0xbe2aaa9d
	v_fmac_f32_e32 v13, v11, v12
	v_mul_f32_e32 v12, v11, v13
	v_fmac_f32_e32 v9, v9, v12
	v_mov_b32_e32 v12, 0xbab64f3b
	v_fmac_f32_e32 v12, 0x37d75334, v11
	v_mov_b32_e32 v13, 0x3d2aabf7
	;; [unrolled: 2-line block ×3, first 2 shown]
	v_fmac_f32_e32 v12, v11, v13
	v_fma_f32 v11, v11, v12, 1.0
	v_and_b32_e32 v12, 1, v8
	v_lshlrev_b32_e32 v8, 30, v8
	v_cmp_eq_u32_e32 vcc, 0, v12
	v_and_b32_e32 v8, 0x80000000, v8
	v_xor_b32_e32 v7, v7, v6
	v_cndmask_b32_e32 v9, v11, v9, vcc
	v_xor_b32_e32 v7, v7, v8
	s_movk_i32 s4, 0x1f8
	v_xor_b32_e32 v7, v7, v9
	v_mov_b32_e32 v8, 0x7fc00000
	v_cmp_class_f32_e64 vcc, v6, s4
	v_cndmask_b32_e32 v6, v8, v7, vcc
	v_mul_f32_e32 v6, v6, v6
	s_mov_b32 s6, 0xc11de9e7
	v_div_scale_f32 v7, s[4:5], v6, v6, s6
	v_div_scale_f32 v8, vcc, s6, v6, s6
	v_sub_f32_e32 v19, 1.0, v19
	v_rcp_f32_e32 v9, v7
	v_fma_f32 v11, -v7, v9, 1.0
	v_fmac_f32_e32 v9, v11, v9
	v_mul_f32_e32 v11, v8, v9
	v_fma_f32 v12, -v7, v11, v8
	v_fmac_f32_e32 v11, v12, v9
	v_fma_f32 v7, -v7, v11, v8
	v_div_fmas_f32 v7, v7, v9, v11
	v_mov_b32_e32 v12, -1.0
	v_div_fixup_f32 v6, v7, v6, s6
	v_add_f32_e32 v15, 0, v6
.LBB69_6:
	s_or_b64 exec, exec, s[12:13]
	v_and_b32_e32 v23, 0xffff0000, v2
	v_cmp_gt_f32_e32 vcc, 0.5, v23
	v_mov_b32_e32 v20, 0
	v_mov_b32_e32 v17, 1.0
	s_and_saveexec_b64 s[12:13], vcc
	s_cbranch_execz .LBB69_12
; %bb.7:
	v_mul_f32_e32 v2, 0x40490fdb, v23
	s_brev_b32 s4, 18
	v_and_b32_e32 v6, 0x7fffffff, v2
	v_cmp_nlt_f32_e64 s[4:5], |v2|, s4
                                        ; implicit-def: $vgpr7
                                        ; implicit-def: $vgpr8
	s_and_saveexec_b64 s[6:7], s[4:5]
	s_xor_b64 s[14:15], exec, s[6:7]
	s_cbranch_execz .LBB69_9
; %bb.8:
	v_and_b32_e32 v7, 0x7fffff, v6
	v_or_b32_e32 v11, 0x800000, v7
	s_mov_b32 s4, 0xfe5163ab
	v_mad_u64_u32 v[7:8], s[4:5], v11, s4, 0
	v_mov_b32_e32 v9, 0
	s_mov_b32 s4, 0x3c439041
	v_mad_u64_u32 v[13:14], s[4:5], v11, s4, v[8:9]
	s_mov_b32 s4, 0xdb629599
	s_mov_b32 s6, 0xa2f9836e
	v_mov_b32_e32 v8, v14
	v_mad_u64_u32 v[16:17], s[4:5], v11, s4, v[8:9]
	s_mov_b32 s4, 0xf534ddc0
	v_not_b32_e32 v14, 63
	v_mov_b32_e32 v8, v17
	v_mad_u64_u32 v[17:18], s[4:5], v11, s4, v[8:9]
	v_lshrrev_b32_e32 v8, 23, v6
	v_add_u32_e32 v22, 0xffffff88, v8
	v_mov_b32_e32 v8, v18
	s_mov_b32 s4, 0xfc2757d1
	v_mad_u64_u32 v[20:21], s[4:5], v11, s4, v[8:9]
	v_cmp_lt_u32_e32 vcc, 63, v22
	v_cndmask_b32_e32 v8, 0, v14, vcc
	v_add_u32_e32 v14, v8, v22
	v_mov_b32_e32 v8, v21
	s_mov_b32 s4, 0x4e441529
	v_mad_u64_u32 v[21:22], s[4:5], v11, s4, v[8:9]
	v_not_b32_e32 v18, 31
	v_cmp_lt_u32_e64 s[4:5], 31, v14
	v_cndmask_b32_e64 v8, 0, v18, s[4:5]
	v_add_u32_e32 v14, v8, v14
	v_mov_b32_e32 v8, v22
	v_mad_u64_u32 v[8:9], s[6:7], v11, s6, v[8:9]
	v_cmp_lt_u32_e64 s[6:7], 31, v14
	v_cndmask_b32_e64 v11, 0, v18, s[6:7]
	v_add_u32_e32 v11, v11, v14
	v_cndmask_b32_e32 v14, v21, v17, vcc
	v_cndmask_b32_e32 v8, v8, v20, vcc
	;; [unrolled: 1-line block ×3, first 2 shown]
	v_cndmask_b32_e64 v18, v8, v14, s[4:5]
	v_cndmask_b32_e64 v8, v9, v8, s[4:5]
	v_cndmask_b32_e32 v9, v20, v16, vcc
	v_cndmask_b32_e64 v14, v14, v9, s[4:5]
	v_cndmask_b32_e64 v8, v8, v18, s[6:7]
	v_cndmask_b32_e64 v18, v18, v14, s[6:7]
	v_sub_u32_e32 v20, 32, v11
	v_alignbit_b32 v21, v8, v18, v20
	v_cmp_eq_u32_e64 s[8:9], 0, v11
	v_cndmask_b32_e64 v11, v21, v8, s[8:9]
	v_cndmask_b32_e32 v8, v17, v13, vcc
	v_cndmask_b32_e64 v9, v9, v8, s[4:5]
	v_cndmask_b32_e64 v13, v14, v9, s[6:7]
	v_alignbit_b32 v14, v18, v13, v20
	v_cndmask_b32_e32 v7, v16, v7, vcc
	v_cndmask_b32_e64 v14, v14, v18, s[8:9]
	v_bfe_u32 v21, v11, 29, 1
	v_cndmask_b32_e64 v7, v8, v7, s[4:5]
	v_alignbit_b32 v17, v11, v14, 30
	v_sub_u32_e32 v22, 0, v21
	v_cndmask_b32_e64 v7, v9, v7, s[6:7]
	v_xor_b32_e32 v17, v17, v22
	v_alignbit_b32 v8, v13, v7, v20
	v_cndmask_b32_e64 v8, v8, v13, s[8:9]
	v_ffbh_u32_e32 v13, v17
	v_alignbit_b32 v9, v14, v8, 30
	v_min_u32_e32 v13, 32, v13
	v_alignbit_b32 v7, v8, v7, 30
	v_xor_b32_e32 v9, v9, v22
	v_sub_u32_e32 v14, 31, v13
	v_xor_b32_e32 v7, v7, v22
	v_alignbit_b32 v16, v17, v9, v14
	v_alignbit_b32 v7, v9, v7, v14
	v_alignbit_b32 v8, v16, v7, 9
	v_ffbh_u32_e32 v9, v8
	v_min_u32_e32 v9, 32, v9
	v_lshrrev_b32_e32 v18, 29, v11
	v_not_b32_e32 v14, v9
	v_alignbit_b32 v7, v8, v7, v14
	v_lshlrev_b32_e32 v8, 31, v18
	v_or_b32_e32 v14, 0x33000000, v8
	v_add_lshl_u32 v9, v9, v13, 23
	v_lshrrev_b32_e32 v7, 9, v7
	v_sub_u32_e32 v9, v14, v9
	v_or_b32_e32 v8, 0.5, v8
	v_lshlrev_b32_e32 v13, 23, v13
	v_or_b32_e32 v7, v9, v7
	v_lshrrev_b32_e32 v9, 9, v16
	v_sub_u32_e32 v8, v8, v13
	v_or_b32_e32 v8, v9, v8
	s_mov_b32 s4, 0x3fc90fda
	v_mul_f32_e32 v9, 0x3fc90fda, v8
	v_fma_f32 v13, v8, s4, -v9
	v_fmac_f32_e32 v13, 0x33a22168, v8
	v_fmac_f32_e32 v13, 0x3fc90fda, v7
	v_lshrrev_b32_e32 v7, 30, v11
	v_add_f32_e32 v8, v9, v13
	v_add_u32_e32 v7, v21, v7
.LBB69_9:
	s_andn2_saveexec_b64 s[4:5], s[14:15]
	s_cbranch_execz .LBB69_11
; %bb.10:
	s_mov_b32 s6, 0x3f22f983
	v_mul_f32_e64 v7, |v2|, s6
	v_rndne_f32_e32 v9, v7
	s_mov_b32 s6, 0xbfc90fda
	v_cvt_i32_f32_e32 v7, v9
	v_fma_f32 v8, v9, s6, |v2|
	v_fmac_f32_e32 v8, 0xb3a22168, v9
	v_fmac_f32_e32 v8, 0xa7c234c4, v9
.LBB69_11:
	s_or_b64 exec, exec, s[4:5]
	v_mul_f32_e32 v9, v8, v8
	v_mov_b32_e32 v11, 0x3c0881c4
	v_fmac_f32_e32 v11, 0xb94c1982, v9
	v_mov_b32_e32 v13, 0xbe2aaa9d
	v_fmac_f32_e32 v13, v9, v11
	v_mul_f32_e32 v11, v9, v13
	v_fmac_f32_e32 v8, v8, v11
	v_mov_b32_e32 v11, 0xbab64f3b
	v_fmac_f32_e32 v11, 0x37d75334, v9
	v_mov_b32_e32 v13, 0x3d2aabf7
	;; [unrolled: 2-line block ×3, first 2 shown]
	v_fmac_f32_e32 v11, v9, v13
	v_fma_f32 v9, v9, v11, 1.0
	v_and_b32_e32 v11, 1, v7
	v_lshlrev_b32_e32 v7, 30, v7
	v_cmp_eq_u32_e32 vcc, 0, v11
	v_and_b32_e32 v7, 0x80000000, v7
	v_xor_b32_e32 v6, v6, v2
	v_cndmask_b32_e32 v8, v9, v8, vcc
	v_xor_b32_e32 v6, v6, v7
	s_movk_i32 s4, 0x1f8
	v_xor_b32_e32 v6, v6, v8
	v_mov_b32_e32 v7, 0x7fc00000
	v_cmp_class_f32_e64 vcc, v2, s4
	v_cndmask_b32_e32 v2, v7, v6, vcc
	v_mul_f32_e32 v2, v2, v2
	s_mov_b32 s6, 0xc11de9e7
	v_div_scale_f32 v6, s[4:5], v2, v2, s6
	v_div_scale_f32 v7, vcc, s6, v2, s6
	v_sub_f32_e32 v23, 1.0, v23
	v_mov_b32_e32 v17, -1.0
	v_rcp_f32_e32 v8, v6
	v_fma_f32 v9, -v6, v8, 1.0
	v_fmac_f32_e32 v8, v9, v8
	v_mul_f32_e32 v9, v7, v8
	v_fma_f32 v11, -v6, v9, v7
	v_fmac_f32_e32 v9, v11, v8
	v_fma_f32 v6, -v6, v9, v7
	v_div_fmas_f32 v6, v6, v8, v9
	v_div_fixup_f32 v2, v6, v2, s6
	v_add_f32_e32 v20, 0, v2
.LBB69_12:
	s_or_b64 exec, exec, s[12:13]
	v_lshlrev_b32_e32 v21, 16, v3
	v_cmp_gt_f32_e32 vcc, 0.5, v21
	v_mov_b32_e32 v11, 0
	v_mov_b32_e32 v8, 1.0
	s_and_saveexec_b64 s[12:13], vcc
	s_cbranch_execz .LBB69_18
; %bb.13:
	v_mul_f32_e32 v2, 0x40490fdb, v21
	s_brev_b32 s4, 18
	v_and_b32_e32 v6, 0x7fffffff, v2
	v_cmp_nlt_f32_e64 s[4:5], |v2|, s4
                                        ; implicit-def: $vgpr7
                                        ; implicit-def: $vgpr8
	s_and_saveexec_b64 s[6:7], s[4:5]
	s_xor_b64 s[14:15], exec, s[6:7]
	s_cbranch_execz .LBB69_15
; %bb.14:
	v_and_b32_e32 v7, 0x7fffff, v6
	v_or_b32_e32 v11, 0x800000, v7
	s_mov_b32 s4, 0xfe5163ab
	v_mad_u64_u32 v[7:8], s[4:5], v11, s4, 0
	v_mov_b32_e32 v9, 0
	s_mov_b32 s4, 0x3c439041
	v_mad_u64_u32 v[13:14], s[4:5], v11, s4, v[8:9]
	s_mov_b32 s4, 0xdb629599
	s_mov_b32 s6, 0xa2f9836e
	v_mov_b32_e32 v8, v14
	v_mad_u64_u32 v[24:25], s[4:5], v11, s4, v[8:9]
	s_mov_b32 s4, 0xf534ddc0
	v_not_b32_e32 v14, 63
	v_mov_b32_e32 v8, v25
	v_mad_u64_u32 v[25:26], s[4:5], v11, s4, v[8:9]
	v_lshrrev_b32_e32 v8, 23, v6
	v_add_u32_e32 v16, 0xffffff88, v8
	v_mov_b32_e32 v8, v26
	s_mov_b32 s4, 0xfc2757d1
	v_mad_u64_u32 v[26:27], s[4:5], v11, s4, v[8:9]
	v_cmp_lt_u32_e32 vcc, 63, v16
	v_cndmask_b32_e32 v8, 0, v14, vcc
	v_add_u32_e32 v14, v8, v16
	v_mov_b32_e32 v8, v27
	s_mov_b32 s4, 0x4e441529
	v_mad_u64_u32 v[27:28], s[4:5], v11, s4, v[8:9]
	v_not_b32_e32 v16, 31
	v_cmp_lt_u32_e64 s[4:5], 31, v14
	v_cndmask_b32_e64 v8, 0, v16, s[4:5]
	v_add_u32_e32 v14, v8, v14
	v_mov_b32_e32 v8, v28
	v_mad_u64_u32 v[8:9], s[6:7], v11, s6, v[8:9]
	v_cmp_lt_u32_e64 s[6:7], 31, v14
	v_cndmask_b32_e64 v11, 0, v16, s[6:7]
	v_add_u32_e32 v11, v11, v14
	v_cndmask_b32_e32 v14, v27, v25, vcc
	v_cndmask_b32_e32 v8, v8, v26, vcc
	;; [unrolled: 1-line block ×3, first 2 shown]
	v_cndmask_b32_e64 v16, v8, v14, s[4:5]
	v_cndmask_b32_e64 v8, v9, v8, s[4:5]
	v_cndmask_b32_e32 v9, v26, v24, vcc
	v_cndmask_b32_e64 v14, v14, v9, s[4:5]
	v_cndmask_b32_e64 v8, v8, v16, s[6:7]
	;; [unrolled: 1-line block ×3, first 2 shown]
	v_sub_u32_e32 v18, 32, v11
	v_alignbit_b32 v22, v8, v16, v18
	v_cmp_eq_u32_e64 s[8:9], 0, v11
	v_cndmask_b32_e64 v11, v22, v8, s[8:9]
	v_cndmask_b32_e32 v8, v25, v13, vcc
	v_cndmask_b32_e64 v9, v9, v8, s[4:5]
	v_cndmask_b32_e64 v13, v14, v9, s[6:7]
	v_alignbit_b32 v14, v16, v13, v18
	v_cndmask_b32_e32 v7, v24, v7, vcc
	v_cndmask_b32_e64 v14, v14, v16, s[8:9]
	v_bfe_u32 v25, v11, 29, 1
	v_cndmask_b32_e64 v7, v8, v7, s[4:5]
	v_alignbit_b32 v16, v11, v14, 30
	v_sub_u32_e32 v26, 0, v25
	v_cndmask_b32_e64 v7, v9, v7, s[6:7]
	v_xor_b32_e32 v16, v16, v26
	v_alignbit_b32 v8, v13, v7, v18
	v_cndmask_b32_e64 v8, v8, v13, s[8:9]
	v_ffbh_u32_e32 v13, v16
	v_alignbit_b32 v9, v14, v8, 30
	v_min_u32_e32 v13, 32, v13
	v_alignbit_b32 v7, v8, v7, 30
	v_xor_b32_e32 v9, v9, v26
	v_sub_u32_e32 v14, 31, v13
	v_xor_b32_e32 v7, v7, v26
	v_alignbit_b32 v16, v16, v9, v14
	v_alignbit_b32 v7, v9, v7, v14
	;; [unrolled: 1-line block ×3, first 2 shown]
	v_ffbh_u32_e32 v9, v8
	v_min_u32_e32 v9, 32, v9
	v_lshrrev_b32_e32 v22, 29, v11
	v_not_b32_e32 v14, v9
	v_alignbit_b32 v7, v8, v7, v14
	v_lshlrev_b32_e32 v8, 31, v22
	v_or_b32_e32 v14, 0x33000000, v8
	v_add_lshl_u32 v9, v9, v13, 23
	v_lshrrev_b32_e32 v7, 9, v7
	v_sub_u32_e32 v9, v14, v9
	v_or_b32_e32 v8, 0.5, v8
	v_lshlrev_b32_e32 v13, 23, v13
	v_or_b32_e32 v7, v9, v7
	v_lshrrev_b32_e32 v9, 9, v16
	v_sub_u32_e32 v8, v8, v13
	v_or_b32_e32 v8, v9, v8
	s_mov_b32 s4, 0x3fc90fda
	v_mul_f32_e32 v9, 0x3fc90fda, v8
	v_fma_f32 v13, v8, s4, -v9
	v_fmac_f32_e32 v13, 0x33a22168, v8
	v_fmac_f32_e32 v13, 0x3fc90fda, v7
	v_lshrrev_b32_e32 v7, 30, v11
	v_add_f32_e32 v8, v9, v13
	v_add_u32_e32 v7, v25, v7
.LBB69_15:
	s_andn2_saveexec_b64 s[4:5], s[14:15]
	s_cbranch_execz .LBB69_17
; %bb.16:
	s_mov_b32 s6, 0x3f22f983
	v_mul_f32_e64 v7, |v2|, s6
	v_rndne_f32_e32 v9, v7
	s_mov_b32 s6, 0xbfc90fda
	v_cvt_i32_f32_e32 v7, v9
	v_fma_f32 v8, v9, s6, |v2|
	v_fmac_f32_e32 v8, 0xb3a22168, v9
	v_fmac_f32_e32 v8, 0xa7c234c4, v9
.LBB69_17:
	s_or_b64 exec, exec, s[4:5]
	v_mul_f32_e32 v9, v8, v8
	v_mov_b32_e32 v11, 0x3c0881c4
	v_fmac_f32_e32 v11, 0xb94c1982, v9
	v_mov_b32_e32 v13, 0xbe2aaa9d
	v_fmac_f32_e32 v13, v9, v11
	v_mul_f32_e32 v11, v9, v13
	v_fmac_f32_e32 v8, v8, v11
	v_mov_b32_e32 v11, 0xbab64f3b
	v_fmac_f32_e32 v11, 0x37d75334, v9
	v_mov_b32_e32 v13, 0x3d2aabf7
	;; [unrolled: 2-line block ×3, first 2 shown]
	v_fmac_f32_e32 v11, v9, v13
	v_fma_f32 v9, v9, v11, 1.0
	v_and_b32_e32 v11, 1, v7
	v_lshlrev_b32_e32 v7, 30, v7
	v_cmp_eq_u32_e32 vcc, 0, v11
	v_and_b32_e32 v7, 0x80000000, v7
	v_xor_b32_e32 v6, v6, v2
	v_cndmask_b32_e32 v8, v9, v8, vcc
	v_xor_b32_e32 v6, v6, v7
	s_movk_i32 s4, 0x1f8
	v_xor_b32_e32 v6, v6, v8
	v_mov_b32_e32 v7, 0x7fc00000
	v_cmp_class_f32_e64 vcc, v2, s4
	v_cndmask_b32_e32 v2, v7, v6, vcc
	v_mul_f32_e32 v2, v2, v2
	s_mov_b32 s6, 0xc11de9e7
	v_div_scale_f32 v6, s[4:5], v2, v2, s6
	v_div_scale_f32 v7, vcc, s6, v2, s6
	v_sub_f32_e32 v21, 1.0, v21
	v_rcp_f32_e32 v8, v6
	v_fma_f32 v9, -v6, v8, 1.0
	v_fmac_f32_e32 v8, v9, v8
	v_mul_f32_e32 v9, v7, v8
	v_fma_f32 v11, -v6, v9, v7
	v_fmac_f32_e32 v9, v11, v8
	v_fma_f32 v6, -v6, v9, v7
	v_div_fmas_f32 v6, v6, v8, v9
	v_mov_b32_e32 v8, -1.0
	v_div_fixup_f32 v2, v6, v2, s6
	v_add_f32_e32 v11, 0, v2
.LBB69_18:
	s_or_b64 exec, exec, s[12:13]
	v_and_b32_e32 v24, 0xffff0000, v3
	v_cmp_gt_f32_e32 vcc, 0.5, v24
	v_mov_b32_e32 v16, 0
	v_mov_b32_e32 v14, 1.0
	s_and_saveexec_b64 s[12:13], vcc
	s_cbranch_execz .LBB69_24
; %bb.19:
	v_mul_f32_e32 v2, 0x40490fdb, v24
	s_brev_b32 s4, 18
	v_and_b32_e32 v3, 0x7fffffff, v2
	v_cmp_nlt_f32_e64 s[4:5], |v2|, s4
                                        ; implicit-def: $vgpr6
                                        ; implicit-def: $vgpr7
	s_and_saveexec_b64 s[6:7], s[4:5]
	s_xor_b64 s[14:15], exec, s[6:7]
	s_cbranch_execz .LBB69_21
; %bb.20:
	v_and_b32_e32 v6, 0x7fffff, v3
	v_or_b32_e32 v9, 0x800000, v6
	s_mov_b32 s4, 0xfe5163ab
	v_mad_u64_u32 v[6:7], s[4:5], v9, s4, 0
	v_mov_b32_e32 v14, 0
	s_mov_b32 s4, 0x3c439041
	v_mov_b32_e32 v13, v7
	v_mad_u64_u32 v[25:26], s[4:5], v9, s4, v[13:14]
	s_mov_b32 s4, 0xdb629599
	v_lshrrev_b32_e32 v7, 23, v3
	v_mov_b32_e32 v13, v26
	v_mad_u64_u32 v[26:27], s[4:5], v9, s4, v[13:14]
	s_mov_b32 s4, 0xf534ddc0
	v_add_u32_e32 v7, 0xffffff88, v7
	v_mov_b32_e32 v13, v27
	v_mad_u64_u32 v[27:28], s[4:5], v9, s4, v[13:14]
	s_mov_b32 s4, 0xfc2757d1
	v_not_b32_e32 v16, 63
	v_mov_b32_e32 v13, v28
	v_mad_u64_u32 v[28:29], s[4:5], v9, s4, v[13:14]
	v_cmp_lt_u32_e32 vcc, 63, v7
	v_cndmask_b32_e32 v13, 0, v16, vcc
	v_add_u32_e32 v7, v13, v7
	v_mov_b32_e32 v13, v29
	s_mov_b32 s4, 0x4e441529
	v_mad_u64_u32 v[29:30], s[4:5], v9, s4, v[13:14]
	v_not_b32_e32 v16, 31
	v_cmp_lt_u32_e64 s[4:5], 31, v7
	v_cndmask_b32_e64 v13, 0, v16, s[4:5]
	v_add_u32_e32 v7, v13, v7
	v_mov_b32_e32 v13, v30
	s_mov_b32 s6, 0xa2f9836e
	v_mad_u64_u32 v[13:14], s[6:7], v9, s6, v[13:14]
	v_cmp_lt_u32_e64 s[6:7], 31, v7
	v_cndmask_b32_e64 v9, 0, v16, s[6:7]
	v_add_u32_e32 v7, v9, v7
	v_cndmask_b32_e32 v9, v29, v27, vcc
	v_cndmask_b32_e32 v13, v13, v28, vcc
	;; [unrolled: 1-line block ×3, first 2 shown]
	v_cndmask_b32_e64 v16, v13, v9, s[4:5]
	v_cndmask_b32_e64 v13, v14, v13, s[4:5]
	v_cndmask_b32_e32 v14, v28, v26, vcc
	v_cndmask_b32_e64 v9, v9, v14, s[4:5]
	v_sub_u32_e32 v18, 32, v7
	v_cmp_eq_u32_e64 s[8:9], 0, v7
	v_cndmask_b32_e32 v7, v27, v25, vcc
	v_cndmask_b32_e64 v13, v13, v16, s[6:7]
	v_cndmask_b32_e64 v16, v16, v9, s[6:7]
	;; [unrolled: 1-line block ×3, first 2 shown]
	v_alignbit_b32 v22, v13, v16, v18
	v_cndmask_b32_e64 v9, v9, v14, s[6:7]
	v_cndmask_b32_e64 v13, v22, v13, s[8:9]
	v_alignbit_b32 v22, v16, v9, v18
	v_cndmask_b32_e32 v6, v26, v6, vcc
	v_cndmask_b32_e64 v16, v22, v16, s[8:9]
	v_bfe_u32 v27, v13, 29, 1
	v_cndmask_b32_e64 v6, v7, v6, s[4:5]
	v_alignbit_b32 v22, v13, v16, 30
	v_sub_u32_e32 v28, 0, v27
	v_cndmask_b32_e64 v6, v14, v6, s[6:7]
	v_xor_b32_e32 v22, v22, v28
	v_alignbit_b32 v7, v9, v6, v18
	v_cndmask_b32_e64 v7, v7, v9, s[8:9]
	v_ffbh_u32_e32 v14, v22
	v_alignbit_b32 v9, v16, v7, 30
	v_min_u32_e32 v14, 32, v14
	v_alignbit_b32 v6, v7, v6, 30
	v_xor_b32_e32 v9, v9, v28
	v_sub_u32_e32 v16, 31, v14
	v_xor_b32_e32 v6, v6, v28
	v_alignbit_b32 v18, v22, v9, v16
	v_alignbit_b32 v6, v9, v6, v16
	;; [unrolled: 1-line block ×3, first 2 shown]
	v_ffbh_u32_e32 v9, v7
	v_min_u32_e32 v9, 32, v9
	v_lshrrev_b32_e32 v25, 29, v13
	v_not_b32_e32 v16, v9
	v_alignbit_b32 v6, v7, v6, v16
	v_lshlrev_b32_e32 v7, 31, v25
	v_or_b32_e32 v16, 0x33000000, v7
	v_add_lshl_u32 v9, v9, v14, 23
	v_lshrrev_b32_e32 v6, 9, v6
	v_sub_u32_e32 v9, v16, v9
	v_or_b32_e32 v7, 0.5, v7
	v_lshlrev_b32_e32 v14, 23, v14
	v_or_b32_e32 v6, v9, v6
	v_lshrrev_b32_e32 v9, 9, v18
	v_sub_u32_e32 v7, v7, v14
	v_or_b32_e32 v7, v9, v7
	s_mov_b32 s4, 0x3fc90fda
	v_mul_f32_e32 v9, 0x3fc90fda, v7
	v_fma_f32 v14, v7, s4, -v9
	v_fmac_f32_e32 v14, 0x33a22168, v7
	v_fmac_f32_e32 v14, 0x3fc90fda, v6
	v_lshrrev_b32_e32 v6, 30, v13
	v_add_f32_e32 v7, v9, v14
	v_add_u32_e32 v6, v27, v6
.LBB69_21:
	s_andn2_saveexec_b64 s[4:5], s[14:15]
	s_cbranch_execz .LBB69_23
; %bb.22:
	s_mov_b32 s6, 0x3f22f983
	v_mul_f32_e64 v6, |v2|, s6
	v_rndne_f32_e32 v9, v6
	s_mov_b32 s6, 0xbfc90fda
	v_cvt_i32_f32_e32 v6, v9
	v_fma_f32 v7, v9, s6, |v2|
	v_fmac_f32_e32 v7, 0xb3a22168, v9
	v_fmac_f32_e32 v7, 0xa7c234c4, v9
.LBB69_23:
	s_or_b64 exec, exec, s[4:5]
	v_mul_f32_e32 v9, v7, v7
	v_mov_b32_e32 v13, 0x3c0881c4
	v_fmac_f32_e32 v13, 0xb94c1982, v9
	v_mov_b32_e32 v14, 0xbe2aaa9d
	v_fmac_f32_e32 v14, v9, v13
	v_mul_f32_e32 v13, v9, v14
	v_fmac_f32_e32 v7, v7, v13
	v_mov_b32_e32 v13, 0xbab64f3b
	v_fmac_f32_e32 v13, 0x37d75334, v9
	v_mov_b32_e32 v14, 0x3d2aabf7
	v_fmac_f32_e32 v14, v9, v13
	v_mov_b32_e32 v13, 0xbf000004
	v_fmac_f32_e32 v13, v9, v14
	v_fma_f32 v9, v9, v13, 1.0
	v_and_b32_e32 v13, 1, v6
	v_lshlrev_b32_e32 v6, 30, v6
	v_cmp_eq_u32_e32 vcc, 0, v13
	v_and_b32_e32 v6, 0x80000000, v6
	v_xor_b32_e32 v3, v3, v2
	v_cndmask_b32_e32 v7, v9, v7, vcc
	v_xor_b32_e32 v3, v3, v6
	s_movk_i32 s4, 0x1f8
	v_xor_b32_e32 v3, v3, v7
	v_mov_b32_e32 v6, 0x7fc00000
	v_cmp_class_f32_e64 vcc, v2, s4
	v_cndmask_b32_e32 v2, v6, v3, vcc
	v_mul_f32_e32 v2, v2, v2
	s_mov_b32 s6, 0xc11de9e7
	v_div_scale_f32 v3, s[4:5], v2, v2, s6
	v_div_scale_f32 v6, vcc, s6, v2, s6
	v_sub_f32_e32 v24, 1.0, v24
	v_mov_b32_e32 v14, -1.0
	v_rcp_f32_e32 v7, v3
	v_fma_f32 v9, -v3, v7, 1.0
	v_fmac_f32_e32 v7, v9, v7
	v_mul_f32_e32 v9, v6, v7
	v_fma_f32 v13, -v3, v9, v6
	v_fmac_f32_e32 v9, v13, v7
	v_fma_f32 v3, -v3, v9, v6
	v_div_fmas_f32 v3, v3, v7, v9
	v_div_fixup_f32 v2, v3, v2, s6
	v_add_f32_e32 v16, 0, v2
.LBB69_24:
	s_or_b64 exec, exec, s[12:13]
	v_lshlrev_b32_e32 v18, 16, v4
	v_cmp_gt_f32_e32 vcc, 0.5, v18
	v_mov_b32_e32 v7, 0
	v_mov_b32_e32 v6, 1.0
	s_and_saveexec_b64 s[12:13], vcc
	s_cbranch_execz .LBB69_30
; %bb.25:
	v_mul_f32_e32 v2, 0x40490fdb, v18
	s_brev_b32 s4, 18
	v_and_b32_e32 v3, 0x7fffffff, v2
	v_cmp_nlt_f32_e64 s[4:5], |v2|, s4
                                        ; implicit-def: $vgpr6
                                        ; implicit-def: $vgpr7
	s_and_saveexec_b64 s[6:7], s[4:5]
	s_xor_b64 s[14:15], exec, s[6:7]
	s_cbranch_execz .LBB69_27
; %bb.26:
	v_and_b32_e32 v6, 0x7fffff, v3
	v_or_b32_e32 v9, 0x800000, v6
	s_mov_b32 s4, 0xfe5163ab
	v_mad_u64_u32 v[6:7], s[4:5], v9, s4, 0
	v_mov_b32_e32 v26, 0
	s_mov_b32 s4, 0x3c439041
	v_mov_b32_e32 v25, v7
	v_mad_u64_u32 v[27:28], s[4:5], v9, s4, v[25:26]
	s_mov_b32 s4, 0xdb629599
	v_lshrrev_b32_e32 v7, 23, v3
	v_mov_b32_e32 v25, v28
	v_mad_u64_u32 v[28:29], s[4:5], v9, s4, v[25:26]
	s_mov_b32 s4, 0xf534ddc0
	v_add_u32_e32 v7, 0xffffff88, v7
	v_mov_b32_e32 v25, v29
	v_mad_u64_u32 v[29:30], s[4:5], v9, s4, v[25:26]
	s_mov_b32 s4, 0xfc2757d1
	v_not_b32_e32 v13, 63
	v_mov_b32_e32 v25, v30
	v_mad_u64_u32 v[30:31], s[4:5], v9, s4, v[25:26]
	s_mov_b32 s4, 0x4e441529
	v_cmp_lt_u32_e32 vcc, 63, v7
	v_mov_b32_e32 v25, v31
	v_mad_u64_u32 v[31:32], s[4:5], v9, s4, v[25:26]
	v_cndmask_b32_e32 v13, 0, v13, vcc
	v_add_u32_e32 v7, v13, v7
	v_not_b32_e32 v13, 31
	v_cmp_lt_u32_e64 s[4:5], 31, v7
	v_mov_b32_e32 v25, v32
	s_mov_b32 s6, 0xa2f9836e
	v_cndmask_b32_e64 v22, 0, v13, s[4:5]
	v_mad_u64_u32 v[25:26], s[6:7], v9, s6, v[25:26]
	v_add_u32_e32 v7, v22, v7
	v_cmp_lt_u32_e64 s[6:7], 31, v7
	v_cndmask_b32_e64 v9, 0, v13, s[6:7]
	v_add_u32_e32 v7, v9, v7
	v_cndmask_b32_e32 v9, v31, v29, vcc
	v_cndmask_b32_e32 v13, v25, v30, vcc
	;; [unrolled: 1-line block ×3, first 2 shown]
	v_cndmask_b32_e64 v22, v13, v9, s[4:5]
	v_cndmask_b32_e64 v13, v25, v13, s[4:5]
	v_cndmask_b32_e32 v25, v30, v28, vcc
	v_cndmask_b32_e64 v9, v9, v25, s[4:5]
	v_sub_u32_e32 v26, 32, v7
	v_cmp_eq_u32_e64 s[8:9], 0, v7
	v_cndmask_b32_e32 v7, v29, v27, vcc
	v_cndmask_b32_e64 v13, v13, v22, s[6:7]
	v_cndmask_b32_e64 v22, v22, v9, s[6:7]
	;; [unrolled: 1-line block ×3, first 2 shown]
	v_alignbit_b32 v30, v13, v22, v26
	v_cndmask_b32_e64 v9, v9, v25, s[6:7]
	v_cndmask_b32_e32 v6, v28, v6, vcc
	v_cndmask_b32_e64 v13, v30, v13, s[8:9]
	v_alignbit_b32 v27, v22, v9, v26
	v_cndmask_b32_e64 v6, v7, v6, s[4:5]
	v_cndmask_b32_e64 v22, v27, v22, s[8:9]
	v_bfe_u32 v30, v13, 29, 1
	v_cndmask_b32_e64 v6, v25, v6, s[6:7]
	v_alignbit_b32 v27, v13, v22, 30
	v_sub_u32_e32 v31, 0, v30
	v_alignbit_b32 v7, v9, v6, v26
	v_xor_b32_e32 v27, v27, v31
	v_cndmask_b32_e64 v7, v7, v9, s[8:9]
	v_alignbit_b32 v9, v22, v7, 30
	v_ffbh_u32_e32 v22, v27
	v_min_u32_e32 v22, 32, v22
	v_alignbit_b32 v6, v7, v6, 30
	v_xor_b32_e32 v9, v9, v31
	v_sub_u32_e32 v25, 31, v22
	v_xor_b32_e32 v6, v6, v31
	v_alignbit_b32 v26, v27, v9, v25
	v_alignbit_b32 v6, v9, v6, v25
	;; [unrolled: 1-line block ×3, first 2 shown]
	v_ffbh_u32_e32 v9, v7
	v_min_u32_e32 v9, 32, v9
	v_lshrrev_b32_e32 v29, 29, v13
	v_not_b32_e32 v25, v9
	v_alignbit_b32 v6, v7, v6, v25
	v_lshlrev_b32_e32 v7, 31, v29
	v_or_b32_e32 v25, 0x33000000, v7
	v_add_lshl_u32 v9, v9, v22, 23
	v_lshrrev_b32_e32 v6, 9, v6
	v_sub_u32_e32 v9, v25, v9
	v_or_b32_e32 v7, 0.5, v7
	v_lshlrev_b32_e32 v22, 23, v22
	v_or_b32_e32 v6, v9, v6
	v_lshrrev_b32_e32 v9, 9, v26
	v_sub_u32_e32 v7, v7, v22
	v_or_b32_e32 v7, v9, v7
	s_mov_b32 s4, 0x3fc90fda
	v_mul_f32_e32 v9, 0x3fc90fda, v7
	v_fma_f32 v22, v7, s4, -v9
	v_fmac_f32_e32 v22, 0x33a22168, v7
	v_fmac_f32_e32 v22, 0x3fc90fda, v6
	v_lshrrev_b32_e32 v6, 30, v13
	v_add_f32_e32 v7, v9, v22
	v_add_u32_e32 v6, v30, v6
.LBB69_27:
	s_andn2_saveexec_b64 s[4:5], s[14:15]
	s_cbranch_execz .LBB69_29
; %bb.28:
	s_mov_b32 s6, 0x3f22f983
	v_mul_f32_e64 v6, |v2|, s6
	v_rndne_f32_e32 v9, v6
	s_mov_b32 s6, 0xbfc90fda
	v_cvt_i32_f32_e32 v6, v9
	v_fma_f32 v7, v9, s6, |v2|
	v_fmac_f32_e32 v7, 0xb3a22168, v9
	v_fmac_f32_e32 v7, 0xa7c234c4, v9
.LBB69_29:
	s_or_b64 exec, exec, s[4:5]
	v_mul_f32_e32 v9, v7, v7
	v_mov_b32_e32 v13, 0x3c0881c4
	v_fmac_f32_e32 v13, 0xb94c1982, v9
	v_mov_b32_e32 v22, 0xbe2aaa9d
	v_fmac_f32_e32 v22, v9, v13
	v_mul_f32_e32 v13, v9, v22
	v_fmac_f32_e32 v7, v7, v13
	v_mov_b32_e32 v13, 0xbab64f3b
	v_fmac_f32_e32 v13, 0x37d75334, v9
	v_mov_b32_e32 v22, 0x3d2aabf7
	;; [unrolled: 2-line block ×3, first 2 shown]
	v_fmac_f32_e32 v13, v9, v22
	v_fma_f32 v9, v9, v13, 1.0
	v_and_b32_e32 v13, 1, v6
	v_lshlrev_b32_e32 v6, 30, v6
	v_cmp_eq_u32_e32 vcc, 0, v13
	v_and_b32_e32 v6, 0x80000000, v6
	v_xor_b32_e32 v3, v3, v2
	v_cndmask_b32_e32 v7, v9, v7, vcc
	v_xor_b32_e32 v3, v3, v6
	s_movk_i32 s4, 0x1f8
	v_xor_b32_e32 v3, v3, v7
	v_mov_b32_e32 v6, 0x7fc00000
	v_cmp_class_f32_e64 vcc, v2, s4
	v_cndmask_b32_e32 v2, v6, v3, vcc
	v_mul_f32_e32 v2, v2, v2
	s_mov_b32 s6, 0xc11de9e7
	v_div_scale_f32 v3, s[4:5], v2, v2, s6
	v_div_scale_f32 v6, vcc, s6, v2, s6
	v_sub_f32_e32 v18, 1.0, v18
	v_rcp_f32_e32 v7, v3
	v_fma_f32 v9, -v3, v7, 1.0
	v_fmac_f32_e32 v7, v9, v7
	v_mul_f32_e32 v9, v6, v7
	v_fma_f32 v13, -v3, v9, v6
	v_fmac_f32_e32 v9, v13, v7
	v_fma_f32 v3, -v3, v9, v6
	v_div_fmas_f32 v3, v3, v7, v9
	v_mov_b32_e32 v6, -1.0
	v_div_fixup_f32 v2, v3, v2, s6
	v_add_f32_e32 v7, 0, v2
.LBB69_30:
	s_or_b64 exec, exec, s[12:13]
	v_and_b32_e32 v22, 0xffff0000, v4
	v_cmp_gt_f32_e32 vcc, 0.5, v22
	v_mov_b32_e32 v13, 0
	v_mov_b32_e32 v9, 1.0
	s_and_saveexec_b64 s[12:13], vcc
	s_cbranch_execz .LBB69_36
; %bb.31:
	v_mul_f32_e32 v2, 0x40490fdb, v22
	s_brev_b32 s4, 18
	v_and_b32_e32 v3, 0x7fffffff, v2
	v_cmp_nlt_f32_e64 s[4:5], |v2|, s4
                                        ; implicit-def: $vgpr4
                                        ; implicit-def: $vgpr9
	s_and_saveexec_b64 s[6:7], s[4:5]
	s_xor_b64 s[14:15], exec, s[6:7]
	s_cbranch_execz .LBB69_33
; %bb.32:
	v_and_b32_e32 v4, 0x7fffff, v3
	v_or_b32_e32 v4, 0x800000, v4
	s_mov_b32 s4, 0xfe5163ab
	v_mad_u64_u32 v[25:26], s[4:5], v4, s4, 0
	v_mov_b32_e32 v27, 0
	s_mov_b32 s4, 0x3c439041
	v_mad_u64_u32 v[28:29], s[4:5], v4, s4, v[26:27]
	s_mov_b32 s4, 0xdb629599
	v_lshrrev_b32_e32 v9, 23, v3
	v_mov_b32_e32 v26, v29
	v_mad_u64_u32 v[29:30], s[4:5], v4, s4, v[26:27]
	s_mov_b32 s4, 0xf534ddc0
	v_add_u32_e32 v9, 0xffffff88, v9
	v_mov_b32_e32 v26, v30
	v_mad_u64_u32 v[30:31], s[4:5], v4, s4, v[26:27]
	s_mov_b32 s4, 0xfc2757d1
	v_not_b32_e32 v13, 63
	v_mov_b32_e32 v26, v31
	v_mad_u64_u32 v[31:32], s[4:5], v4, s4, v[26:27]
	v_cmp_lt_u32_e32 vcc, 63, v9
	s_mov_b32 s4, 0x4e441529
	v_mov_b32_e32 v26, v32
	v_cndmask_b32_e32 v13, 0, v13, vcc
	v_mad_u64_u32 v[32:33], s[4:5], v4, s4, v[26:27]
	v_add_u32_e32 v9, v13, v9
	v_not_b32_e32 v13, 31
	v_cmp_lt_u32_e64 s[4:5], 31, v9
	v_cndmask_b32_e64 v26, 0, v13, s[4:5]
	v_add_u32_e32 v9, v26, v9
	v_mov_b32_e32 v26, v33
	s_mov_b32 s6, 0xa2f9836e
	v_mad_u64_u32 v[26:27], s[6:7], v4, s6, v[26:27]
	v_cmp_lt_u32_e64 s[6:7], 31, v9
	v_cndmask_b32_e64 v4, 0, v13, s[6:7]
	v_add_u32_e32 v4, v4, v9
	v_cndmask_b32_e32 v9, v32, v30, vcc
	v_cndmask_b32_e32 v13, v26, v31, vcc
	;; [unrolled: 1-line block ×3, first 2 shown]
	v_cndmask_b32_e64 v26, v13, v9, s[4:5]
	v_cndmask_b32_e64 v13, v27, v13, s[4:5]
	v_cndmask_b32_e32 v27, v31, v29, vcc
	v_cndmask_b32_e64 v9, v9, v27, s[4:5]
	v_cndmask_b32_e64 v13, v13, v26, s[6:7]
	;; [unrolled: 1-line block ×3, first 2 shown]
	v_sub_u32_e32 v31, 32, v4
	v_alignbit_b32 v32, v13, v26, v31
	v_cmp_eq_u32_e64 s[8:9], 0, v4
	v_cndmask_b32_e64 v4, v32, v13, s[8:9]
	v_cndmask_b32_e32 v13, v30, v28, vcc
	v_cndmask_b32_e64 v27, v27, v13, s[4:5]
	v_cndmask_b32_e64 v9, v9, v27, s[6:7]
	v_cndmask_b32_e32 v25, v29, v25, vcc
	v_alignbit_b32 v28, v26, v9, v31
	v_cndmask_b32_e64 v13, v13, v25, s[4:5]
	v_cndmask_b32_e64 v26, v28, v26, s[8:9]
	v_bfe_u32 v32, v4, 29, 1
	v_cndmask_b32_e64 v13, v27, v13, s[6:7]
	v_alignbit_b32 v28, v4, v26, 30
	v_sub_u32_e32 v33, 0, v32
	v_alignbit_b32 v25, v9, v13, v31
	v_xor_b32_e32 v28, v28, v33
	v_cndmask_b32_e64 v9, v25, v9, s[8:9]
	v_alignbit_b32 v25, v26, v9, 30
	v_ffbh_u32_e32 v26, v28
	v_min_u32_e32 v26, 32, v26
	v_alignbit_b32 v9, v9, v13, 30
	v_xor_b32_e32 v25, v25, v33
	v_sub_u32_e32 v27, 31, v26
	v_xor_b32_e32 v9, v9, v33
	v_alignbit_b32 v28, v28, v25, v27
	v_alignbit_b32 v9, v25, v9, v27
	;; [unrolled: 1-line block ×3, first 2 shown]
	v_ffbh_u32_e32 v25, v13
	v_min_u32_e32 v25, 32, v25
	v_lshrrev_b32_e32 v30, 29, v4
	v_not_b32_e32 v27, v25
	v_alignbit_b32 v9, v13, v9, v27
	v_lshlrev_b32_e32 v13, 31, v30
	v_or_b32_e32 v27, 0x33000000, v13
	v_add_lshl_u32 v25, v25, v26, 23
	v_lshrrev_b32_e32 v9, 9, v9
	v_sub_u32_e32 v25, v27, v25
	v_or_b32_e32 v13, 0.5, v13
	v_lshlrev_b32_e32 v26, 23, v26
	v_or_b32_e32 v9, v25, v9
	v_lshrrev_b32_e32 v25, 9, v28
	v_sub_u32_e32 v13, v13, v26
	v_or_b32_e32 v13, v25, v13
	s_mov_b32 s4, 0x3fc90fda
	v_mul_f32_e32 v25, 0x3fc90fda, v13
	v_fma_f32 v26, v13, s4, -v25
	v_fmac_f32_e32 v26, 0x33a22168, v13
	v_fmac_f32_e32 v26, 0x3fc90fda, v9
	v_lshrrev_b32_e32 v4, 30, v4
	v_add_f32_e32 v9, v25, v26
	v_add_u32_e32 v4, v32, v4
.LBB69_33:
	s_andn2_saveexec_b64 s[4:5], s[14:15]
	s_cbranch_execz .LBB69_35
; %bb.34:
	s_mov_b32 s6, 0x3f22f983
	v_mul_f32_e64 v4, |v2|, s6
	v_rndne_f32_e32 v13, v4
	s_mov_b32 s6, 0xbfc90fda
	v_cvt_i32_f32_e32 v4, v13
	v_fma_f32 v9, v13, s6, |v2|
	v_fmac_f32_e32 v9, 0xb3a22168, v13
	v_fmac_f32_e32 v9, 0xa7c234c4, v13
.LBB69_35:
	s_or_b64 exec, exec, s[4:5]
	v_mul_f32_e32 v13, v9, v9
	v_mov_b32_e32 v25, 0x3c0881c4
	v_fmac_f32_e32 v25, 0xb94c1982, v13
	v_mov_b32_e32 v26, 0xbe2aaa9d
	v_fmac_f32_e32 v26, v13, v25
	v_mul_f32_e32 v25, v13, v26
	v_fmac_f32_e32 v9, v9, v25
	v_mov_b32_e32 v25, 0xbab64f3b
	v_fmac_f32_e32 v25, 0x37d75334, v13
	v_mov_b32_e32 v26, 0x3d2aabf7
	;; [unrolled: 2-line block ×3, first 2 shown]
	v_fmac_f32_e32 v25, v13, v26
	v_fma_f32 v13, v13, v25, 1.0
	v_and_b32_e32 v25, 1, v4
	v_lshlrev_b32_e32 v4, 30, v4
	v_cmp_eq_u32_e32 vcc, 0, v25
	v_and_b32_e32 v4, 0x80000000, v4
	v_xor_b32_e32 v3, v3, v2
	v_cndmask_b32_e32 v9, v13, v9, vcc
	v_xor_b32_e32 v3, v3, v4
	s_movk_i32 s4, 0x1f8
	v_xor_b32_e32 v3, v3, v9
	v_mov_b32_e32 v4, 0x7fc00000
	v_cmp_class_f32_e64 vcc, v2, s4
	v_cndmask_b32_e32 v2, v4, v3, vcc
	v_mul_f32_e32 v2, v2, v2
	s_mov_b32 s6, 0xc11de9e7
	v_div_scale_f32 v3, s[4:5], v2, v2, s6
	v_div_scale_f32 v4, vcc, s6, v2, s6
	v_sub_f32_e32 v22, 1.0, v22
	v_rcp_f32_e32 v9, v3
	v_fma_f32 v13, -v3, v9, 1.0
	v_fmac_f32_e32 v9, v13, v9
	v_mul_f32_e32 v13, v4, v9
	v_fma_f32 v25, -v3, v13, v4
	v_fmac_f32_e32 v13, v25, v9
	v_fma_f32 v3, -v3, v13, v4
	v_div_fmas_f32 v3, v3, v9, v13
	v_mov_b32_e32 v9, -1.0
	v_div_fixup_f32 v2, v3, v2, s6
	v_add_f32_e32 v13, 0, v2
.LBB69_36:
	s_or_b64 exec, exec, s[12:13]
	v_lshlrev_b32_e32 v26, 16, v5
	v_cmp_gt_f32_e32 vcc, 0.5, v26
	v_mov_b32_e32 v3, 0
	v_mov_b32_e32 v2, 1.0
	s_and_saveexec_b64 s[12:13], vcc
	s_cbranch_execz .LBB69_42
; %bb.37:
	v_mul_f32_e32 v2, 0x40490fdb, v26
	s_brev_b32 s4, 18
	v_and_b32_e32 v3, 0x7fffffff, v2
	v_cmp_nlt_f32_e64 s[4:5], |v2|, s4
                                        ; implicit-def: $vgpr4
                                        ; implicit-def: $vgpr25
	s_and_saveexec_b64 s[6:7], s[4:5]
	s_xor_b64 s[14:15], exec, s[6:7]
	s_cbranch_execz .LBB69_39
; %bb.38:
	v_and_b32_e32 v4, 0x7fffff, v3
	v_or_b32_e32 v4, 0x800000, v4
	s_mov_b32 s4, 0xfe5163ab
	v_mad_u64_u32 v[27:28], s[4:5], v4, s4, 0
	v_mov_b32_e32 v29, 0
	s_mov_b32 s4, 0x3c439041
	v_mad_u64_u32 v[30:31], s[4:5], v4, s4, v[28:29]
	s_mov_b32 s4, 0xdb629599
	v_lshrrev_b32_e32 v25, 23, v3
	v_mov_b32_e32 v28, v31
	v_mad_u64_u32 v[31:32], s[4:5], v4, s4, v[28:29]
	s_mov_b32 s4, 0xf534ddc0
	v_add_u32_e32 v25, 0xffffff88, v25
	v_mov_b32_e32 v28, v32
	v_mad_u64_u32 v[32:33], s[4:5], v4, s4, v[28:29]
	s_mov_b32 s4, 0xfc2757d1
	v_not_b32_e32 v35, 63
	v_mov_b32_e32 v28, v33
	v_mad_u64_u32 v[33:34], s[4:5], v4, s4, v[28:29]
	v_cmp_lt_u32_e32 vcc, 63, v25
	v_cndmask_b32_e32 v28, 0, v35, vcc
	v_add_u32_e32 v25, v28, v25
	v_mov_b32_e32 v28, v34
	s_mov_b32 s4, 0x4e441529
	v_mad_u64_u32 v[34:35], s[4:5], v4, s4, v[28:29]
	v_not_b32_e32 v36, 31
	v_cmp_lt_u32_e64 s[4:5], 31, v25
	v_cndmask_b32_e64 v28, 0, v36, s[4:5]
	v_add_u32_e32 v25, v28, v25
	v_mov_b32_e32 v28, v35
	s_mov_b32 s6, 0xa2f9836e
	v_mad_u64_u32 v[28:29], s[6:7], v4, s6, v[28:29]
	v_cmp_lt_u32_e64 s[6:7], 31, v25
	v_cndmask_b32_e64 v4, 0, v36, s[6:7]
	v_add_u32_e32 v4, v4, v25
	v_cndmask_b32_e32 v25, v34, v32, vcc
	v_cndmask_b32_e32 v28, v28, v33, vcc
	;; [unrolled: 1-line block ×3, first 2 shown]
	v_cndmask_b32_e64 v35, v28, v25, s[4:5]
	v_cndmask_b32_e64 v28, v29, v28, s[4:5]
	v_cndmask_b32_e32 v29, v33, v31, vcc
	v_cndmask_b32_e64 v25, v25, v29, s[4:5]
	v_cndmask_b32_e64 v28, v28, v35, s[6:7]
	;; [unrolled: 1-line block ×3, first 2 shown]
	v_sub_u32_e32 v34, 32, v4
	v_alignbit_b32 v35, v28, v33, v34
	v_cmp_eq_u32_e64 s[8:9], 0, v4
	v_cndmask_b32_e64 v4, v35, v28, s[8:9]
	v_cndmask_b32_e32 v28, v32, v30, vcc
	v_cndmask_b32_e64 v29, v29, v28, s[4:5]
	v_cndmask_b32_e64 v25, v25, v29, s[6:7]
	v_alignbit_b32 v30, v33, v25, v34
	v_cndmask_b32_e32 v27, v31, v27, vcc
	v_cndmask_b32_e64 v30, v30, v33, s[8:9]
	v_bfe_u32 v35, v4, 29, 1
	v_cndmask_b32_e64 v27, v28, v27, s[4:5]
	v_alignbit_b32 v32, v4, v30, 30
	v_sub_u32_e32 v36, 0, v35
	v_cndmask_b32_e64 v27, v29, v27, s[6:7]
	v_xor_b32_e32 v32, v32, v36
	v_alignbit_b32 v28, v25, v27, v34
	v_cndmask_b32_e64 v25, v28, v25, s[8:9]
	v_ffbh_u32_e32 v29, v32
	v_alignbit_b32 v28, v30, v25, 30
	v_min_u32_e32 v29, 32, v29
	v_alignbit_b32 v25, v25, v27, 30
	v_xor_b32_e32 v28, v28, v36
	v_sub_u32_e32 v30, 31, v29
	v_xor_b32_e32 v25, v25, v36
	v_alignbit_b32 v31, v32, v28, v30
	v_alignbit_b32 v25, v28, v25, v30
	;; [unrolled: 1-line block ×3, first 2 shown]
	v_ffbh_u32_e32 v28, v27
	v_min_u32_e32 v28, 32, v28
	v_lshrrev_b32_e32 v33, 29, v4
	v_not_b32_e32 v30, v28
	v_alignbit_b32 v25, v27, v25, v30
	v_lshlrev_b32_e32 v27, 31, v33
	v_or_b32_e32 v30, 0x33000000, v27
	v_add_lshl_u32 v28, v28, v29, 23
	v_lshrrev_b32_e32 v25, 9, v25
	v_sub_u32_e32 v28, v30, v28
	v_or_b32_e32 v27, 0.5, v27
	v_lshlrev_b32_e32 v29, 23, v29
	v_or_b32_e32 v25, v28, v25
	v_lshrrev_b32_e32 v28, 9, v31
	v_sub_u32_e32 v27, v27, v29
	v_or_b32_e32 v27, v28, v27
	s_mov_b32 s4, 0x3fc90fda
	v_mul_f32_e32 v28, 0x3fc90fda, v27
	v_fma_f32 v29, v27, s4, -v28
	v_fmac_f32_e32 v29, 0x33a22168, v27
	v_fmac_f32_e32 v29, 0x3fc90fda, v25
	v_lshrrev_b32_e32 v4, 30, v4
	v_add_f32_e32 v25, v28, v29
	v_add_u32_e32 v4, v35, v4
.LBB69_39:
	s_andn2_saveexec_b64 s[4:5], s[14:15]
	s_cbranch_execz .LBB69_41
; %bb.40:
	s_mov_b32 s6, 0x3f22f983
	v_mul_f32_e64 v4, |v2|, s6
	v_rndne_f32_e32 v27, v4
	s_mov_b32 s6, 0xbfc90fda
	v_cvt_i32_f32_e32 v4, v27
	v_fma_f32 v25, v27, s6, |v2|
	v_fmac_f32_e32 v25, 0xb3a22168, v27
	v_fmac_f32_e32 v25, 0xa7c234c4, v27
.LBB69_41:
	s_or_b64 exec, exec, s[4:5]
	v_mul_f32_e32 v27, v25, v25
	v_mov_b32_e32 v28, 0x3c0881c4
	v_fmac_f32_e32 v28, 0xb94c1982, v27
	v_mov_b32_e32 v29, 0xbe2aaa9d
	v_fmac_f32_e32 v29, v27, v28
	v_mul_f32_e32 v28, v27, v29
	v_fmac_f32_e32 v25, v25, v28
	v_mov_b32_e32 v28, 0xbab64f3b
	v_fmac_f32_e32 v28, 0x37d75334, v27
	v_mov_b32_e32 v29, 0x3d2aabf7
	;; [unrolled: 2-line block ×3, first 2 shown]
	v_fmac_f32_e32 v28, v27, v29
	v_fma_f32 v27, v27, v28, 1.0
	v_and_b32_e32 v28, 1, v4
	v_lshlrev_b32_e32 v4, 30, v4
	v_cmp_eq_u32_e32 vcc, 0, v28
	v_and_b32_e32 v4, 0x80000000, v4
	v_xor_b32_e32 v3, v3, v2
	v_cndmask_b32_e32 v25, v27, v25, vcc
	v_xor_b32_e32 v3, v3, v4
	s_movk_i32 s4, 0x1f8
	v_xor_b32_e32 v3, v3, v25
	v_mov_b32_e32 v4, 0x7fc00000
	v_cmp_class_f32_e64 vcc, v2, s4
	v_cndmask_b32_e32 v2, v4, v3, vcc
	v_mul_f32_e32 v2, v2, v2
	s_mov_b32 s6, 0xc11de9e7
	v_div_scale_f32 v3, s[4:5], v2, v2, s6
	v_div_scale_f32 v4, vcc, s6, v2, s6
	v_sub_f32_e32 v26, 1.0, v26
	v_rcp_f32_e32 v25, v3
	v_fma_f32 v27, -v3, v25, 1.0
	v_fmac_f32_e32 v25, v27, v25
	v_mul_f32_e32 v27, v4, v25
	v_fma_f32 v28, -v3, v27, v4
	v_fmac_f32_e32 v27, v28, v25
	v_fma_f32 v3, -v3, v27, v4
	v_div_fmas_f32 v3, v3, v25, v27
	v_div_fixup_f32 v2, v3, v2, s6
	v_add_f32_e32 v3, 0, v2
	v_mov_b32_e32 v2, -1.0
.LBB69_42:
	s_or_b64 exec, exec, s[12:13]
	v_and_b32_e32 v25, 0xffff0000, v5
	v_cmp_gt_f32_e32 vcc, 0.5, v25
	v_mov_b32_e32 v5, 0
	v_mov_b32_e32 v4, 1.0
	s_and_saveexec_b64 s[12:13], vcc
	s_cbranch_execz .LBB69_48
; %bb.43:
	v_mul_f32_e32 v4, 0x40490fdb, v25
	s_brev_b32 s4, 18
	v_and_b32_e32 v5, 0x7fffffff, v4
	v_cmp_nlt_f32_e64 s[4:5], |v4|, s4
                                        ; implicit-def: $vgpr27
                                        ; implicit-def: $vgpr28
	s_and_saveexec_b64 s[6:7], s[4:5]
	s_xor_b64 s[14:15], exec, s[6:7]
	s_cbranch_execz .LBB69_45
; %bb.44:
	v_and_b32_e32 v27, 0x7fffff, v5
	v_or_b32_e32 v36, 0x800000, v27
	s_mov_b32 s4, 0xfe5163ab
	v_mad_u64_u32 v[27:28], s[4:5], v36, s4, 0
	v_mov_b32_e32 v29, 0
	s_mov_b32 s4, 0x3c439041
	v_mad_u64_u32 v[30:31], s[4:5], v36, s4, v[28:29]
	s_mov_b32 s4, 0xdb629599
	v_not_b32_e32 v35, 63
	v_mov_b32_e32 v28, v31
	v_mad_u64_u32 v[31:32], s[4:5], v36, s4, v[28:29]
	s_mov_b32 s4, 0xf534ddc0
	v_not_b32_e32 v38, 31
	v_mov_b32_e32 v28, v32
	v_mad_u64_u32 v[32:33], s[4:5], v36, s4, v[28:29]
	v_lshrrev_b32_e32 v28, 23, v5
	v_add_u32_e32 v37, 0xffffff88, v28
	v_mov_b32_e32 v28, v33
	s_mov_b32 s4, 0xfc2757d1
	v_mad_u64_u32 v[33:34], s[4:5], v36, s4, v[28:29]
	v_cmp_lt_u32_e32 vcc, 63, v37
	v_cndmask_b32_e32 v28, 0, v35, vcc
	v_add_u32_e32 v37, v28, v37
	v_mov_b32_e32 v28, v34
	s_mov_b32 s4, 0x4e441529
	v_mad_u64_u32 v[34:35], s[4:5], v36, s4, v[28:29]
	v_cmp_lt_u32_e64 s[4:5], 31, v37
	v_cndmask_b32_e64 v28, 0, v38, s[4:5]
	v_add_u32_e32 v37, v28, v37
	v_mov_b32_e32 v28, v35
	s_mov_b32 s6, 0xa2f9836e
	v_mad_u64_u32 v[28:29], s[6:7], v36, s6, v[28:29]
	v_cmp_lt_u32_e64 s[6:7], 31, v37
	v_cndmask_b32_e64 v35, 0, v38, s[6:7]
	v_cndmask_b32_e32 v36, v34, v32, vcc
	v_cndmask_b32_e32 v28, v28, v33, vcc
	;; [unrolled: 1-line block ×3, first 2 shown]
	v_add_u32_e32 v35, v35, v37
	v_cndmask_b32_e64 v37, v28, v36, s[4:5]
	v_cndmask_b32_e64 v28, v29, v28, s[4:5]
	v_cndmask_b32_e32 v29, v33, v31, vcc
	v_cndmask_b32_e64 v33, v36, v29, s[4:5]
	v_cndmask_b32_e64 v28, v28, v37, s[6:7]
	;; [unrolled: 1-line block ×3, first 2 shown]
	v_sub_u32_e32 v36, 32, v35
	v_alignbit_b32 v37, v28, v34, v36
	v_cmp_eq_u32_e64 s[8:9], 0, v35
	v_cndmask_b32_e64 v35, v37, v28, s[8:9]
	v_cndmask_b32_e32 v28, v32, v30, vcc
	v_cndmask_b32_e64 v29, v29, v28, s[4:5]
	v_cndmask_b32_e64 v30, v33, v29, s[6:7]
	v_alignbit_b32 v32, v34, v30, v36
	v_cndmask_b32_e32 v27, v31, v27, vcc
	v_cndmask_b32_e64 v32, v32, v34, s[8:9]
	v_bfe_u32 v37, v35, 29, 1
	v_cndmask_b32_e64 v27, v28, v27, s[4:5]
	v_alignbit_b32 v33, v35, v32, 30
	v_sub_u32_e32 v38, 0, v37
	v_cndmask_b32_e64 v27, v29, v27, s[6:7]
	v_xor_b32_e32 v33, v33, v38
	v_alignbit_b32 v28, v30, v27, v36
	v_cndmask_b32_e64 v28, v28, v30, s[8:9]
	v_ffbh_u32_e32 v30, v33
	v_alignbit_b32 v29, v32, v28, 30
	v_min_u32_e32 v30, 32, v30
	v_alignbit_b32 v27, v28, v27, 30
	v_xor_b32_e32 v29, v29, v38
	v_sub_u32_e32 v31, 31, v30
	v_xor_b32_e32 v27, v27, v38
	v_alignbit_b32 v32, v33, v29, v31
	v_alignbit_b32 v27, v29, v27, v31
	v_alignbit_b32 v28, v32, v27, 9
	v_ffbh_u32_e32 v29, v28
	v_min_u32_e32 v29, 32, v29
	v_lshrrev_b32_e32 v34, 29, v35
	v_not_b32_e32 v31, v29
	v_alignbit_b32 v27, v28, v27, v31
	v_lshlrev_b32_e32 v28, 31, v34
	v_or_b32_e32 v31, 0x33000000, v28
	v_add_lshl_u32 v29, v29, v30, 23
	v_lshrrev_b32_e32 v27, 9, v27
	v_sub_u32_e32 v29, v31, v29
	v_or_b32_e32 v28, 0.5, v28
	v_lshlrev_b32_e32 v30, 23, v30
	v_or_b32_e32 v27, v29, v27
	v_lshrrev_b32_e32 v29, 9, v32
	v_sub_u32_e32 v28, v28, v30
	v_or_b32_e32 v28, v29, v28
	s_mov_b32 s4, 0x3fc90fda
	v_mul_f32_e32 v29, 0x3fc90fda, v28
	v_fma_f32 v30, v28, s4, -v29
	v_fmac_f32_e32 v30, 0x33a22168, v28
	v_fmac_f32_e32 v30, 0x3fc90fda, v27
	v_lshrrev_b32_e32 v27, 30, v35
	v_add_f32_e32 v28, v29, v30
	v_add_u32_e32 v27, v37, v27
.LBB69_45:
	s_andn2_saveexec_b64 s[4:5], s[14:15]
	s_cbranch_execz .LBB69_47
; %bb.46:
	s_mov_b32 s6, 0x3f22f983
	v_mul_f32_e64 v27, |v4|, s6
	v_rndne_f32_e32 v29, v27
	s_mov_b32 s6, 0xbfc90fda
	v_cvt_i32_f32_e32 v27, v29
	v_fma_f32 v28, v29, s6, |v4|
	v_fmac_f32_e32 v28, 0xb3a22168, v29
	v_fmac_f32_e32 v28, 0xa7c234c4, v29
.LBB69_47:
	s_or_b64 exec, exec, s[4:5]
	v_mul_f32_e32 v29, v28, v28
	v_mov_b32_e32 v30, 0x3c0881c4
	v_fmac_f32_e32 v30, 0xb94c1982, v29
	v_mov_b32_e32 v31, 0xbe2aaa9d
	v_fmac_f32_e32 v31, v29, v30
	v_mul_f32_e32 v30, v29, v31
	v_fmac_f32_e32 v28, v28, v30
	v_mov_b32_e32 v30, 0xbab64f3b
	v_fmac_f32_e32 v30, 0x37d75334, v29
	v_mov_b32_e32 v31, 0x3d2aabf7
	v_fmac_f32_e32 v31, v29, v30
	v_mov_b32_e32 v30, 0xbf000004
	v_fmac_f32_e32 v30, v29, v31
	v_fma_f32 v29, v29, v30, 1.0
	v_and_b32_e32 v30, 1, v27
	v_lshlrev_b32_e32 v27, 30, v27
	v_cmp_eq_u32_e32 vcc, 0, v30
	v_and_b32_e32 v27, 0x80000000, v27
	v_xor_b32_e32 v5, v5, v4
	v_cndmask_b32_e32 v28, v29, v28, vcc
	v_xor_b32_e32 v5, v5, v27
	s_movk_i32 s4, 0x1f8
	v_xor_b32_e32 v5, v5, v28
	v_mov_b32_e32 v27, 0x7fc00000
	v_cmp_class_f32_e64 vcc, v4, s4
	v_cndmask_b32_e32 v4, v27, v5, vcc
	v_mul_f32_e32 v4, v4, v4
	s_mov_b32 s6, 0xc11de9e7
	v_div_scale_f32 v5, s[4:5], v4, v4, s6
	v_div_scale_f32 v27, vcc, s6, v4, s6
	v_sub_f32_e32 v25, 1.0, v25
	v_rcp_f32_e32 v28, v5
	v_fma_f32 v29, -v5, v28, 1.0
	v_fmac_f32_e32 v28, v29, v28
	v_mul_f32_e32 v29, v27, v28
	v_fma_f32 v30, -v5, v29, v27
	v_fmac_f32_e32 v29, v30, v28
	v_fma_f32 v5, -v5, v29, v27
	v_div_fmas_f32 v5, v5, v28, v29
	v_div_fixup_f32 v4, v5, v4, s6
	v_add_f32_e32 v5, 0, v4
	v_mov_b32_e32 v4, -1.0
.LBB69_48:
	s_or_b64 exec, exec, s[12:13]
	v_add_f32_e32 v30, 1.0, v23
	v_add_f32_e32 v31, 1.0, v30
	;; [unrolled: 1-line block ×6, first 2 shown]
	v_mul_f32_e32 v29, v28, v28
	v_div_scale_f32 v35, s[4:5], v29, v29, 1.0
	v_div_scale_f32 v37, vcc, 1.0, v29, 1.0
	v_mul_f32_e32 v27, v19, v19
	v_div_scale_f32 v36, s[4:5], v27, v27, 1.0
	v_div_scale_f32 v39, s[4:5], 1.0, v27, 1.0
	v_mul_f32_e32 v38, v23, v23
	v_div_scale_f32 v48, s[6:7], v38, v38, 1.0
	v_mul_f32_e32 v30, v30, v30
	v_add_f32_e32 v19, 1.0, v19
	v_mul_f32_e32 v64, v19, v19
	v_add_f32_e32 v23, 1.0, v19
	v_rcp_f32_e32 v50, v35
	v_div_scale_f32 v19, s[8:9], v64, v64, 1.0
	v_mul_f32_e32 v65, v23, v23
	v_fma_f32 v54, -v35, v50, 1.0
	v_fmac_f32_e32 v50, v54, v50
	v_mul_f32_e32 v54, v37, v50
	v_fma_f32 v55, -v35, v54, v37
	v_fmac_f32_e32 v54, v55, v50
	v_fma_f32 v35, -v35, v54, v37
	v_div_fmas_f32 v35, v35, v50, v54
	v_div_scale_f32 v50, s[6:7], 1.0, v38, 1.0
	v_rcp_f32_e32 v53, v36
	v_div_scale_f32 v55, s[8:9], v30, v30, 1.0
	s_mov_b64 vcc, s[4:5]
	v_fma_f32 v37, -v36, v53, 1.0
	v_fmac_f32_e32 v53, v37, v53
	v_mul_f32_e32 v37, v39, v53
	v_fma_f32 v54, -v36, v37, v39
	v_fmac_f32_e32 v37, v54, v53
	v_rcp_f32_e32 v54, v48
	v_fma_f32 v36, -v36, v37, v39
	v_div_scale_f32 v39, s[4:5], 1.0, v30, 1.0
	v_div_fmas_f32 v36, v36, v53, v37
	v_fma_f32 v37, -v48, v54, 1.0
	v_fmac_f32_e32 v54, v37, v54
	v_mul_f32_e32 v37, v50, v54
	v_fma_f32 v53, -v48, v37, v50
	v_fmac_f32_e32 v37, v53, v54
	v_fma_f32 v48, -v48, v37, v50
	s_mov_b64 vcc, s[6:7]
	v_div_scale_f32 v50, s[6:7], 1.0, v64, 1.0
	v_rcp_f32_e32 v53, v55
	v_add_f32_e32 v49, 1.0, v23
	v_div_fmas_f32 v37, v48, v54, v37
	v_div_scale_f32 v23, s[8:9], v65, v65, 1.0
	v_fma_f32 v48, -v55, v53, 1.0
	v_fmac_f32_e32 v53, v48, v53
	v_mul_f32_e32 v48, v39, v53
	v_fma_f32 v54, -v55, v48, v39
	v_fmac_f32_e32 v48, v54, v53
	v_rcp_f32_e32 v54, v19
	v_fma_f32 v39, -v55, v48, v39
	s_mov_b64 vcc, s[4:5]
	v_div_fmas_f32 v39, v39, v53, v48
	v_div_scale_f32 v53, s[4:5], 1.0, v65, 1.0
	v_mul_f32_e32 v31, v31, v31
	v_div_scale_f32 v66, s[8:9], v31, v31, 1.0
	v_fma_f32 v48, -v19, v54, 1.0
	v_fmac_f32_e32 v54, v48, v54
	v_mul_f32_e32 v48, v50, v54
	v_fma_f32 v55, -v19, v48, v50
	v_fmac_f32_e32 v48, v55, v54
	v_fma_f32 v19, -v19, v48, v50
	s_mov_b64 vcc, s[6:7]
	v_div_scale_f32 v50, s[6:7], 1.0, v31, 1.0
	v_rcp_f32_e32 v55, v23
	v_mul_f32_e32 v32, v32, v32
	v_div_fmas_f32 v48, v19, v54, v48
	v_div_scale_f32 v67, s[8:9], v32, v32, 1.0
	v_fma_f32 v19, -v23, v55, 1.0
	v_fmac_f32_e32 v55, v19, v55
	v_mul_f32_e32 v19, v53, v55
	v_fma_f32 v54, -v23, v19, v53
	v_fmac_f32_e32 v19, v54, v55
	v_rcp_f32_e32 v54, v66
	v_fma_f32 v23, -v23, v19, v53
	s_mov_b64 vcc, s[4:5]
	v_div_fmas_f32 v53, v23, v55, v19
	v_div_scale_f32 v23, s[4:5], 1.0, v32, 1.0
	v_add_f32_e32 v51, 1.0, v49
	v_mul_f32_e32 v49, v49, v49
	v_fma_f32 v19, -v66, v54, 1.0
	v_div_scale_f32 v68, s[8:9], v49, v49, 1.0
	v_fmac_f32_e32 v54, v19, v54
	v_mul_f32_e32 v19, v50, v54
	v_fma_f32 v55, -v66, v19, v50
	v_fmac_f32_e32 v19, v55, v54
	v_fma_f32 v50, -v66, v19, v50
	s_mov_b64 vcc, s[6:7]
	v_div_fmas_f32 v50, v50, v54, v19
	v_div_scale_f32 v54, s[6:7], 1.0, v49, 1.0
	v_rcp_f32_e32 v55, v67
	v_add_f32_e32 v52, 1.0, v51
	v_mul_f32_e32 v51, v51, v51
	v_div_scale_f32 v69, s[8:9], v51, v51, 1.0
	v_fma_f32 v19, -v67, v55, 1.0
	v_fmac_f32_e32 v55, v19, v55
	v_mul_f32_e32 v19, v23, v55
	v_fma_f32 v66, -v67, v19, v23
	v_fmac_f32_e32 v19, v66, v55
	v_rcp_f32_e32 v66, v68
	v_fma_f32 v23, -v67, v19, v23
	s_mov_b64 vcc, s[4:5]
	v_div_fmas_f32 v55, v23, v55, v19
	v_div_scale_f32 v23, s[4:5], 1.0, v51, 1.0
	v_mul_f32_e32 v33, v33, v33
	v_fma_f32 v19, -v68, v66, 1.0
	v_div_scale_f32 v70, s[8:9], v33, v33, 1.0
	v_fmac_f32_e32 v66, v19, v66
	v_mul_f32_e32 v19, v54, v66
	v_fma_f32 v67, -v68, v19, v54
	v_fmac_f32_e32 v19, v67, v66
	v_fma_f32 v54, -v68, v19, v54
	s_mov_b64 vcc, s[6:7]
	v_div_fmas_f32 v54, v54, v66, v19
	v_div_scale_f32 v66, s[6:7], 1.0, v33, 1.0
	v_rcp_f32_e32 v67, v69
	v_mul_f32_e32 v34, v34, v34
	v_div_scale_f32 v71, s[8:9], v34, v34, 1.0
	v_fma_f32 v19, -v69, v67, 1.0
	v_fmac_f32_e32 v67, v19, v67
	v_mul_f32_e32 v19, v23, v67
	v_fma_f32 v68, -v69, v19, v23
	v_fmac_f32_e32 v19, v68, v67
	v_rcp_f32_e32 v68, v70
	v_fma_f32 v23, -v69, v19, v23
	s_mov_b64 vcc, s[4:5]
	v_div_fmas_f32 v67, v23, v67, v19
	v_fma_f32 v19, -v70, v68, 1.0
	v_fmac_f32_e32 v68, v19, v68
	v_div_scale_f32 v23, s[4:5], 1.0, v34, 1.0
	v_mul_f32_e32 v19, v66, v68
	v_fma_f32 v69, -v70, v19, v66
	v_fmac_f32_e32 v19, v69, v68
	v_mul_f32_e32 v69, v52, v52
	v_div_scale_f32 v80, s[8:9], v69, v69, 1.0
	v_rcp_f32_e32 v81, v71
	v_fma_f32 v66, -v70, v19, v66
	s_mov_b64 vcc, s[6:7]
	v_div_fmas_f32 v66, v66, v68, v19
	v_fma_f32 v19, -v71, v81, 1.0
	v_fmac_f32_e32 v81, v19, v81
	v_div_scale_f32 v19, s[6:7], 1.0, v69, 1.0
	v_add_f32_e32 v70, v28, v28
	v_div_scale_f32 v82, s[8:9], v70, v70, 1.0
	v_mul_f32_e32 v68, v23, v81
	v_fma_f32 v83, -v71, v68, v23
	v_fmac_f32_e32 v68, v83, v81
	v_div_scale_f32 v83, s[8:9], 1.0, v70, 1.0
	v_fma_f32 v23, -v71, v68, v23
	v_rcp_f32_e32 v71, v80
	s_mov_b64 vcc, s[4:5]
	v_div_fmas_f32 v68, v23, v81, v68
	s_mov_b64 vcc, s[6:7]
	v_fma_f32 v23, -v80, v71, 1.0
	v_fmac_f32_e32 v71, v23, v71
	v_mul_f32_e32 v23, v19, v71
	v_fma_f32 v81, -v80, v23, v19
	v_fmac_f32_e32 v23, v81, v71
	v_fma_f32 v19, -v80, v23, v19
	v_rcp_f32_e32 v80, v82
	v_div_fmas_f32 v71, v19, v71, v23
	v_add_f32_e32 v52, 1.0, v52
	v_add_f32_e32 v81, v52, v52
	v_fma_f32 v19, -v82, v80, 1.0
	v_fmac_f32_e32 v80, v19, v80
	v_mul_f32_e32 v19, v83, v80
	v_fma_f32 v23, -v82, v19, v83
	v_fmac_f32_e32 v19, v23, v80
	v_div_scale_f32 v23, s[4:5], v81, v81, 1.0
	v_fma_f32 v82, -v82, v19, v83
	v_div_scale_f32 v83, s[4:5], 1.0, v81, 1.0
	s_mov_b64 vcc, s[8:9]
	v_div_fmas_f32 v80, v82, v80, v19
	s_mov_b64 vcc, s[4:5]
	v_div_fixup_f32 v27, v36, v27, 1.0
	v_div_fixup_f32 v36, v37, v38, 1.0
	v_add_f32_e32 v20, v20, v36
	v_add_f32_e32 v15, v15, v27
	v_div_fixup_f32 v27, v39, v30, 1.0
	v_div_fixup_f32 v30, v48, v64, 1.0
	v_mov_b32_e32 v37, 0x3d088889
	s_mov_b32 s12, 0x3e2aaaab
	v_rcp_f32_e32 v19, v23
	v_add_f32_e32 v15, v15, v30
	v_div_fixup_f32 v29, v35, v29, 1.0
	v_mov_b32_e32 v35, 0x3d088889
	v_fma_f32 v82, -v23, v19, 1.0
	v_fmac_f32_e32 v19, v82, v19
	v_mul_f32_e32 v82, v83, v19
	v_fma_f32 v84, -v23, v82, v83
	v_fmac_f32_e32 v82, v84, v19
	v_fma_f32 v23, -v23, v82, v83
	v_mul_f32_e32 v83, v52, v52
	v_div_fmas_f32 v82, v23, v19, v82
	v_div_scale_f32 v19, s[4:5], v83, v83, 1.0
	v_add_f32_e32 v20, v20, v27
	v_div_fixup_f32 v31, v50, v31, 1.0
	v_fmac_f32_e32 v35, 0xbcc30c31, v29
	v_add_f32_e32 v20, v20, v31
	v_div_fixup_f32 v31, v80, v70, 1.0
	v_fma_f32 v35, -v29, v35, s12
	v_add_f32_e32 v31, 1.0, v31
	v_fmac_f32_e32 v31, v29, v35
	v_div_scale_f32 v29, s[4:5], v28, v28, v31
	v_div_fixup_f32 v27, v53, v65, 1.0
	v_add_f32_e32 v15, v15, v27
	v_div_fixup_f32 v27, v55, v32, 1.0
	v_div_fixup_f32 v30, v82, v81, 1.0
	v_rcp_f32_e32 v23, v19
	v_add_f32_e32 v30, 1.0, v30
	v_div_fixup_f32 v32, v54, v49, 1.0
	v_add_f32_e32 v15, v15, v32
	v_fma_f32 v84, -v19, v23, 1.0
	v_fmac_f32_e32 v23, v84, v23
	v_div_scale_f32 v84, vcc, 1.0, v83, 1.0
	v_add_f32_e32 v20, v20, v27
	v_div_fixup_f32 v27, v67, v51, 1.0
	v_div_fixup_f32 v33, v66, v33, 1.0
	v_add_f32_e32 v15, v15, v27
	v_div_fixup_f32 v27, v71, v69, 1.0
	v_add_f32_e32 v20, v20, v33
	v_add_f32_e32 v33, v15, v27
	s_movk_i32 s13, 0x7fff
	v_mul_f32_e32 v85, v84, v23
	v_fma_f32 v86, -v19, v85, v84
	v_fmac_f32_e32 v85, v86, v23
	v_fma_f32 v19, -v19, v85, v84
	v_div_fmas_f32 v84, v19, v23, v85
	v_mov_b32_e32 v19, s11
	v_add_co_u32_e32 v0, vcc, s10, v0
	v_addc_co_u32_e32 v1, vcc, v1, v19, vcc
	v_add_co_u32_e32 v0, vcc, v0, v10
	v_addc_co_u32_e32 v1, vcc, 0, v1, vcc
	v_add_f32_e32 v10, 1.0, v24
	v_mul_f32_e32 v19, v26, v26
	v_add_f32_e32 v23, 1.0, v26
	v_mul_f32_e32 v26, v24, v24
	v_mul_f32_e32 v24, v21, v21
	v_div_scale_f32 v51, s[6:7], v26, v26, 1.0
	v_div_fixup_f32 v36, v84, v83, 1.0
	v_fmac_f32_e32 v37, 0xbcc30c31, v36
	v_fma_f32 v37, -v36, v37, s12
	v_fmac_f32_e32 v30, v37, v36
	v_div_scale_f32 v36, s[4:5], v52, v52, v30
	v_div_scale_f32 v37, vcc, v30, v52, v30
	v_div_scale_f32 v32, s[4:5], v31, v28, v31
	v_add_f32_e32 v21, 1.0, v21
	v_mul_f32_e32 v53, v21, v21
	v_add_f32_e32 v85, 1.0, v22
	v_add_f32_e32 v86, 1.0, v18
	v_rcp_f32_e32 v35, v36
	v_fma_f32 v38, -v36, v35, 1.0
	v_fmac_f32_e32 v35, v38, v35
	v_mul_f32_e32 v38, v37, v35
	v_fma_f32 v39, -v36, v38, v37
	v_fmac_f32_e32 v38, v39, v35
	v_rcp_f32_e32 v39, v29
	v_fma_f32 v36, -v36, v38, v37
	v_div_fmas_f32 v35, v36, v35, v38
	s_mov_b64 vcc, s[4:5]
	v_fma_f32 v36, -v29, v39, 1.0
	v_fmac_f32_e32 v39, v36, v39
	v_mul_f32_e32 v36, v32, v39
	v_fma_f32 v37, -v29, v36, v32
	v_fmac_f32_e32 v36, v37, v39
	v_fma_f32 v29, -v29, v36, v32
	v_div_fmas_f32 v29, v29, v39, v36
	v_div_fixup_f32 v32, v68, v34, 1.0
	v_add_f32_e32 v34, 1.0, v10
	v_add_f32_e32 v36, 1.0, v34
	v_add_f32_e32 v37, 1.0, v36
	v_add_f32_e32 v38, 1.0, v37
	v_add_f32_e32 v27, 1.0, v38
	v_mul_f32_e32 v15, v27, v27
	v_div_scale_f32 v39, s[4:5], v15, v15, 1.0
	v_add_f32_e32 v20, v20, v32
	v_div_fixup_f32 v30, v35, v52, v30
	v_mul_f32_e32 v52, v10, v10
	v_div_scale_f32 v10, s[8:9], v52, v52, 1.0
	v_mul_f32_e32 v34, v34, v34
	v_div_fixup_f32 v28, v29, v28, v31
	v_add_f32_e32 v20, v20, v28
	v_div_scale_f32 v28, vcc, 1.0, v15, 1.0
	v_add_f32_e32 v29, v33, v30
	v_mul_f32_e32 v30, v12, v29
	v_div_scale_f32 v12, s[4:5], v24, v24, 1.0
	v_rcp_f32_e32 v35, v39
	v_div_scale_f32 v48, s[4:5], 1.0, v24, 1.0
	v_mul_f32_e32 v17, v17, v20
	v_fma_f32 v49, -v39, v35, 1.0
	v_fmac_f32_e32 v35, v49, v35
	v_add_f32_e32 v20, 1.0, v21
	v_div_scale_f32 v21, s[8:9], v53, v53, 1.0
	v_mul_f32_e32 v54, v20, v20
	v_mul_f32_e32 v49, v28, v35
	v_fma_f32 v50, -v39, v49, v28
	v_fmac_f32_e32 v49, v50, v35
	v_fma_f32 v28, -v39, v49, v28
	v_div_scale_f32 v39, s[6:7], 1.0, v26, 1.0
	v_rcp_f32_e32 v50, v12
	v_div_fmas_f32 v35, v28, v35, v49
	s_mov_b64 vcc, s[4:5]
	v_add_f32_e32 v31, 1.0, v20
	v_fma_f32 v28, -v12, v50, 1.0
	v_fmac_f32_e32 v50, v28, v50
	v_mul_f32_e32 v28, v48, v50
	v_fma_f32 v49, -v12, v28, v48
	v_fmac_f32_e32 v28, v49, v50
	v_rcp_f32_e32 v49, v51
	v_fma_f32 v12, -v12, v28, v48
	v_div_fmas_f32 v48, v12, v50, v28
	v_div_scale_f32 v28, s[4:5], 1.0, v52, 1.0
	v_fma_f32 v12, -v51, v49, 1.0
	v_fmac_f32_e32 v49, v12, v49
	v_mul_f32_e32 v12, v39, v49
	v_fma_f32 v50, -v51, v12, v39
	v_fmac_f32_e32 v12, v50, v49
	v_fma_f32 v39, -v51, v12, v39
	s_mov_b64 vcc, s[6:7]
	v_div_fmas_f32 v39, v39, v49, v12
	v_div_scale_f32 v49, s[6:7], 1.0, v53, 1.0
	v_rcp_f32_e32 v50, v10
	v_div_scale_f32 v20, s[8:9], v54, v54, 1.0
	s_mov_b64 vcc, s[4:5]
	v_fma_f32 v12, -v10, v50, 1.0
	v_fmac_f32_e32 v50, v12, v50
	v_mul_f32_e32 v12, v28, v50
	v_fma_f32 v51, -v10, v12, v28
	v_fmac_f32_e32 v12, v51, v50
	v_rcp_f32_e32 v51, v21
	v_fma_f32 v10, -v10, v12, v28
	v_div_fmas_f32 v50, v10, v50, v12
	v_div_scale_f32 v12, s[4:5], 1.0, v54, 1.0
	v_fma_f32 v10, -v21, v51, 1.0
	v_div_scale_f32 v55, s[8:9], v34, v34, 1.0
	v_fmac_f32_e32 v51, v10, v51
	v_mul_f32_e32 v10, v49, v51
	v_fma_f32 v28, -v21, v10, v49
	v_fmac_f32_e32 v10, v28, v51
	v_fma_f32 v21, -v21, v10, v49
	s_mov_b64 vcc, s[6:7]
	v_div_fmas_f32 v49, v21, v51, v10
	v_div_scale_f32 v21, s[6:7], 1.0, v34, 1.0
	v_rcp_f32_e32 v28, v20
	v_mul_f32_e32 v36, v36, v36
	v_div_scale_f32 v64, s[8:9], v36, v36, 1.0
	v_fma_f32 v10, -v20, v28, 1.0
	v_fmac_f32_e32 v28, v10, v28
	v_mul_f32_e32 v10, v12, v28
	v_fma_f32 v51, -v20, v10, v12
	v_fmac_f32_e32 v10, v51, v28
	v_rcp_f32_e32 v51, v55
	v_fma_f32 v12, -v20, v10, v12
	s_mov_b64 vcc, s[4:5]
	v_div_fmas_f32 v65, v12, v28, v10
	v_div_scale_f32 v12, s[4:5], 1.0, v36, 1.0
	v_add_f32_e32 v32, 1.0, v31
	v_mul_f32_e32 v31, v31, v31
	v_fma_f32 v10, -v55, v51, 1.0
	v_div_scale_f32 v28, s[8:9], v31, v31, 1.0
	v_fmac_f32_e32 v51, v10, v51
	v_mul_f32_e32 v10, v21, v51
	v_fma_f32 v20, -v55, v10, v21
	v_fmac_f32_e32 v10, v20, v51
	v_fma_f32 v21, -v55, v10, v21
	s_mov_b64 vcc, s[6:7]
	v_div_fmas_f32 v51, v21, v51, v10
	v_div_scale_f32 v21, s[6:7], 1.0, v31, 1.0
	v_rcp_f32_e32 v20, v64
	v_add_f32_e32 v33, 1.0, v32
	v_mul_f32_e32 v32, v32, v32
	v_div_scale_f32 v66, s[8:9], v32, v32, 1.0
	v_fma_f32 v10, -v64, v20, 1.0
	v_fmac_f32_e32 v20, v10, v20
	v_mul_f32_e32 v10, v12, v20
	v_fma_f32 v55, -v64, v10, v12
	v_fmac_f32_e32 v10, v55, v20
	v_rcp_f32_e32 v55, v28
	v_fma_f32 v12, -v64, v10, v12
	s_mov_b64 vcc, s[4:5]
	v_div_fmas_f32 v64, v12, v20, v10
	v_div_scale_f32 v12, s[4:5], 1.0, v32, 1.0
	v_mul_f32_e32 v37, v37, v37
	v_fma_f32 v10, -v28, v55, 1.0
	v_div_scale_f32 v67, s[8:9], v37, v37, 1.0
	v_fmac_f32_e32 v55, v10, v55
	v_mul_f32_e32 v10, v21, v55
	v_fma_f32 v20, -v28, v10, v21
	v_fmac_f32_e32 v10, v20, v55
	v_fma_f32 v21, -v28, v10, v21
	s_mov_b64 vcc, s[6:7]
	v_div_fmas_f32 v55, v21, v55, v10
	v_div_scale_f32 v21, s[6:7], 1.0, v37, 1.0
	v_rcp_f32_e32 v20, v66
	v_mul_f32_e32 v38, v38, v38
	v_div_scale_f32 v68, s[8:9], v38, v38, 1.0
	v_fma_f32 v10, -v66, v20, 1.0
	v_fmac_f32_e32 v20, v10, v20
	v_mul_f32_e32 v10, v12, v20
	v_fma_f32 v28, -v66, v10, v12
	v_fmac_f32_e32 v10, v28, v20
	v_rcp_f32_e32 v28, v67
	v_fma_f32 v12, -v66, v10, v12
	s_mov_b64 vcc, s[4:5]
	v_div_fmas_f32 v66, v12, v20, v10
	v_div_scale_f32 v12, s[4:5], 1.0, v38, 1.0
	v_add_f32_e32 v29, 1.0, v33
	v_mul_f32_e32 v33, v33, v33
	v_fma_f32 v10, -v67, v28, 1.0
	v_div_scale_f32 v69, s[8:9], v33, v33, 1.0
	v_fmac_f32_e32 v28, v10, v28
	v_mul_f32_e32 v10, v21, v28
	v_fma_f32 v20, -v67, v10, v21
	v_fmac_f32_e32 v10, v20, v28
	v_fma_f32 v21, -v67, v10, v21
	s_mov_b64 vcc, s[6:7]
	v_div_fmas_f32 v67, v21, v28, v10
	v_div_scale_f32 v21, s[6:7], 1.0, v33, 1.0
	v_rcp_f32_e32 v20, v68
	v_add_f32_e32 v70, v27, v27
	v_div_scale_f32 v71, s[8:9], v70, v70, 1.0
	v_fma_f32 v10, -v68, v20, 1.0
	v_fmac_f32_e32 v20, v10, v20
	v_mul_f32_e32 v10, v12, v20
	v_fma_f32 v28, -v68, v10, v12
	v_fmac_f32_e32 v10, v28, v20
	v_rcp_f32_e32 v28, v69
	v_fma_f32 v12, -v68, v10, v12
	s_mov_b64 vcc, s[4:5]
	v_div_fmas_f32 v68, v12, v20, v10
	v_fma_f32 v10, -v69, v28, 1.0
	v_div_scale_f32 v12, s[4:5], 1.0, v70, 1.0
	v_fmac_f32_e32 v28, v10, v28
	v_mul_f32_e32 v10, v21, v28
	v_fma_f32 v20, -v69, v10, v21
	v_add_f32_e32 v80, v29, v29
	v_fmac_f32_e32 v10, v20, v28
	v_div_scale_f32 v20, s[8:9], v80, v80, 1.0
	v_fma_f32 v21, -v69, v10, v21
	s_mov_b64 vcc, s[6:7]
	v_div_fmas_f32 v69, v21, v28, v10
	v_div_scale_f32 v28, s[6:7], 1.0, v80, 1.0
	v_rcp_f32_e32 v81, v71
	v_mul_f32_e32 v82, v29, v29
	v_div_scale_f32 v83, s[8:9], v82, v82, 1.0
	v_fma_f32 v10, -v71, v81, 1.0
	v_fmac_f32_e32 v81, v10, v81
	v_mul_f32_e32 v10, v12, v81
	v_fma_f32 v21, -v71, v10, v12
	v_fmac_f32_e32 v10, v21, v81
	v_div_scale_f32 v84, s[8:9], 1.0, v82, 1.0
	v_fma_f32 v12, -v71, v10, v12
	v_rcp_f32_e32 v71, v20
	s_mov_b64 vcc, s[4:5]
	v_div_fmas_f32 v81, v12, v81, v10
	s_mov_b64 vcc, s[6:7]
	v_fma_f32 v10, -v20, v71, 1.0
	v_fmac_f32_e32 v71, v10, v71
	v_mul_f32_e32 v10, v28, v71
	v_fma_f32 v12, -v20, v10, v28
	v_fmac_f32_e32 v10, v12, v71
	v_fma_f32 v12, -v20, v10, v28
	v_rcp_f32_e32 v20, v83
	v_div_fmas_f32 v71, v12, v71, v10
	v_mul_f32_e32 v21, v22, v22
	v_mul_f32_e32 v22, v18, v18
	v_fma_f32 v10, -v83, v20, 1.0
	v_fmac_f32_e32 v20, v10, v20
	v_mul_f32_e32 v10, v84, v20
	v_fma_f32 v12, -v83, v10, v84
	v_fmac_f32_e32 v10, v12, v20
	v_fma_f32 v18, -v83, v10, v84
	s_mov_b64 vcc, s[8:9]
	v_div_fmas_f32 v83, v18, v20, v10
	v_mov_b32_e32 v12, 1
	v_and_b32_sdwa v18, v17, v12 dst_sel:DWORD dst_unused:UNUSED_PAD src0_sel:WORD_1 src1_sel:DWORD
	v_add3_u32 v18, v17, v18, s13
	v_div_fixup_f32 v24, v48, v24, 1.0
	v_div_fixup_f32 v26, v39, v26, 1.0
	v_lshrrev_b32_e32 v28, 16, v18
	v_mul_f32_e32 v18, v25, v25
	v_add_f32_e32 v20, 1.0, v25
	v_div_fixup_f32 v25, v35, v15, 1.0
	v_add_f32_e32 v16, v16, v26
	v_add_f32_e32 v11, v11, v24
	v_div_fixup_f32 v26, v49, v53, 1.0
	v_mov_b32_e32 v39, 0x3d088889
	v_add_f32_e32 v11, v11, v26
	v_div_fixup_f32 v26, v71, v80, 1.0
	v_div_fixup_f32 v35, v83, v82, 1.0
	v_fmac_f32_e32 v39, 0xbcc30c31, v35
	v_add_f32_e32 v26, 1.0, v26
	v_fma_f32 v39, -v35, v39, s12
	v_fmac_f32_e32 v26, v39, v35
	v_div_scale_f32 v35, s[6:7], v29, v29, v26
	v_and_b32_sdwa v10, v30, v12 dst_sel:DWORD dst_unused:UNUSED_PAD src0_sel:WORD_1 src1_sel:DWORD
	v_div_fixup_f32 v24, v50, v52, 1.0
	v_add3_u32 v10, v30, v10, s13
	v_cmp_o_f32_e32 vcc, v30, v30
	v_mov_b32_e32 v30, 0x3d088889
	v_add_f32_e32 v16, v16, v24
	v_div_fixup_f32 v34, v51, v34, 1.0
	v_lshrrev_b32_e32 v84, 16, v10
	v_mov_b32_e32 v10, 0x7fc0
	v_fmac_f32_e32 v30, 0xbcc30c31, v25
	v_add_f32_e32 v16, v16, v34
	v_div_fixup_f32 v34, v81, v70, 1.0
	v_cndmask_b32_e32 v15, v10, v84, vcc
	v_fma_f32 v30, -v25, v30, s12
	v_add_f32_e32 v34, 1.0, v34
	v_div_scale_f32 v39, vcc, v26, v29, v26
	v_fmac_f32_e32 v34, v25, v30
	v_div_scale_f32 v25, s[6:7], v27, v27, v34
	v_div_fixup_f32 v24, v65, v54, 1.0
	v_add_f32_e32 v11, v11, v24
	v_div_fixup_f32 v30, v55, v31, 1.0
	v_add_f32_e32 v11, v11, v30
	v_div_scale_f32 v30, s[6:7], v34, v27, v34
	v_rcp_f32_e32 v31, v35
	v_div_fixup_f32 v24, v64, v36, 1.0
	v_add_f32_e32 v16, v16, v24
	v_div_fixup_f32 v24, v66, v32, 1.0
	v_fma_f32 v36, -v35, v31, 1.0
	v_fmac_f32_e32 v31, v36, v31
	v_mul_f32_e32 v36, v39, v31
	v_div_fixup_f32 v32, v67, v37, 1.0
	v_fma_f32 v37, -v35, v36, v39
	v_fmac_f32_e32 v36, v37, v31
	v_rcp_f32_e32 v37, v25
	v_fma_f32 v35, -v35, v36, v39
	v_div_fmas_f32 v31, v35, v31, v36
	s_mov_b64 vcc, s[6:7]
	v_fma_f32 v35, -v25, v37, 1.0
	v_fmac_f32_e32 v37, v35, v37
	v_mul_f32_e32 v35, v30, v37
	v_fma_f32 v36, -v25, v35, v30
	v_fmac_f32_e32 v35, v36, v37
	v_fma_f32 v25, -v25, v35, v30
	v_div_fmas_f32 v30, v25, v37, v35
	v_add_f32_e32 v32, v16, v32
	v_div_fixup_f32 v16, v69, v33, 1.0
	v_add_f32_e32 v33, 1.0, v85
	v_add_f32_e32 v35, 1.0, v33
	;; [unrolled: 1-line block ×3, first 2 shown]
	v_add_f32_e32 v11, v11, v24
	v_add_f32_e32 v37, 1.0, v36
	v_add_f32_e32 v11, v11, v16
	v_add_f32_e32 v16, 1.0, v37
	v_mul_f32_e32 v25, v16, v16
	v_div_fixup_f32 v24, v68, v38, 1.0
	v_div_scale_f32 v38, s[6:7], v25, v25, 1.0
	v_add_f32_e32 v24, v32, v24
	v_div_fixup_f32 v26, v31, v29, v26
	v_div_fixup_f32 v27, v30, v27, v34
	v_add_f32_e32 v24, v24, v27
	v_div_scale_f32 v27, vcc, 1.0, v25, 1.0
	v_add_f32_e32 v11, v11, v26
	v_mul_f32_e32 v11, v8, v11
	v_div_scale_f32 v8, s[6:7], v22, v22, 1.0
	v_div_scale_f32 v34, s[6:7], 1.0, v22, 1.0
	v_div_scale_f32 v49, s[8:9], v21, v21, 1.0
	v_rcp_f32_e32 v32, v38
	v_mul_f32_e32 v50, v85, v85
	v_div_scale_f32 v51, s[10:11], v50, v50, 1.0
	v_fma_f32 v39, -v38, v32, 1.0
	v_fmac_f32_e32 v32, v39, v32
	v_mul_f32_e32 v39, v27, v32
	v_fma_f32 v48, -v38, v39, v27
	v_fmac_f32_e32 v39, v48, v32
	v_fma_f32 v27, -v38, v39, v27
	v_div_scale_f32 v38, s[8:9], 1.0, v21, 1.0
	v_rcp_f32_e32 v48, v8
	v_div_fmas_f32 v27, v27, v32, v39
	s_mov_b64 vcc, s[6:7]
	v_mul_f32_e32 v52, v86, v86
	v_fma_f32 v32, -v8, v48, 1.0
	v_fmac_f32_e32 v48, v32, v48
	v_mul_f32_e32 v32, v34, v48
	v_fma_f32 v39, -v8, v32, v34
	v_fmac_f32_e32 v32, v39, v48
	v_rcp_f32_e32 v39, v49
	v_fma_f32 v8, -v8, v32, v34
	v_div_scale_f32 v34, s[6:7], 1.0, v50, 1.0
	v_div_fmas_f32 v32, v8, v48, v32
	v_fma_f32 v8, -v49, v39, 1.0
	v_div_scale_f32 v53, s[10:11], v52, v52, 1.0
	v_fmac_f32_e32 v39, v8, v39
	v_mul_f32_e32 v8, v38, v39
	v_fma_f32 v48, -v49, v8, v38
	v_fmac_f32_e32 v8, v48, v39
	v_fma_f32 v38, -v49, v8, v38
	s_mov_b64 vcc, s[8:9]
	v_div_fmas_f32 v38, v38, v39, v8
	v_div_scale_f32 v39, s[8:9], 1.0, v52, 1.0
	v_rcp_f32_e32 v48, v51
	v_add_f32_e32 v26, 1.0, v86
	v_add_f32_e32 v29, 1.0, v26
	v_mul_f32_e32 v26, v26, v26
	v_fma_f32 v8, -v51, v48, 1.0
	v_div_scale_f32 v54, s[10:11], v26, v26, 1.0
	v_fmac_f32_e32 v48, v8, v48
	v_mul_f32_e32 v8, v34, v48
	v_fma_f32 v49, -v51, v8, v34
	v_fmac_f32_e32 v8, v49, v48
	v_rcp_f32_e32 v49, v53
	v_fma_f32 v34, -v51, v8, v34
	s_mov_b64 vcc, s[6:7]
	v_div_fmas_f32 v34, v34, v48, v8
	v_div_scale_f32 v48, s[6:7], 1.0, v26, 1.0
	v_mul_f32_e32 v33, v33, v33
	v_fma_f32 v8, -v53, v49, 1.0
	v_div_scale_f32 v55, s[10:11], v33, v33, 1.0
	v_fmac_f32_e32 v49, v8, v49
	v_mul_f32_e32 v8, v39, v49
	v_fma_f32 v51, -v53, v8, v39
	v_fmac_f32_e32 v8, v51, v49
	v_fma_f32 v39, -v53, v8, v39
	s_mov_b64 vcc, s[8:9]
	v_div_fmas_f32 v39, v39, v49, v8
	v_div_scale_f32 v49, s[8:9], 1.0, v33, 1.0
	v_rcp_f32_e32 v51, v54
	v_mul_f32_e32 v35, v35, v35
	v_div_scale_f32 v64, s[10:11], v35, v35, 1.0
	v_fma_f32 v8, -v54, v51, 1.0
	v_fmac_f32_e32 v51, v8, v51
	v_mul_f32_e32 v8, v48, v51
	v_fma_f32 v53, -v54, v8, v48
	v_fmac_f32_e32 v8, v53, v51
	v_rcp_f32_e32 v53, v55
	v_fma_f32 v48, -v54, v8, v48
	s_mov_b64 vcc, s[6:7]
	v_div_fmas_f32 v48, v48, v51, v8
	v_div_scale_f32 v51, s[6:7], 1.0, v35, 1.0
	v_add_f32_e32 v30, 1.0, v29
	v_mul_f32_e32 v29, v29, v29
	v_fma_f32 v8, -v55, v53, 1.0
	v_div_scale_f32 v65, s[10:11], v29, v29, 1.0
	v_fmac_f32_e32 v53, v8, v53
	v_mul_f32_e32 v8, v49, v53
	v_fma_f32 v54, -v55, v8, v49
	v_fmac_f32_e32 v8, v54, v53
	v_fma_f32 v49, -v55, v8, v49
	s_mov_b64 vcc, s[8:9]
	v_div_fmas_f32 v49, v49, v53, v8
	v_div_scale_f32 v53, s[8:9], 1.0, v29, 1.0
	v_rcp_f32_e32 v54, v64
	v_add_f32_e32 v31, 1.0, v30
	v_mul_f32_e32 v30, v30, v30
	v_div_scale_f32 v66, s[10:11], v30, v30, 1.0
	v_fma_f32 v8, -v64, v54, 1.0
	v_fmac_f32_e32 v54, v8, v54
	v_mul_f32_e32 v8, v51, v54
	v_fma_f32 v55, -v64, v8, v51
	v_fmac_f32_e32 v8, v55, v54
	v_rcp_f32_e32 v55, v65
	v_fma_f32 v51, -v64, v8, v51
	s_mov_b64 vcc, s[6:7]
	v_div_fmas_f32 v51, v51, v54, v8
	v_div_scale_f32 v54, s[6:7], 1.0, v30, 1.0
	v_mul_f32_e32 v36, v36, v36
	v_fma_f32 v8, -v65, v55, 1.0
	v_div_scale_f32 v67, s[10:11], v36, v36, 1.0
	v_fmac_f32_e32 v55, v8, v55
	v_mul_f32_e32 v8, v53, v55
	v_fma_f32 v64, -v65, v8, v53
	v_fmac_f32_e32 v8, v64, v55
	v_fma_f32 v53, -v65, v8, v53
	s_mov_b64 vcc, s[8:9]
	v_div_fmas_f32 v53, v53, v55, v8
	v_div_scale_f32 v55, s[8:9], 1.0, v36, 1.0
	v_rcp_f32_e32 v64, v66
	v_mul_f32_e32 v37, v37, v37
	v_div_scale_f32 v68, s[10:11], v37, v37, 1.0
	v_fma_f32 v8, -v66, v64, 1.0
	v_fmac_f32_e32 v64, v8, v64
	v_mul_f32_e32 v8, v54, v64
	v_fma_f32 v65, -v66, v8, v54
	v_fmac_f32_e32 v8, v65, v64
	v_rcp_f32_e32 v65, v67
	v_fma_f32 v54, -v66, v8, v54
	s_mov_b64 vcc, s[6:7]
	v_div_fmas_f32 v54, v54, v64, v8
	v_div_scale_f32 v64, s[6:7], 1.0, v37, 1.0
	v_mul_f32_e32 v14, v14, v24
	v_add_f32_e32 v24, 1.0, v31
	v_mul_f32_e32 v31, v31, v31
	v_fma_f32 v8, -v67, v65, 1.0
	v_div_scale_f32 v69, s[10:11], v31, v31, 1.0
	v_fmac_f32_e32 v65, v8, v65
	v_mul_f32_e32 v8, v55, v65
	v_fma_f32 v66, -v67, v8, v55
	v_fmac_f32_e32 v8, v66, v65
	v_fma_f32 v55, -v67, v8, v55
	s_mov_b64 vcc, s[8:9]
	v_div_fmas_f32 v55, v55, v65, v8
	v_div_scale_f32 v65, s[8:9], 1.0, v31, 1.0
	v_rcp_f32_e32 v66, v68
	v_add_f32_e32 v70, v16, v16
	v_div_scale_f32 v71, s[10:11], v70, v70, 1.0
	v_fma_f32 v8, -v68, v66, 1.0
	v_fmac_f32_e32 v66, v8, v66
	v_mul_f32_e32 v8, v64, v66
	v_fma_f32 v67, -v68, v8, v64
	v_fmac_f32_e32 v8, v67, v66
	v_rcp_f32_e32 v67, v69
	v_fma_f32 v64, -v68, v8, v64
	s_mov_b64 vcc, s[6:7]
	v_div_fmas_f32 v64, v64, v66, v8
	v_fma_f32 v8, -v69, v67, 1.0
	v_fmac_f32_e32 v67, v8, v67
	v_div_scale_f32 v66, s[6:7], 1.0, v70, 1.0
	v_mul_f32_e32 v8, v65, v67
	v_fma_f32 v68, -v69, v8, v65
	v_fmac_f32_e32 v8, v68, v67
	v_add_f32_e32 v68, v24, v24
	v_div_scale_f32 v80, s[10:11], v68, v68, 1.0
	v_fma_f32 v65, -v69, v8, v65
	s_mov_b64 vcc, s[8:9]
	v_div_fmas_f32 v65, v65, v67, v8
	v_div_scale_f32 v67, s[8:9], 1.0, v68, 1.0
	v_rcp_f32_e32 v81, v71
	v_mul_f32_e32 v82, v24, v24
	v_div_scale_f32 v83, s[10:11], v82, v82, 1.0
	v_fma_f32 v8, -v71, v81, 1.0
	v_fmac_f32_e32 v81, v8, v81
	v_mul_f32_e32 v69, v66, v81
	v_fma_f32 v8, -v71, v69, v66
	v_div_scale_f32 v84, s[10:11], 1.0, v82, 1.0
	v_fmac_f32_e32 v69, v8, v81
	v_fma_f32 v66, -v71, v69, v66
	v_rcp_f32_e32 v71, v80
	v_cmp_o_f32_e64 s[4:5], v17, v17
	s_mov_b64 vcc, s[6:7]
	v_cndmask_b32_e64 v8, v10, v28, s[4:5]
	v_div_fmas_f32 v28, v66, v81, v69
	v_fma_f32 v66, -v80, v71, 1.0
	v_fmac_f32_e32 v71, v66, v71
	v_mul_f32_e32 v66, v67, v71
	v_fma_f32 v69, -v80, v66, v67
	v_fmac_f32_e32 v66, v69, v71
	v_rcp_f32_e32 v69, v83
	v_fma_f32 v67, -v80, v66, v67
	s_mov_b64 vcc, s[8:9]
	v_div_fmas_f32 v66, v67, v71, v66
	v_fma_f32 v67, -v83, v69, 1.0
	v_fmac_f32_e32 v69, v67, v69
	v_mul_f32_e32 v67, v84, v69
	v_fma_f32 v71, -v83, v67, v84
	v_fmac_f32_e32 v67, v71, v69
	v_fma_f32 v81, -v83, v67, v84
	s_mov_b64 vcc, s[10:11]
	v_div_fmas_f32 v67, v81, v69, v67
	v_div_fixup_f32 v22, v32, v22, 1.0
	v_and_b32_sdwa v71, v11, v12 dst_sel:DWORD dst_unused:UNUSED_PAD src0_sel:WORD_1 src1_sel:DWORD
	v_and_b32_sdwa v80, v14, v12 dst_sel:DWORD dst_unused:UNUSED_PAD src0_sel:WORD_1 src1_sel:DWORD
	v_add3_u32 v71, v11, v71, s13
	v_add3_u32 v69, v14, v80, s13
	v_lshrrev_b32_e32 v71, 16, v71
	v_cmp_o_f32_e32 vcc, v11, v11
	v_div_fixup_f32 v32, v66, v68, 1.0
	v_add_f32_e32 v32, 1.0, v32
	v_div_fixup_f32 v25, v27, v25, 1.0
	v_mov_b32_e32 v27, 0x3d088889
	v_div_fixup_f32 v21, v38, v21, 1.0
	v_lshrrev_b32_e32 v69, 16, v69
	v_cndmask_b32_e32 v11, v10, v71, vcc
	v_cmp_o_f32_e32 vcc, v14, v14
	v_div_fixup_f32 v66, v67, v82, 1.0
	v_mov_b32_e32 v67, 0x3d088889
	v_fmac_f32_e32 v67, 0xbcc30c31, v66
	v_fma_f32 v67, -v66, v67, s12
	v_fmac_f32_e32 v32, v67, v66
	v_div_scale_f32 v66, s[4:5], v24, v24, v32
	v_fmac_f32_e32 v27, 0xbcc30c31, v25
	v_add_f32_e32 v13, v13, v21
	v_div_fixup_f32 v21, v28, v70, 1.0
	v_cndmask_b32_e32 v14, v10, v69, vcc
	v_fma_f32 v27, -v25, v27, s12
	v_add_f32_e32 v21, 1.0, v21
	v_div_scale_f32 v28, vcc, v32, v24, v32
	v_fmac_f32_e32 v21, v25, v27
	v_div_scale_f32 v25, s[4:5], v16, v16, v21
	v_add_f32_e32 v7, v7, v22
	v_div_fixup_f32 v27, v39, v52, 1.0
	v_add_f32_e32 v7, v7, v27
	v_div_scale_f32 v27, s[4:5], v21, v16, v21
	v_div_fixup_f32 v22, v34, v50, 1.0
	v_rcp_f32_e32 v34, v66
	v_add_f32_e32 v13, v13, v22
	v_div_fixup_f32 v22, v48, v26, 1.0
	v_div_fixup_f32 v26, v49, v33, 1.0
	v_fma_f32 v33, -v66, v34, 1.0
	v_fmac_f32_e32 v34, v33, v34
	v_mul_f32_e32 v33, v28, v34
	v_fma_f32 v38, -v66, v33, v28
	v_fmac_f32_e32 v33, v38, v34
	v_rcp_f32_e32 v38, v25
	v_fma_f32 v28, -v66, v33, v28
	v_div_fmas_f32 v28, v28, v34, v33
	s_mov_b64 vcc, s[4:5]
	v_fma_f32 v33, -v25, v38, 1.0
	v_fmac_f32_e32 v38, v33, v38
	v_mul_f32_e32 v33, v27, v38
	v_fma_f32 v34, -v25, v33, v27
	v_fmac_f32_e32 v33, v34, v38
	v_fma_f32 v25, -v25, v33, v27
	v_div_fmas_f32 v25, v25, v38, v33
	v_add_f32_e32 v13, v13, v26
	v_add_f32_e32 v7, v7, v22
	v_div_fixup_f32 v22, v51, v35, 1.0
	v_div_fixup_f32 v26, v53, v29, 1.0
	v_add_f32_e32 v7, v7, v26
	v_add_f32_e32 v13, v13, v22
	v_div_fixup_f32 v22, v54, v30, 1.0
	v_div_fixup_f32 v26, v55, v36, 1.0
	v_add_f32_e32 v13, v13, v26
	v_add_f32_e32 v7, v7, v22
	v_div_fixup_f32 v22, v64, v37, 1.0
	v_add_f32_e32 v13, v13, v22
	v_div_fixup_f32 v22, v28, v24, v32
	v_div_fixup_f32 v26, v65, v31, 1.0
	v_add_f32_e32 v26, v7, v26
	v_div_fixup_f32 v16, v25, v16, v21
	v_add_f32_e32 v21, 1.0, v23
	v_add_f32_e32 v27, 1.0, v21
	;; [unrolled: 1-line block ×5, first 2 shown]
	v_mul_f32_e32 v35, v7, v7
	v_div_scale_f32 v24, s[4:5], v35, v35, 1.0
	v_add_f32_e32 v13, v13, v16
	v_mul_f32_e32 v37, v9, v13
	v_div_scale_f32 v9, vcc, 1.0, v35, 1.0
	v_div_scale_f32 v13, s[4:5], v19, v19, 1.0
	v_add_f32_e32 v16, v26, v22
	v_mul_f32_e32 v36, v6, v16
	v_div_scale_f32 v22, s[4:5], 1.0, v19, 1.0
	v_div_scale_f32 v34, s[6:7], v18, v18, 1.0
	v_add_f32_e32 v25, 1.0, v20
	v_add_f32_e32 v26, 1.0, v25
	v_rcp_f32_e32 v16, v24
	v_add_f32_e32 v30, 1.0, v26
	v_add_f32_e32 v31, 1.0, v30
	v_and_b32_sdwa v6, v37, v12 dst_sel:DWORD dst_unused:UNUSED_PAD src0_sel:WORD_1 src1_sel:DWORD
	v_fma_f32 v29, -v24, v16, 1.0
	v_fmac_f32_e32 v16, v29, v16
	v_mul_f32_e32 v29, v9, v16
	v_fma_f32 v32, -v24, v29, v9
	v_fmac_f32_e32 v29, v32, v16
	v_rcp_f32_e32 v32, v13
	v_fma_f32 v9, -v24, v29, v9
	v_div_fmas_f32 v48, v9, v16, v29
	v_div_scale_f32 v16, s[6:7], 1.0, v18, 1.0
	v_fma_f32 v9, -v13, v32, 1.0
	v_fmac_f32_e32 v32, v9, v32
	v_mul_f32_e32 v9, v20, v20
	v_div_scale_f32 v20, s[8:9], v9, v9, 1.0
	v_mul_f32_e32 v24, v22, v32
	v_fma_f32 v29, -v13, v24, v22
	v_fmac_f32_e32 v24, v29, v32
	v_rcp_f32_e32 v29, v34
	v_fma_f32 v13, -v13, v24, v22
	s_mov_b64 vcc, s[4:5]
	v_div_fmas_f32 v49, v13, v32, v24
	v_fma_f32 v13, -v34, v29, 1.0
	v_div_scale_f32 v22, s[4:5], 1.0, v9, 1.0
	v_fmac_f32_e32 v29, v13, v29
	v_mul_f32_e32 v24, v16, v29
	v_fma_f32 v32, -v34, v24, v16
	v_mul_f32_e32 v13, v23, v23
	v_div_scale_f32 v23, s[8:9], v13, v13, 1.0
	v_fmac_f32_e32 v24, v32, v29
	v_rcp_f32_e32 v32, v20
	v_fma_f32 v16, -v34, v24, v16
	s_mov_b64 vcc, s[6:7]
	v_div_fmas_f32 v50, v16, v29, v24
	v_fma_f32 v16, -v20, v32, 1.0
	v_fmac_f32_e32 v32, v16, v32
	v_mul_f32_e32 v16, v21, v21
	v_div_scale_f32 v24, s[6:7], 1.0, v13, 1.0
	v_div_scale_f32 v51, s[8:9], v16, v16, 1.0
	v_mul_f32_e32 v29, v22, v32
	v_fma_f32 v34, -v20, v29, v22
	v_fmac_f32_e32 v29, v34, v32
	v_fma_f32 v20, -v20, v29, v22
	s_mov_b64 vcc, s[4:5]
	v_rcp_f32_e32 v21, v23
	v_div_fmas_f32 v22, v20, v32, v29
	v_div_scale_f32 v29, s[4:5], 1.0, v16, 1.0
	v_fma_f32 v20, -v23, v21, 1.0
	v_fmac_f32_e32 v21, v20, v21
	v_mul_f32_e32 v20, v25, v25
	v_mul_f32_e32 v32, v24, v21
	v_div_scale_f32 v52, s[8:9], v20, v20, 1.0
	v_rcp_f32_e32 v25, v51
	v_fma_f32 v34, -v23, v32, v24
	v_fmac_f32_e32 v32, v34, v21
	v_fma_f32 v23, -v23, v32, v24
	s_mov_b64 vcc, s[6:7]
	v_div_fmas_f32 v24, v23, v21, v32
	v_fma_f32 v21, -v51, v25, 1.0
	v_fmac_f32_e32 v25, v21, v25
	v_mul_f32_e32 v21, v26, v26
	v_div_scale_f32 v32, s[6:7], 1.0, v20, 1.0
	v_div_scale_f32 v53, s[8:9], v21, v21, 1.0
	v_mul_f32_e32 v23, v29, v25
	v_fma_f32 v34, -v51, v23, v29
	v_fmac_f32_e32 v23, v34, v25
	s_mov_b64 vcc, s[4:5]
	v_div_scale_f32 v34, s[4:5], 1.0, v21, 1.0
	v_rcp_f32_e32 v26, v52
	v_fma_f32 v29, -v51, v23, v29
	v_div_fmas_f32 v25, v29, v25, v23
	s_mov_b64 vcc, s[6:7]
	v_fma_f32 v23, -v52, v26, 1.0
	v_fmac_f32_e32 v26, v23, v26
	v_mul_f32_e32 v23, v27, v27
	v_mul_f32_e32 v29, v32, v26
	v_div_scale_f32 v54, s[8:9], v23, v23, 1.0
	v_rcp_f32_e32 v27, v53
	v_fma_f32 v51, -v52, v29, v32
	v_fmac_f32_e32 v29, v51, v26
	v_fma_f32 v32, -v52, v29, v32
	v_div_fmas_f32 v29, v32, v26, v29
	v_fma_f32 v26, -v53, v27, 1.0
	v_fmac_f32_e32 v27, v26, v27
	v_div_scale_f32 v32, s[6:7], 1.0, v23, 1.0
	v_mul_f32_e32 v51, v34, v27
	v_fma_f32 v26, -v53, v51, v34
	v_fmac_f32_e32 v51, v26, v27
	v_mul_f32_e32 v26, v28, v28
	v_div_scale_f32 v52, s[8:9], v26, v26, 1.0
	v_fma_f32 v28, -v53, v51, v34
	s_mov_b64 vcc, s[4:5]
	v_div_scale_f32 v34, s[4:5], 1.0, v26, 1.0
	v_rcp_f32_e32 v55, v54
	v_div_fmas_f32 v27, v28, v27, v51
	s_mov_b64 vcc, s[6:7]
	v_add3_u32 v39, v37, v6, s13
	v_fma_f32 v28, -v54, v55, 1.0
	v_fmac_f32_e32 v55, v28, v55
	v_mul_f32_e32 v51, v32, v55
	v_fma_f32 v53, -v54, v51, v32
	v_mul_f32_e32 v28, v30, v30
	v_div_scale_f32 v64, s[8:9], v28, v28, 1.0
	v_fmac_f32_e32 v51, v53, v55
	v_fma_f32 v30, -v54, v51, v32
	v_rcp_f32_e32 v32, v52
	v_div_fmas_f32 v30, v30, v55, v51
	v_div_scale_f32 v53, s[8:9], 1.0, v28, 1.0
	v_fma_f32 v51, -v52, v32, 1.0
	v_fmac_f32_e32 v32, v51, v32
	v_mul_f32_e32 v51, v34, v32
	v_add_f32_e32 v6, 1.0, v31
	v_fma_f32 v54, -v52, v51, v34
	v_mul_f32_e32 v31, v31, v31
	v_fmac_f32_e32 v51, v54, v32
	v_div_scale_f32 v54, s[6:7], v31, v31, 1.0
	v_fma_f32 v34, -v52, v51, v34
	s_mov_b64 vcc, s[4:5]
	v_div_scale_f32 v52, s[4:5], 1.0, v31, 1.0
	v_rcp_f32_e32 v55, v64
	v_mul_f32_e32 v33, v33, v33
	v_div_scale_f32 v65, s[6:7], v33, v33, 1.0
	v_div_fmas_f32 v32, v34, v32, v51
	v_fma_f32 v34, -v64, v55, 1.0
	v_fmac_f32_e32 v55, v34, v55
	v_mul_f32_e32 v34, v53, v55
	v_fma_f32 v51, -v64, v34, v53
	v_fmac_f32_e32 v34, v51, v55
	v_fma_f32 v51, -v64, v34, v53
	v_rcp_f32_e32 v53, v54
	v_div_scale_f32 v64, s[6:7], 1.0, v33, 1.0
	s_mov_b64 vcc, s[8:9]
	v_div_fmas_f32 v34, v51, v55, v34
	v_mul_f32_e32 v55, v6, v6
	v_div_scale_f32 v66, s[8:9], v55, v55, 1.0
	v_fma_f32 v51, -v54, v53, 1.0
	v_fmac_f32_e32 v53, v51, v53
	v_mul_f32_e32 v51, v52, v53
	v_fma_f32 v67, -v54, v51, v52
	v_fmac_f32_e32 v51, v67, v53
	v_fma_f32 v52, -v54, v51, v52
	s_mov_b64 vcc, s[4:5]
	v_div_scale_f32 v54, s[4:5], 1.0, v55, 1.0
	v_rcp_f32_e32 v67, v65
	v_add_f32_e32 v68, v6, v6
	v_div_scale_f32 v69, s[8:9], v68, v68, 1.0
	v_div_fmas_f32 v51, v52, v53, v51
	v_fma_f32 v52, -v65, v67, 1.0
	v_fmac_f32_e32 v67, v52, v67
	v_mul_f32_e32 v52, v64, v67
	v_fma_f32 v53, -v65, v52, v64
	v_fmac_f32_e32 v52, v53, v67
	v_rcp_f32_e32 v53, v66
	v_fma_f32 v64, -v65, v52, v64
	s_mov_b64 vcc, s[6:7]
	v_div_scale_f32 v65, s[6:7], 1.0, v68, 1.0
	v_div_fmas_f32 v52, v64, v67, v52
	v_add_f32_e32 v67, v7, v7
	v_div_scale_f32 v70, s[8:9], v67, v67, 1.0
	v_fma_f32 v64, -v66, v53, 1.0
	v_fmac_f32_e32 v53, v64, v53
	v_mul_f32_e32 v64, v54, v53
	v_fma_f32 v71, -v66, v64, v54
	v_fmac_f32_e32 v64, v71, v53
	v_div_scale_f32 v71, s[8:9], 1.0, v67, 1.0
	v_rcp_f32_e32 v80, v69
	v_fma_f32 v54, -v66, v64, v54
	s_mov_b64 vcc, s[4:5]
	v_div_fmas_f32 v53, v54, v53, v64
	v_fma_f32 v54, -v69, v80, 1.0
	v_fmac_f32_e32 v80, v54, v80
	v_mul_f32_e32 v54, v65, v80
	v_fma_f32 v64, -v69, v54, v65
	v_fmac_f32_e32 v54, v64, v80
	v_rcp_f32_e32 v64, v70
	v_fma_f32 v65, -v69, v54, v65
	s_mov_b64 vcc, s[6:7]
	v_div_fmas_f32 v54, v65, v80, v54
	v_fma_f32 v65, -v70, v64, 1.0
	v_fmac_f32_e32 v64, v65, v64
	v_mul_f32_e32 v65, v71, v64
	v_fma_f32 v66, -v70, v65, v71
	v_fmac_f32_e32 v65, v66, v64
	v_fma_f32 v66, -v70, v65, v71
	s_mov_b64 vcc, s[8:9]
	v_div_fmas_f32 v64, v66, v64, v65
	v_and_b32_sdwa v38, v36, v12 dst_sel:DWORD dst_unused:UNUSED_PAD src0_sel:WORD_1 src1_sel:DWORD
	v_add3_u32 v38, v36, v38, s13
	v_lshrrev_b32_e32 v38, 16, v38
	v_cmp_o_f32_e32 vcc, v36, v36
	v_lshrrev_b32_e32 v39, 16, v39
	v_cndmask_b32_e32 v36, v10, v38, vcc
	v_cmp_o_f32_e32 vcc, v37, v37
	v_div_fixup_f32 v35, v48, v35, 1.0
	v_mov_b32_e32 v38, 0x3d088889
	v_cndmask_b32_e32 v37, v10, v39, vcc
	v_fmac_f32_e32 v38, 0xbcc30c31, v35
	v_fma_f32 v38, -v35, v38, s12
	v_div_fixup_f32 v18, v50, v18, 1.0
	v_mov_b32_e32 v17, 0x3d088889
	v_add_f32_e32 v5, v5, v18
	v_div_fixup_f32 v39, v64, v67, 1.0
	v_add_f32_e32 v39, 1.0, v39
	v_fmac_f32_e32 v39, v38, v35
	v_div_scale_f32 v35, s[4:5], v7, v7, v39
	v_div_fixup_f32 v18, v53, v55, 1.0
	v_div_fixup_f32 v38, v54, v68, 1.0
	v_fmac_f32_e32 v17, 0xbcc30c31, v18
	v_add_f32_e32 v38, 1.0, v38
	v_fma_f32 v17, -v18, v17, s12
	v_div_scale_f32 v48, vcc, v39, v7, v39
	v_fmac_f32_e32 v38, v18, v17
	v_div_scale_f32 v17, s[4:5], v6, v6, v38
	v_div_fixup_f32 v19, v49, v19, 1.0
	v_add_f32_e32 v3, v3, v19
	v_div_fixup_f32 v13, v24, v13, 1.0
	v_add_f32_e32 v3, v3, v13
	v_div_scale_f32 v13, s[4:5], v38, v6, v38
	v_rcp_f32_e32 v18, v35
	v_div_fixup_f32 v9, v22, v9, 1.0
	v_add_f32_e32 v5, v5, v9
	v_div_fixup_f32 v9, v25, v16, 1.0
	v_fma_f32 v19, -v35, v18, 1.0
	v_fmac_f32_e32 v18, v19, v18
	v_mul_f32_e32 v19, v48, v18
	v_div_fixup_f32 v16, v29, v20, 1.0
	v_fma_f32 v20, -v35, v19, v48
	v_fmac_f32_e32 v19, v20, v18
	v_rcp_f32_e32 v20, v17
	v_fma_f32 v22, -v35, v19, v48
	v_div_fmas_f32 v18, v22, v18, v19
	s_mov_b64 vcc, s[4:5]
	v_fma_f32 v19, -v17, v20, 1.0
	v_fmac_f32_e32 v20, v19, v20
	v_mul_f32_e32 v19, v13, v20
	v_fma_f32 v22, -v17, v19, v13
	v_fmac_f32_e32 v19, v22, v20
	v_fma_f32 v13, -v17, v19, v13
	v_div_fmas_f32 v13, v13, v20, v19
	v_add_f32_e32 v5, v5, v16
	v_add_f32_e32 v3, v3, v9
	v_div_fixup_f32 v9, v27, v21, 1.0
	v_div_fixup_f32 v16, v30, v23, 1.0
	v_add_f32_e32 v3, v3, v16
	v_add_f32_e32 v5, v5, v9
	v_div_fixup_f32 v9, v32, v26, 1.0
	v_div_fixup_f32 v16, v34, v28, 1.0
	;; [unrolled: 4-line block ×3, first 2 shown]
	v_add_f32_e32 v3, v3, v16
	v_div_fixup_f32 v7, v18, v7, v39
	v_add_f32_e32 v5, v5, v9
	v_div_fixup_f32 v6, v13, v6, v38
	v_add_f32_e32 v3, v3, v7
	v_add_f32_e32 v5, v5, v6
	v_mul_f32_e32 v2, v2, v3
	v_mul_f32_e32 v3, v4, v5
	v_and_b32_sdwa v5, v2, v12 dst_sel:DWORD dst_unused:UNUSED_PAD src0_sel:WORD_1 src1_sel:DWORD
	v_and_b32_sdwa v4, v3, v12 dst_sel:DWORD dst_unused:UNUSED_PAD src0_sel:WORD_1 src1_sel:DWORD
	v_add3_u32 v5, v2, v5, s13
	v_cmp_o_f32_e32 vcc, v2, v2
	v_add3_u32 v4, v3, v4, s13
	v_cndmask_b32_sdwa v2, v10, v5, vcc dst_sel:DWORD dst_unused:UNUSED_PAD src0_sel:DWORD src1_sel:WORD_1
	v_cmp_o_f32_e32 vcc, v3, v3
	v_cndmask_b32_sdwa v3, v10, v4, vcc dst_sel:DWORD dst_unused:UNUSED_PAD src0_sel:DWORD src1_sel:WORD_1
	s_mov_b32 s4, 0x5040100
	v_perm_b32 v5, v3, v2, s4
	v_perm_b32 v4, v37, v36, s4
	;; [unrolled: 1-line block ×4, first 2 shown]
	flat_store_dwordx4 v[0:1], v[2:5]
	s_waitcnt vmcnt(0) lgkmcnt(0)
	s_setpc_b64 s[30:31]
.Lfunc_end69:
	.size	_ZN2at6native25elementwise_kernel_helperILb0EZZZNS0_20trigamma_kernel_cudaERNS_18TensorIteratorBaseEENKUlvE_clEvENKUlvE2_clEvEUlN3c108BFloat16EE_NS0_6memory8policies10vectorizedILi8ESt5arrayIPcLm2EELi8EEEEEvT0_T1_, .Lfunc_end69-_ZN2at6native25elementwise_kernel_helperILb0EZZZNS0_20trigamma_kernel_cudaERNS_18TensorIteratorBaseEENKUlvE_clEvENKUlvE2_clEvEUlN3c108BFloat16EE_NS0_6memory8policies10vectorizedILi8ESt5arrayIPcLm2EELi8EEEEEvT0_T1_
                                        ; -- End function
	.set .L_ZN2at6native25elementwise_kernel_helperILb0EZZZNS0_20trigamma_kernel_cudaERNS_18TensorIteratorBaseEENKUlvE_clEvENKUlvE2_clEvEUlN3c108BFloat16EE_NS0_6memory8policies10vectorizedILi8ESt5arrayIPcLm2EELi8EEEEEvT0_T1_.num_vgpr, 87
	.set .L_ZN2at6native25elementwise_kernel_helperILb0EZZZNS0_20trigamma_kernel_cudaERNS_18TensorIteratorBaseEENKUlvE_clEvENKUlvE2_clEvEUlN3c108BFloat16EE_NS0_6memory8policies10vectorizedILi8ESt5arrayIPcLm2EELi8EEEEEvT0_T1_.num_agpr, 0
	.set .L_ZN2at6native25elementwise_kernel_helperILb0EZZZNS0_20trigamma_kernel_cudaERNS_18TensorIteratorBaseEENKUlvE_clEvENKUlvE2_clEvEUlN3c108BFloat16EE_NS0_6memory8policies10vectorizedILi8ESt5arrayIPcLm2EELi8EEEEEvT0_T1_.numbered_sgpr, 32
	.set .L_ZN2at6native25elementwise_kernel_helperILb0EZZZNS0_20trigamma_kernel_cudaERNS_18TensorIteratorBaseEENKUlvE_clEvENKUlvE2_clEvEUlN3c108BFloat16EE_NS0_6memory8policies10vectorizedILi8ESt5arrayIPcLm2EELi8EEEEEvT0_T1_.num_named_barrier, 0
	.set .L_ZN2at6native25elementwise_kernel_helperILb0EZZZNS0_20trigamma_kernel_cudaERNS_18TensorIteratorBaseEENKUlvE_clEvENKUlvE2_clEvEUlN3c108BFloat16EE_NS0_6memory8policies10vectorizedILi8ESt5arrayIPcLm2EELi8EEEEEvT0_T1_.private_seg_size, 0
	.set .L_ZN2at6native25elementwise_kernel_helperILb0EZZZNS0_20trigamma_kernel_cudaERNS_18TensorIteratorBaseEENKUlvE_clEvENKUlvE2_clEvEUlN3c108BFloat16EE_NS0_6memory8policies10vectorizedILi8ESt5arrayIPcLm2EELi8EEEEEvT0_T1_.uses_vcc, 1
	.set .L_ZN2at6native25elementwise_kernel_helperILb0EZZZNS0_20trigamma_kernel_cudaERNS_18TensorIteratorBaseEENKUlvE_clEvENKUlvE2_clEvEUlN3c108BFloat16EE_NS0_6memory8policies10vectorizedILi8ESt5arrayIPcLm2EELi8EEEEEvT0_T1_.uses_flat_scratch, 0
	.set .L_ZN2at6native25elementwise_kernel_helperILb0EZZZNS0_20trigamma_kernel_cudaERNS_18TensorIteratorBaseEENKUlvE_clEvENKUlvE2_clEvEUlN3c108BFloat16EE_NS0_6memory8policies10vectorizedILi8ESt5arrayIPcLm2EELi8EEEEEvT0_T1_.has_dyn_sized_stack, 0
	.set .L_ZN2at6native25elementwise_kernel_helperILb0EZZZNS0_20trigamma_kernel_cudaERNS_18TensorIteratorBaseEENKUlvE_clEvENKUlvE2_clEvEUlN3c108BFloat16EE_NS0_6memory8policies10vectorizedILi8ESt5arrayIPcLm2EELi8EEEEEvT0_T1_.has_recursion, 0
	.set .L_ZN2at6native25elementwise_kernel_helperILb0EZZZNS0_20trigamma_kernel_cudaERNS_18TensorIteratorBaseEENKUlvE_clEvENKUlvE2_clEvEUlN3c108BFloat16EE_NS0_6memory8policies10vectorizedILi8ESt5arrayIPcLm2EELi8EEEEEvT0_T1_.has_indirect_call, 0
	.section	.AMDGPU.csdata,"",@progbits
; Function info:
; codeLenInByte = 14592
; TotalNumSgprs: 36
; NumVgprs: 87
; ScratchSize: 0
; MemoryBound: 0
	.section	.text._ZN2at6native29vectorized_elementwise_kernelILi16EZZZNS0_20trigamma_kernel_cudaERNS_18TensorIteratorBaseEENKUlvE_clEvENKUlvE2_clEvEUlN3c108BFloat16EE_St5arrayIPcLm2EEEEviT0_T1_,"axG",@progbits,_ZN2at6native29vectorized_elementwise_kernelILi16EZZZNS0_20trigamma_kernel_cudaERNS_18TensorIteratorBaseEENKUlvE_clEvENKUlvE2_clEvEUlN3c108BFloat16EE_St5arrayIPcLm2EEEEviT0_T1_,comdat
	.globl	_ZN2at6native29vectorized_elementwise_kernelILi16EZZZNS0_20trigamma_kernel_cudaERNS_18TensorIteratorBaseEENKUlvE_clEvENKUlvE2_clEvEUlN3c108BFloat16EE_St5arrayIPcLm2EEEEviT0_T1_ ; -- Begin function _ZN2at6native29vectorized_elementwise_kernelILi16EZZZNS0_20trigamma_kernel_cudaERNS_18TensorIteratorBaseEENKUlvE_clEvENKUlvE2_clEvEUlN3c108BFloat16EE_St5arrayIPcLm2EEEEviT0_T1_
	.p2align	8
	.type	_ZN2at6native29vectorized_elementwise_kernelILi16EZZZNS0_20trigamma_kernel_cudaERNS_18TensorIteratorBaseEENKUlvE_clEvENKUlvE2_clEvEUlN3c108BFloat16EE_St5arrayIPcLm2EEEEviT0_T1_,@function
_ZN2at6native29vectorized_elementwise_kernelILi16EZZZNS0_20trigamma_kernel_cudaERNS_18TensorIteratorBaseEENKUlvE_clEvENKUlvE2_clEvEUlN3c108BFloat16EE_St5arrayIPcLm2EEEEviT0_T1_: ; @_ZN2at6native29vectorized_elementwise_kernelILi16EZZZNS0_20trigamma_kernel_cudaERNS_18TensorIteratorBaseEENKUlvE_clEvENKUlvE2_clEvEUlN3c108BFloat16EE_St5arrayIPcLm2EEEEviT0_T1_
; %bb.0:
	s_mov_b32 s16, s6
	s_load_dword s6, s[4:5], 0x0
	s_load_dwordx4 s[20:23], s[4:5], 0x8
	s_add_u32 s0, s0, s7
	s_addc_u32 s1, s1, 0
	s_lshl_b32 s4, s16, 11
	s_waitcnt lgkmcnt(0)
	s_sub_i32 s17, s6, s4
	v_mov_b32_e32 v40, v0
	s_cmpk_gt_i32 s17, 0x7ff
	s_mov_b64 s[4:5], -1
	s_mov_b32 s32, 0
	s_cbranch_scc1 .LBB70_3
; %bb.1:
	s_andn2_b64 vcc, exec, s[4:5]
	s_cbranch_vccz .LBB70_4
.LBB70_2:
	s_endpgm
.LBB70_3:
	s_getpc_b64 s[4:5]
	s_add_u32 s4, s4, _ZN2at6native25elementwise_kernel_helperILb0EZZZNS0_20trigamma_kernel_cudaERNS_18TensorIteratorBaseEENKUlvE_clEvENKUlvE2_clEvEUlN3c108BFloat16EE_NS0_6memory8policies10vectorizedILi8ESt5arrayIPcLm2EELi8EEEEEvT0_T1_@rel32@lo+4
	s_addc_u32 s5, s5, _ZN2at6native25elementwise_kernel_helperILb0EZZZNS0_20trigamma_kernel_cudaERNS_18TensorIteratorBaseEENKUlvE_clEvENKUlvE2_clEvEUlN3c108BFloat16EE_NS0_6memory8policies10vectorizedILi8ESt5arrayIPcLm2EELi8EEEEEvT0_T1_@rel32@hi+12
	s_mov_b32 s12, s16
	v_mov_b32_e32 v31, v40
	v_mov_b32_e32 v0, s20
	;; [unrolled: 1-line block ×5, first 2 shown]
	s_swappc_b64 s[30:31], s[4:5]
	s_cbranch_execnz .LBB70_2
.LBB70_4:
	s_getpc_b64 s[4:5]
	s_add_u32 s4, s4, _ZN2at6native25elementwise_kernel_helperILb0EZZZNS0_20trigamma_kernel_cudaERNS_18TensorIteratorBaseEENKUlvE_clEvENKUlvE2_clEvEUlN3c108BFloat16EE_NS0_6memory8policies11unroll_baseILi256ESt5arrayIPcLm2EE23TrivialOffsetCalculatorILi1EjESG_NS9_15LoadWithoutCastENS9_16StoreWithoutCastELi8ELi1EEEEEvT0_T1_@rel32@lo+4
	s_addc_u32 s5, s5, _ZN2at6native25elementwise_kernel_helperILb0EZZZNS0_20trigamma_kernel_cudaERNS_18TensorIteratorBaseEENKUlvE_clEvENKUlvE2_clEvEUlN3c108BFloat16EE_NS0_6memory8policies11unroll_baseILi256ESt5arrayIPcLm2EE23TrivialOffsetCalculatorILi1EjESG_NS9_15LoadWithoutCastENS9_16StoreWithoutCastELi8ELi1EEEEEvT0_T1_@rel32@hi+12
	s_mov_b32 s12, s16
	v_mov_b32_e32 v31, v40
	v_mov_b32_e32 v0, s20
	;; [unrolled: 1-line block ×6, first 2 shown]
	s_swappc_b64 s[30:31], s[4:5]
	s_endpgm
	.section	.rodata,"a",@progbits
	.p2align	6, 0x0
	.amdhsa_kernel _ZN2at6native29vectorized_elementwise_kernelILi16EZZZNS0_20trigamma_kernel_cudaERNS_18TensorIteratorBaseEENKUlvE_clEvENKUlvE2_clEvEUlN3c108BFloat16EE_St5arrayIPcLm2EEEEviT0_T1_
		.amdhsa_group_segment_fixed_size 0
		.amdhsa_private_segment_fixed_size 0
		.amdhsa_kernarg_size 24
		.amdhsa_user_sgpr_count 6
		.amdhsa_user_sgpr_private_segment_buffer 1
		.amdhsa_user_sgpr_dispatch_ptr 0
		.amdhsa_user_sgpr_queue_ptr 0
		.amdhsa_user_sgpr_kernarg_segment_ptr 1
		.amdhsa_user_sgpr_dispatch_id 0
		.amdhsa_user_sgpr_flat_scratch_init 0
		.amdhsa_user_sgpr_private_segment_size 0
		.amdhsa_uses_dynamic_stack 0
		.amdhsa_system_sgpr_private_segment_wavefront_offset 0
		.amdhsa_system_sgpr_workgroup_id_x 1
		.amdhsa_system_sgpr_workgroup_id_y 0
		.amdhsa_system_sgpr_workgroup_id_z 0
		.amdhsa_system_sgpr_workgroup_info 0
		.amdhsa_system_vgpr_workitem_id 0
		.amdhsa_next_free_vgpr 87
		.amdhsa_next_free_sgpr 33
		.amdhsa_reserve_vcc 1
		.amdhsa_reserve_flat_scratch 0
		.amdhsa_float_round_mode_32 0
		.amdhsa_float_round_mode_16_64 0
		.amdhsa_float_denorm_mode_32 3
		.amdhsa_float_denorm_mode_16_64 3
		.amdhsa_dx10_clamp 1
		.amdhsa_ieee_mode 1
		.amdhsa_fp16_overflow 0
		.amdhsa_exception_fp_ieee_invalid_op 0
		.amdhsa_exception_fp_denorm_src 0
		.amdhsa_exception_fp_ieee_div_zero 0
		.amdhsa_exception_fp_ieee_overflow 0
		.amdhsa_exception_fp_ieee_underflow 0
		.amdhsa_exception_fp_ieee_inexact 0
		.amdhsa_exception_int_div_zero 0
	.end_amdhsa_kernel
	.section	.text._ZN2at6native29vectorized_elementwise_kernelILi16EZZZNS0_20trigamma_kernel_cudaERNS_18TensorIteratorBaseEENKUlvE_clEvENKUlvE2_clEvEUlN3c108BFloat16EE_St5arrayIPcLm2EEEEviT0_T1_,"axG",@progbits,_ZN2at6native29vectorized_elementwise_kernelILi16EZZZNS0_20trigamma_kernel_cudaERNS_18TensorIteratorBaseEENKUlvE_clEvENKUlvE2_clEvEUlN3c108BFloat16EE_St5arrayIPcLm2EEEEviT0_T1_,comdat
.Lfunc_end70:
	.size	_ZN2at6native29vectorized_elementwise_kernelILi16EZZZNS0_20trigamma_kernel_cudaERNS_18TensorIteratorBaseEENKUlvE_clEvENKUlvE2_clEvEUlN3c108BFloat16EE_St5arrayIPcLm2EEEEviT0_T1_, .Lfunc_end70-_ZN2at6native29vectorized_elementwise_kernelILi16EZZZNS0_20trigamma_kernel_cudaERNS_18TensorIteratorBaseEENKUlvE_clEvENKUlvE2_clEvEUlN3c108BFloat16EE_St5arrayIPcLm2EEEEviT0_T1_
                                        ; -- End function
	.set _ZN2at6native29vectorized_elementwise_kernelILi16EZZZNS0_20trigamma_kernel_cudaERNS_18TensorIteratorBaseEENKUlvE_clEvENKUlvE2_clEvEUlN3c108BFloat16EE_St5arrayIPcLm2EEEEviT0_T1_.num_vgpr, max(41, .L_ZN2at6native25elementwise_kernel_helperILb0EZZZNS0_20trigamma_kernel_cudaERNS_18TensorIteratorBaseEENKUlvE_clEvENKUlvE2_clEvEUlN3c108BFloat16EE_NS0_6memory8policies10vectorizedILi8ESt5arrayIPcLm2EELi8EEEEEvT0_T1_.num_vgpr, .L_ZN2at6native25elementwise_kernel_helperILb0EZZZNS0_20trigamma_kernel_cudaERNS_18TensorIteratorBaseEENKUlvE_clEvENKUlvE2_clEvEUlN3c108BFloat16EE_NS0_6memory8policies11unroll_baseILi256ESt5arrayIPcLm2EE23TrivialOffsetCalculatorILi1EjESG_NS9_15LoadWithoutCastENS9_16StoreWithoutCastELi8ELi1EEEEEvT0_T1_.num_vgpr)
	.set _ZN2at6native29vectorized_elementwise_kernelILi16EZZZNS0_20trigamma_kernel_cudaERNS_18TensorIteratorBaseEENKUlvE_clEvENKUlvE2_clEvEUlN3c108BFloat16EE_St5arrayIPcLm2EEEEviT0_T1_.num_agpr, max(0, .L_ZN2at6native25elementwise_kernel_helperILb0EZZZNS0_20trigamma_kernel_cudaERNS_18TensorIteratorBaseEENKUlvE_clEvENKUlvE2_clEvEUlN3c108BFloat16EE_NS0_6memory8policies10vectorizedILi8ESt5arrayIPcLm2EELi8EEEEEvT0_T1_.num_agpr, .L_ZN2at6native25elementwise_kernel_helperILb0EZZZNS0_20trigamma_kernel_cudaERNS_18TensorIteratorBaseEENKUlvE_clEvENKUlvE2_clEvEUlN3c108BFloat16EE_NS0_6memory8policies11unroll_baseILi256ESt5arrayIPcLm2EE23TrivialOffsetCalculatorILi1EjESG_NS9_15LoadWithoutCastENS9_16StoreWithoutCastELi8ELi1EEEEEvT0_T1_.num_agpr)
	.set _ZN2at6native29vectorized_elementwise_kernelILi16EZZZNS0_20trigamma_kernel_cudaERNS_18TensorIteratorBaseEENKUlvE_clEvENKUlvE2_clEvEUlN3c108BFloat16EE_St5arrayIPcLm2EEEEviT0_T1_.numbered_sgpr, max(33, .L_ZN2at6native25elementwise_kernel_helperILb0EZZZNS0_20trigamma_kernel_cudaERNS_18TensorIteratorBaseEENKUlvE_clEvENKUlvE2_clEvEUlN3c108BFloat16EE_NS0_6memory8policies10vectorizedILi8ESt5arrayIPcLm2EELi8EEEEEvT0_T1_.numbered_sgpr, .L_ZN2at6native25elementwise_kernel_helperILb0EZZZNS0_20trigamma_kernel_cudaERNS_18TensorIteratorBaseEENKUlvE_clEvENKUlvE2_clEvEUlN3c108BFloat16EE_NS0_6memory8policies11unroll_baseILi256ESt5arrayIPcLm2EE23TrivialOffsetCalculatorILi1EjESG_NS9_15LoadWithoutCastENS9_16StoreWithoutCastELi8ELi1EEEEEvT0_T1_.numbered_sgpr)
	.set _ZN2at6native29vectorized_elementwise_kernelILi16EZZZNS0_20trigamma_kernel_cudaERNS_18TensorIteratorBaseEENKUlvE_clEvENKUlvE2_clEvEUlN3c108BFloat16EE_St5arrayIPcLm2EEEEviT0_T1_.num_named_barrier, max(0, .L_ZN2at6native25elementwise_kernel_helperILb0EZZZNS0_20trigamma_kernel_cudaERNS_18TensorIteratorBaseEENKUlvE_clEvENKUlvE2_clEvEUlN3c108BFloat16EE_NS0_6memory8policies10vectorizedILi8ESt5arrayIPcLm2EELi8EEEEEvT0_T1_.num_named_barrier, .L_ZN2at6native25elementwise_kernel_helperILb0EZZZNS0_20trigamma_kernel_cudaERNS_18TensorIteratorBaseEENKUlvE_clEvENKUlvE2_clEvEUlN3c108BFloat16EE_NS0_6memory8policies11unroll_baseILi256ESt5arrayIPcLm2EE23TrivialOffsetCalculatorILi1EjESG_NS9_15LoadWithoutCastENS9_16StoreWithoutCastELi8ELi1EEEEEvT0_T1_.num_named_barrier)
	.set _ZN2at6native29vectorized_elementwise_kernelILi16EZZZNS0_20trigamma_kernel_cudaERNS_18TensorIteratorBaseEENKUlvE_clEvENKUlvE2_clEvEUlN3c108BFloat16EE_St5arrayIPcLm2EEEEviT0_T1_.private_seg_size, 0+max(.L_ZN2at6native25elementwise_kernel_helperILb0EZZZNS0_20trigamma_kernel_cudaERNS_18TensorIteratorBaseEENKUlvE_clEvENKUlvE2_clEvEUlN3c108BFloat16EE_NS0_6memory8policies10vectorizedILi8ESt5arrayIPcLm2EELi8EEEEEvT0_T1_.private_seg_size, .L_ZN2at6native25elementwise_kernel_helperILb0EZZZNS0_20trigamma_kernel_cudaERNS_18TensorIteratorBaseEENKUlvE_clEvENKUlvE2_clEvEUlN3c108BFloat16EE_NS0_6memory8policies11unroll_baseILi256ESt5arrayIPcLm2EE23TrivialOffsetCalculatorILi1EjESG_NS9_15LoadWithoutCastENS9_16StoreWithoutCastELi8ELi1EEEEEvT0_T1_.private_seg_size)
	.set _ZN2at6native29vectorized_elementwise_kernelILi16EZZZNS0_20trigamma_kernel_cudaERNS_18TensorIteratorBaseEENKUlvE_clEvENKUlvE2_clEvEUlN3c108BFloat16EE_St5arrayIPcLm2EEEEviT0_T1_.uses_vcc, or(1, .L_ZN2at6native25elementwise_kernel_helperILb0EZZZNS0_20trigamma_kernel_cudaERNS_18TensorIteratorBaseEENKUlvE_clEvENKUlvE2_clEvEUlN3c108BFloat16EE_NS0_6memory8policies10vectorizedILi8ESt5arrayIPcLm2EELi8EEEEEvT0_T1_.uses_vcc, .L_ZN2at6native25elementwise_kernel_helperILb0EZZZNS0_20trigamma_kernel_cudaERNS_18TensorIteratorBaseEENKUlvE_clEvENKUlvE2_clEvEUlN3c108BFloat16EE_NS0_6memory8policies11unroll_baseILi256ESt5arrayIPcLm2EE23TrivialOffsetCalculatorILi1EjESG_NS9_15LoadWithoutCastENS9_16StoreWithoutCastELi8ELi1EEEEEvT0_T1_.uses_vcc)
	.set _ZN2at6native29vectorized_elementwise_kernelILi16EZZZNS0_20trigamma_kernel_cudaERNS_18TensorIteratorBaseEENKUlvE_clEvENKUlvE2_clEvEUlN3c108BFloat16EE_St5arrayIPcLm2EEEEviT0_T1_.uses_flat_scratch, or(0, .L_ZN2at6native25elementwise_kernel_helperILb0EZZZNS0_20trigamma_kernel_cudaERNS_18TensorIteratorBaseEENKUlvE_clEvENKUlvE2_clEvEUlN3c108BFloat16EE_NS0_6memory8policies10vectorizedILi8ESt5arrayIPcLm2EELi8EEEEEvT0_T1_.uses_flat_scratch, .L_ZN2at6native25elementwise_kernel_helperILb0EZZZNS0_20trigamma_kernel_cudaERNS_18TensorIteratorBaseEENKUlvE_clEvENKUlvE2_clEvEUlN3c108BFloat16EE_NS0_6memory8policies11unroll_baseILi256ESt5arrayIPcLm2EE23TrivialOffsetCalculatorILi1EjESG_NS9_15LoadWithoutCastENS9_16StoreWithoutCastELi8ELi1EEEEEvT0_T1_.uses_flat_scratch)
	.set _ZN2at6native29vectorized_elementwise_kernelILi16EZZZNS0_20trigamma_kernel_cudaERNS_18TensorIteratorBaseEENKUlvE_clEvENKUlvE2_clEvEUlN3c108BFloat16EE_St5arrayIPcLm2EEEEviT0_T1_.has_dyn_sized_stack, or(0, .L_ZN2at6native25elementwise_kernel_helperILb0EZZZNS0_20trigamma_kernel_cudaERNS_18TensorIteratorBaseEENKUlvE_clEvENKUlvE2_clEvEUlN3c108BFloat16EE_NS0_6memory8policies10vectorizedILi8ESt5arrayIPcLm2EELi8EEEEEvT0_T1_.has_dyn_sized_stack, .L_ZN2at6native25elementwise_kernel_helperILb0EZZZNS0_20trigamma_kernel_cudaERNS_18TensorIteratorBaseEENKUlvE_clEvENKUlvE2_clEvEUlN3c108BFloat16EE_NS0_6memory8policies11unroll_baseILi256ESt5arrayIPcLm2EE23TrivialOffsetCalculatorILi1EjESG_NS9_15LoadWithoutCastENS9_16StoreWithoutCastELi8ELi1EEEEEvT0_T1_.has_dyn_sized_stack)
	.set _ZN2at6native29vectorized_elementwise_kernelILi16EZZZNS0_20trigamma_kernel_cudaERNS_18TensorIteratorBaseEENKUlvE_clEvENKUlvE2_clEvEUlN3c108BFloat16EE_St5arrayIPcLm2EEEEviT0_T1_.has_recursion, or(0, .L_ZN2at6native25elementwise_kernel_helperILb0EZZZNS0_20trigamma_kernel_cudaERNS_18TensorIteratorBaseEENKUlvE_clEvENKUlvE2_clEvEUlN3c108BFloat16EE_NS0_6memory8policies10vectorizedILi8ESt5arrayIPcLm2EELi8EEEEEvT0_T1_.has_recursion, .L_ZN2at6native25elementwise_kernel_helperILb0EZZZNS0_20trigamma_kernel_cudaERNS_18TensorIteratorBaseEENKUlvE_clEvENKUlvE2_clEvEUlN3c108BFloat16EE_NS0_6memory8policies11unroll_baseILi256ESt5arrayIPcLm2EE23TrivialOffsetCalculatorILi1EjESG_NS9_15LoadWithoutCastENS9_16StoreWithoutCastELi8ELi1EEEEEvT0_T1_.has_recursion)
	.set _ZN2at6native29vectorized_elementwise_kernelILi16EZZZNS0_20trigamma_kernel_cudaERNS_18TensorIteratorBaseEENKUlvE_clEvENKUlvE2_clEvEUlN3c108BFloat16EE_St5arrayIPcLm2EEEEviT0_T1_.has_indirect_call, or(0, .L_ZN2at6native25elementwise_kernel_helperILb0EZZZNS0_20trigamma_kernel_cudaERNS_18TensorIteratorBaseEENKUlvE_clEvENKUlvE2_clEvEUlN3c108BFloat16EE_NS0_6memory8policies10vectorizedILi8ESt5arrayIPcLm2EELi8EEEEEvT0_T1_.has_indirect_call, .L_ZN2at6native25elementwise_kernel_helperILb0EZZZNS0_20trigamma_kernel_cudaERNS_18TensorIteratorBaseEENKUlvE_clEvENKUlvE2_clEvEUlN3c108BFloat16EE_NS0_6memory8policies11unroll_baseILi256ESt5arrayIPcLm2EE23TrivialOffsetCalculatorILi1EjESG_NS9_15LoadWithoutCastENS9_16StoreWithoutCastELi8ELi1EEEEEvT0_T1_.has_indirect_call)
	.section	.AMDGPU.csdata,"",@progbits
; Kernel info:
; codeLenInByte = 180
; TotalNumSgprs: 37
; NumVgprs: 87
; ScratchSize: 0
; MemoryBound: 0
; FloatMode: 240
; IeeeMode: 1
; LDSByteSize: 0 bytes/workgroup (compile time only)
; SGPRBlocks: 4
; VGPRBlocks: 21
; NumSGPRsForWavesPerEU: 37
; NumVGPRsForWavesPerEU: 87
; Occupancy: 2
; WaveLimiterHint : 0
; COMPUTE_PGM_RSRC2:SCRATCH_EN: 0
; COMPUTE_PGM_RSRC2:USER_SGPR: 6
; COMPUTE_PGM_RSRC2:TRAP_HANDLER: 0
; COMPUTE_PGM_RSRC2:TGID_X_EN: 1
; COMPUTE_PGM_RSRC2:TGID_Y_EN: 0
; COMPUTE_PGM_RSRC2:TGID_Z_EN: 0
; COMPUTE_PGM_RSRC2:TIDIG_COMP_CNT: 0
	.section	.text._ZN2at6native29vectorized_elementwise_kernelILi8EZZZNS0_20trigamma_kernel_cudaERNS_18TensorIteratorBaseEENKUlvE_clEvENKUlvE2_clEvEUlN3c108BFloat16EE_St5arrayIPcLm2EEEEviT0_T1_,"axG",@progbits,_ZN2at6native29vectorized_elementwise_kernelILi8EZZZNS0_20trigamma_kernel_cudaERNS_18TensorIteratorBaseEENKUlvE_clEvENKUlvE2_clEvEUlN3c108BFloat16EE_St5arrayIPcLm2EEEEviT0_T1_,comdat
	.globl	_ZN2at6native29vectorized_elementwise_kernelILi8EZZZNS0_20trigamma_kernel_cudaERNS_18TensorIteratorBaseEENKUlvE_clEvENKUlvE2_clEvEUlN3c108BFloat16EE_St5arrayIPcLm2EEEEviT0_T1_ ; -- Begin function _ZN2at6native29vectorized_elementwise_kernelILi8EZZZNS0_20trigamma_kernel_cudaERNS_18TensorIteratorBaseEENKUlvE_clEvENKUlvE2_clEvEUlN3c108BFloat16EE_St5arrayIPcLm2EEEEviT0_T1_
	.p2align	8
	.type	_ZN2at6native29vectorized_elementwise_kernelILi8EZZZNS0_20trigamma_kernel_cudaERNS_18TensorIteratorBaseEENKUlvE_clEvENKUlvE2_clEvEUlN3c108BFloat16EE_St5arrayIPcLm2EEEEviT0_T1_,@function
_ZN2at6native29vectorized_elementwise_kernelILi8EZZZNS0_20trigamma_kernel_cudaERNS_18TensorIteratorBaseEENKUlvE_clEvENKUlvE2_clEvEUlN3c108BFloat16EE_St5arrayIPcLm2EEEEviT0_T1_: ; @_ZN2at6native29vectorized_elementwise_kernelILi8EZZZNS0_20trigamma_kernel_cudaERNS_18TensorIteratorBaseEENKUlvE_clEvENKUlvE2_clEvEUlN3c108BFloat16EE_St5arrayIPcLm2EEEEviT0_T1_
; %bb.0:
	s_mov_b32 s16, s6
	s_load_dword s6, s[4:5], 0x0
	s_load_dwordx4 s[20:23], s[4:5], 0x8
	s_add_u32 s0, s0, s7
	s_addc_u32 s1, s1, 0
	s_lshl_b32 s4, s16, 11
	s_waitcnt lgkmcnt(0)
	s_sub_i32 s17, s6, s4
	v_mov_b32_e32 v40, v0
	s_cmpk_gt_i32 s17, 0x7ff
	s_mov_b64 s[4:5], -1
	s_mov_b32 s32, 0
	s_cbranch_scc1 .LBB71_3
; %bb.1:
	s_andn2_b64 vcc, exec, s[4:5]
	s_cbranch_vccz .LBB71_4
.LBB71_2:
	s_endpgm
.LBB71_3:
	s_getpc_b64 s[4:5]
	s_add_u32 s4, s4, _ZN2at6native25elementwise_kernel_helperILb0EZZZNS0_20trigamma_kernel_cudaERNS_18TensorIteratorBaseEENKUlvE_clEvENKUlvE2_clEvEUlN3c108BFloat16EE_NS0_6memory8policies10vectorizedILi8ESt5arrayIPcLm2EELi8EEEEEvT0_T1_@rel32@lo+4
	s_addc_u32 s5, s5, _ZN2at6native25elementwise_kernel_helperILb0EZZZNS0_20trigamma_kernel_cudaERNS_18TensorIteratorBaseEENKUlvE_clEvENKUlvE2_clEvEUlN3c108BFloat16EE_NS0_6memory8policies10vectorizedILi8ESt5arrayIPcLm2EELi8EEEEEvT0_T1_@rel32@hi+12
	s_mov_b32 s12, s16
	v_mov_b32_e32 v31, v40
	v_mov_b32_e32 v0, s20
	;; [unrolled: 1-line block ×5, first 2 shown]
	s_swappc_b64 s[30:31], s[4:5]
	s_cbranch_execnz .LBB71_2
.LBB71_4:
	s_getpc_b64 s[4:5]
	s_add_u32 s4, s4, _ZN2at6native25elementwise_kernel_helperILb0EZZZNS0_20trigamma_kernel_cudaERNS_18TensorIteratorBaseEENKUlvE_clEvENKUlvE2_clEvEUlN3c108BFloat16EE_NS0_6memory8policies11unroll_baseILi256ESt5arrayIPcLm2EE23TrivialOffsetCalculatorILi1EjESG_NS9_15LoadWithoutCastENS9_16StoreWithoutCastELi8ELi1EEEEEvT0_T1_@rel32@lo+4
	s_addc_u32 s5, s5, _ZN2at6native25elementwise_kernel_helperILb0EZZZNS0_20trigamma_kernel_cudaERNS_18TensorIteratorBaseEENKUlvE_clEvENKUlvE2_clEvEUlN3c108BFloat16EE_NS0_6memory8policies11unroll_baseILi256ESt5arrayIPcLm2EE23TrivialOffsetCalculatorILi1EjESG_NS9_15LoadWithoutCastENS9_16StoreWithoutCastELi8ELi1EEEEEvT0_T1_@rel32@hi+12
	s_mov_b32 s12, s16
	v_mov_b32_e32 v31, v40
	v_mov_b32_e32 v0, s20
	v_mov_b32_e32 v1, s21
	v_mov_b32_e32 v2, s22
	v_mov_b32_e32 v3, s23
	v_mov_b32_e32 v4, s17
	s_swappc_b64 s[30:31], s[4:5]
	s_endpgm
	.section	.rodata,"a",@progbits
	.p2align	6, 0x0
	.amdhsa_kernel _ZN2at6native29vectorized_elementwise_kernelILi8EZZZNS0_20trigamma_kernel_cudaERNS_18TensorIteratorBaseEENKUlvE_clEvENKUlvE2_clEvEUlN3c108BFloat16EE_St5arrayIPcLm2EEEEviT0_T1_
		.amdhsa_group_segment_fixed_size 0
		.amdhsa_private_segment_fixed_size 0
		.amdhsa_kernarg_size 24
		.amdhsa_user_sgpr_count 6
		.amdhsa_user_sgpr_private_segment_buffer 1
		.amdhsa_user_sgpr_dispatch_ptr 0
		.amdhsa_user_sgpr_queue_ptr 0
		.amdhsa_user_sgpr_kernarg_segment_ptr 1
		.amdhsa_user_sgpr_dispatch_id 0
		.amdhsa_user_sgpr_flat_scratch_init 0
		.amdhsa_user_sgpr_private_segment_size 0
		.amdhsa_uses_dynamic_stack 0
		.amdhsa_system_sgpr_private_segment_wavefront_offset 0
		.amdhsa_system_sgpr_workgroup_id_x 1
		.amdhsa_system_sgpr_workgroup_id_y 0
		.amdhsa_system_sgpr_workgroup_id_z 0
		.amdhsa_system_sgpr_workgroup_info 0
		.amdhsa_system_vgpr_workitem_id 0
		.amdhsa_next_free_vgpr 87
		.amdhsa_next_free_sgpr 33
		.amdhsa_reserve_vcc 1
		.amdhsa_reserve_flat_scratch 0
		.amdhsa_float_round_mode_32 0
		.amdhsa_float_round_mode_16_64 0
		.amdhsa_float_denorm_mode_32 3
		.amdhsa_float_denorm_mode_16_64 3
		.amdhsa_dx10_clamp 1
		.amdhsa_ieee_mode 1
		.amdhsa_fp16_overflow 0
		.amdhsa_exception_fp_ieee_invalid_op 0
		.amdhsa_exception_fp_denorm_src 0
		.amdhsa_exception_fp_ieee_div_zero 0
		.amdhsa_exception_fp_ieee_overflow 0
		.amdhsa_exception_fp_ieee_underflow 0
		.amdhsa_exception_fp_ieee_inexact 0
		.amdhsa_exception_int_div_zero 0
	.end_amdhsa_kernel
	.section	.text._ZN2at6native29vectorized_elementwise_kernelILi8EZZZNS0_20trigamma_kernel_cudaERNS_18TensorIteratorBaseEENKUlvE_clEvENKUlvE2_clEvEUlN3c108BFloat16EE_St5arrayIPcLm2EEEEviT0_T1_,"axG",@progbits,_ZN2at6native29vectorized_elementwise_kernelILi8EZZZNS0_20trigamma_kernel_cudaERNS_18TensorIteratorBaseEENKUlvE_clEvENKUlvE2_clEvEUlN3c108BFloat16EE_St5arrayIPcLm2EEEEviT0_T1_,comdat
.Lfunc_end71:
	.size	_ZN2at6native29vectorized_elementwise_kernelILi8EZZZNS0_20trigamma_kernel_cudaERNS_18TensorIteratorBaseEENKUlvE_clEvENKUlvE2_clEvEUlN3c108BFloat16EE_St5arrayIPcLm2EEEEviT0_T1_, .Lfunc_end71-_ZN2at6native29vectorized_elementwise_kernelILi8EZZZNS0_20trigamma_kernel_cudaERNS_18TensorIteratorBaseEENKUlvE_clEvENKUlvE2_clEvEUlN3c108BFloat16EE_St5arrayIPcLm2EEEEviT0_T1_
                                        ; -- End function
	.set _ZN2at6native29vectorized_elementwise_kernelILi8EZZZNS0_20trigamma_kernel_cudaERNS_18TensorIteratorBaseEENKUlvE_clEvENKUlvE2_clEvEUlN3c108BFloat16EE_St5arrayIPcLm2EEEEviT0_T1_.num_vgpr, max(41, .L_ZN2at6native25elementwise_kernel_helperILb0EZZZNS0_20trigamma_kernel_cudaERNS_18TensorIteratorBaseEENKUlvE_clEvENKUlvE2_clEvEUlN3c108BFloat16EE_NS0_6memory8policies10vectorizedILi8ESt5arrayIPcLm2EELi8EEEEEvT0_T1_.num_vgpr, .L_ZN2at6native25elementwise_kernel_helperILb0EZZZNS0_20trigamma_kernel_cudaERNS_18TensorIteratorBaseEENKUlvE_clEvENKUlvE2_clEvEUlN3c108BFloat16EE_NS0_6memory8policies11unroll_baseILi256ESt5arrayIPcLm2EE23TrivialOffsetCalculatorILi1EjESG_NS9_15LoadWithoutCastENS9_16StoreWithoutCastELi8ELi1EEEEEvT0_T1_.num_vgpr)
	.set _ZN2at6native29vectorized_elementwise_kernelILi8EZZZNS0_20trigamma_kernel_cudaERNS_18TensorIteratorBaseEENKUlvE_clEvENKUlvE2_clEvEUlN3c108BFloat16EE_St5arrayIPcLm2EEEEviT0_T1_.num_agpr, max(0, .L_ZN2at6native25elementwise_kernel_helperILb0EZZZNS0_20trigamma_kernel_cudaERNS_18TensorIteratorBaseEENKUlvE_clEvENKUlvE2_clEvEUlN3c108BFloat16EE_NS0_6memory8policies10vectorizedILi8ESt5arrayIPcLm2EELi8EEEEEvT0_T1_.num_agpr, .L_ZN2at6native25elementwise_kernel_helperILb0EZZZNS0_20trigamma_kernel_cudaERNS_18TensorIteratorBaseEENKUlvE_clEvENKUlvE2_clEvEUlN3c108BFloat16EE_NS0_6memory8policies11unroll_baseILi256ESt5arrayIPcLm2EE23TrivialOffsetCalculatorILi1EjESG_NS9_15LoadWithoutCastENS9_16StoreWithoutCastELi8ELi1EEEEEvT0_T1_.num_agpr)
	.set _ZN2at6native29vectorized_elementwise_kernelILi8EZZZNS0_20trigamma_kernel_cudaERNS_18TensorIteratorBaseEENKUlvE_clEvENKUlvE2_clEvEUlN3c108BFloat16EE_St5arrayIPcLm2EEEEviT0_T1_.numbered_sgpr, max(33, .L_ZN2at6native25elementwise_kernel_helperILb0EZZZNS0_20trigamma_kernel_cudaERNS_18TensorIteratorBaseEENKUlvE_clEvENKUlvE2_clEvEUlN3c108BFloat16EE_NS0_6memory8policies10vectorizedILi8ESt5arrayIPcLm2EELi8EEEEEvT0_T1_.numbered_sgpr, .L_ZN2at6native25elementwise_kernel_helperILb0EZZZNS0_20trigamma_kernel_cudaERNS_18TensorIteratorBaseEENKUlvE_clEvENKUlvE2_clEvEUlN3c108BFloat16EE_NS0_6memory8policies11unroll_baseILi256ESt5arrayIPcLm2EE23TrivialOffsetCalculatorILi1EjESG_NS9_15LoadWithoutCastENS9_16StoreWithoutCastELi8ELi1EEEEEvT0_T1_.numbered_sgpr)
	.set _ZN2at6native29vectorized_elementwise_kernelILi8EZZZNS0_20trigamma_kernel_cudaERNS_18TensorIteratorBaseEENKUlvE_clEvENKUlvE2_clEvEUlN3c108BFloat16EE_St5arrayIPcLm2EEEEviT0_T1_.num_named_barrier, max(0, .L_ZN2at6native25elementwise_kernel_helperILb0EZZZNS0_20trigamma_kernel_cudaERNS_18TensorIteratorBaseEENKUlvE_clEvENKUlvE2_clEvEUlN3c108BFloat16EE_NS0_6memory8policies10vectorizedILi8ESt5arrayIPcLm2EELi8EEEEEvT0_T1_.num_named_barrier, .L_ZN2at6native25elementwise_kernel_helperILb0EZZZNS0_20trigamma_kernel_cudaERNS_18TensorIteratorBaseEENKUlvE_clEvENKUlvE2_clEvEUlN3c108BFloat16EE_NS0_6memory8policies11unroll_baseILi256ESt5arrayIPcLm2EE23TrivialOffsetCalculatorILi1EjESG_NS9_15LoadWithoutCastENS9_16StoreWithoutCastELi8ELi1EEEEEvT0_T1_.num_named_barrier)
	.set _ZN2at6native29vectorized_elementwise_kernelILi8EZZZNS0_20trigamma_kernel_cudaERNS_18TensorIteratorBaseEENKUlvE_clEvENKUlvE2_clEvEUlN3c108BFloat16EE_St5arrayIPcLm2EEEEviT0_T1_.private_seg_size, 0+max(.L_ZN2at6native25elementwise_kernel_helperILb0EZZZNS0_20trigamma_kernel_cudaERNS_18TensorIteratorBaseEENKUlvE_clEvENKUlvE2_clEvEUlN3c108BFloat16EE_NS0_6memory8policies10vectorizedILi8ESt5arrayIPcLm2EELi8EEEEEvT0_T1_.private_seg_size, .L_ZN2at6native25elementwise_kernel_helperILb0EZZZNS0_20trigamma_kernel_cudaERNS_18TensorIteratorBaseEENKUlvE_clEvENKUlvE2_clEvEUlN3c108BFloat16EE_NS0_6memory8policies11unroll_baseILi256ESt5arrayIPcLm2EE23TrivialOffsetCalculatorILi1EjESG_NS9_15LoadWithoutCastENS9_16StoreWithoutCastELi8ELi1EEEEEvT0_T1_.private_seg_size)
	.set _ZN2at6native29vectorized_elementwise_kernelILi8EZZZNS0_20trigamma_kernel_cudaERNS_18TensorIteratorBaseEENKUlvE_clEvENKUlvE2_clEvEUlN3c108BFloat16EE_St5arrayIPcLm2EEEEviT0_T1_.uses_vcc, or(1, .L_ZN2at6native25elementwise_kernel_helperILb0EZZZNS0_20trigamma_kernel_cudaERNS_18TensorIteratorBaseEENKUlvE_clEvENKUlvE2_clEvEUlN3c108BFloat16EE_NS0_6memory8policies10vectorizedILi8ESt5arrayIPcLm2EELi8EEEEEvT0_T1_.uses_vcc, .L_ZN2at6native25elementwise_kernel_helperILb0EZZZNS0_20trigamma_kernel_cudaERNS_18TensorIteratorBaseEENKUlvE_clEvENKUlvE2_clEvEUlN3c108BFloat16EE_NS0_6memory8policies11unroll_baseILi256ESt5arrayIPcLm2EE23TrivialOffsetCalculatorILi1EjESG_NS9_15LoadWithoutCastENS9_16StoreWithoutCastELi8ELi1EEEEEvT0_T1_.uses_vcc)
	.set _ZN2at6native29vectorized_elementwise_kernelILi8EZZZNS0_20trigamma_kernel_cudaERNS_18TensorIteratorBaseEENKUlvE_clEvENKUlvE2_clEvEUlN3c108BFloat16EE_St5arrayIPcLm2EEEEviT0_T1_.uses_flat_scratch, or(0, .L_ZN2at6native25elementwise_kernel_helperILb0EZZZNS0_20trigamma_kernel_cudaERNS_18TensorIteratorBaseEENKUlvE_clEvENKUlvE2_clEvEUlN3c108BFloat16EE_NS0_6memory8policies10vectorizedILi8ESt5arrayIPcLm2EELi8EEEEEvT0_T1_.uses_flat_scratch, .L_ZN2at6native25elementwise_kernel_helperILb0EZZZNS0_20trigamma_kernel_cudaERNS_18TensorIteratorBaseEENKUlvE_clEvENKUlvE2_clEvEUlN3c108BFloat16EE_NS0_6memory8policies11unroll_baseILi256ESt5arrayIPcLm2EE23TrivialOffsetCalculatorILi1EjESG_NS9_15LoadWithoutCastENS9_16StoreWithoutCastELi8ELi1EEEEEvT0_T1_.uses_flat_scratch)
	.set _ZN2at6native29vectorized_elementwise_kernelILi8EZZZNS0_20trigamma_kernel_cudaERNS_18TensorIteratorBaseEENKUlvE_clEvENKUlvE2_clEvEUlN3c108BFloat16EE_St5arrayIPcLm2EEEEviT0_T1_.has_dyn_sized_stack, or(0, .L_ZN2at6native25elementwise_kernel_helperILb0EZZZNS0_20trigamma_kernel_cudaERNS_18TensorIteratorBaseEENKUlvE_clEvENKUlvE2_clEvEUlN3c108BFloat16EE_NS0_6memory8policies10vectorizedILi8ESt5arrayIPcLm2EELi8EEEEEvT0_T1_.has_dyn_sized_stack, .L_ZN2at6native25elementwise_kernel_helperILb0EZZZNS0_20trigamma_kernel_cudaERNS_18TensorIteratorBaseEENKUlvE_clEvENKUlvE2_clEvEUlN3c108BFloat16EE_NS0_6memory8policies11unroll_baseILi256ESt5arrayIPcLm2EE23TrivialOffsetCalculatorILi1EjESG_NS9_15LoadWithoutCastENS9_16StoreWithoutCastELi8ELi1EEEEEvT0_T1_.has_dyn_sized_stack)
	.set _ZN2at6native29vectorized_elementwise_kernelILi8EZZZNS0_20trigamma_kernel_cudaERNS_18TensorIteratorBaseEENKUlvE_clEvENKUlvE2_clEvEUlN3c108BFloat16EE_St5arrayIPcLm2EEEEviT0_T1_.has_recursion, or(0, .L_ZN2at6native25elementwise_kernel_helperILb0EZZZNS0_20trigamma_kernel_cudaERNS_18TensorIteratorBaseEENKUlvE_clEvENKUlvE2_clEvEUlN3c108BFloat16EE_NS0_6memory8policies10vectorizedILi8ESt5arrayIPcLm2EELi8EEEEEvT0_T1_.has_recursion, .L_ZN2at6native25elementwise_kernel_helperILb0EZZZNS0_20trigamma_kernel_cudaERNS_18TensorIteratorBaseEENKUlvE_clEvENKUlvE2_clEvEUlN3c108BFloat16EE_NS0_6memory8policies11unroll_baseILi256ESt5arrayIPcLm2EE23TrivialOffsetCalculatorILi1EjESG_NS9_15LoadWithoutCastENS9_16StoreWithoutCastELi8ELi1EEEEEvT0_T1_.has_recursion)
	.set _ZN2at6native29vectorized_elementwise_kernelILi8EZZZNS0_20trigamma_kernel_cudaERNS_18TensorIteratorBaseEENKUlvE_clEvENKUlvE2_clEvEUlN3c108BFloat16EE_St5arrayIPcLm2EEEEviT0_T1_.has_indirect_call, or(0, .L_ZN2at6native25elementwise_kernel_helperILb0EZZZNS0_20trigamma_kernel_cudaERNS_18TensorIteratorBaseEENKUlvE_clEvENKUlvE2_clEvEUlN3c108BFloat16EE_NS0_6memory8policies10vectorizedILi8ESt5arrayIPcLm2EELi8EEEEEvT0_T1_.has_indirect_call, .L_ZN2at6native25elementwise_kernel_helperILb0EZZZNS0_20trigamma_kernel_cudaERNS_18TensorIteratorBaseEENKUlvE_clEvENKUlvE2_clEvEUlN3c108BFloat16EE_NS0_6memory8policies11unroll_baseILi256ESt5arrayIPcLm2EE23TrivialOffsetCalculatorILi1EjESG_NS9_15LoadWithoutCastENS9_16StoreWithoutCastELi8ELi1EEEEEvT0_T1_.has_indirect_call)
	.section	.AMDGPU.csdata,"",@progbits
; Kernel info:
; codeLenInByte = 180
; TotalNumSgprs: 37
; NumVgprs: 87
; ScratchSize: 0
; MemoryBound: 0
; FloatMode: 240
; IeeeMode: 1
; LDSByteSize: 0 bytes/workgroup (compile time only)
; SGPRBlocks: 4
; VGPRBlocks: 21
; NumSGPRsForWavesPerEU: 37
; NumVGPRsForWavesPerEU: 87
; Occupancy: 2
; WaveLimiterHint : 0
; COMPUTE_PGM_RSRC2:SCRATCH_EN: 0
; COMPUTE_PGM_RSRC2:USER_SGPR: 6
; COMPUTE_PGM_RSRC2:TRAP_HANDLER: 0
; COMPUTE_PGM_RSRC2:TGID_X_EN: 1
; COMPUTE_PGM_RSRC2:TGID_Y_EN: 0
; COMPUTE_PGM_RSRC2:TGID_Z_EN: 0
; COMPUTE_PGM_RSRC2:TIDIG_COMP_CNT: 0
	.section	.text._ZN2at6native29vectorized_elementwise_kernelILi4EZZZNS0_20trigamma_kernel_cudaERNS_18TensorIteratorBaseEENKUlvE_clEvENKUlvE2_clEvEUlN3c108BFloat16EE_St5arrayIPcLm2EEEEviT0_T1_,"axG",@progbits,_ZN2at6native29vectorized_elementwise_kernelILi4EZZZNS0_20trigamma_kernel_cudaERNS_18TensorIteratorBaseEENKUlvE_clEvENKUlvE2_clEvEUlN3c108BFloat16EE_St5arrayIPcLm2EEEEviT0_T1_,comdat
	.globl	_ZN2at6native29vectorized_elementwise_kernelILi4EZZZNS0_20trigamma_kernel_cudaERNS_18TensorIteratorBaseEENKUlvE_clEvENKUlvE2_clEvEUlN3c108BFloat16EE_St5arrayIPcLm2EEEEviT0_T1_ ; -- Begin function _ZN2at6native29vectorized_elementwise_kernelILi4EZZZNS0_20trigamma_kernel_cudaERNS_18TensorIteratorBaseEENKUlvE_clEvENKUlvE2_clEvEUlN3c108BFloat16EE_St5arrayIPcLm2EEEEviT0_T1_
	.p2align	8
	.type	_ZN2at6native29vectorized_elementwise_kernelILi4EZZZNS0_20trigamma_kernel_cudaERNS_18TensorIteratorBaseEENKUlvE_clEvENKUlvE2_clEvEUlN3c108BFloat16EE_St5arrayIPcLm2EEEEviT0_T1_,@function
_ZN2at6native29vectorized_elementwise_kernelILi4EZZZNS0_20trigamma_kernel_cudaERNS_18TensorIteratorBaseEENKUlvE_clEvENKUlvE2_clEvEUlN3c108BFloat16EE_St5arrayIPcLm2EEEEviT0_T1_: ; @_ZN2at6native29vectorized_elementwise_kernelILi4EZZZNS0_20trigamma_kernel_cudaERNS_18TensorIteratorBaseEENKUlvE_clEvENKUlvE2_clEvEUlN3c108BFloat16EE_St5arrayIPcLm2EEEEviT0_T1_
; %bb.0:
	s_add_u32 s0, s0, s7
	s_load_dword s7, s[4:5], 0x0
	s_load_dwordx4 s[16:19], s[4:5], 0x8
	s_addc_u32 s1, s1, 0
	s_lshl_b32 s4, s6, 11
	s_mov_b64 s[8:9], -1
	s_waitcnt lgkmcnt(0)
	s_sub_i32 s7, s7, s4
	s_cmpk_gt_i32 s7, 0x7ff
	s_mov_b32 s32, 0
	s_cbranch_scc1 .LBB72_3
; %bb.1:
	s_and_b64 vcc, exec, s[8:9]
	s_cbranch_vccnz .LBB72_52
.LBB72_2:
	s_endpgm
.LBB72_3:
	s_ashr_i32 s5, s4, 31
	s_lshl_b64 s[12:13], s[4:5], 1
	s_add_u32 s4, s18, s12
	s_addc_u32 s5, s19, s13
	v_lshlrev_b32_e32 v5, 3, v0
	global_load_dwordx2 v[3:4], v5, s[4:5]
	global_load_dwordx2 v[1:2], v5, s[4:5] offset:2048
	v_mov_b32_e32 v12, 0
	v_mov_b32_e32 v7, 1.0
	s_waitcnt vmcnt(1)
	v_lshlrev_b32_e32 v6, 16, v3
	v_cmp_gt_f32_e32 vcc, 0.5, v6
	s_and_saveexec_b64 s[14:15], vcc
	s_cbranch_execz .LBB72_9
; %bb.4:
	v_mul_f32_e32 v7, 0x40490fdb, v6
	s_brev_b32 s4, 18
	v_and_b32_e32 v8, 0x7fffffff, v7
	v_cmp_nlt_f32_e64 s[4:5], |v7|, s4
                                        ; implicit-def: $vgpr9
                                        ; implicit-def: $vgpr10
	s_and_saveexec_b64 s[8:9], s[4:5]
	s_xor_b64 s[20:21], exec, s[8:9]
	s_cbranch_execz .LBB72_6
; %bb.5:
	v_and_b32_e32 v9, 0x7fffff, v8
	v_or_b32_e32 v18, 0x800000, v9
	s_mov_b32 s4, 0xfe5163ab
	v_mad_u64_u32 v[9:10], s[4:5], v18, s4, 0
	v_mov_b32_e32 v11, 0
	s_mov_b32 s4, 0x3c439041
	v_mad_u64_u32 v[12:13], s[4:5], v18, s4, v[10:11]
	s_mov_b32 s4, 0xdb629599
	v_not_b32_e32 v17, 63
	v_mov_b32_e32 v10, v13
	v_mad_u64_u32 v[13:14], s[4:5], v18, s4, v[10:11]
	s_mov_b32 s4, 0xf534ddc0
	v_not_b32_e32 v20, 31
	v_mov_b32_e32 v10, v14
	v_mad_u64_u32 v[14:15], s[4:5], v18, s4, v[10:11]
	v_lshrrev_b32_e32 v10, 23, v8
	v_add_u32_e32 v19, 0xffffff88, v10
	v_mov_b32_e32 v10, v15
	s_mov_b32 s4, 0xfc2757d1
	v_mad_u64_u32 v[15:16], s[4:5], v18, s4, v[10:11]
	v_cmp_lt_u32_e32 vcc, 63, v19
	v_cndmask_b32_e32 v10, 0, v17, vcc
	v_add_u32_e32 v19, v10, v19
	v_mov_b32_e32 v10, v16
	s_mov_b32 s4, 0x4e441529
	v_mad_u64_u32 v[16:17], s[4:5], v18, s4, v[10:11]
	v_cmp_lt_u32_e64 s[4:5], 31, v19
	v_cndmask_b32_e64 v10, 0, v20, s[4:5]
	v_add_u32_e32 v19, v10, v19
	v_mov_b32_e32 v10, v17
	s_mov_b32 s8, 0xa2f9836e
	v_mad_u64_u32 v[10:11], s[8:9], v18, s8, v[10:11]
	v_cmp_lt_u32_e64 s[8:9], 31, v19
	v_cndmask_b32_e64 v17, 0, v20, s[8:9]
	v_cndmask_b32_e32 v18, v16, v14, vcc
	v_cndmask_b32_e32 v10, v10, v15, vcc
	;; [unrolled: 1-line block ×3, first 2 shown]
	v_add_u32_e32 v17, v17, v19
	v_cndmask_b32_e64 v19, v10, v18, s[4:5]
	v_cndmask_b32_e64 v10, v11, v10, s[4:5]
	v_cndmask_b32_e32 v11, v15, v13, vcc
	v_cndmask_b32_e64 v15, v18, v11, s[4:5]
	v_cndmask_b32_e64 v10, v10, v19, s[8:9]
	;; [unrolled: 1-line block ×3, first 2 shown]
	v_sub_u32_e32 v18, 32, v17
	v_alignbit_b32 v19, v10, v16, v18
	v_cmp_eq_u32_e64 s[10:11], 0, v17
	v_cndmask_b32_e64 v17, v19, v10, s[10:11]
	v_cndmask_b32_e32 v10, v14, v12, vcc
	v_cndmask_b32_e64 v11, v11, v10, s[4:5]
	v_cndmask_b32_e64 v12, v15, v11, s[8:9]
	v_alignbit_b32 v14, v16, v12, v18
	v_cndmask_b32_e32 v9, v13, v9, vcc
	v_cndmask_b32_e64 v14, v14, v16, s[10:11]
	v_bfe_u32 v19, v17, 29, 1
	v_cndmask_b32_e64 v9, v10, v9, s[4:5]
	v_alignbit_b32 v15, v17, v14, 30
	v_sub_u32_e32 v20, 0, v19
	v_cndmask_b32_e64 v9, v11, v9, s[8:9]
	v_xor_b32_e32 v15, v15, v20
	v_alignbit_b32 v10, v12, v9, v18
	v_cndmask_b32_e64 v10, v10, v12, s[10:11]
	v_ffbh_u32_e32 v12, v15
	v_alignbit_b32 v11, v14, v10, 30
	v_min_u32_e32 v12, 32, v12
	v_alignbit_b32 v9, v10, v9, 30
	v_xor_b32_e32 v11, v11, v20
	v_sub_u32_e32 v13, 31, v12
	v_xor_b32_e32 v9, v9, v20
	v_alignbit_b32 v14, v15, v11, v13
	v_alignbit_b32 v9, v11, v9, v13
	;; [unrolled: 1-line block ×3, first 2 shown]
	v_ffbh_u32_e32 v11, v10
	v_min_u32_e32 v11, 32, v11
	v_lshrrev_b32_e32 v16, 29, v17
	v_not_b32_e32 v13, v11
	v_alignbit_b32 v9, v10, v9, v13
	v_lshlrev_b32_e32 v10, 31, v16
	v_or_b32_e32 v13, 0x33000000, v10
	v_add_lshl_u32 v11, v11, v12, 23
	v_lshrrev_b32_e32 v9, 9, v9
	v_sub_u32_e32 v11, v13, v11
	v_or_b32_e32 v10, 0.5, v10
	v_lshlrev_b32_e32 v12, 23, v12
	v_or_b32_e32 v9, v11, v9
	v_lshrrev_b32_e32 v11, 9, v14
	v_sub_u32_e32 v10, v10, v12
	v_or_b32_e32 v10, v11, v10
	s_mov_b32 s4, 0x3fc90fda
	v_mul_f32_e32 v11, 0x3fc90fda, v10
	v_fma_f32 v12, v10, s4, -v11
	v_fmac_f32_e32 v12, 0x33a22168, v10
	v_fmac_f32_e32 v12, 0x3fc90fda, v9
	v_lshrrev_b32_e32 v9, 30, v17
	v_add_f32_e32 v10, v11, v12
	v_add_u32_e32 v9, v19, v9
.LBB72_6:
	s_andn2_saveexec_b64 s[4:5], s[20:21]
	s_cbranch_execz .LBB72_8
; %bb.7:
	s_mov_b32 s8, 0x3f22f983
	v_mul_f32_e64 v9, |v7|, s8
	v_rndne_f32_e32 v11, v9
	s_mov_b32 s8, 0xbfc90fda
	v_cvt_i32_f32_e32 v9, v11
	v_fma_f32 v10, v11, s8, |v7|
	v_fmac_f32_e32 v10, 0xb3a22168, v11
	v_fmac_f32_e32 v10, 0xa7c234c4, v11
.LBB72_8:
	s_or_b64 exec, exec, s[4:5]
	v_mul_f32_e32 v11, v10, v10
	v_mov_b32_e32 v12, 0x3c0881c4
	v_fmac_f32_e32 v12, 0xb94c1982, v11
	v_mov_b32_e32 v13, 0xbe2aaa9d
	v_fmac_f32_e32 v13, v11, v12
	v_mul_f32_e32 v12, v11, v13
	v_fmac_f32_e32 v10, v10, v12
	v_mov_b32_e32 v12, 0xbab64f3b
	v_fmac_f32_e32 v12, 0x37d75334, v11
	v_mov_b32_e32 v13, 0x3d2aabf7
	;; [unrolled: 2-line block ×3, first 2 shown]
	v_fmac_f32_e32 v12, v11, v13
	v_fma_f32 v11, v11, v12, 1.0
	v_and_b32_e32 v12, 1, v9
	v_lshlrev_b32_e32 v9, 30, v9
	v_cmp_eq_u32_e32 vcc, 0, v12
	v_and_b32_e32 v9, 0x80000000, v9
	v_xor_b32_e32 v8, v8, v7
	v_cndmask_b32_e32 v10, v11, v10, vcc
	v_xor_b32_e32 v8, v8, v9
	s_movk_i32 s4, 0x1f8
	v_xor_b32_e32 v8, v8, v10
	v_mov_b32_e32 v9, 0x7fc00000
	v_cmp_class_f32_e64 vcc, v7, s4
	v_cndmask_b32_e32 v7, v9, v8, vcc
	v_mul_f32_e32 v7, v7, v7
	s_mov_b32 s8, 0xc11de9e7
	v_div_scale_f32 v8, s[4:5], v7, v7, s8
	v_div_scale_f32 v9, vcc, s8, v7, s8
	v_sub_f32_e32 v6, 1.0, v6
	v_rcp_f32_e32 v10, v8
	v_fma_f32 v11, -v8, v10, 1.0
	v_fmac_f32_e32 v10, v11, v10
	v_mul_f32_e32 v11, v9, v10
	v_fma_f32 v12, -v8, v11, v9
	v_fmac_f32_e32 v11, v12, v10
	v_fma_f32 v8, -v8, v11, v9
	v_div_fmas_f32 v8, v8, v10, v11
	v_div_fixup_f32 v7, v8, v7, s8
	v_add_f32_e32 v12, 0, v7
	v_mov_b32_e32 v7, -1.0
.LBB72_9:
	s_or_b64 exec, exec, s[14:15]
	v_and_b32_e32 v3, 0xffff0000, v3
	v_cmp_gt_f32_e32 vcc, 0.5, v3
	v_mov_b32_e32 v13, 0
	v_mov_b32_e32 v9, 1.0
	s_and_saveexec_b64 s[14:15], vcc
	s_cbranch_execz .LBB72_15
; %bb.10:
	v_mul_f32_e32 v8, 0x40490fdb, v3
	s_brev_b32 s4, 18
	v_and_b32_e32 v9, 0x7fffffff, v8
	v_cmp_nlt_f32_e64 s[4:5], |v8|, s4
                                        ; implicit-def: $vgpr10
                                        ; implicit-def: $vgpr11
	s_and_saveexec_b64 s[8:9], s[4:5]
	s_xor_b64 s[20:21], exec, s[8:9]
	s_cbranch_execz .LBB72_12
; %bb.11:
	v_and_b32_e32 v10, 0x7fffff, v9
	v_or_b32_e32 v21, 0x800000, v10
	s_mov_b32 s4, 0xfe5163ab
	v_mad_u64_u32 v[10:11], s[4:5], v21, s4, 0
	v_mov_b32_e32 v14, 0
	s_mov_b32 s4, 0x3c439041
	v_mov_b32_e32 v13, v11
	v_mad_u64_u32 v[15:16], s[4:5], v21, s4, v[13:14]
	s_mov_b32 s4, 0xdb629599
	v_lshrrev_b32_e32 v11, 23, v9
	v_mov_b32_e32 v13, v16
	v_mad_u64_u32 v[16:17], s[4:5], v21, s4, v[13:14]
	s_mov_b32 s4, 0xf534ddc0
	v_add_u32_e32 v11, 0xffffff88, v11
	v_mov_b32_e32 v13, v17
	v_mad_u64_u32 v[17:18], s[4:5], v21, s4, v[13:14]
	s_mov_b32 s4, 0xfc2757d1
	v_not_b32_e32 v20, 63
	v_mov_b32_e32 v13, v18
	v_mad_u64_u32 v[18:19], s[4:5], v21, s4, v[13:14]
	v_cmp_lt_u32_e32 vcc, 63, v11
	v_cndmask_b32_e32 v13, 0, v20, vcc
	v_add_u32_e32 v11, v13, v11
	v_mov_b32_e32 v13, v19
	s_mov_b32 s4, 0x4e441529
	v_mad_u64_u32 v[19:20], s[4:5], v21, s4, v[13:14]
	v_not_b32_e32 v22, 31
	v_cmp_lt_u32_e64 s[4:5], 31, v11
	v_cndmask_b32_e64 v13, 0, v22, s[4:5]
	v_add_u32_e32 v11, v13, v11
	v_mov_b32_e32 v13, v20
	s_mov_b32 s8, 0xa2f9836e
	v_mad_u64_u32 v[13:14], s[8:9], v21, s8, v[13:14]
	v_cmp_lt_u32_e64 s[8:9], 31, v11
	v_cndmask_b32_e64 v20, 0, v22, s[8:9]
	v_add_u32_e32 v11, v20, v11
	v_cndmask_b32_e32 v20, v19, v17, vcc
	v_cndmask_b32_e32 v13, v13, v18, vcc
	;; [unrolled: 1-line block ×3, first 2 shown]
	v_cndmask_b32_e64 v21, v13, v20, s[4:5]
	v_cndmask_b32_e64 v13, v14, v13, s[4:5]
	v_cndmask_b32_e32 v14, v18, v16, vcc
	v_cndmask_b32_e64 v18, v20, v14, s[4:5]
	v_sub_u32_e32 v20, 32, v11
	v_cmp_eq_u32_e64 s[10:11], 0, v11
	v_cndmask_b32_e32 v11, v17, v15, vcc
	v_cndmask_b32_e64 v13, v13, v21, s[8:9]
	v_cndmask_b32_e64 v19, v21, v18, s[8:9]
	;; [unrolled: 1-line block ×3, first 2 shown]
	v_alignbit_b32 v21, v13, v19, v20
	v_cndmask_b32_e64 v15, v18, v14, s[8:9]
	v_cndmask_b32_e64 v13, v21, v13, s[10:11]
	v_alignbit_b32 v17, v19, v15, v20
	v_cndmask_b32_e32 v10, v16, v10, vcc
	v_cndmask_b32_e64 v17, v17, v19, s[10:11]
	v_bfe_u32 v21, v13, 29, 1
	v_cndmask_b32_e64 v10, v11, v10, s[4:5]
	v_alignbit_b32 v18, v13, v17, 30
	v_sub_u32_e32 v22, 0, v21
	v_cndmask_b32_e64 v10, v14, v10, s[8:9]
	v_xor_b32_e32 v18, v18, v22
	v_alignbit_b32 v11, v15, v10, v20
	v_cndmask_b32_e64 v11, v11, v15, s[10:11]
	v_ffbh_u32_e32 v15, v18
	v_alignbit_b32 v14, v17, v11, 30
	v_min_u32_e32 v15, 32, v15
	v_alignbit_b32 v10, v11, v10, 30
	v_xor_b32_e32 v14, v14, v22
	v_sub_u32_e32 v16, 31, v15
	v_xor_b32_e32 v10, v10, v22
	v_alignbit_b32 v17, v18, v14, v16
	v_alignbit_b32 v10, v14, v10, v16
	v_alignbit_b32 v11, v17, v10, 9
	v_ffbh_u32_e32 v14, v11
	v_min_u32_e32 v14, 32, v14
	v_lshrrev_b32_e32 v19, 29, v13
	v_not_b32_e32 v16, v14
	v_alignbit_b32 v10, v11, v10, v16
	v_lshlrev_b32_e32 v11, 31, v19
	v_or_b32_e32 v16, 0x33000000, v11
	v_add_lshl_u32 v14, v14, v15, 23
	v_lshrrev_b32_e32 v10, 9, v10
	v_sub_u32_e32 v14, v16, v14
	v_or_b32_e32 v11, 0.5, v11
	v_lshlrev_b32_e32 v15, 23, v15
	v_or_b32_e32 v10, v14, v10
	v_lshrrev_b32_e32 v14, 9, v17
	v_sub_u32_e32 v11, v11, v15
	v_or_b32_e32 v11, v14, v11
	s_mov_b32 s4, 0x3fc90fda
	v_mul_f32_e32 v14, 0x3fc90fda, v11
	v_fma_f32 v15, v11, s4, -v14
	v_fmac_f32_e32 v15, 0x33a22168, v11
	v_fmac_f32_e32 v15, 0x3fc90fda, v10
	v_lshrrev_b32_e32 v10, 30, v13
	v_add_f32_e32 v11, v14, v15
	v_add_u32_e32 v10, v21, v10
.LBB72_12:
	s_andn2_saveexec_b64 s[4:5], s[20:21]
	s_cbranch_execz .LBB72_14
; %bb.13:
	s_mov_b32 s8, 0x3f22f983
	v_mul_f32_e64 v10, |v8|, s8
	v_rndne_f32_e32 v13, v10
	s_mov_b32 s8, 0xbfc90fda
	v_cvt_i32_f32_e32 v10, v13
	v_fma_f32 v11, v13, s8, |v8|
	v_fmac_f32_e32 v11, 0xb3a22168, v13
	v_fmac_f32_e32 v11, 0xa7c234c4, v13
.LBB72_14:
	s_or_b64 exec, exec, s[4:5]
	v_mul_f32_e32 v13, v11, v11
	v_mov_b32_e32 v14, 0x3c0881c4
	v_fmac_f32_e32 v14, 0xb94c1982, v13
	v_mov_b32_e32 v15, 0xbe2aaa9d
	v_fmac_f32_e32 v15, v13, v14
	v_mul_f32_e32 v14, v13, v15
	v_fmac_f32_e32 v11, v11, v14
	v_mov_b32_e32 v14, 0xbab64f3b
	v_fmac_f32_e32 v14, 0x37d75334, v13
	v_mov_b32_e32 v15, 0x3d2aabf7
	;; [unrolled: 2-line block ×3, first 2 shown]
	v_fmac_f32_e32 v14, v13, v15
	v_fma_f32 v13, v13, v14, 1.0
	v_and_b32_e32 v14, 1, v10
	v_lshlrev_b32_e32 v10, 30, v10
	v_cmp_eq_u32_e32 vcc, 0, v14
	v_and_b32_e32 v10, 0x80000000, v10
	v_xor_b32_e32 v9, v9, v8
	v_cndmask_b32_e32 v11, v13, v11, vcc
	v_xor_b32_e32 v9, v9, v10
	s_movk_i32 s4, 0x1f8
	v_xor_b32_e32 v9, v9, v11
	v_mov_b32_e32 v10, 0x7fc00000
	v_cmp_class_f32_e64 vcc, v8, s4
	v_cndmask_b32_e32 v8, v10, v9, vcc
	v_mul_f32_e32 v8, v8, v8
	s_mov_b32 s8, 0xc11de9e7
	v_div_scale_f32 v9, s[4:5], v8, v8, s8
	v_div_scale_f32 v10, vcc, s8, v8, s8
	v_sub_f32_e32 v3, 1.0, v3
	v_rcp_f32_e32 v11, v9
	v_fma_f32 v13, -v9, v11, 1.0
	v_fmac_f32_e32 v11, v13, v11
	v_mul_f32_e32 v13, v10, v11
	v_fma_f32 v14, -v9, v13, v10
	v_fmac_f32_e32 v13, v14, v11
	v_fma_f32 v9, -v9, v13, v10
	v_div_fmas_f32 v9, v9, v11, v13
	v_div_fixup_f32 v8, v9, v8, s8
	v_add_f32_e32 v13, 0, v8
	v_mov_b32_e32 v9, -1.0
.LBB72_15:
	s_or_b64 exec, exec, s[14:15]
	v_lshlrev_b32_e32 v8, 16, v4
	v_cmp_gt_f32_e32 vcc, 0.5, v8
	v_mov_b32_e32 v14, 0
	v_mov_b32_e32 v10, 1.0
	s_and_saveexec_b64 s[14:15], vcc
	s_cbranch_execz .LBB72_21
; %bb.16:
	v_mul_f32_e32 v10, 0x40490fdb, v8
	s_brev_b32 s4, 18
	v_and_b32_e32 v11, 0x7fffffff, v10
	v_cmp_nlt_f32_e64 s[4:5], |v10|, s4
                                        ; implicit-def: $vgpr14
                                        ; implicit-def: $vgpr15
	s_and_saveexec_b64 s[8:9], s[4:5]
	s_xor_b64 s[20:21], exec, s[8:9]
	s_cbranch_execz .LBB72_18
; %bb.17:
	v_and_b32_e32 v14, 0x7fffff, v11
	v_or_b32_e32 v23, 0x800000, v14
	s_mov_b32 s4, 0xfe5163ab
	v_mad_u64_u32 v[14:15], s[4:5], v23, s4, 0
	v_mov_b32_e32 v16, 0
	s_mov_b32 s4, 0x3c439041
	v_mad_u64_u32 v[17:18], s[4:5], v23, s4, v[15:16]
	s_mov_b32 s4, 0xdb629599
	v_not_b32_e32 v22, 63
	v_mov_b32_e32 v15, v18
	v_mad_u64_u32 v[18:19], s[4:5], v23, s4, v[15:16]
	s_mov_b32 s4, 0xf534ddc0
	v_not_b32_e32 v25, 31
	v_mov_b32_e32 v15, v19
	v_mad_u64_u32 v[19:20], s[4:5], v23, s4, v[15:16]
	v_lshrrev_b32_e32 v15, 23, v11
	v_add_u32_e32 v24, 0xffffff88, v15
	v_mov_b32_e32 v15, v20
	s_mov_b32 s4, 0xfc2757d1
	v_mad_u64_u32 v[20:21], s[4:5], v23, s4, v[15:16]
	v_cmp_lt_u32_e32 vcc, 63, v24
	v_cndmask_b32_e32 v15, 0, v22, vcc
	v_add_u32_e32 v24, v15, v24
	v_mov_b32_e32 v15, v21
	s_mov_b32 s4, 0x4e441529
	v_mad_u64_u32 v[21:22], s[4:5], v23, s4, v[15:16]
	v_cmp_lt_u32_e64 s[4:5], 31, v24
	v_cndmask_b32_e64 v15, 0, v25, s[4:5]
	v_add_u32_e32 v24, v15, v24
	v_mov_b32_e32 v15, v22
	s_mov_b32 s8, 0xa2f9836e
	v_mad_u64_u32 v[15:16], s[8:9], v23, s8, v[15:16]
	v_cmp_lt_u32_e64 s[8:9], 31, v24
	v_cndmask_b32_e64 v22, 0, v25, s[8:9]
	v_cndmask_b32_e32 v23, v21, v19, vcc
	v_cndmask_b32_e32 v15, v15, v20, vcc
	;; [unrolled: 1-line block ×3, first 2 shown]
	v_add_u32_e32 v22, v22, v24
	v_cndmask_b32_e64 v24, v15, v23, s[4:5]
	v_cndmask_b32_e64 v15, v16, v15, s[4:5]
	v_cndmask_b32_e32 v16, v20, v18, vcc
	v_cndmask_b32_e64 v20, v23, v16, s[4:5]
	v_cndmask_b32_e64 v15, v15, v24, s[8:9]
	;; [unrolled: 1-line block ×3, first 2 shown]
	v_sub_u32_e32 v23, 32, v22
	v_alignbit_b32 v24, v15, v21, v23
	v_cmp_eq_u32_e64 s[10:11], 0, v22
	v_cndmask_b32_e64 v22, v24, v15, s[10:11]
	v_cndmask_b32_e32 v15, v19, v17, vcc
	v_cndmask_b32_e64 v16, v16, v15, s[4:5]
	v_cndmask_b32_e64 v17, v20, v16, s[8:9]
	v_alignbit_b32 v19, v21, v17, v23
	v_cndmask_b32_e32 v14, v18, v14, vcc
	v_cndmask_b32_e64 v19, v19, v21, s[10:11]
	v_bfe_u32 v24, v22, 29, 1
	v_cndmask_b32_e64 v14, v15, v14, s[4:5]
	v_alignbit_b32 v20, v22, v19, 30
	v_sub_u32_e32 v25, 0, v24
	v_cndmask_b32_e64 v14, v16, v14, s[8:9]
	v_xor_b32_e32 v20, v20, v25
	v_alignbit_b32 v15, v17, v14, v23
	v_cndmask_b32_e64 v15, v15, v17, s[10:11]
	v_ffbh_u32_e32 v17, v20
	v_alignbit_b32 v16, v19, v15, 30
	v_min_u32_e32 v17, 32, v17
	v_alignbit_b32 v14, v15, v14, 30
	v_xor_b32_e32 v16, v16, v25
	v_sub_u32_e32 v18, 31, v17
	v_xor_b32_e32 v14, v14, v25
	v_alignbit_b32 v19, v20, v16, v18
	v_alignbit_b32 v14, v16, v14, v18
	;; [unrolled: 1-line block ×3, first 2 shown]
	v_ffbh_u32_e32 v16, v15
	v_min_u32_e32 v16, 32, v16
	v_lshrrev_b32_e32 v21, 29, v22
	v_not_b32_e32 v18, v16
	v_alignbit_b32 v14, v15, v14, v18
	v_lshlrev_b32_e32 v15, 31, v21
	v_or_b32_e32 v18, 0x33000000, v15
	v_add_lshl_u32 v16, v16, v17, 23
	v_lshrrev_b32_e32 v14, 9, v14
	v_sub_u32_e32 v16, v18, v16
	v_or_b32_e32 v15, 0.5, v15
	v_lshlrev_b32_e32 v17, 23, v17
	v_or_b32_e32 v14, v16, v14
	v_lshrrev_b32_e32 v16, 9, v19
	v_sub_u32_e32 v15, v15, v17
	v_or_b32_e32 v15, v16, v15
	s_mov_b32 s4, 0x3fc90fda
	v_mul_f32_e32 v16, 0x3fc90fda, v15
	v_fma_f32 v17, v15, s4, -v16
	v_fmac_f32_e32 v17, 0x33a22168, v15
	v_fmac_f32_e32 v17, 0x3fc90fda, v14
	v_lshrrev_b32_e32 v14, 30, v22
	v_add_f32_e32 v15, v16, v17
	v_add_u32_e32 v14, v24, v14
.LBB72_18:
	s_andn2_saveexec_b64 s[4:5], s[20:21]
	s_cbranch_execz .LBB72_20
; %bb.19:
	s_mov_b32 s8, 0x3f22f983
	v_mul_f32_e64 v14, |v10|, s8
	v_rndne_f32_e32 v16, v14
	s_mov_b32 s8, 0xbfc90fda
	v_cvt_i32_f32_e32 v14, v16
	v_fma_f32 v15, v16, s8, |v10|
	v_fmac_f32_e32 v15, 0xb3a22168, v16
	v_fmac_f32_e32 v15, 0xa7c234c4, v16
.LBB72_20:
	s_or_b64 exec, exec, s[4:5]
	v_mul_f32_e32 v16, v15, v15
	v_mov_b32_e32 v17, 0x3c0881c4
	v_fmac_f32_e32 v17, 0xb94c1982, v16
	v_mov_b32_e32 v18, 0xbe2aaa9d
	v_fmac_f32_e32 v18, v16, v17
	v_mul_f32_e32 v17, v16, v18
	v_fmac_f32_e32 v15, v15, v17
	v_mov_b32_e32 v17, 0xbab64f3b
	v_fmac_f32_e32 v17, 0x37d75334, v16
	v_mov_b32_e32 v18, 0x3d2aabf7
	;; [unrolled: 2-line block ×3, first 2 shown]
	v_fmac_f32_e32 v17, v16, v18
	v_fma_f32 v16, v16, v17, 1.0
	v_and_b32_e32 v17, 1, v14
	v_lshlrev_b32_e32 v14, 30, v14
	v_cmp_eq_u32_e32 vcc, 0, v17
	v_and_b32_e32 v14, 0x80000000, v14
	v_xor_b32_e32 v11, v11, v10
	v_cndmask_b32_e32 v15, v16, v15, vcc
	v_xor_b32_e32 v11, v11, v14
	s_movk_i32 s4, 0x1f8
	v_xor_b32_e32 v11, v11, v15
	v_mov_b32_e32 v14, 0x7fc00000
	v_cmp_class_f32_e64 vcc, v10, s4
	v_cndmask_b32_e32 v10, v14, v11, vcc
	v_mul_f32_e32 v10, v10, v10
	s_mov_b32 s8, 0xc11de9e7
	v_div_scale_f32 v11, s[4:5], v10, v10, s8
	v_div_scale_f32 v14, vcc, s8, v10, s8
	v_sub_f32_e32 v8, 1.0, v8
	v_rcp_f32_e32 v15, v11
	v_fma_f32 v16, -v11, v15, 1.0
	v_fmac_f32_e32 v15, v16, v15
	v_mul_f32_e32 v16, v14, v15
	v_fma_f32 v17, -v11, v16, v14
	v_fmac_f32_e32 v16, v17, v15
	v_fma_f32 v11, -v11, v16, v14
	v_div_fmas_f32 v11, v11, v15, v16
	v_div_fixup_f32 v10, v11, v10, s8
	v_add_f32_e32 v14, 0, v10
	v_mov_b32_e32 v10, -1.0
.LBB72_21:
	s_or_b64 exec, exec, s[14:15]
	v_and_b32_e32 v4, 0xffff0000, v4
	v_cmp_gt_f32_e32 vcc, 0.5, v4
	v_mov_b32_e32 v15, 0
	v_mov_b32_e32 v11, 1.0
	s_and_saveexec_b64 s[14:15], vcc
	s_cbranch_execz .LBB72_27
; %bb.22:
	v_mul_f32_e32 v11, 0x40490fdb, v4
	s_brev_b32 s4, 18
	v_and_b32_e32 v15, 0x7fffffff, v11
	v_cmp_nlt_f32_e64 s[4:5], |v11|, s4
                                        ; implicit-def: $vgpr16
                                        ; implicit-def: $vgpr17
	s_and_saveexec_b64 s[8:9], s[4:5]
	s_xor_b64 s[20:21], exec, s[8:9]
	s_cbranch_execz .LBB72_24
; %bb.23:
	v_and_b32_e32 v16, 0x7fffff, v15
	v_or_b32_e32 v25, 0x800000, v16
	s_mov_b32 s4, 0xfe5163ab
	v_mad_u64_u32 v[16:17], s[4:5], v25, s4, 0
	v_mov_b32_e32 v18, 0
	s_mov_b32 s4, 0x3c439041
	v_mad_u64_u32 v[19:20], s[4:5], v25, s4, v[17:18]
	s_mov_b32 s4, 0xdb629599
	v_not_b32_e32 v24, 63
	v_mov_b32_e32 v17, v20
	v_mad_u64_u32 v[20:21], s[4:5], v25, s4, v[17:18]
	s_mov_b32 s4, 0xf534ddc0
	v_not_b32_e32 v27, 31
	v_mov_b32_e32 v17, v21
	v_mad_u64_u32 v[21:22], s[4:5], v25, s4, v[17:18]
	v_lshrrev_b32_e32 v17, 23, v15
	v_add_u32_e32 v26, 0xffffff88, v17
	v_mov_b32_e32 v17, v22
	s_mov_b32 s4, 0xfc2757d1
	v_mad_u64_u32 v[22:23], s[4:5], v25, s4, v[17:18]
	v_cmp_lt_u32_e32 vcc, 63, v26
	v_cndmask_b32_e32 v17, 0, v24, vcc
	v_add_u32_e32 v26, v17, v26
	v_mov_b32_e32 v17, v23
	s_mov_b32 s4, 0x4e441529
	v_mad_u64_u32 v[23:24], s[4:5], v25, s4, v[17:18]
	v_cmp_lt_u32_e64 s[4:5], 31, v26
	v_cndmask_b32_e64 v17, 0, v27, s[4:5]
	v_add_u32_e32 v26, v17, v26
	v_mov_b32_e32 v17, v24
	s_mov_b32 s8, 0xa2f9836e
	v_mad_u64_u32 v[17:18], s[8:9], v25, s8, v[17:18]
	v_cmp_lt_u32_e64 s[8:9], 31, v26
	v_cndmask_b32_e64 v24, 0, v27, s[8:9]
	v_cndmask_b32_e32 v25, v23, v21, vcc
	v_cndmask_b32_e32 v17, v17, v22, vcc
	;; [unrolled: 1-line block ×3, first 2 shown]
	v_add_u32_e32 v24, v24, v26
	v_cndmask_b32_e64 v26, v17, v25, s[4:5]
	v_cndmask_b32_e64 v17, v18, v17, s[4:5]
	v_cndmask_b32_e32 v18, v22, v20, vcc
	v_cndmask_b32_e64 v22, v25, v18, s[4:5]
	v_cndmask_b32_e64 v17, v17, v26, s[8:9]
	;; [unrolled: 1-line block ×3, first 2 shown]
	v_sub_u32_e32 v25, 32, v24
	v_alignbit_b32 v26, v17, v23, v25
	v_cmp_eq_u32_e64 s[10:11], 0, v24
	v_cndmask_b32_e64 v24, v26, v17, s[10:11]
	v_cndmask_b32_e32 v17, v21, v19, vcc
	v_cndmask_b32_e64 v18, v18, v17, s[4:5]
	v_cndmask_b32_e64 v19, v22, v18, s[8:9]
	v_alignbit_b32 v21, v23, v19, v25
	v_cndmask_b32_e32 v16, v20, v16, vcc
	v_cndmask_b32_e64 v21, v21, v23, s[10:11]
	v_bfe_u32 v26, v24, 29, 1
	v_cndmask_b32_e64 v16, v17, v16, s[4:5]
	v_alignbit_b32 v22, v24, v21, 30
	v_sub_u32_e32 v27, 0, v26
	v_cndmask_b32_e64 v16, v18, v16, s[8:9]
	v_xor_b32_e32 v22, v22, v27
	v_alignbit_b32 v17, v19, v16, v25
	v_cndmask_b32_e64 v17, v17, v19, s[10:11]
	v_ffbh_u32_e32 v19, v22
	v_alignbit_b32 v18, v21, v17, 30
	v_min_u32_e32 v19, 32, v19
	v_alignbit_b32 v16, v17, v16, 30
	v_xor_b32_e32 v18, v18, v27
	v_sub_u32_e32 v20, 31, v19
	v_xor_b32_e32 v16, v16, v27
	v_alignbit_b32 v21, v22, v18, v20
	v_alignbit_b32 v16, v18, v16, v20
	;; [unrolled: 1-line block ×3, first 2 shown]
	v_ffbh_u32_e32 v18, v17
	v_min_u32_e32 v18, 32, v18
	v_lshrrev_b32_e32 v23, 29, v24
	v_not_b32_e32 v20, v18
	v_alignbit_b32 v16, v17, v16, v20
	v_lshlrev_b32_e32 v17, 31, v23
	v_or_b32_e32 v20, 0x33000000, v17
	v_add_lshl_u32 v18, v18, v19, 23
	v_lshrrev_b32_e32 v16, 9, v16
	v_sub_u32_e32 v18, v20, v18
	v_or_b32_e32 v17, 0.5, v17
	v_lshlrev_b32_e32 v19, 23, v19
	v_or_b32_e32 v16, v18, v16
	v_lshrrev_b32_e32 v18, 9, v21
	v_sub_u32_e32 v17, v17, v19
	v_or_b32_e32 v17, v18, v17
	s_mov_b32 s4, 0x3fc90fda
	v_mul_f32_e32 v18, 0x3fc90fda, v17
	v_fma_f32 v19, v17, s4, -v18
	v_fmac_f32_e32 v19, 0x33a22168, v17
	v_fmac_f32_e32 v19, 0x3fc90fda, v16
	v_lshrrev_b32_e32 v16, 30, v24
	v_add_f32_e32 v17, v18, v19
	v_add_u32_e32 v16, v26, v16
.LBB72_24:
	s_andn2_saveexec_b64 s[4:5], s[20:21]
	s_cbranch_execz .LBB72_26
; %bb.25:
	s_mov_b32 s8, 0x3f22f983
	v_mul_f32_e64 v16, |v11|, s8
	v_rndne_f32_e32 v18, v16
	s_mov_b32 s8, 0xbfc90fda
	v_cvt_i32_f32_e32 v16, v18
	v_fma_f32 v17, v18, s8, |v11|
	v_fmac_f32_e32 v17, 0xb3a22168, v18
	v_fmac_f32_e32 v17, 0xa7c234c4, v18
.LBB72_26:
	s_or_b64 exec, exec, s[4:5]
	v_mul_f32_e32 v18, v17, v17
	v_mov_b32_e32 v19, 0x3c0881c4
	v_fmac_f32_e32 v19, 0xb94c1982, v18
	v_mov_b32_e32 v20, 0xbe2aaa9d
	v_fmac_f32_e32 v20, v18, v19
	v_mul_f32_e32 v19, v18, v20
	v_fmac_f32_e32 v17, v17, v19
	v_mov_b32_e32 v19, 0xbab64f3b
	v_fmac_f32_e32 v19, 0x37d75334, v18
	v_mov_b32_e32 v20, 0x3d2aabf7
	;; [unrolled: 2-line block ×3, first 2 shown]
	v_fmac_f32_e32 v19, v18, v20
	v_fma_f32 v18, v18, v19, 1.0
	v_and_b32_e32 v19, 1, v16
	v_lshlrev_b32_e32 v16, 30, v16
	v_cmp_eq_u32_e32 vcc, 0, v19
	v_and_b32_e32 v16, 0x80000000, v16
	v_xor_b32_e32 v15, v15, v11
	v_cndmask_b32_e32 v17, v18, v17, vcc
	v_xor_b32_e32 v15, v15, v16
	s_movk_i32 s4, 0x1f8
	v_xor_b32_e32 v15, v15, v17
	v_mov_b32_e32 v16, 0x7fc00000
	v_cmp_class_f32_e64 vcc, v11, s4
	v_cndmask_b32_e32 v11, v16, v15, vcc
	v_mul_f32_e32 v11, v11, v11
	s_mov_b32 s8, 0xc11de9e7
	v_div_scale_f32 v15, s[4:5], v11, v11, s8
	v_div_scale_f32 v16, vcc, s8, v11, s8
	v_sub_f32_e32 v4, 1.0, v4
	v_rcp_f32_e32 v17, v15
	v_fma_f32 v18, -v15, v17, 1.0
	v_fmac_f32_e32 v17, v18, v17
	v_mul_f32_e32 v18, v16, v17
	v_fma_f32 v19, -v15, v18, v16
	v_fmac_f32_e32 v18, v19, v17
	v_fma_f32 v15, -v15, v18, v16
	v_div_fmas_f32 v15, v15, v17, v18
	v_div_fixup_f32 v11, v15, v11, s8
	v_add_f32_e32 v15, 0, v11
	v_mov_b32_e32 v11, -1.0
.LBB72_27:
	s_or_b64 exec, exec, s[14:15]
	s_waitcnt vmcnt(0)
	v_lshlrev_b32_e32 v20, 16, v1
	v_cmp_gt_f32_e32 vcc, 0.5, v20
	v_mov_b32_e32 v21, 0
	v_mov_b32_e32 v19, 1.0
	s_and_saveexec_b64 s[14:15], vcc
	s_cbranch_execz .LBB72_33
; %bb.28:
	v_mul_f32_e32 v16, 0x40490fdb, v20
	s_brev_b32 s4, 18
	v_and_b32_e32 v17, 0x7fffffff, v16
	v_cmp_nlt_f32_e64 s[4:5], |v16|, s4
                                        ; implicit-def: $vgpr18
                                        ; implicit-def: $vgpr19
	s_and_saveexec_b64 s[8:9], s[4:5]
	s_xor_b64 s[20:21], exec, s[8:9]
	s_cbranch_execz .LBB72_30
; %bb.29:
	v_and_b32_e32 v18, 0x7fffff, v17
	v_or_b32_e32 v29, 0x800000, v18
	s_mov_b32 s4, 0xfe5163ab
	v_mad_u64_u32 v[18:19], s[4:5], v29, s4, 0
	v_mov_b32_e32 v22, 0
	s_mov_b32 s4, 0x3c439041
	v_mov_b32_e32 v21, v19
	v_mad_u64_u32 v[23:24], s[4:5], v29, s4, v[21:22]
	s_mov_b32 s4, 0xdb629599
	v_lshrrev_b32_e32 v19, 23, v17
	v_mov_b32_e32 v21, v24
	v_mad_u64_u32 v[24:25], s[4:5], v29, s4, v[21:22]
	s_mov_b32 s4, 0xf534ddc0
	v_add_u32_e32 v19, 0xffffff88, v19
	v_mov_b32_e32 v21, v25
	v_mad_u64_u32 v[25:26], s[4:5], v29, s4, v[21:22]
	s_mov_b32 s4, 0xfc2757d1
	v_not_b32_e32 v28, 63
	v_mov_b32_e32 v21, v26
	v_mad_u64_u32 v[26:27], s[4:5], v29, s4, v[21:22]
	v_cmp_lt_u32_e32 vcc, 63, v19
	v_cndmask_b32_e32 v21, 0, v28, vcc
	v_add_u32_e32 v19, v21, v19
	v_mov_b32_e32 v21, v27
	s_mov_b32 s4, 0x4e441529
	v_mad_u64_u32 v[27:28], s[4:5], v29, s4, v[21:22]
	v_not_b32_e32 v30, 31
	v_cmp_lt_u32_e64 s[4:5], 31, v19
	v_cndmask_b32_e64 v21, 0, v30, s[4:5]
	v_add_u32_e32 v19, v21, v19
	v_mov_b32_e32 v21, v28
	s_mov_b32 s8, 0xa2f9836e
	v_mad_u64_u32 v[21:22], s[8:9], v29, s8, v[21:22]
	v_cmp_lt_u32_e64 s[8:9], 31, v19
	v_cndmask_b32_e64 v28, 0, v30, s[8:9]
	v_add_u32_e32 v19, v28, v19
	v_cndmask_b32_e32 v28, v27, v25, vcc
	v_cndmask_b32_e32 v21, v21, v26, vcc
	;; [unrolled: 1-line block ×3, first 2 shown]
	v_cndmask_b32_e64 v29, v21, v28, s[4:5]
	v_cndmask_b32_e64 v21, v22, v21, s[4:5]
	v_cndmask_b32_e32 v22, v26, v24, vcc
	v_cndmask_b32_e64 v26, v28, v22, s[4:5]
	v_sub_u32_e32 v28, 32, v19
	v_cmp_eq_u32_e64 s[10:11], 0, v19
	v_cndmask_b32_e32 v19, v25, v23, vcc
	v_cndmask_b32_e64 v21, v21, v29, s[8:9]
	v_cndmask_b32_e64 v27, v29, v26, s[8:9]
	;; [unrolled: 1-line block ×3, first 2 shown]
	v_alignbit_b32 v29, v21, v27, v28
	v_cndmask_b32_e64 v23, v26, v22, s[8:9]
	v_cndmask_b32_e64 v21, v29, v21, s[10:11]
	v_alignbit_b32 v25, v27, v23, v28
	v_cndmask_b32_e32 v18, v24, v18, vcc
	v_cndmask_b32_e64 v25, v25, v27, s[10:11]
	v_bfe_u32 v29, v21, 29, 1
	v_cndmask_b32_e64 v18, v19, v18, s[4:5]
	v_alignbit_b32 v26, v21, v25, 30
	v_sub_u32_e32 v30, 0, v29
	v_cndmask_b32_e64 v18, v22, v18, s[8:9]
	v_xor_b32_e32 v26, v26, v30
	v_alignbit_b32 v19, v23, v18, v28
	v_cndmask_b32_e64 v19, v19, v23, s[10:11]
	v_ffbh_u32_e32 v23, v26
	v_alignbit_b32 v22, v25, v19, 30
	v_min_u32_e32 v23, 32, v23
	v_alignbit_b32 v18, v19, v18, 30
	v_xor_b32_e32 v22, v22, v30
	v_sub_u32_e32 v24, 31, v23
	v_xor_b32_e32 v18, v18, v30
	v_alignbit_b32 v25, v26, v22, v24
	v_alignbit_b32 v18, v22, v18, v24
	;; [unrolled: 1-line block ×3, first 2 shown]
	v_ffbh_u32_e32 v22, v19
	v_min_u32_e32 v22, 32, v22
	v_lshrrev_b32_e32 v27, 29, v21
	v_not_b32_e32 v24, v22
	v_alignbit_b32 v18, v19, v18, v24
	v_lshlrev_b32_e32 v19, 31, v27
	v_or_b32_e32 v24, 0x33000000, v19
	v_add_lshl_u32 v22, v22, v23, 23
	v_lshrrev_b32_e32 v18, 9, v18
	v_sub_u32_e32 v22, v24, v22
	v_or_b32_e32 v19, 0.5, v19
	v_lshlrev_b32_e32 v23, 23, v23
	v_or_b32_e32 v18, v22, v18
	v_lshrrev_b32_e32 v22, 9, v25
	v_sub_u32_e32 v19, v19, v23
	v_or_b32_e32 v19, v22, v19
	s_mov_b32 s4, 0x3fc90fda
	v_mul_f32_e32 v22, 0x3fc90fda, v19
	v_fma_f32 v23, v19, s4, -v22
	v_fmac_f32_e32 v23, 0x33a22168, v19
	v_fmac_f32_e32 v23, 0x3fc90fda, v18
	v_lshrrev_b32_e32 v18, 30, v21
	v_add_f32_e32 v19, v22, v23
	v_add_u32_e32 v18, v29, v18
.LBB72_30:
	s_andn2_saveexec_b64 s[4:5], s[20:21]
	s_cbranch_execz .LBB72_32
; %bb.31:
	s_mov_b32 s8, 0x3f22f983
	v_mul_f32_e64 v18, |v16|, s8
	v_rndne_f32_e32 v21, v18
	s_mov_b32 s8, 0xbfc90fda
	v_cvt_i32_f32_e32 v18, v21
	v_fma_f32 v19, v21, s8, |v16|
	v_fmac_f32_e32 v19, 0xb3a22168, v21
	v_fmac_f32_e32 v19, 0xa7c234c4, v21
.LBB72_32:
	s_or_b64 exec, exec, s[4:5]
	v_mul_f32_e32 v21, v19, v19
	v_mov_b32_e32 v22, 0x3c0881c4
	v_fmac_f32_e32 v22, 0xb94c1982, v21
	v_mov_b32_e32 v23, 0xbe2aaa9d
	v_fmac_f32_e32 v23, v21, v22
	v_mul_f32_e32 v22, v21, v23
	v_fmac_f32_e32 v19, v19, v22
	v_mov_b32_e32 v22, 0xbab64f3b
	v_fmac_f32_e32 v22, 0x37d75334, v21
	v_mov_b32_e32 v23, 0x3d2aabf7
	;; [unrolled: 2-line block ×3, first 2 shown]
	v_fmac_f32_e32 v22, v21, v23
	v_fma_f32 v21, v21, v22, 1.0
	v_and_b32_e32 v22, 1, v18
	v_lshlrev_b32_e32 v18, 30, v18
	v_cmp_eq_u32_e32 vcc, 0, v22
	v_and_b32_e32 v18, 0x80000000, v18
	v_xor_b32_e32 v17, v17, v16
	v_cndmask_b32_e32 v19, v21, v19, vcc
	v_xor_b32_e32 v17, v17, v18
	s_movk_i32 s4, 0x1f8
	v_xor_b32_e32 v17, v17, v19
	v_mov_b32_e32 v18, 0x7fc00000
	v_cmp_class_f32_e64 vcc, v16, s4
	v_cndmask_b32_e32 v16, v18, v17, vcc
	v_mul_f32_e32 v16, v16, v16
	s_mov_b32 s8, 0xc11de9e7
	v_div_scale_f32 v17, s[4:5], v16, v16, s8
	v_div_scale_f32 v18, vcc, s8, v16, s8
	v_sub_f32_e32 v20, 1.0, v20
	v_rcp_f32_e32 v19, v17
	v_fma_f32 v21, -v17, v19, 1.0
	v_fmac_f32_e32 v19, v21, v19
	v_mul_f32_e32 v21, v18, v19
	v_fma_f32 v22, -v17, v21, v18
	v_fmac_f32_e32 v21, v22, v19
	v_fma_f32 v17, -v17, v21, v18
	v_div_fmas_f32 v17, v17, v19, v21
	v_mov_b32_e32 v19, -1.0
	v_div_fixup_f32 v16, v17, v16, s8
	v_add_f32_e32 v21, 0, v16
.LBB72_33:
	s_or_b64 exec, exec, s[14:15]
	v_and_b32_e32 v1, 0xffff0000, v1
	v_cmp_gt_f32_e32 vcc, 0.5, v1
	v_mov_b32_e32 v25, 0
	v_mov_b32_e32 v23, 1.0
	s_and_saveexec_b64 s[14:15], vcc
	s_cbranch_execz .LBB72_39
; %bb.34:
	v_mul_f32_e32 v16, 0x40490fdb, v1
	s_brev_b32 s4, 18
	v_and_b32_e32 v17, 0x7fffffff, v16
	v_cmp_nlt_f32_e64 s[4:5], |v16|, s4
                                        ; implicit-def: $vgpr18
                                        ; implicit-def: $vgpr22
	s_and_saveexec_b64 s[8:9], s[4:5]
	s_xor_b64 s[20:21], exec, s[8:9]
	s_cbranch_execz .LBB72_36
; %bb.35:
	v_and_b32_e32 v18, 0x7fffff, v17
	v_or_b32_e32 v18, 0x800000, v18
	s_mov_b32 s4, 0xfe5163ab
	v_mad_u64_u32 v[22:23], s[4:5], v18, s4, 0
	v_mov_b32_e32 v24, 0
	s_mov_b32 s4, 0x3c439041
	v_mad_u64_u32 v[25:26], s[4:5], v18, s4, v[23:24]
	s_mov_b32 s4, 0xdb629599
	v_not_b32_e32 v30, 63
	v_mov_b32_e32 v23, v26
	v_mad_u64_u32 v[26:27], s[4:5], v18, s4, v[23:24]
	s_mov_b32 s4, 0xf534ddc0
	v_not_b32_e32 v32, 31
	v_mov_b32_e32 v23, v27
	v_mad_u64_u32 v[27:28], s[4:5], v18, s4, v[23:24]
	v_lshrrev_b32_e32 v23, 23, v17
	v_add_u32_e32 v31, 0xffffff88, v23
	v_mov_b32_e32 v23, v28
	s_mov_b32 s4, 0xfc2757d1
	v_mad_u64_u32 v[28:29], s[4:5], v18, s4, v[23:24]
	v_cmp_lt_u32_e32 vcc, 63, v31
	v_cndmask_b32_e32 v23, 0, v30, vcc
	v_add_u32_e32 v31, v23, v31
	v_mov_b32_e32 v23, v29
	s_mov_b32 s4, 0x4e441529
	v_mad_u64_u32 v[29:30], s[4:5], v18, s4, v[23:24]
	v_cmp_lt_u32_e64 s[4:5], 31, v31
	v_cndmask_b32_e64 v23, 0, v32, s[4:5]
	v_add_u32_e32 v31, v23, v31
	v_mov_b32_e32 v23, v30
	s_mov_b32 s8, 0xa2f9836e
	v_mad_u64_u32 v[23:24], s[8:9], v18, s8, v[23:24]
	v_cmp_lt_u32_e64 s[8:9], 31, v31
	v_cndmask_b32_e64 v18, 0, v32, s[8:9]
	v_cndmask_b32_e32 v30, v29, v27, vcc
	v_cndmask_b32_e32 v23, v23, v28, vcc
	;; [unrolled: 1-line block ×3, first 2 shown]
	v_add_u32_e32 v18, v18, v31
	v_cndmask_b32_e64 v31, v23, v30, s[4:5]
	v_cndmask_b32_e64 v23, v24, v23, s[4:5]
	v_cndmask_b32_e32 v24, v28, v26, vcc
	v_cndmask_b32_e64 v28, v30, v24, s[4:5]
	v_cndmask_b32_e64 v23, v23, v31, s[8:9]
	v_cndmask_b32_e64 v29, v31, v28, s[8:9]
	v_sub_u32_e32 v30, 32, v18
	v_alignbit_b32 v31, v23, v29, v30
	v_cmp_eq_u32_e64 s[10:11], 0, v18
	v_cndmask_b32_e64 v18, v31, v23, s[10:11]
	v_cndmask_b32_e32 v23, v27, v25, vcc
	v_cndmask_b32_e64 v24, v24, v23, s[4:5]
	v_cndmask_b32_e64 v25, v28, v24, s[8:9]
	v_alignbit_b32 v27, v29, v25, v30
	v_cndmask_b32_e32 v22, v26, v22, vcc
	v_cndmask_b32_e64 v27, v27, v29, s[10:11]
	v_bfe_u32 v31, v18, 29, 1
	v_cndmask_b32_e64 v22, v23, v22, s[4:5]
	v_alignbit_b32 v28, v18, v27, 30
	v_sub_u32_e32 v32, 0, v31
	v_cndmask_b32_e64 v22, v24, v22, s[8:9]
	v_xor_b32_e32 v28, v28, v32
	v_alignbit_b32 v23, v25, v22, v30
	v_cndmask_b32_e64 v23, v23, v25, s[10:11]
	v_ffbh_u32_e32 v25, v28
	v_alignbit_b32 v24, v27, v23, 30
	v_min_u32_e32 v25, 32, v25
	v_alignbit_b32 v22, v23, v22, 30
	v_xor_b32_e32 v24, v24, v32
	v_sub_u32_e32 v26, 31, v25
	v_xor_b32_e32 v22, v22, v32
	v_alignbit_b32 v27, v28, v24, v26
	v_alignbit_b32 v22, v24, v22, v26
	;; [unrolled: 1-line block ×3, first 2 shown]
	v_ffbh_u32_e32 v24, v23
	v_min_u32_e32 v24, 32, v24
	v_lshrrev_b32_e32 v29, 29, v18
	v_not_b32_e32 v26, v24
	v_alignbit_b32 v22, v23, v22, v26
	v_lshlrev_b32_e32 v23, 31, v29
	v_or_b32_e32 v26, 0x33000000, v23
	v_add_lshl_u32 v24, v24, v25, 23
	v_lshrrev_b32_e32 v22, 9, v22
	v_sub_u32_e32 v24, v26, v24
	v_or_b32_e32 v23, 0.5, v23
	v_lshlrev_b32_e32 v25, 23, v25
	v_or_b32_e32 v22, v24, v22
	v_lshrrev_b32_e32 v24, 9, v27
	v_sub_u32_e32 v23, v23, v25
	v_or_b32_e32 v23, v24, v23
	s_mov_b32 s4, 0x3fc90fda
	v_mul_f32_e32 v24, 0x3fc90fda, v23
	v_fma_f32 v25, v23, s4, -v24
	v_fmac_f32_e32 v25, 0x33a22168, v23
	v_fmac_f32_e32 v25, 0x3fc90fda, v22
	v_lshrrev_b32_e32 v18, 30, v18
	v_add_f32_e32 v22, v24, v25
	v_add_u32_e32 v18, v31, v18
.LBB72_36:
	s_andn2_saveexec_b64 s[4:5], s[20:21]
	s_cbranch_execz .LBB72_38
; %bb.37:
	s_mov_b32 s8, 0x3f22f983
	v_mul_f32_e64 v18, |v16|, s8
	v_rndne_f32_e32 v23, v18
	s_mov_b32 s8, 0xbfc90fda
	v_cvt_i32_f32_e32 v18, v23
	v_fma_f32 v22, v23, s8, |v16|
	v_fmac_f32_e32 v22, 0xb3a22168, v23
	v_fmac_f32_e32 v22, 0xa7c234c4, v23
.LBB72_38:
	s_or_b64 exec, exec, s[4:5]
	v_mul_f32_e32 v23, v22, v22
	v_mov_b32_e32 v24, 0x3c0881c4
	v_fmac_f32_e32 v24, 0xb94c1982, v23
	v_mov_b32_e32 v25, 0xbe2aaa9d
	v_fmac_f32_e32 v25, v23, v24
	v_mul_f32_e32 v24, v23, v25
	v_fmac_f32_e32 v22, v22, v24
	v_mov_b32_e32 v24, 0xbab64f3b
	v_fmac_f32_e32 v24, 0x37d75334, v23
	v_mov_b32_e32 v25, 0x3d2aabf7
	;; [unrolled: 2-line block ×3, first 2 shown]
	v_fmac_f32_e32 v24, v23, v25
	v_fma_f32 v23, v23, v24, 1.0
	v_and_b32_e32 v24, 1, v18
	v_lshlrev_b32_e32 v18, 30, v18
	v_cmp_eq_u32_e32 vcc, 0, v24
	v_and_b32_e32 v18, 0x80000000, v18
	v_xor_b32_e32 v17, v17, v16
	v_cndmask_b32_e32 v22, v23, v22, vcc
	v_xor_b32_e32 v17, v17, v18
	s_movk_i32 s4, 0x1f8
	v_xor_b32_e32 v17, v17, v22
	v_mov_b32_e32 v18, 0x7fc00000
	v_cmp_class_f32_e64 vcc, v16, s4
	v_cndmask_b32_e32 v16, v18, v17, vcc
	v_mul_f32_e32 v16, v16, v16
	s_mov_b32 s8, 0xc11de9e7
	v_div_scale_f32 v17, s[4:5], v16, v16, s8
	v_div_scale_f32 v18, vcc, s8, v16, s8
	v_sub_f32_e32 v1, 1.0, v1
	v_rcp_f32_e32 v22, v17
	v_fma_f32 v23, -v17, v22, 1.0
	v_fmac_f32_e32 v22, v23, v22
	v_mul_f32_e32 v23, v18, v22
	v_fma_f32 v24, -v17, v23, v18
	v_fmac_f32_e32 v23, v24, v22
	v_fma_f32 v17, -v17, v23, v18
	v_div_fmas_f32 v17, v17, v22, v23
	v_mov_b32_e32 v23, -1.0
	v_div_fixup_f32 v16, v17, v16, s8
	v_add_f32_e32 v25, 0, v16
.LBB72_39:
	s_or_b64 exec, exec, s[14:15]
	v_lshlrev_b32_e32 v22, 16, v2
	v_cmp_gt_f32_e32 vcc, 0.5, v22
	v_mov_b32_e32 v26, 0
	v_mov_b32_e32 v24, 1.0
	s_and_saveexec_b64 s[14:15], vcc
	s_cbranch_execz .LBB72_45
; %bb.40:
	v_mul_f32_e32 v16, 0x40490fdb, v22
	s_brev_b32 s4, 18
	v_and_b32_e32 v17, 0x7fffffff, v16
	v_cmp_nlt_f32_e64 s[4:5], |v16|, s4
                                        ; implicit-def: $vgpr18
                                        ; implicit-def: $vgpr24
	s_and_saveexec_b64 s[8:9], s[4:5]
	s_xor_b64 s[20:21], exec, s[8:9]
	s_cbranch_execz .LBB72_42
; %bb.41:
	v_and_b32_e32 v18, 0x7fffff, v17
	v_or_b32_e32 v18, 0x800000, v18
	s_mov_b32 s4, 0xfe5163ab
	v_mad_u64_u32 v[26:27], s[4:5], v18, s4, 0
	v_mov_b32_e32 v28, 0
	s_mov_b32 s4, 0x3c439041
	v_mad_u64_u32 v[29:30], s[4:5], v18, s4, v[27:28]
	s_mov_b32 s4, 0xdb629599
	v_lshrrev_b32_e32 v24, 23, v17
	v_mov_b32_e32 v27, v30
	v_mad_u64_u32 v[30:31], s[4:5], v18, s4, v[27:28]
	s_mov_b32 s4, 0xf534ddc0
	v_add_u32_e32 v24, 0xffffff88, v24
	v_mov_b32_e32 v27, v31
	v_mad_u64_u32 v[31:32], s[4:5], v18, s4, v[27:28]
	s_mov_b32 s4, 0xfc2757d1
	v_not_b32_e32 v34, 63
	v_mov_b32_e32 v27, v32
	v_mad_u64_u32 v[32:33], s[4:5], v18, s4, v[27:28]
	v_cmp_lt_u32_e32 vcc, 63, v24
	v_cndmask_b32_e32 v27, 0, v34, vcc
	v_add_u32_e32 v24, v27, v24
	v_mov_b32_e32 v27, v33
	s_mov_b32 s4, 0x4e441529
	v_mad_u64_u32 v[33:34], s[4:5], v18, s4, v[27:28]
	v_not_b32_e32 v35, 31
	v_cmp_lt_u32_e64 s[4:5], 31, v24
	v_cndmask_b32_e64 v27, 0, v35, s[4:5]
	v_add_u32_e32 v24, v27, v24
	v_mov_b32_e32 v27, v34
	s_mov_b32 s8, 0xa2f9836e
	v_mad_u64_u32 v[27:28], s[8:9], v18, s8, v[27:28]
	v_cmp_lt_u32_e64 s[8:9], 31, v24
	v_cndmask_b32_e64 v18, 0, v35, s[8:9]
	v_add_u32_e32 v18, v18, v24
	v_cndmask_b32_e32 v24, v33, v31, vcc
	v_cndmask_b32_e32 v27, v27, v32, vcc
	;; [unrolled: 1-line block ×3, first 2 shown]
	v_cndmask_b32_e64 v34, v27, v24, s[4:5]
	v_cndmask_b32_e64 v27, v28, v27, s[4:5]
	v_cndmask_b32_e32 v28, v32, v30, vcc
	v_cndmask_b32_e64 v24, v24, v28, s[4:5]
	v_cndmask_b32_e64 v27, v27, v34, s[8:9]
	;; [unrolled: 1-line block ×3, first 2 shown]
	v_sub_u32_e32 v33, 32, v18
	v_alignbit_b32 v34, v27, v32, v33
	v_cmp_eq_u32_e64 s[10:11], 0, v18
	v_cndmask_b32_e64 v18, v34, v27, s[10:11]
	v_cndmask_b32_e32 v27, v31, v29, vcc
	v_cndmask_b32_e64 v28, v28, v27, s[4:5]
	v_cndmask_b32_e64 v24, v24, v28, s[8:9]
	v_alignbit_b32 v29, v32, v24, v33
	v_cndmask_b32_e32 v26, v30, v26, vcc
	v_cndmask_b32_e64 v29, v29, v32, s[10:11]
	v_bfe_u32 v34, v18, 29, 1
	v_cndmask_b32_e64 v26, v27, v26, s[4:5]
	v_alignbit_b32 v31, v18, v29, 30
	v_sub_u32_e32 v35, 0, v34
	v_cndmask_b32_e64 v26, v28, v26, s[8:9]
	v_xor_b32_e32 v31, v31, v35
	v_alignbit_b32 v27, v24, v26, v33
	v_cndmask_b32_e64 v24, v27, v24, s[10:11]
	v_ffbh_u32_e32 v28, v31
	v_alignbit_b32 v27, v29, v24, 30
	v_min_u32_e32 v28, 32, v28
	v_alignbit_b32 v24, v24, v26, 30
	v_xor_b32_e32 v27, v27, v35
	v_sub_u32_e32 v29, 31, v28
	v_xor_b32_e32 v24, v24, v35
	v_alignbit_b32 v30, v31, v27, v29
	v_alignbit_b32 v24, v27, v24, v29
	;; [unrolled: 1-line block ×3, first 2 shown]
	v_ffbh_u32_e32 v27, v26
	v_min_u32_e32 v27, 32, v27
	v_lshrrev_b32_e32 v32, 29, v18
	v_not_b32_e32 v29, v27
	v_alignbit_b32 v24, v26, v24, v29
	v_lshlrev_b32_e32 v26, 31, v32
	v_or_b32_e32 v29, 0x33000000, v26
	v_add_lshl_u32 v27, v27, v28, 23
	v_lshrrev_b32_e32 v24, 9, v24
	v_sub_u32_e32 v27, v29, v27
	v_or_b32_e32 v26, 0.5, v26
	v_lshlrev_b32_e32 v28, 23, v28
	v_or_b32_e32 v24, v27, v24
	v_lshrrev_b32_e32 v27, 9, v30
	v_sub_u32_e32 v26, v26, v28
	v_or_b32_e32 v26, v27, v26
	s_mov_b32 s4, 0x3fc90fda
	v_mul_f32_e32 v27, 0x3fc90fda, v26
	v_fma_f32 v28, v26, s4, -v27
	v_fmac_f32_e32 v28, 0x33a22168, v26
	v_fmac_f32_e32 v28, 0x3fc90fda, v24
	v_lshrrev_b32_e32 v18, 30, v18
	v_add_f32_e32 v24, v27, v28
	v_add_u32_e32 v18, v34, v18
.LBB72_42:
	s_andn2_saveexec_b64 s[4:5], s[20:21]
	s_cbranch_execz .LBB72_44
; %bb.43:
	s_mov_b32 s8, 0x3f22f983
	v_mul_f32_e64 v18, |v16|, s8
	v_rndne_f32_e32 v26, v18
	s_mov_b32 s8, 0xbfc90fda
	v_cvt_i32_f32_e32 v18, v26
	v_fma_f32 v24, v26, s8, |v16|
	v_fmac_f32_e32 v24, 0xb3a22168, v26
	v_fmac_f32_e32 v24, 0xa7c234c4, v26
.LBB72_44:
	s_or_b64 exec, exec, s[4:5]
	v_mul_f32_e32 v26, v24, v24
	v_mov_b32_e32 v27, 0x3c0881c4
	v_fmac_f32_e32 v27, 0xb94c1982, v26
	v_mov_b32_e32 v28, 0xbe2aaa9d
	v_fmac_f32_e32 v28, v26, v27
	v_mul_f32_e32 v27, v26, v28
	v_fmac_f32_e32 v24, v24, v27
	v_mov_b32_e32 v27, 0xbab64f3b
	v_fmac_f32_e32 v27, 0x37d75334, v26
	v_mov_b32_e32 v28, 0x3d2aabf7
	;; [unrolled: 2-line block ×3, first 2 shown]
	v_fmac_f32_e32 v27, v26, v28
	v_fma_f32 v26, v26, v27, 1.0
	v_and_b32_e32 v27, 1, v18
	v_lshlrev_b32_e32 v18, 30, v18
	v_cmp_eq_u32_e32 vcc, 0, v27
	v_and_b32_e32 v18, 0x80000000, v18
	v_xor_b32_e32 v17, v17, v16
	v_cndmask_b32_e32 v24, v26, v24, vcc
	v_xor_b32_e32 v17, v17, v18
	s_movk_i32 s4, 0x1f8
	v_xor_b32_e32 v17, v17, v24
	v_mov_b32_e32 v18, 0x7fc00000
	v_cmp_class_f32_e64 vcc, v16, s4
	v_cndmask_b32_e32 v16, v18, v17, vcc
	v_mul_f32_e32 v16, v16, v16
	s_mov_b32 s8, 0xc11de9e7
	v_div_scale_f32 v17, s[4:5], v16, v16, s8
	v_div_scale_f32 v18, vcc, s8, v16, s8
	v_sub_f32_e32 v22, 1.0, v22
	v_rcp_f32_e32 v24, v17
	v_fma_f32 v26, -v17, v24, 1.0
	v_fmac_f32_e32 v24, v26, v24
	v_mul_f32_e32 v26, v18, v24
	v_fma_f32 v27, -v17, v26, v18
	v_fmac_f32_e32 v26, v27, v24
	v_fma_f32 v17, -v17, v26, v18
	v_div_fmas_f32 v17, v17, v24, v26
	v_mov_b32_e32 v24, -1.0
	v_div_fixup_f32 v16, v17, v16, s8
	v_add_f32_e32 v26, 0, v16
.LBB72_45:
	s_or_b64 exec, exec, s[14:15]
	v_and_b32_e32 v17, 0xffff0000, v2
	v_cmp_gt_f32_e32 vcc, 0.5, v17
	v_mov_b32_e32 v18, 0
	v_mov_b32_e32 v16, 1.0
	s_and_saveexec_b64 s[14:15], vcc
	s_cbranch_execz .LBB72_51
; %bb.46:
	v_mul_f32_e32 v2, 0x40490fdb, v17
	s_brev_b32 s4, 18
	v_and_b32_e32 v16, 0x7fffffff, v2
	v_cmp_nlt_f32_e64 s[4:5], |v2|, s4
                                        ; implicit-def: $vgpr18
                                        ; implicit-def: $vgpr27
	s_and_saveexec_b64 s[8:9], s[4:5]
	s_xor_b64 s[20:21], exec, s[8:9]
	s_cbranch_execz .LBB72_48
; %bb.47:
	v_and_b32_e32 v18, 0x7fffff, v16
	v_or_b32_e32 v18, 0x800000, v18
	s_mov_b32 s4, 0xfe5163ab
	v_mad_u64_u32 v[27:28], s[4:5], v18, s4, 0
	v_mov_b32_e32 v29, 0
	s_mov_b32 s4, 0x3c439041
	v_mad_u64_u32 v[30:31], s[4:5], v18, s4, v[28:29]
	s_mov_b32 s4, 0xdb629599
	v_not_b32_e32 v35, 63
	v_mov_b32_e32 v28, v31
	v_mad_u64_u32 v[31:32], s[4:5], v18, s4, v[28:29]
	s_mov_b32 s4, 0xf534ddc0
	v_not_b32_e32 v37, 31
	v_mov_b32_e32 v28, v32
	v_mad_u64_u32 v[32:33], s[4:5], v18, s4, v[28:29]
	v_lshrrev_b32_e32 v28, 23, v16
	v_add_u32_e32 v36, 0xffffff88, v28
	v_mov_b32_e32 v28, v33
	s_mov_b32 s4, 0xfc2757d1
	v_mad_u64_u32 v[33:34], s[4:5], v18, s4, v[28:29]
	v_cmp_lt_u32_e32 vcc, 63, v36
	v_cndmask_b32_e32 v28, 0, v35, vcc
	v_add_u32_e32 v36, v28, v36
	v_mov_b32_e32 v28, v34
	s_mov_b32 s4, 0x4e441529
	v_mad_u64_u32 v[34:35], s[4:5], v18, s4, v[28:29]
	v_cmp_lt_u32_e64 s[4:5], 31, v36
	v_cndmask_b32_e64 v28, 0, v37, s[4:5]
	v_add_u32_e32 v36, v28, v36
	v_mov_b32_e32 v28, v35
	s_mov_b32 s8, 0xa2f9836e
	v_mad_u64_u32 v[28:29], s[8:9], v18, s8, v[28:29]
	v_cmp_lt_u32_e64 s[8:9], 31, v36
	v_cndmask_b32_e64 v18, 0, v37, s[8:9]
	v_cndmask_b32_e32 v35, v34, v32, vcc
	v_cndmask_b32_e32 v28, v28, v33, vcc
	;; [unrolled: 1-line block ×3, first 2 shown]
	v_add_u32_e32 v18, v18, v36
	v_cndmask_b32_e64 v36, v28, v35, s[4:5]
	v_cndmask_b32_e64 v28, v29, v28, s[4:5]
	v_cndmask_b32_e32 v29, v33, v31, vcc
	v_cndmask_b32_e64 v33, v35, v29, s[4:5]
	v_cndmask_b32_e64 v28, v28, v36, s[8:9]
	;; [unrolled: 1-line block ×3, first 2 shown]
	v_sub_u32_e32 v35, 32, v18
	v_alignbit_b32 v36, v28, v34, v35
	v_cmp_eq_u32_e64 s[10:11], 0, v18
	v_cndmask_b32_e64 v18, v36, v28, s[10:11]
	v_cndmask_b32_e32 v28, v32, v30, vcc
	v_cndmask_b32_e64 v29, v29, v28, s[4:5]
	v_cndmask_b32_e64 v30, v33, v29, s[8:9]
	v_alignbit_b32 v32, v34, v30, v35
	v_cndmask_b32_e32 v27, v31, v27, vcc
	v_cndmask_b32_e64 v32, v32, v34, s[10:11]
	v_bfe_u32 v36, v18, 29, 1
	v_cndmask_b32_e64 v27, v28, v27, s[4:5]
	v_alignbit_b32 v33, v18, v32, 30
	v_sub_u32_e32 v37, 0, v36
	v_cndmask_b32_e64 v27, v29, v27, s[8:9]
	v_xor_b32_e32 v33, v33, v37
	v_alignbit_b32 v28, v30, v27, v35
	v_cndmask_b32_e64 v28, v28, v30, s[10:11]
	v_ffbh_u32_e32 v30, v33
	v_alignbit_b32 v29, v32, v28, 30
	v_min_u32_e32 v30, 32, v30
	v_alignbit_b32 v27, v28, v27, 30
	v_xor_b32_e32 v29, v29, v37
	v_sub_u32_e32 v31, 31, v30
	v_xor_b32_e32 v27, v27, v37
	v_alignbit_b32 v32, v33, v29, v31
	v_alignbit_b32 v27, v29, v27, v31
	;; [unrolled: 1-line block ×3, first 2 shown]
	v_ffbh_u32_e32 v29, v28
	v_min_u32_e32 v29, 32, v29
	v_lshrrev_b32_e32 v34, 29, v18
	v_not_b32_e32 v31, v29
	v_alignbit_b32 v27, v28, v27, v31
	v_lshlrev_b32_e32 v28, 31, v34
	v_or_b32_e32 v31, 0x33000000, v28
	v_add_lshl_u32 v29, v29, v30, 23
	v_lshrrev_b32_e32 v27, 9, v27
	v_sub_u32_e32 v29, v31, v29
	v_or_b32_e32 v28, 0.5, v28
	v_lshlrev_b32_e32 v30, 23, v30
	v_or_b32_e32 v27, v29, v27
	v_lshrrev_b32_e32 v29, 9, v32
	v_sub_u32_e32 v28, v28, v30
	v_or_b32_e32 v28, v29, v28
	s_mov_b32 s4, 0x3fc90fda
	v_mul_f32_e32 v29, 0x3fc90fda, v28
	v_fma_f32 v30, v28, s4, -v29
	v_fmac_f32_e32 v30, 0x33a22168, v28
	v_fmac_f32_e32 v30, 0x3fc90fda, v27
	v_lshrrev_b32_e32 v18, 30, v18
	v_add_f32_e32 v27, v29, v30
	v_add_u32_e32 v18, v36, v18
.LBB72_48:
	s_andn2_saveexec_b64 s[4:5], s[20:21]
	s_cbranch_execz .LBB72_50
; %bb.49:
	s_mov_b32 s8, 0x3f22f983
	v_mul_f32_e64 v18, |v2|, s8
	v_rndne_f32_e32 v28, v18
	s_mov_b32 s8, 0xbfc90fda
	v_cvt_i32_f32_e32 v18, v28
	v_fma_f32 v27, v28, s8, |v2|
	v_fmac_f32_e32 v27, 0xb3a22168, v28
	v_fmac_f32_e32 v27, 0xa7c234c4, v28
.LBB72_50:
	s_or_b64 exec, exec, s[4:5]
	v_mul_f32_e32 v28, v27, v27
	v_mov_b32_e32 v29, 0x3c0881c4
	v_fmac_f32_e32 v29, 0xb94c1982, v28
	v_mov_b32_e32 v30, 0xbe2aaa9d
	v_fmac_f32_e32 v30, v28, v29
	v_mul_f32_e32 v29, v28, v30
	v_fmac_f32_e32 v27, v27, v29
	v_mov_b32_e32 v29, 0xbab64f3b
	v_fmac_f32_e32 v29, 0x37d75334, v28
	v_mov_b32_e32 v30, 0x3d2aabf7
	;; [unrolled: 2-line block ×3, first 2 shown]
	v_fmac_f32_e32 v29, v28, v30
	v_fma_f32 v28, v28, v29, 1.0
	v_and_b32_e32 v29, 1, v18
	v_lshlrev_b32_e32 v18, 30, v18
	v_cmp_eq_u32_e32 vcc, 0, v29
	v_and_b32_e32 v18, 0x80000000, v18
	v_xor_b32_e32 v16, v16, v2
	v_cndmask_b32_e32 v27, v28, v27, vcc
	v_xor_b32_e32 v16, v16, v18
	s_movk_i32 s4, 0x1f8
	v_xor_b32_e32 v16, v16, v27
	v_mov_b32_e32 v18, 0x7fc00000
	v_cmp_class_f32_e64 vcc, v2, s4
	v_cndmask_b32_e32 v2, v18, v16, vcc
	v_mul_f32_e32 v2, v2, v2
	s_mov_b32 s8, 0xc11de9e7
	v_div_scale_f32 v16, s[4:5], v2, v2, s8
	v_div_scale_f32 v18, vcc, s8, v2, s8
	v_sub_f32_e32 v17, 1.0, v17
	v_rcp_f32_e32 v27, v16
	v_fma_f32 v28, -v16, v27, 1.0
	v_fmac_f32_e32 v27, v28, v27
	v_mul_f32_e32 v28, v18, v27
	v_fma_f32 v29, -v16, v28, v18
	v_fmac_f32_e32 v28, v29, v27
	v_fma_f32 v16, -v16, v28, v18
	v_div_fmas_f32 v16, v16, v27, v28
	v_div_fixup_f32 v2, v16, v2, s8
	v_add_f32_e32 v18, 0, v2
	v_mov_b32_e32 v16, -1.0
.LBB72_51:
	s_or_b64 exec, exec, s[14:15]
	v_mul_f32_e32 v2, v20, v20
	v_div_scale_f32 v27, s[4:5], v2, v2, 1.0
	v_add_f32_e32 v20, 1.0, v20
	v_rcp_f32_e32 v28, v27
	v_fma_f32 v29, -v27, v28, 1.0
	v_fmac_f32_e32 v28, v29, v28
	v_div_scale_f32 v29, vcc, 1.0, v2, 1.0
	v_mul_f32_e32 v30, v29, v28
	v_fma_f32 v31, -v27, v30, v29
	v_fmac_f32_e32 v30, v31, v28
	v_fma_f32 v27, -v27, v30, v29
	v_div_fmas_f32 v27, v27, v28, v30
	v_div_fixup_f32 v2, v27, v2, 1.0
	v_add_f32_e32 v2, v21, v2
	v_mul_f32_e32 v21, v20, v20
	v_div_scale_f32 v27, s[4:5], v21, v21, 1.0
	v_add_f32_e32 v20, 1.0, v20
	v_rcp_f32_e32 v28, v27
	v_fma_f32 v29, -v27, v28, 1.0
	v_fmac_f32_e32 v28, v29, v28
	v_div_scale_f32 v29, vcc, 1.0, v21, 1.0
	v_mul_f32_e32 v30, v29, v28
	v_fma_f32 v31, -v27, v30, v29
	v_fmac_f32_e32 v30, v31, v28
	v_fma_f32 v27, -v27, v30, v29
	v_div_fmas_f32 v27, v27, v28, v30
	v_div_fixup_f32 v21, v27, v21, 1.0
	v_add_f32_e32 v2, v2, v21
	;; [unrolled: 14-line block ×6, first 2 shown]
	v_add_f32_e32 v21, v20, v20
	v_div_scale_f32 v27, s[4:5], v21, v21, 1.0
	v_rcp_f32_e32 v28, v27
	v_fma_f32 v29, -v27, v28, 1.0
	v_fmac_f32_e32 v28, v29, v28
	v_div_scale_f32 v29, vcc, 1.0, v21, 1.0
	v_mul_f32_e32 v30, v29, v28
	v_fma_f32 v31, -v27, v30, v29
	v_fmac_f32_e32 v30, v31, v28
	v_fma_f32 v27, -v27, v30, v29
	v_div_fmas_f32 v27, v27, v28, v30
	v_div_fixup_f32 v21, v27, v21, 1.0
	v_add_f32_e32 v27, 1.0, v21
	v_mul_f32_e32 v21, v20, v20
	v_div_scale_f32 v28, s[4:5], v21, v21, 1.0
	s_mov_b32 s5, 0x3e2aaaab
	s_movk_i32 s4, 0x7fff
	v_rcp_f32_e32 v29, v28
	v_fma_f32 v30, -v28, v29, 1.0
	v_fmac_f32_e32 v29, v30, v29
	v_div_scale_f32 v30, vcc, 1.0, v21, 1.0
	v_mul_f32_e32 v31, v30, v29
	v_fma_f32 v32, -v28, v31, v30
	v_fmac_f32_e32 v31, v32, v29
	v_fma_f32 v28, -v28, v31, v30
	v_div_fmas_f32 v28, v28, v29, v31
	v_mov_b32_e32 v29, 0x3d088889
	v_div_fixup_f32 v28, v28, v21, 1.0
	v_fmac_f32_e32 v29, 0xbcc30c31, v28
	v_fma_f32 v29, -v28, v29, s5
	v_fmac_f32_e32 v27, v28, v29
	v_div_scale_f32 v28, s[8:9], v20, v20, v27
	v_mov_b32_e32 v21, 0x3d088889
	v_rcp_f32_e32 v29, v28
	v_fma_f32 v30, -v28, v29, 1.0
	v_fmac_f32_e32 v29, v30, v29
	v_div_scale_f32 v30, vcc, v27, v20, v27
	v_mul_f32_e32 v31, v30, v29
	v_fma_f32 v32, -v28, v31, v30
	v_fmac_f32_e32 v31, v32, v29
	v_fma_f32 v28, -v28, v31, v30
	v_div_fmas_f32 v28, v28, v29, v31
	v_div_fixup_f32 v20, v28, v20, v27
	v_add_f32_e32 v2, v2, v20
	v_mul_f32_e32 v2, v19, v2
	v_bfe_u32 v19, v2, 16, 1
	v_add3_u32 v19, v2, v19, s4
	v_lshrrev_b32_e32 v19, 16, v19
	v_cmp_o_f32_e32 vcc, v2, v2
	v_mov_b32_e32 v2, 0x7fc0
	v_cndmask_b32_e32 v20, v2, v19, vcc
	v_mul_f32_e32 v19, v1, v1
	v_div_scale_f32 v27, s[8:9], v19, v19, 1.0
	v_add_f32_e32 v1, 1.0, v1
	v_rcp_f32_e32 v28, v27
	v_fma_f32 v29, -v27, v28, 1.0
	v_fmac_f32_e32 v28, v29, v28
	v_div_scale_f32 v29, vcc, 1.0, v19, 1.0
	v_mul_f32_e32 v30, v29, v28
	v_fma_f32 v31, -v27, v30, v29
	v_fmac_f32_e32 v30, v31, v28
	v_fma_f32 v27, -v27, v30, v29
	v_div_fmas_f32 v27, v27, v28, v30
	v_div_fixup_f32 v19, v27, v19, 1.0
	v_add_f32_e32 v19, v25, v19
	v_mul_f32_e32 v25, v1, v1
	v_div_scale_f32 v27, s[8:9], v25, v25, 1.0
	v_add_f32_e32 v1, 1.0, v1
	v_rcp_f32_e32 v28, v27
	v_fma_f32 v29, -v27, v28, 1.0
	v_fmac_f32_e32 v28, v29, v28
	v_div_scale_f32 v29, vcc, 1.0, v25, 1.0
	v_mul_f32_e32 v30, v29, v28
	v_fma_f32 v31, -v27, v30, v29
	v_fmac_f32_e32 v30, v31, v28
	v_fma_f32 v27, -v27, v30, v29
	v_div_fmas_f32 v27, v27, v28, v30
	v_div_fixup_f32 v25, v27, v25, 1.0
	v_add_f32_e32 v19, v19, v25
	;; [unrolled: 14-line block ×6, first 2 shown]
	v_add_f32_e32 v25, v1, v1
	v_div_scale_f32 v27, s[8:9], v25, v25, 1.0
	v_rcp_f32_e32 v28, v27
	v_fma_f32 v29, -v27, v28, 1.0
	v_fmac_f32_e32 v28, v29, v28
	v_div_scale_f32 v29, vcc, 1.0, v25, 1.0
	v_mul_f32_e32 v30, v29, v28
	v_fma_f32 v31, -v27, v30, v29
	v_fmac_f32_e32 v30, v31, v28
	v_fma_f32 v27, -v27, v30, v29
	v_div_fmas_f32 v27, v27, v28, v30
	v_div_fixup_f32 v25, v27, v25, 1.0
	v_mul_f32_e32 v27, v1, v1
	v_div_scale_f32 v28, s[8:9], v27, v27, 1.0
	v_add_f32_e32 v25, 1.0, v25
	v_rcp_f32_e32 v29, v28
	v_fma_f32 v30, -v28, v29, 1.0
	v_fmac_f32_e32 v29, v30, v29
	v_div_scale_f32 v30, vcc, 1.0, v27, 1.0
	v_mul_f32_e32 v31, v30, v29
	v_fma_f32 v32, -v28, v31, v30
	v_fmac_f32_e32 v31, v32, v29
	v_fma_f32 v28, -v28, v31, v30
	v_div_fmas_f32 v28, v28, v29, v31
	v_div_fixup_f32 v27, v28, v27, 1.0
	v_mov_b32_e32 v28, 0x3d088889
	v_fmac_f32_e32 v28, 0xbcc30c31, v27
	v_fma_f32 v28, -v27, v28, s5
	v_fmac_f32_e32 v25, v27, v28
	v_div_scale_f32 v27, s[8:9], v1, v1, v25
	v_rcp_f32_e32 v28, v27
	v_fma_f32 v29, -v27, v28, 1.0
	v_fmac_f32_e32 v28, v29, v28
	v_div_scale_f32 v29, vcc, v25, v1, v25
	v_mul_f32_e32 v30, v29, v28
	v_fma_f32 v31, -v27, v30, v29
	v_fmac_f32_e32 v30, v31, v28
	v_fma_f32 v27, -v27, v30, v29
	v_div_fmas_f32 v27, v27, v28, v30
	v_div_fixup_f32 v1, v27, v1, v25
	v_add_f32_e32 v1, v19, v1
	v_mul_f32_e32 v1, v23, v1
	v_bfe_u32 v19, v1, 16, 1
	v_add3_u32 v19, v1, v19, s4
	v_and_b32_e32 v23, 0xffff0000, v19
	v_cmp_o_f32_e32 vcc, v1, v1
	v_mov_b32_e32 v19, 0x7fc00000
	v_cndmask_b32_e32 v1, v19, v23, vcc
	v_or_b32_e32 v20, v1, v20
	v_mul_f32_e32 v1, v22, v22
	v_div_scale_f32 v23, s[8:9], v1, v1, 1.0
	v_add_f32_e32 v22, 1.0, v22
	v_rcp_f32_e32 v25, v23
	v_fma_f32 v27, -v23, v25, 1.0
	v_fmac_f32_e32 v25, v27, v25
	v_div_scale_f32 v27, vcc, 1.0, v1, 1.0
	v_mul_f32_e32 v28, v27, v25
	v_fma_f32 v29, -v23, v28, v27
	v_fmac_f32_e32 v28, v29, v25
	v_fma_f32 v23, -v23, v28, v27
	v_div_fmas_f32 v23, v23, v25, v28
	v_div_fixup_f32 v1, v23, v1, 1.0
	v_mul_f32_e32 v23, v22, v22
	v_div_scale_f32 v25, s[8:9], v23, v23, 1.0
	v_add_f32_e32 v1, v26, v1
	v_add_f32_e32 v22, 1.0, v22
	v_rcp_f32_e32 v26, v25
	v_fma_f32 v27, -v25, v26, 1.0
	v_fmac_f32_e32 v26, v27, v26
	v_div_scale_f32 v27, vcc, 1.0, v23, 1.0
	v_mul_f32_e32 v28, v27, v26
	v_fma_f32 v29, -v25, v28, v27
	v_fmac_f32_e32 v28, v29, v26
	v_fma_f32 v25, -v25, v28, v27
	v_div_fmas_f32 v25, v25, v26, v28
	v_div_fixup_f32 v23, v25, v23, 1.0
	v_add_f32_e32 v1, v1, v23
	v_mul_f32_e32 v23, v22, v22
	v_div_scale_f32 v25, s[8:9], v23, v23, 1.0
	v_add_f32_e32 v22, 1.0, v22
	v_rcp_f32_e32 v26, v25
	v_fma_f32 v27, -v25, v26, 1.0
	v_fmac_f32_e32 v26, v27, v26
	v_div_scale_f32 v27, vcc, 1.0, v23, 1.0
	v_mul_f32_e32 v28, v27, v26
	v_fma_f32 v29, -v25, v28, v27
	v_fmac_f32_e32 v28, v29, v26
	v_fma_f32 v25, -v25, v28, v27
	v_div_fmas_f32 v25, v25, v26, v28
	v_div_fixup_f32 v23, v25, v23, 1.0
	v_add_f32_e32 v1, v1, v23
	v_mul_f32_e32 v23, v22, v22
	v_div_scale_f32 v25, s[8:9], v23, v23, 1.0
	;; [unrolled: 14-line block ×4, first 2 shown]
	v_add_f32_e32 v22, 1.0, v22
	v_rcp_f32_e32 v26, v25
	v_fma_f32 v27, -v25, v26, 1.0
	v_fmac_f32_e32 v26, v27, v26
	v_div_scale_f32 v27, vcc, 1.0, v23, 1.0
	v_mul_f32_e32 v28, v27, v26
	v_fma_f32 v29, -v25, v28, v27
	v_fmac_f32_e32 v28, v29, v26
	v_fma_f32 v25, -v25, v28, v27
	v_div_fmas_f32 v25, v25, v26, v28
	v_div_fixup_f32 v23, v25, v23, 1.0
	v_add_f32_e32 v1, v1, v23
	v_add_f32_e32 v23, v22, v22
	v_div_scale_f32 v25, s[8:9], v23, v23, 1.0
	v_rcp_f32_e32 v26, v25
	v_fma_f32 v27, -v25, v26, 1.0
	v_fmac_f32_e32 v26, v27, v26
	v_div_scale_f32 v27, vcc, 1.0, v23, 1.0
	v_mul_f32_e32 v28, v27, v26
	v_fma_f32 v29, -v25, v28, v27
	v_fmac_f32_e32 v28, v29, v26
	v_fma_f32 v25, -v25, v28, v27
	v_div_fmas_f32 v25, v25, v26, v28
	v_div_fixup_f32 v23, v25, v23, 1.0
	v_mul_f32_e32 v25, v22, v22
	v_div_scale_f32 v26, s[8:9], v25, v25, 1.0
	v_add_f32_e32 v23, 1.0, v23
	v_rcp_f32_e32 v27, v26
	v_fma_f32 v28, -v26, v27, 1.0
	v_fmac_f32_e32 v27, v28, v27
	v_div_scale_f32 v28, vcc, 1.0, v25, 1.0
	v_mul_f32_e32 v29, v28, v27
	v_fma_f32 v30, -v26, v29, v28
	v_fmac_f32_e32 v29, v30, v27
	v_fma_f32 v26, -v26, v29, v28
	v_div_fmas_f32 v26, v26, v27, v29
	v_div_fixup_f32 v25, v26, v25, 1.0
	v_mov_b32_e32 v26, 0x3d088889
	v_fmac_f32_e32 v26, 0xbcc30c31, v25
	v_fma_f32 v26, -v25, v26, s5
	v_fmac_f32_e32 v23, v25, v26
	v_div_scale_f32 v25, s[8:9], v22, v22, v23
	v_rcp_f32_e32 v26, v25
	v_fma_f32 v27, -v25, v26, 1.0
	v_fmac_f32_e32 v26, v27, v26
	v_div_scale_f32 v27, vcc, v23, v22, v23
	v_mul_f32_e32 v28, v27, v26
	v_fma_f32 v29, -v25, v28, v27
	v_fmac_f32_e32 v28, v29, v26
	v_fma_f32 v25, -v25, v28, v27
	v_div_fmas_f32 v25, v25, v26, v28
	v_div_fixup_f32 v22, v25, v22, v23
	v_add_f32_e32 v1, v1, v22
	v_mul_f32_e32 v1, v24, v1
	v_bfe_u32 v22, v1, 16, 1
	v_add3_u32 v22, v1, v22, s4
	v_cmp_o_f32_e32 vcc, v1, v1
	v_mul_f32_e32 v1, v6, v6
	v_div_scale_f32 v23, s[8:9], v1, v1, 1.0
	v_lshrrev_b32_e32 v22, 16, v22
	v_cndmask_b32_e32 v22, v2, v22, vcc
	v_add_f32_e32 v6, 1.0, v6
	v_rcp_f32_e32 v24, v23
	v_fma_f32 v25, -v23, v24, 1.0
	v_fmac_f32_e32 v24, v25, v24
	v_div_scale_f32 v25, vcc, 1.0, v1, 1.0
	v_mul_f32_e32 v26, v25, v24
	v_fma_f32 v27, -v23, v26, v25
	v_fmac_f32_e32 v26, v27, v24
	v_fma_f32 v23, -v23, v26, v25
	v_div_fmas_f32 v23, v23, v24, v26
	v_div_fixup_f32 v1, v23, v1, 1.0
	v_add_f32_e32 v1, v12, v1
	v_mul_f32_e32 v12, v6, v6
	v_div_scale_f32 v23, s[8:9], v12, v12, 1.0
	v_add_f32_e32 v6, 1.0, v6
	v_rcp_f32_e32 v24, v23
	v_fma_f32 v25, -v23, v24, 1.0
	v_fmac_f32_e32 v24, v25, v24
	v_div_scale_f32 v25, vcc, 1.0, v12, 1.0
	v_mul_f32_e32 v26, v25, v24
	v_fma_f32 v27, -v23, v26, v25
	v_fmac_f32_e32 v26, v27, v24
	v_fma_f32 v23, -v23, v26, v25
	v_div_fmas_f32 v23, v23, v24, v26
	v_div_fixup_f32 v12, v23, v12, 1.0
	v_add_f32_e32 v1, v1, v12
	v_mul_f32_e32 v12, v6, v6
	v_div_scale_f32 v23, s[8:9], v12, v12, 1.0
	;; [unrolled: 14-line block ×5, first 2 shown]
	v_add_f32_e32 v6, 1.0, v6
	v_rcp_f32_e32 v24, v23
	v_fma_f32 v25, -v23, v24, 1.0
	v_fmac_f32_e32 v24, v25, v24
	v_div_scale_f32 v25, vcc, 1.0, v12, 1.0
	v_mul_f32_e32 v26, v25, v24
	v_fma_f32 v27, -v23, v26, v25
	v_fmac_f32_e32 v26, v27, v24
	v_fma_f32 v23, -v23, v26, v25
	v_div_fmas_f32 v23, v23, v24, v26
	v_div_fixup_f32 v12, v23, v12, 1.0
	v_add_f32_e32 v1, v1, v12
	v_add_f32_e32 v12, v6, v6
	v_div_scale_f32 v23, s[8:9], v12, v12, 1.0
	v_rcp_f32_e32 v24, v23
	v_fma_f32 v25, -v23, v24, 1.0
	v_fmac_f32_e32 v24, v25, v24
	v_div_scale_f32 v25, vcc, 1.0, v12, 1.0
	v_mul_f32_e32 v26, v25, v24
	v_fma_f32 v27, -v23, v26, v25
	v_fmac_f32_e32 v26, v27, v24
	v_fma_f32 v23, -v23, v26, v25
	v_div_fmas_f32 v23, v23, v24, v26
	v_div_fixup_f32 v12, v23, v12, 1.0
	v_mul_f32_e32 v23, v6, v6
	v_div_scale_f32 v24, s[8:9], v23, v23, 1.0
	v_add_f32_e32 v12, 1.0, v12
	v_rcp_f32_e32 v25, v24
	v_fma_f32 v26, -v24, v25, 1.0
	v_fmac_f32_e32 v25, v26, v25
	v_div_scale_f32 v26, vcc, 1.0, v23, 1.0
	v_mul_f32_e32 v27, v26, v25
	v_fma_f32 v28, -v24, v27, v26
	v_fmac_f32_e32 v27, v28, v25
	v_fma_f32 v24, -v24, v27, v26
	v_div_fmas_f32 v24, v24, v25, v27
	v_div_fixup_f32 v23, v24, v23, 1.0
	v_mov_b32_e32 v24, 0x3d088889
	v_fmac_f32_e32 v24, 0xbcc30c31, v23
	v_fma_f32 v24, -v23, v24, s5
	v_fmac_f32_e32 v12, v23, v24
	v_div_scale_f32 v23, s[8:9], v6, v6, v12
	v_rcp_f32_e32 v24, v23
	v_fma_f32 v25, -v23, v24, 1.0
	v_fmac_f32_e32 v24, v25, v24
	v_div_scale_f32 v25, vcc, v12, v6, v12
	v_mul_f32_e32 v26, v25, v24
	v_fma_f32 v27, -v23, v26, v25
	v_fmac_f32_e32 v26, v27, v24
	v_fma_f32 v23, -v23, v26, v25
	v_div_fmas_f32 v23, v23, v24, v26
	v_div_fixup_f32 v6, v23, v6, v12
	v_add_f32_e32 v1, v1, v6
	v_mul_f32_e32 v1, v7, v1
	v_bfe_u32 v6, v1, 16, 1
	v_add3_u32 v6, v1, v6, s4
	v_lshrrev_b32_e32 v6, 16, v6
	v_cmp_o_f32_e32 vcc, v1, v1
	v_cndmask_b32_e32 v1, v2, v6, vcc
	v_mul_f32_e32 v6, v3, v3
	v_div_scale_f32 v7, s[8:9], v6, v6, 1.0
	v_add_f32_e32 v3, 1.0, v3
	v_rcp_f32_e32 v12, v7
	v_fma_f32 v23, -v7, v12, 1.0
	v_fmac_f32_e32 v12, v23, v12
	v_div_scale_f32 v23, vcc, 1.0, v6, 1.0
	v_mul_f32_e32 v24, v23, v12
	v_fma_f32 v25, -v7, v24, v23
	v_fmac_f32_e32 v24, v25, v12
	v_fma_f32 v7, -v7, v24, v23
	v_div_fmas_f32 v7, v7, v12, v24
	v_div_fixup_f32 v6, v7, v6, 1.0
	v_mul_f32_e32 v7, v3, v3
	v_div_scale_f32 v12, s[8:9], v7, v7, 1.0
	v_add_f32_e32 v6, v13, v6
	v_add_f32_e32 v3, 1.0, v3
	v_rcp_f32_e32 v13, v12
	v_fma_f32 v23, -v12, v13, 1.0
	v_fmac_f32_e32 v13, v23, v13
	v_div_scale_f32 v23, vcc, 1.0, v7, 1.0
	v_mul_f32_e32 v24, v23, v13
	v_fma_f32 v25, -v12, v24, v23
	v_fmac_f32_e32 v24, v25, v13
	v_fma_f32 v12, -v12, v24, v23
	v_div_fmas_f32 v12, v12, v13, v24
	v_div_fixup_f32 v7, v12, v7, 1.0
	v_add_f32_e32 v6, v6, v7
	v_mul_f32_e32 v7, v3, v3
	v_div_scale_f32 v12, s[8:9], v7, v7, 1.0
	v_add_f32_e32 v3, 1.0, v3
	v_rcp_f32_e32 v13, v12
	v_fma_f32 v23, -v12, v13, 1.0
	v_fmac_f32_e32 v13, v23, v13
	v_div_scale_f32 v23, vcc, 1.0, v7, 1.0
	v_mul_f32_e32 v24, v23, v13
	v_fma_f32 v25, -v12, v24, v23
	v_fmac_f32_e32 v24, v25, v13
	v_fma_f32 v12, -v12, v24, v23
	v_div_fmas_f32 v12, v12, v13, v24
	v_div_fixup_f32 v7, v12, v7, 1.0
	v_add_f32_e32 v6, v6, v7
	v_mul_f32_e32 v7, v3, v3
	v_div_scale_f32 v12, s[8:9], v7, v7, 1.0
	;; [unrolled: 14-line block ×4, first 2 shown]
	v_add_f32_e32 v3, 1.0, v3
	v_rcp_f32_e32 v13, v12
	v_fma_f32 v23, -v12, v13, 1.0
	v_fmac_f32_e32 v13, v23, v13
	v_div_scale_f32 v23, vcc, 1.0, v7, 1.0
	v_mul_f32_e32 v24, v23, v13
	v_fma_f32 v25, -v12, v24, v23
	v_fmac_f32_e32 v24, v25, v13
	v_fma_f32 v12, -v12, v24, v23
	v_div_fmas_f32 v12, v12, v13, v24
	v_div_fixup_f32 v7, v12, v7, 1.0
	v_add_f32_e32 v6, v6, v7
	v_add_f32_e32 v7, v3, v3
	v_div_scale_f32 v12, s[8:9], v7, v7, 1.0
	v_rcp_f32_e32 v13, v12
	v_fma_f32 v23, -v12, v13, 1.0
	v_fmac_f32_e32 v13, v23, v13
	v_div_scale_f32 v23, vcc, 1.0, v7, 1.0
	v_mul_f32_e32 v24, v23, v13
	v_fma_f32 v25, -v12, v24, v23
	v_fmac_f32_e32 v24, v25, v13
	v_fma_f32 v12, -v12, v24, v23
	v_div_fmas_f32 v12, v12, v13, v24
	v_div_fixup_f32 v7, v12, v7, 1.0
	v_mul_f32_e32 v12, v3, v3
	v_div_scale_f32 v13, s[8:9], v12, v12, 1.0
	v_add_f32_e32 v7, 1.0, v7
	v_rcp_f32_e32 v23, v13
	v_fma_f32 v24, -v13, v23, 1.0
	v_fmac_f32_e32 v23, v24, v23
	v_div_scale_f32 v24, vcc, 1.0, v12, 1.0
	v_mul_f32_e32 v25, v24, v23
	v_fma_f32 v26, -v13, v25, v24
	v_fmac_f32_e32 v25, v26, v23
	v_fma_f32 v13, -v13, v25, v24
	v_div_fmas_f32 v13, v13, v23, v25
	v_div_fixup_f32 v12, v13, v12, 1.0
	v_mov_b32_e32 v13, 0x3d088889
	v_fmac_f32_e32 v13, 0xbcc30c31, v12
	v_fma_f32 v13, -v12, v13, s5
	v_fmac_f32_e32 v7, v12, v13
	v_div_scale_f32 v12, s[8:9], v3, v3, v7
	v_rcp_f32_e32 v13, v12
	v_fma_f32 v23, -v12, v13, 1.0
	v_fmac_f32_e32 v13, v23, v13
	v_div_scale_f32 v23, vcc, v7, v3, v7
	v_mul_f32_e32 v24, v23, v13
	v_fma_f32 v25, -v12, v24, v23
	v_fmac_f32_e32 v24, v25, v13
	v_fma_f32 v12, -v12, v24, v23
	v_div_fmas_f32 v12, v12, v13, v24
	v_div_fixup_f32 v3, v12, v3, v7
	v_add_f32_e32 v3, v6, v3
	v_mul_f32_e32 v3, v9, v3
	v_bfe_u32 v6, v3, 16, 1
	v_add3_u32 v6, v3, v6, s4
	v_and_b32_e32 v6, 0xffff0000, v6
	v_cmp_o_f32_e32 vcc, v3, v3
	v_cndmask_b32_e32 v3, v19, v6, vcc
	v_or_b32_e32 v1, v3, v1
	v_mul_f32_e32 v3, v8, v8
	v_div_scale_f32 v6, s[8:9], v3, v3, 1.0
	v_or3_b32 v1, v1, 0, 0
	v_rcp_f32_e32 v7, v6
	v_fma_f32 v9, -v6, v7, 1.0
	v_fmac_f32_e32 v7, v9, v7
	v_div_scale_f32 v9, vcc, 1.0, v3, 1.0
	v_mul_f32_e32 v12, v9, v7
	v_fma_f32 v13, -v6, v12, v9
	v_fmac_f32_e32 v12, v13, v7
	v_fma_f32 v6, -v6, v12, v9
	v_div_fmas_f32 v6, v6, v7, v12
	v_div_fixup_f32 v3, v6, v3, 1.0
	v_add_f32_e32 v6, 1.0, v8
	v_mul_f32_e32 v7, v6, v6
	v_div_scale_f32 v8, s[8:9], v7, v7, 1.0
	v_add_f32_e32 v3, v14, v3
	v_add_f32_e32 v6, 1.0, v6
	v_rcp_f32_e32 v9, v8
	v_fma_f32 v12, -v8, v9, 1.0
	v_fmac_f32_e32 v9, v12, v9
	v_div_scale_f32 v12, vcc, 1.0, v7, 1.0
	v_mul_f32_e32 v13, v12, v9
	v_fma_f32 v14, -v8, v13, v12
	v_fmac_f32_e32 v13, v14, v9
	v_fma_f32 v8, -v8, v13, v12
	v_div_fmas_f32 v8, v8, v9, v13
	v_div_fixup_f32 v7, v8, v7, 1.0
	v_add_f32_e32 v3, v3, v7
	v_mul_f32_e32 v7, v6, v6
	v_div_scale_f32 v8, s[8:9], v7, v7, 1.0
	v_add_f32_e32 v6, 1.0, v6
	v_rcp_f32_e32 v9, v8
	v_fma_f32 v12, -v8, v9, 1.0
	v_fmac_f32_e32 v9, v12, v9
	v_div_scale_f32 v12, vcc, 1.0, v7, 1.0
	v_mul_f32_e32 v13, v12, v9
	v_fma_f32 v14, -v8, v13, v12
	v_fmac_f32_e32 v13, v14, v9
	v_fma_f32 v8, -v8, v13, v12
	v_div_fmas_f32 v8, v8, v9, v13
	v_div_fixup_f32 v7, v8, v7, 1.0
	v_add_f32_e32 v3, v3, v7
	v_mul_f32_e32 v7, v6, v6
	v_div_scale_f32 v8, s[8:9], v7, v7, 1.0
	;; [unrolled: 14-line block ×4, first 2 shown]
	v_add_f32_e32 v6, 1.0, v6
	v_rcp_f32_e32 v9, v8
	v_fma_f32 v12, -v8, v9, 1.0
	v_fmac_f32_e32 v9, v12, v9
	v_div_scale_f32 v12, vcc, 1.0, v7, 1.0
	v_mul_f32_e32 v13, v12, v9
	v_fma_f32 v14, -v8, v13, v12
	v_fmac_f32_e32 v13, v14, v9
	v_fma_f32 v8, -v8, v13, v12
	v_div_fmas_f32 v8, v8, v9, v13
	v_div_fixup_f32 v7, v8, v7, 1.0
	v_add_f32_e32 v3, v3, v7
	v_add_f32_e32 v7, v6, v6
	v_div_scale_f32 v8, s[8:9], v7, v7, 1.0
	v_rcp_f32_e32 v9, v8
	v_fma_f32 v12, -v8, v9, 1.0
	v_fmac_f32_e32 v9, v12, v9
	v_div_scale_f32 v12, vcc, 1.0, v7, 1.0
	v_mul_f32_e32 v13, v12, v9
	v_fma_f32 v14, -v8, v13, v12
	v_fmac_f32_e32 v13, v14, v9
	v_fma_f32 v8, -v8, v13, v12
	v_div_fmas_f32 v8, v8, v9, v13
	v_div_fixup_f32 v7, v8, v7, 1.0
	v_mul_f32_e32 v8, v6, v6
	v_div_scale_f32 v9, s[8:9], v8, v8, 1.0
	v_add_f32_e32 v7, 1.0, v7
	v_rcp_f32_e32 v12, v9
	v_fma_f32 v13, -v9, v12, 1.0
	v_fmac_f32_e32 v12, v13, v12
	v_div_scale_f32 v13, vcc, 1.0, v8, 1.0
	v_mul_f32_e32 v14, v13, v12
	v_fma_f32 v23, -v9, v14, v13
	v_fmac_f32_e32 v14, v23, v12
	v_fma_f32 v9, -v9, v14, v13
	v_div_fmas_f32 v9, v9, v12, v14
	v_div_fixup_f32 v8, v9, v8, 1.0
	v_mov_b32_e32 v9, 0x3d088889
	v_fmac_f32_e32 v9, 0xbcc30c31, v8
	v_fma_f32 v9, -v8, v9, s5
	v_fmac_f32_e32 v7, v8, v9
	v_div_scale_f32 v8, s[8:9], v6, v6, v7
	v_rcp_f32_e32 v9, v8
	v_fma_f32 v12, -v8, v9, 1.0
	v_fmac_f32_e32 v9, v12, v9
	v_div_scale_f32 v12, vcc, v7, v6, v7
	v_mul_f32_e32 v13, v12, v9
	v_fma_f32 v14, -v8, v13, v12
	v_fmac_f32_e32 v13, v14, v9
	v_fma_f32 v8, -v8, v13, v12
	v_div_fmas_f32 v8, v8, v9, v13
	v_div_fixup_f32 v6, v8, v6, v7
	v_add_f32_e32 v3, v3, v6
	v_mul_f32_e32 v3, v10, v3
	v_bfe_u32 v6, v3, 16, 1
	v_add3_u32 v6, v3, v6, s4
	v_lshrrev_b32_e32 v6, 16, v6
	v_cmp_o_f32_e32 vcc, v3, v3
	v_mul_f32_e32 v3, v4, v4
	v_cndmask_b32_e32 v2, v2, v6, vcc
	v_div_scale_f32 v6, s[8:9], v3, v3, 1.0
	v_add_f32_e32 v4, 1.0, v4
	v_rcp_f32_e32 v7, v6
	v_fma_f32 v8, -v6, v7, 1.0
	v_fmac_f32_e32 v7, v8, v7
	v_div_scale_f32 v8, vcc, 1.0, v3, 1.0
	v_mul_f32_e32 v9, v8, v7
	v_fma_f32 v10, -v6, v9, v8
	v_fmac_f32_e32 v9, v10, v7
	v_fma_f32 v6, -v6, v9, v8
	v_div_fmas_f32 v6, v6, v7, v9
	v_div_fixup_f32 v3, v6, v3, 1.0
	v_mul_f32_e32 v6, v4, v4
	v_div_scale_f32 v7, s[8:9], v6, v6, 1.0
	v_add_f32_e32 v3, v15, v3
	v_add_f32_e32 v4, 1.0, v4
	v_rcp_f32_e32 v8, v7
	v_fma_f32 v9, -v7, v8, 1.0
	v_fmac_f32_e32 v8, v9, v8
	v_div_scale_f32 v9, vcc, 1.0, v6, 1.0
	v_mul_f32_e32 v10, v9, v8
	v_fma_f32 v12, -v7, v10, v9
	v_fmac_f32_e32 v10, v12, v8
	v_fma_f32 v7, -v7, v10, v9
	v_div_fmas_f32 v7, v7, v8, v10
	v_div_fixup_f32 v6, v7, v6, 1.0
	v_add_f32_e32 v3, v3, v6
	v_mul_f32_e32 v6, v4, v4
	v_div_scale_f32 v7, s[8:9], v6, v6, 1.0
	v_add_f32_e32 v4, 1.0, v4
	v_rcp_f32_e32 v8, v7
	v_fma_f32 v9, -v7, v8, 1.0
	v_fmac_f32_e32 v8, v9, v8
	v_div_scale_f32 v9, vcc, 1.0, v6, 1.0
	v_mul_f32_e32 v10, v9, v8
	v_fma_f32 v12, -v7, v10, v9
	v_fmac_f32_e32 v10, v12, v8
	v_fma_f32 v7, -v7, v10, v9
	v_div_fmas_f32 v7, v7, v8, v10
	v_div_fixup_f32 v6, v7, v6, 1.0
	v_add_f32_e32 v3, v3, v6
	v_mul_f32_e32 v6, v4, v4
	v_div_scale_f32 v7, s[8:9], v6, v6, 1.0
	;; [unrolled: 14-line block ×4, first 2 shown]
	v_add_f32_e32 v4, 1.0, v4
	v_rcp_f32_e32 v8, v7
	v_fma_f32 v9, -v7, v8, 1.0
	v_fmac_f32_e32 v8, v9, v8
	v_div_scale_f32 v9, vcc, 1.0, v6, 1.0
	v_mul_f32_e32 v10, v9, v8
	v_fma_f32 v12, -v7, v10, v9
	v_fmac_f32_e32 v10, v12, v8
	v_fma_f32 v7, -v7, v10, v9
	v_div_fmas_f32 v7, v7, v8, v10
	v_div_fixup_f32 v6, v7, v6, 1.0
	v_add_f32_e32 v3, v3, v6
	v_add_f32_e32 v6, v4, v4
	v_div_scale_f32 v7, s[8:9], v6, v6, 1.0
	v_rcp_f32_e32 v8, v7
	v_fma_f32 v9, -v7, v8, 1.0
	v_fmac_f32_e32 v8, v9, v8
	v_div_scale_f32 v9, vcc, 1.0, v6, 1.0
	v_mul_f32_e32 v10, v9, v8
	v_fma_f32 v12, -v7, v10, v9
	v_fmac_f32_e32 v10, v12, v8
	v_fma_f32 v7, -v7, v10, v9
	v_div_fmas_f32 v7, v7, v8, v10
	v_div_fixup_f32 v6, v7, v6, 1.0
	v_mul_f32_e32 v7, v4, v4
	v_div_scale_f32 v8, s[8:9], v7, v7, 1.0
	v_add_f32_e32 v6, 1.0, v6
	v_rcp_f32_e32 v9, v8
	v_fma_f32 v10, -v8, v9, 1.0
	v_fmac_f32_e32 v9, v10, v9
	v_div_scale_f32 v10, vcc, 1.0, v7, 1.0
	v_mul_f32_e32 v12, v10, v9
	v_fma_f32 v13, -v8, v12, v10
	v_fmac_f32_e32 v12, v13, v9
	v_fma_f32 v8, -v8, v12, v10
	v_div_fmas_f32 v8, v8, v9, v12
	v_div_fixup_f32 v7, v8, v7, 1.0
	v_mov_b32_e32 v8, 0x3d088889
	v_fmac_f32_e32 v8, 0xbcc30c31, v7
	v_fma_f32 v8, -v7, v8, s5
	v_fmac_f32_e32 v6, v7, v8
	v_div_scale_f32 v7, s[8:9], v4, v4, v6
	v_rcp_f32_e32 v8, v7
	v_fma_f32 v9, -v7, v8, 1.0
	v_fmac_f32_e32 v8, v9, v8
	v_div_scale_f32 v9, vcc, v6, v4, v6
	v_mul_f32_e32 v10, v9, v8
	v_fma_f32 v12, -v7, v10, v9
	v_fmac_f32_e32 v10, v12, v8
	v_fma_f32 v7, -v7, v10, v9
	v_div_fmas_f32 v7, v7, v8, v10
	v_div_fixup_f32 v4, v7, v4, v6
	v_add_f32_e32 v3, v3, v4
	v_mul_f32_e32 v3, v11, v3
	v_bfe_u32 v4, v3, 16, 1
	v_add3_u32 v4, v3, v4, s4
	v_and_b32_e32 v4, 0xffff0000, v4
	v_cmp_o_f32_e32 vcc, v3, v3
	v_cndmask_b32_e32 v3, v19, v4, vcc
	v_or3_b32 v2, 0, v2, v3
	v_mul_f32_e32 v3, v17, v17
	v_div_scale_f32 v4, s[8:9], v3, v3, 1.0
	v_rcp_f32_e32 v6, v4
	v_fma_f32 v7, -v4, v6, 1.0
	v_fmac_f32_e32 v6, v7, v6
	v_div_scale_f32 v7, vcc, 1.0, v3, 1.0
	v_mul_f32_e32 v8, v7, v6
	v_fma_f32 v9, -v4, v8, v7
	v_fmac_f32_e32 v8, v9, v6
	v_fma_f32 v4, -v4, v8, v7
	v_div_fmas_f32 v4, v4, v6, v8
	v_div_fixup_f32 v3, v4, v3, 1.0
	v_add_f32_e32 v4, 1.0, v17
	v_mul_f32_e32 v6, v4, v4
	v_div_scale_f32 v7, s[8:9], v6, v6, 1.0
	v_add_f32_e32 v3, v18, v3
	v_add_f32_e32 v4, 1.0, v4
	v_rcp_f32_e32 v8, v7
	v_fma_f32 v9, -v7, v8, 1.0
	v_fmac_f32_e32 v8, v9, v8
	v_div_scale_f32 v9, vcc, 1.0, v6, 1.0
	v_mul_f32_e32 v10, v9, v8
	v_fma_f32 v11, -v7, v10, v9
	v_fmac_f32_e32 v10, v11, v8
	v_fma_f32 v7, -v7, v10, v9
	v_div_fmas_f32 v7, v7, v8, v10
	v_div_fixup_f32 v6, v7, v6, 1.0
	v_add_f32_e32 v3, v3, v6
	v_mul_f32_e32 v6, v4, v4
	v_div_scale_f32 v7, s[8:9], v6, v6, 1.0
	v_add_f32_e32 v4, 1.0, v4
	v_rcp_f32_e32 v8, v7
	v_fma_f32 v9, -v7, v8, 1.0
	v_fmac_f32_e32 v8, v9, v8
	v_div_scale_f32 v9, vcc, 1.0, v6, 1.0
	v_mul_f32_e32 v10, v9, v8
	v_fma_f32 v11, -v7, v10, v9
	v_fmac_f32_e32 v10, v11, v8
	v_fma_f32 v7, -v7, v10, v9
	v_div_fmas_f32 v7, v7, v8, v10
	v_div_fixup_f32 v6, v7, v6, 1.0
	v_add_f32_e32 v3, v3, v6
	v_mul_f32_e32 v6, v4, v4
	v_div_scale_f32 v7, s[8:9], v6, v6, 1.0
	;; [unrolled: 14-line block ×5, first 2 shown]
	v_rcp_f32_e32 v8, v7
	v_fma_f32 v9, -v7, v8, 1.0
	v_fmac_f32_e32 v8, v9, v8
	v_div_scale_f32 v9, vcc, 1.0, v6, 1.0
	v_mul_f32_e32 v10, v9, v8
	v_fma_f32 v11, -v7, v10, v9
	v_fmac_f32_e32 v10, v11, v8
	v_fma_f32 v7, -v7, v10, v9
	v_div_fmas_f32 v7, v7, v8, v10
	v_div_fixup_f32 v6, v7, v6, 1.0
	v_add_f32_e32 v7, v4, v4
	v_div_scale_f32 v8, s[8:9], v7, v7, 1.0
	v_fmac_f32_e32 v21, 0xbcc30c31, v6
	v_rcp_f32_e32 v9, v8
	v_fma_f32 v10, -v8, v9, 1.0
	v_fmac_f32_e32 v9, v10, v9
	v_div_scale_f32 v10, vcc, 1.0, v7, 1.0
	v_mul_f32_e32 v11, v10, v9
	v_fma_f32 v12, -v8, v11, v10
	v_fmac_f32_e32 v11, v12, v9
	v_fma_f32 v8, -v8, v11, v10
	v_div_fmas_f32 v8, v8, v9, v11
	v_div_fixup_f32 v7, v8, v7, 1.0
	v_add_f32_e32 v7, 1.0, v7
	v_fma_f32 v8, -v6, v21, s5
	v_fmac_f32_e32 v7, v6, v8
	v_div_scale_f32 v6, s[8:9], v4, v4, v7
	v_rcp_f32_e32 v8, v6
	v_fma_f32 v9, -v6, v8, 1.0
	v_fmac_f32_e32 v8, v9, v8
	v_div_scale_f32 v9, vcc, v7, v4, v7
	v_mul_f32_e32 v10, v9, v8
	v_fma_f32 v11, -v6, v10, v9
	v_fmac_f32_e32 v10, v11, v8
	v_fma_f32 v6, -v6, v10, v9
	v_div_fmas_f32 v6, v6, v8, v10
	v_div_fixup_f32 v4, v6, v4, v7
	v_add_f32_e32 v3, v3, v4
	v_mul_f32_e32 v3, v16, v3
	v_bfe_u32 v4, v3, 16, 1
	v_add3_u32 v4, v3, v4, s4
	v_and_b32_e32 v4, 0xffff0000, v4
	v_cmp_o_f32_e32 vcc, v3, v3
	s_add_u32 s4, s16, s12
	v_cndmask_b32_e32 v3, v19, v4, vcc
	s_addc_u32 s5, s17, s13
	v_or3_b32 v4, 0, v22, v3
	v_or3_b32 v3, v20, 0, 0
	global_store_dwordx2 v5, v[1:2], s[4:5]
	global_store_dwordx2 v5, v[3:4], s[4:5] offset:2048
	s_branch .LBB72_2
.LBB72_52:
	s_getpc_b64 s[4:5]
	s_add_u32 s4, s4, _ZN2at6native25elementwise_kernel_helperILb0EZZZNS0_20trigamma_kernel_cudaERNS_18TensorIteratorBaseEENKUlvE_clEvENKUlvE2_clEvEUlN3c108BFloat16EE_NS0_6memory8policies11unroll_baseILi256ESt5arrayIPcLm2EE23TrivialOffsetCalculatorILi1EjESG_NS9_15LoadWithoutCastENS9_16StoreWithoutCastELi8ELi1EEEEEvT0_T1_@rel32@lo+4
	s_addc_u32 s5, s5, _ZN2at6native25elementwise_kernel_helperILb0EZZZNS0_20trigamma_kernel_cudaERNS_18TensorIteratorBaseEENKUlvE_clEvENKUlvE2_clEvEUlN3c108BFloat16EE_NS0_6memory8policies11unroll_baseILi256ESt5arrayIPcLm2EE23TrivialOffsetCalculatorILi1EjESG_NS9_15LoadWithoutCastENS9_16StoreWithoutCastELi8ELi1EEEEEvT0_T1_@rel32@hi+12
	s_mov_b32 s12, s6
	v_mov_b32_e32 v31, v0
	v_mov_b32_e32 v0, s16
	v_mov_b32_e32 v1, s17
	v_mov_b32_e32 v2, s18
	v_mov_b32_e32 v3, s19
	v_mov_b32_e32 v4, s7
	s_swappc_b64 s[30:31], s[4:5]
	s_endpgm
	.section	.rodata,"a",@progbits
	.p2align	6, 0x0
	.amdhsa_kernel _ZN2at6native29vectorized_elementwise_kernelILi4EZZZNS0_20trigamma_kernel_cudaERNS_18TensorIteratorBaseEENKUlvE_clEvENKUlvE2_clEvEUlN3c108BFloat16EE_St5arrayIPcLm2EEEEviT0_T1_
		.amdhsa_group_segment_fixed_size 0
		.amdhsa_private_segment_fixed_size 0
		.amdhsa_kernarg_size 24
		.amdhsa_user_sgpr_count 6
		.amdhsa_user_sgpr_private_segment_buffer 1
		.amdhsa_user_sgpr_dispatch_ptr 0
		.amdhsa_user_sgpr_queue_ptr 0
		.amdhsa_user_sgpr_kernarg_segment_ptr 1
		.amdhsa_user_sgpr_dispatch_id 0
		.amdhsa_user_sgpr_flat_scratch_init 0
		.amdhsa_user_sgpr_private_segment_size 0
		.amdhsa_uses_dynamic_stack 0
		.amdhsa_system_sgpr_private_segment_wavefront_offset 0
		.amdhsa_system_sgpr_workgroup_id_x 1
		.amdhsa_system_sgpr_workgroup_id_y 0
		.amdhsa_system_sgpr_workgroup_id_z 0
		.amdhsa_system_sgpr_workgroup_info 0
		.amdhsa_system_vgpr_workitem_id 0
		.amdhsa_next_free_vgpr 38
		.amdhsa_next_free_sgpr 33
		.amdhsa_reserve_vcc 1
		.amdhsa_reserve_flat_scratch 0
		.amdhsa_float_round_mode_32 0
		.amdhsa_float_round_mode_16_64 0
		.amdhsa_float_denorm_mode_32 3
		.amdhsa_float_denorm_mode_16_64 3
		.amdhsa_dx10_clamp 1
		.amdhsa_ieee_mode 1
		.amdhsa_fp16_overflow 0
		.amdhsa_exception_fp_ieee_invalid_op 0
		.amdhsa_exception_fp_denorm_src 0
		.amdhsa_exception_fp_ieee_div_zero 0
		.amdhsa_exception_fp_ieee_overflow 0
		.amdhsa_exception_fp_ieee_underflow 0
		.amdhsa_exception_fp_ieee_inexact 0
		.amdhsa_exception_int_div_zero 0
	.end_amdhsa_kernel
	.section	.text._ZN2at6native29vectorized_elementwise_kernelILi4EZZZNS0_20trigamma_kernel_cudaERNS_18TensorIteratorBaseEENKUlvE_clEvENKUlvE2_clEvEUlN3c108BFloat16EE_St5arrayIPcLm2EEEEviT0_T1_,"axG",@progbits,_ZN2at6native29vectorized_elementwise_kernelILi4EZZZNS0_20trigamma_kernel_cudaERNS_18TensorIteratorBaseEENKUlvE_clEvENKUlvE2_clEvEUlN3c108BFloat16EE_St5arrayIPcLm2EEEEviT0_T1_,comdat
.Lfunc_end72:
	.size	_ZN2at6native29vectorized_elementwise_kernelILi4EZZZNS0_20trigamma_kernel_cudaERNS_18TensorIteratorBaseEENKUlvE_clEvENKUlvE2_clEvEUlN3c108BFloat16EE_St5arrayIPcLm2EEEEviT0_T1_, .Lfunc_end72-_ZN2at6native29vectorized_elementwise_kernelILi4EZZZNS0_20trigamma_kernel_cudaERNS_18TensorIteratorBaseEENKUlvE_clEvENKUlvE2_clEvEUlN3c108BFloat16EE_St5arrayIPcLm2EEEEviT0_T1_
                                        ; -- End function
	.set _ZN2at6native29vectorized_elementwise_kernelILi4EZZZNS0_20trigamma_kernel_cudaERNS_18TensorIteratorBaseEENKUlvE_clEvENKUlvE2_clEvEUlN3c108BFloat16EE_St5arrayIPcLm2EEEEviT0_T1_.num_vgpr, max(38, .L_ZN2at6native25elementwise_kernel_helperILb0EZZZNS0_20trigamma_kernel_cudaERNS_18TensorIteratorBaseEENKUlvE_clEvENKUlvE2_clEvEUlN3c108BFloat16EE_NS0_6memory8policies11unroll_baseILi256ESt5arrayIPcLm2EE23TrivialOffsetCalculatorILi1EjESG_NS9_15LoadWithoutCastENS9_16StoreWithoutCastELi8ELi1EEEEEvT0_T1_.num_vgpr)
	.set _ZN2at6native29vectorized_elementwise_kernelILi4EZZZNS0_20trigamma_kernel_cudaERNS_18TensorIteratorBaseEENKUlvE_clEvENKUlvE2_clEvEUlN3c108BFloat16EE_St5arrayIPcLm2EEEEviT0_T1_.num_agpr, max(0, .L_ZN2at6native25elementwise_kernel_helperILb0EZZZNS0_20trigamma_kernel_cudaERNS_18TensorIteratorBaseEENKUlvE_clEvENKUlvE2_clEvEUlN3c108BFloat16EE_NS0_6memory8policies11unroll_baseILi256ESt5arrayIPcLm2EE23TrivialOffsetCalculatorILi1EjESG_NS9_15LoadWithoutCastENS9_16StoreWithoutCastELi8ELi1EEEEEvT0_T1_.num_agpr)
	.set _ZN2at6native29vectorized_elementwise_kernelILi4EZZZNS0_20trigamma_kernel_cudaERNS_18TensorIteratorBaseEENKUlvE_clEvENKUlvE2_clEvEUlN3c108BFloat16EE_St5arrayIPcLm2EEEEviT0_T1_.numbered_sgpr, max(33, .L_ZN2at6native25elementwise_kernel_helperILb0EZZZNS0_20trigamma_kernel_cudaERNS_18TensorIteratorBaseEENKUlvE_clEvENKUlvE2_clEvEUlN3c108BFloat16EE_NS0_6memory8policies11unroll_baseILi256ESt5arrayIPcLm2EE23TrivialOffsetCalculatorILi1EjESG_NS9_15LoadWithoutCastENS9_16StoreWithoutCastELi8ELi1EEEEEvT0_T1_.numbered_sgpr)
	.set _ZN2at6native29vectorized_elementwise_kernelILi4EZZZNS0_20trigamma_kernel_cudaERNS_18TensorIteratorBaseEENKUlvE_clEvENKUlvE2_clEvEUlN3c108BFloat16EE_St5arrayIPcLm2EEEEviT0_T1_.num_named_barrier, max(0, .L_ZN2at6native25elementwise_kernel_helperILb0EZZZNS0_20trigamma_kernel_cudaERNS_18TensorIteratorBaseEENKUlvE_clEvENKUlvE2_clEvEUlN3c108BFloat16EE_NS0_6memory8policies11unroll_baseILi256ESt5arrayIPcLm2EE23TrivialOffsetCalculatorILi1EjESG_NS9_15LoadWithoutCastENS9_16StoreWithoutCastELi8ELi1EEEEEvT0_T1_.num_named_barrier)
	.set _ZN2at6native29vectorized_elementwise_kernelILi4EZZZNS0_20trigamma_kernel_cudaERNS_18TensorIteratorBaseEENKUlvE_clEvENKUlvE2_clEvEUlN3c108BFloat16EE_St5arrayIPcLm2EEEEviT0_T1_.private_seg_size, 0+max(.L_ZN2at6native25elementwise_kernel_helperILb0EZZZNS0_20trigamma_kernel_cudaERNS_18TensorIteratorBaseEENKUlvE_clEvENKUlvE2_clEvEUlN3c108BFloat16EE_NS0_6memory8policies11unroll_baseILi256ESt5arrayIPcLm2EE23TrivialOffsetCalculatorILi1EjESG_NS9_15LoadWithoutCastENS9_16StoreWithoutCastELi8ELi1EEEEEvT0_T1_.private_seg_size)
	.set _ZN2at6native29vectorized_elementwise_kernelILi4EZZZNS0_20trigamma_kernel_cudaERNS_18TensorIteratorBaseEENKUlvE_clEvENKUlvE2_clEvEUlN3c108BFloat16EE_St5arrayIPcLm2EEEEviT0_T1_.uses_vcc, or(1, .L_ZN2at6native25elementwise_kernel_helperILb0EZZZNS0_20trigamma_kernel_cudaERNS_18TensorIteratorBaseEENKUlvE_clEvENKUlvE2_clEvEUlN3c108BFloat16EE_NS0_6memory8policies11unroll_baseILi256ESt5arrayIPcLm2EE23TrivialOffsetCalculatorILi1EjESG_NS9_15LoadWithoutCastENS9_16StoreWithoutCastELi8ELi1EEEEEvT0_T1_.uses_vcc)
	.set _ZN2at6native29vectorized_elementwise_kernelILi4EZZZNS0_20trigamma_kernel_cudaERNS_18TensorIteratorBaseEENKUlvE_clEvENKUlvE2_clEvEUlN3c108BFloat16EE_St5arrayIPcLm2EEEEviT0_T1_.uses_flat_scratch, or(0, .L_ZN2at6native25elementwise_kernel_helperILb0EZZZNS0_20trigamma_kernel_cudaERNS_18TensorIteratorBaseEENKUlvE_clEvENKUlvE2_clEvEUlN3c108BFloat16EE_NS0_6memory8policies11unroll_baseILi256ESt5arrayIPcLm2EE23TrivialOffsetCalculatorILi1EjESG_NS9_15LoadWithoutCastENS9_16StoreWithoutCastELi8ELi1EEEEEvT0_T1_.uses_flat_scratch)
	.set _ZN2at6native29vectorized_elementwise_kernelILi4EZZZNS0_20trigamma_kernel_cudaERNS_18TensorIteratorBaseEENKUlvE_clEvENKUlvE2_clEvEUlN3c108BFloat16EE_St5arrayIPcLm2EEEEviT0_T1_.has_dyn_sized_stack, or(0, .L_ZN2at6native25elementwise_kernel_helperILb0EZZZNS0_20trigamma_kernel_cudaERNS_18TensorIteratorBaseEENKUlvE_clEvENKUlvE2_clEvEUlN3c108BFloat16EE_NS0_6memory8policies11unroll_baseILi256ESt5arrayIPcLm2EE23TrivialOffsetCalculatorILi1EjESG_NS9_15LoadWithoutCastENS9_16StoreWithoutCastELi8ELi1EEEEEvT0_T1_.has_dyn_sized_stack)
	.set _ZN2at6native29vectorized_elementwise_kernelILi4EZZZNS0_20trigamma_kernel_cudaERNS_18TensorIteratorBaseEENKUlvE_clEvENKUlvE2_clEvEUlN3c108BFloat16EE_St5arrayIPcLm2EEEEviT0_T1_.has_recursion, or(0, .L_ZN2at6native25elementwise_kernel_helperILb0EZZZNS0_20trigamma_kernel_cudaERNS_18TensorIteratorBaseEENKUlvE_clEvENKUlvE2_clEvEUlN3c108BFloat16EE_NS0_6memory8policies11unroll_baseILi256ESt5arrayIPcLm2EE23TrivialOffsetCalculatorILi1EjESG_NS9_15LoadWithoutCastENS9_16StoreWithoutCastELi8ELi1EEEEEvT0_T1_.has_recursion)
	.set _ZN2at6native29vectorized_elementwise_kernelILi4EZZZNS0_20trigamma_kernel_cudaERNS_18TensorIteratorBaseEENKUlvE_clEvENKUlvE2_clEvEUlN3c108BFloat16EE_St5arrayIPcLm2EEEEviT0_T1_.has_indirect_call, or(0, .L_ZN2at6native25elementwise_kernel_helperILb0EZZZNS0_20trigamma_kernel_cudaERNS_18TensorIteratorBaseEENKUlvE_clEvENKUlvE2_clEvEUlN3c108BFloat16EE_NS0_6memory8policies11unroll_baseILi256ESt5arrayIPcLm2EE23TrivialOffsetCalculatorILi1EjESG_NS9_15LoadWithoutCastENS9_16StoreWithoutCastELi8ELi1EEEEEvT0_T1_.has_indirect_call)
	.section	.AMDGPU.csdata,"",@progbits
; Kernel info:
; codeLenInByte = 14444
; TotalNumSgprs: 37
; NumVgprs: 38
; ScratchSize: 0
; MemoryBound: 0
; FloatMode: 240
; IeeeMode: 1
; LDSByteSize: 0 bytes/workgroup (compile time only)
; SGPRBlocks: 4
; VGPRBlocks: 9
; NumSGPRsForWavesPerEU: 37
; NumVGPRsForWavesPerEU: 38
; Occupancy: 6
; WaveLimiterHint : 1
; COMPUTE_PGM_RSRC2:SCRATCH_EN: 0
; COMPUTE_PGM_RSRC2:USER_SGPR: 6
; COMPUTE_PGM_RSRC2:TRAP_HANDLER: 0
; COMPUTE_PGM_RSRC2:TGID_X_EN: 1
; COMPUTE_PGM_RSRC2:TGID_Y_EN: 0
; COMPUTE_PGM_RSRC2:TGID_Z_EN: 0
; COMPUTE_PGM_RSRC2:TIDIG_COMP_CNT: 0
	.section	.text._ZN2at6native29vectorized_elementwise_kernelILi2EZZZNS0_20trigamma_kernel_cudaERNS_18TensorIteratorBaseEENKUlvE_clEvENKUlvE2_clEvEUlN3c108BFloat16EE_St5arrayIPcLm2EEEEviT0_T1_,"axG",@progbits,_ZN2at6native29vectorized_elementwise_kernelILi2EZZZNS0_20trigamma_kernel_cudaERNS_18TensorIteratorBaseEENKUlvE_clEvENKUlvE2_clEvEUlN3c108BFloat16EE_St5arrayIPcLm2EEEEviT0_T1_,comdat
	.globl	_ZN2at6native29vectorized_elementwise_kernelILi2EZZZNS0_20trigamma_kernel_cudaERNS_18TensorIteratorBaseEENKUlvE_clEvENKUlvE2_clEvEUlN3c108BFloat16EE_St5arrayIPcLm2EEEEviT0_T1_ ; -- Begin function _ZN2at6native29vectorized_elementwise_kernelILi2EZZZNS0_20trigamma_kernel_cudaERNS_18TensorIteratorBaseEENKUlvE_clEvENKUlvE2_clEvEUlN3c108BFloat16EE_St5arrayIPcLm2EEEEviT0_T1_
	.p2align	8
	.type	_ZN2at6native29vectorized_elementwise_kernelILi2EZZZNS0_20trigamma_kernel_cudaERNS_18TensorIteratorBaseEENKUlvE_clEvENKUlvE2_clEvEUlN3c108BFloat16EE_St5arrayIPcLm2EEEEviT0_T1_,@function
_ZN2at6native29vectorized_elementwise_kernelILi2EZZZNS0_20trigamma_kernel_cudaERNS_18TensorIteratorBaseEENKUlvE_clEvENKUlvE2_clEvEUlN3c108BFloat16EE_St5arrayIPcLm2EEEEviT0_T1_: ; @_ZN2at6native29vectorized_elementwise_kernelILi2EZZZNS0_20trigamma_kernel_cudaERNS_18TensorIteratorBaseEENKUlvE_clEvENKUlvE2_clEvEUlN3c108BFloat16EE_St5arrayIPcLm2EEEEviT0_T1_
; %bb.0:
	s_add_u32 s0, s0, s7
	s_load_dword s7, s[4:5], 0x0
	s_load_dwordx4 s[16:19], s[4:5], 0x8
	s_addc_u32 s1, s1, 0
	s_lshl_b32 s4, s6, 11
	s_mov_b64 s[8:9], -1
	s_waitcnt lgkmcnt(0)
	s_sub_i32 s7, s7, s4
	s_cmpk_gt_i32 s7, 0x7ff
	s_mov_b32 s32, 0
	s_cbranch_scc1 .LBB73_3
; %bb.1:
	s_and_b64 vcc, exec, s[8:9]
	s_cbranch_vccnz .LBB73_52
.LBB73_2:
	s_endpgm
.LBB73_3:
	s_ashr_i32 s5, s4, 31
	s_lshl_b64 s[12:13], s[4:5], 1
	s_add_u32 s4, s18, s12
	s_addc_u32 s5, s19, s13
	v_lshlrev_b32_e32 v1, 2, v0
	global_load_dword v3, v1, s[4:5]
	global_load_dword v9, v1, s[4:5] offset:1024
	global_load_dword v15, v1, s[4:5] offset:2048
	;; [unrolled: 1-line block ×3, first 2 shown]
	v_mov_b32_e32 v6, 0
	v_mov_b32_e32 v4, 1.0
	s_waitcnt vmcnt(3)
	v_lshlrev_b32_e32 v2, 16, v3
	v_cmp_gt_f32_e32 vcc, 0.5, v2
	s_and_saveexec_b64 s[14:15], vcc
	s_cbranch_execz .LBB73_9
; %bb.4:
	v_mul_f32_e32 v4, 0x40490fdb, v2
	s_brev_b32 s4, 18
	v_and_b32_e32 v5, 0x7fffffff, v4
	v_cmp_nlt_f32_e64 s[4:5], |v4|, s4
                                        ; implicit-def: $vgpr6
                                        ; implicit-def: $vgpr7
	s_and_saveexec_b64 s[8:9], s[4:5]
	s_xor_b64 s[20:21], exec, s[8:9]
	s_cbranch_execz .LBB73_6
; %bb.5:
	v_and_b32_e32 v6, 0x7fffff, v5
	v_or_b32_e32 v20, 0x800000, v6
	s_mov_b32 s4, 0xfe5163ab
	v_mad_u64_u32 v[6:7], s[4:5], v20, s4, 0
	v_mov_b32_e32 v8, 0
	s_mov_b32 s4, 0x3c439041
	v_mad_u64_u32 v[10:11], s[4:5], v20, s4, v[7:8]
	s_mov_b32 s4, 0xdb629599
	s_mov_b32 s8, 0xa2f9836e
	v_mov_b32_e32 v7, v11
	v_mad_u64_u32 v[13:14], s[4:5], v20, s4, v[7:8]
	s_mov_b32 s4, 0xf534ddc0
	v_not_b32_e32 v11, 63
	v_mov_b32_e32 v7, v14
	v_mad_u64_u32 v[16:17], s[4:5], v20, s4, v[7:8]
	v_lshrrev_b32_e32 v7, 23, v5
	v_add_u32_e32 v14, 0xffffff88, v7
	v_mov_b32_e32 v7, v17
	s_mov_b32 s4, 0xfc2757d1
	v_mad_u64_u32 v[17:18], s[4:5], v20, s4, v[7:8]
	v_cmp_lt_u32_e32 vcc, 63, v14
	v_cndmask_b32_e32 v7, 0, v11, vcc
	v_add_u32_e32 v11, v7, v14
	v_mov_b32_e32 v7, v18
	s_mov_b32 s4, 0x4e441529
	v_mad_u64_u32 v[18:19], s[4:5], v20, s4, v[7:8]
	v_not_b32_e32 v14, 31
	v_cmp_lt_u32_e64 s[4:5], 31, v11
	v_cndmask_b32_e64 v7, 0, v14, s[4:5]
	v_add_u32_e32 v11, v7, v11
	v_mov_b32_e32 v7, v19
	v_mad_u64_u32 v[7:8], s[8:9], v20, s8, v[7:8]
	v_cmp_lt_u32_e64 s[8:9], 31, v11
	v_cndmask_b32_e64 v14, 0, v14, s[8:9]
	v_add_u32_e32 v11, v14, v11
	v_cndmask_b32_e32 v14, v18, v16, vcc
	v_cndmask_b32_e32 v7, v7, v17, vcc
	;; [unrolled: 1-line block ×3, first 2 shown]
	v_cndmask_b32_e64 v19, v7, v14, s[4:5]
	v_cndmask_b32_e64 v7, v8, v7, s[4:5]
	v_cndmask_b32_e32 v8, v17, v13, vcc
	v_cndmask_b32_e64 v14, v14, v8, s[4:5]
	v_cndmask_b32_e64 v7, v7, v19, s[8:9]
	;; [unrolled: 1-line block ×3, first 2 shown]
	v_sub_u32_e32 v18, 32, v11
	v_alignbit_b32 v19, v7, v17, v18
	v_cmp_eq_u32_e64 s[10:11], 0, v11
	v_cndmask_b32_e64 v11, v19, v7, s[10:11]
	v_cndmask_b32_e32 v7, v16, v10, vcc
	v_cndmask_b32_e64 v8, v8, v7, s[4:5]
	v_cndmask_b32_e64 v10, v14, v8, s[8:9]
	v_alignbit_b32 v14, v17, v10, v18
	v_cndmask_b32_e32 v6, v13, v6, vcc
	v_cndmask_b32_e64 v14, v14, v17, s[10:11]
	v_bfe_u32 v19, v11, 29, 1
	v_cndmask_b32_e64 v6, v7, v6, s[4:5]
	v_alignbit_b32 v16, v11, v14, 30
	v_sub_u32_e32 v20, 0, v19
	v_cndmask_b32_e64 v6, v8, v6, s[8:9]
	v_xor_b32_e32 v16, v16, v20
	v_alignbit_b32 v7, v10, v6, v18
	v_cndmask_b32_e64 v7, v7, v10, s[10:11]
	v_ffbh_u32_e32 v10, v16
	v_alignbit_b32 v8, v14, v7, 30
	v_min_u32_e32 v10, 32, v10
	v_alignbit_b32 v6, v7, v6, 30
	v_xor_b32_e32 v8, v8, v20
	v_sub_u32_e32 v13, 31, v10
	v_xor_b32_e32 v6, v6, v20
	v_alignbit_b32 v14, v16, v8, v13
	v_alignbit_b32 v6, v8, v6, v13
	;; [unrolled: 1-line block ×3, first 2 shown]
	v_ffbh_u32_e32 v8, v7
	v_min_u32_e32 v8, 32, v8
	v_lshrrev_b32_e32 v17, 29, v11
	v_not_b32_e32 v13, v8
	v_alignbit_b32 v6, v7, v6, v13
	v_lshlrev_b32_e32 v7, 31, v17
	v_or_b32_e32 v13, 0x33000000, v7
	v_add_lshl_u32 v8, v8, v10, 23
	v_lshrrev_b32_e32 v6, 9, v6
	v_sub_u32_e32 v8, v13, v8
	v_or_b32_e32 v7, 0.5, v7
	v_lshlrev_b32_e32 v10, 23, v10
	v_or_b32_e32 v6, v8, v6
	v_lshrrev_b32_e32 v8, 9, v14
	v_sub_u32_e32 v7, v7, v10
	v_or_b32_e32 v7, v8, v7
	s_mov_b32 s4, 0x3fc90fda
	v_mul_f32_e32 v8, 0x3fc90fda, v7
	v_fma_f32 v10, v7, s4, -v8
	v_fmac_f32_e32 v10, 0x33a22168, v7
	v_fmac_f32_e32 v10, 0x3fc90fda, v6
	v_lshrrev_b32_e32 v6, 30, v11
	v_add_f32_e32 v7, v8, v10
	v_add_u32_e32 v6, v19, v6
.LBB73_6:
	s_andn2_saveexec_b64 s[4:5], s[20:21]
	s_cbranch_execz .LBB73_8
; %bb.7:
	s_mov_b32 s8, 0x3f22f983
	v_mul_f32_e64 v6, |v4|, s8
	v_rndne_f32_e32 v8, v6
	s_mov_b32 s8, 0xbfc90fda
	v_cvt_i32_f32_e32 v6, v8
	v_fma_f32 v7, v8, s8, |v4|
	v_fmac_f32_e32 v7, 0xb3a22168, v8
	v_fmac_f32_e32 v7, 0xa7c234c4, v8
.LBB73_8:
	s_or_b64 exec, exec, s[4:5]
	v_mul_f32_e32 v8, v7, v7
	v_mov_b32_e32 v10, 0x3c0881c4
	v_fmac_f32_e32 v10, 0xb94c1982, v8
	v_mov_b32_e32 v11, 0xbe2aaa9d
	v_fmac_f32_e32 v11, v8, v10
	v_mul_f32_e32 v10, v8, v11
	v_fmac_f32_e32 v7, v7, v10
	v_mov_b32_e32 v10, 0xbab64f3b
	v_fmac_f32_e32 v10, 0x37d75334, v8
	v_mov_b32_e32 v11, 0x3d2aabf7
	;; [unrolled: 2-line block ×3, first 2 shown]
	v_fmac_f32_e32 v10, v8, v11
	v_fma_f32 v8, v8, v10, 1.0
	v_and_b32_e32 v10, 1, v6
	v_lshlrev_b32_e32 v6, 30, v6
	v_cmp_eq_u32_e32 vcc, 0, v10
	v_and_b32_e32 v6, 0x80000000, v6
	v_xor_b32_e32 v5, v5, v4
	v_cndmask_b32_e32 v7, v8, v7, vcc
	v_xor_b32_e32 v5, v5, v6
	s_movk_i32 s4, 0x1f8
	v_xor_b32_e32 v5, v5, v7
	v_mov_b32_e32 v6, 0x7fc00000
	v_cmp_class_f32_e64 vcc, v4, s4
	v_cndmask_b32_e32 v4, v6, v5, vcc
	v_mul_f32_e32 v4, v4, v4
	s_mov_b32 s8, 0xc11de9e7
	v_div_scale_f32 v5, s[4:5], v4, v4, s8
	v_div_scale_f32 v6, vcc, s8, v4, s8
	v_sub_f32_e32 v2, 1.0, v2
	v_rcp_f32_e32 v7, v5
	v_fma_f32 v8, -v5, v7, 1.0
	v_fmac_f32_e32 v7, v8, v7
	v_mul_f32_e32 v8, v6, v7
	v_fma_f32 v10, -v5, v8, v6
	v_fmac_f32_e32 v8, v10, v7
	v_fma_f32 v5, -v5, v8, v6
	v_div_fmas_f32 v5, v5, v7, v8
	v_div_fixup_f32 v4, v5, v4, s8
	v_add_f32_e32 v6, 0, v4
	v_mov_b32_e32 v4, -1.0
.LBB73_9:
	s_or_b64 exec, exec, s[14:15]
	v_and_b32_e32 v3, 0xffff0000, v3
	v_cmp_gt_f32_e32 vcc, 0.5, v3
	v_mov_b32_e32 v7, 0
	v_mov_b32_e32 v5, 1.0
	s_and_saveexec_b64 s[14:15], vcc
	s_cbranch_execz .LBB73_15
; %bb.10:
	v_mul_f32_e32 v5, 0x40490fdb, v3
	s_brev_b32 s4, 18
	v_and_b32_e32 v7, 0x7fffffff, v5
	v_cmp_nlt_f32_e64 s[4:5], |v5|, s4
                                        ; implicit-def: $vgpr8
                                        ; implicit-def: $vgpr10
	s_and_saveexec_b64 s[8:9], s[4:5]
	s_xor_b64 s[20:21], exec, s[8:9]
	s_cbranch_execz .LBB73_12
; %bb.11:
	v_and_b32_e32 v8, 0x7fffff, v7
	v_or_b32_e32 v8, 0x800000, v8
	s_mov_b32 s4, 0xfe5163ab
	v_mad_u64_u32 v[10:11], s[4:5], v8, s4, 0
	v_mov_b32_e32 v14, 0
	s_mov_b32 s4, 0x3c439041
	v_mov_b32_e32 v13, v11
	v_mad_u64_u32 v[16:17], s[4:5], v8, s4, v[13:14]
	s_mov_b32 s4, 0xdb629599
	v_lshrrev_b32_e32 v11, 23, v7
	v_mov_b32_e32 v13, v17
	v_mad_u64_u32 v[17:18], s[4:5], v8, s4, v[13:14]
	s_mov_b32 s4, 0xf534ddc0
	v_add_u32_e32 v11, 0xffffff88, v11
	v_mov_b32_e32 v13, v18
	v_mad_u64_u32 v[18:19], s[4:5], v8, s4, v[13:14]
	s_mov_b32 s4, 0xfc2757d1
	v_not_b32_e32 v21, 63
	v_mov_b32_e32 v13, v19
	v_mad_u64_u32 v[19:20], s[4:5], v8, s4, v[13:14]
	v_cmp_lt_u32_e32 vcc, 63, v11
	v_cndmask_b32_e32 v13, 0, v21, vcc
	v_add_u32_e32 v11, v13, v11
	v_mov_b32_e32 v13, v20
	s_mov_b32 s4, 0x4e441529
	v_mad_u64_u32 v[20:21], s[4:5], v8, s4, v[13:14]
	v_not_b32_e32 v22, 31
	v_cmp_lt_u32_e64 s[4:5], 31, v11
	v_cndmask_b32_e64 v13, 0, v22, s[4:5]
	v_add_u32_e32 v11, v13, v11
	v_mov_b32_e32 v13, v21
	s_mov_b32 s8, 0xa2f9836e
	v_mad_u64_u32 v[13:14], s[8:9], v8, s8, v[13:14]
	v_cmp_lt_u32_e64 s[8:9], 31, v11
	v_cndmask_b32_e64 v8, 0, v22, s[8:9]
	v_add_u32_e32 v8, v8, v11
	v_cndmask_b32_e32 v11, v20, v18, vcc
	v_cndmask_b32_e32 v13, v13, v19, vcc
	;; [unrolled: 1-line block ×3, first 2 shown]
	v_cndmask_b32_e64 v21, v13, v11, s[4:5]
	v_cndmask_b32_e64 v13, v14, v13, s[4:5]
	v_cndmask_b32_e32 v14, v19, v17, vcc
	v_cndmask_b32_e64 v11, v11, v14, s[4:5]
	v_cndmask_b32_e64 v13, v13, v21, s[8:9]
	;; [unrolled: 1-line block ×3, first 2 shown]
	v_sub_u32_e32 v20, 32, v8
	v_alignbit_b32 v21, v13, v19, v20
	v_cmp_eq_u32_e64 s[10:11], 0, v8
	v_cndmask_b32_e64 v8, v21, v13, s[10:11]
	v_cndmask_b32_e32 v13, v18, v16, vcc
	v_cndmask_b32_e64 v14, v14, v13, s[4:5]
	v_cndmask_b32_e64 v11, v11, v14, s[8:9]
	v_alignbit_b32 v16, v19, v11, v20
	v_cndmask_b32_e32 v10, v17, v10, vcc
	v_cndmask_b32_e64 v16, v16, v19, s[10:11]
	v_bfe_u32 v21, v8, 29, 1
	v_cndmask_b32_e64 v10, v13, v10, s[4:5]
	v_alignbit_b32 v18, v8, v16, 30
	v_sub_u32_e32 v22, 0, v21
	v_cndmask_b32_e64 v10, v14, v10, s[8:9]
	v_xor_b32_e32 v18, v18, v22
	v_alignbit_b32 v13, v11, v10, v20
	v_cndmask_b32_e64 v11, v13, v11, s[10:11]
	v_ffbh_u32_e32 v14, v18
	v_alignbit_b32 v13, v16, v11, 30
	v_min_u32_e32 v14, 32, v14
	v_alignbit_b32 v10, v11, v10, 30
	v_xor_b32_e32 v13, v13, v22
	v_sub_u32_e32 v16, 31, v14
	v_xor_b32_e32 v10, v10, v22
	v_alignbit_b32 v17, v18, v13, v16
	v_alignbit_b32 v10, v13, v10, v16
	;; [unrolled: 1-line block ×3, first 2 shown]
	v_ffbh_u32_e32 v13, v11
	v_min_u32_e32 v13, 32, v13
	v_lshrrev_b32_e32 v19, 29, v8
	v_not_b32_e32 v16, v13
	v_alignbit_b32 v10, v11, v10, v16
	v_lshlrev_b32_e32 v11, 31, v19
	v_or_b32_e32 v16, 0x33000000, v11
	v_add_lshl_u32 v13, v13, v14, 23
	v_lshrrev_b32_e32 v10, 9, v10
	v_sub_u32_e32 v13, v16, v13
	v_or_b32_e32 v11, 0.5, v11
	v_lshlrev_b32_e32 v14, 23, v14
	v_or_b32_e32 v10, v13, v10
	v_lshrrev_b32_e32 v13, 9, v17
	v_sub_u32_e32 v11, v11, v14
	v_or_b32_e32 v11, v13, v11
	s_mov_b32 s4, 0x3fc90fda
	v_mul_f32_e32 v13, 0x3fc90fda, v11
	v_fma_f32 v14, v11, s4, -v13
	v_fmac_f32_e32 v14, 0x33a22168, v11
	v_fmac_f32_e32 v14, 0x3fc90fda, v10
	v_lshrrev_b32_e32 v8, 30, v8
	v_add_f32_e32 v10, v13, v14
	v_add_u32_e32 v8, v21, v8
.LBB73_12:
	s_andn2_saveexec_b64 s[4:5], s[20:21]
	s_cbranch_execz .LBB73_14
; %bb.13:
	s_mov_b32 s8, 0x3f22f983
	v_mul_f32_e64 v8, |v5|, s8
	v_rndne_f32_e32 v11, v8
	s_mov_b32 s8, 0xbfc90fda
	v_cvt_i32_f32_e32 v8, v11
	v_fma_f32 v10, v11, s8, |v5|
	v_fmac_f32_e32 v10, 0xb3a22168, v11
	v_fmac_f32_e32 v10, 0xa7c234c4, v11
.LBB73_14:
	s_or_b64 exec, exec, s[4:5]
	v_mul_f32_e32 v11, v10, v10
	v_mov_b32_e32 v13, 0x3c0881c4
	v_fmac_f32_e32 v13, 0xb94c1982, v11
	v_mov_b32_e32 v14, 0xbe2aaa9d
	v_fmac_f32_e32 v14, v11, v13
	v_mul_f32_e32 v13, v11, v14
	v_fmac_f32_e32 v10, v10, v13
	v_mov_b32_e32 v13, 0xbab64f3b
	v_fmac_f32_e32 v13, 0x37d75334, v11
	v_mov_b32_e32 v14, 0x3d2aabf7
	;; [unrolled: 2-line block ×3, first 2 shown]
	v_fmac_f32_e32 v13, v11, v14
	v_fma_f32 v11, v11, v13, 1.0
	v_and_b32_e32 v13, 1, v8
	v_lshlrev_b32_e32 v8, 30, v8
	v_cmp_eq_u32_e32 vcc, 0, v13
	v_and_b32_e32 v8, 0x80000000, v8
	v_xor_b32_e32 v7, v7, v5
	v_cndmask_b32_e32 v10, v11, v10, vcc
	v_xor_b32_e32 v7, v7, v8
	s_movk_i32 s4, 0x1f8
	v_xor_b32_e32 v7, v7, v10
	v_mov_b32_e32 v8, 0x7fc00000
	v_cmp_class_f32_e64 vcc, v5, s4
	v_cndmask_b32_e32 v5, v8, v7, vcc
	v_mul_f32_e32 v5, v5, v5
	s_mov_b32 s8, 0xc11de9e7
	v_div_scale_f32 v7, s[4:5], v5, v5, s8
	v_div_scale_f32 v8, vcc, s8, v5, s8
	v_sub_f32_e32 v3, 1.0, v3
	v_rcp_f32_e32 v10, v7
	v_fma_f32 v11, -v7, v10, 1.0
	v_fmac_f32_e32 v10, v11, v10
	v_mul_f32_e32 v11, v8, v10
	v_fma_f32 v13, -v7, v11, v8
	v_fmac_f32_e32 v11, v13, v10
	v_fma_f32 v7, -v7, v11, v8
	v_div_fmas_f32 v7, v7, v10, v11
	v_div_fixup_f32 v5, v7, v5, s8
	v_add_f32_e32 v7, 0, v5
	v_mov_b32_e32 v5, -1.0
.LBB73_15:
	s_or_b64 exec, exec, s[14:15]
	s_waitcnt vmcnt(2)
	v_lshlrev_b32_e32 v8, 16, v9
	v_cmp_gt_f32_e32 vcc, 0.5, v8
	v_mov_b32_e32 v13, 0
	v_mov_b32_e32 v10, 1.0
	s_and_saveexec_b64 s[14:15], vcc
	s_cbranch_execz .LBB73_21
; %bb.16:
	v_mul_f32_e32 v10, 0x40490fdb, v8
	s_brev_b32 s4, 18
	v_and_b32_e32 v11, 0x7fffffff, v10
	v_cmp_nlt_f32_e64 s[4:5], |v10|, s4
                                        ; implicit-def: $vgpr13
                                        ; implicit-def: $vgpr14
	s_and_saveexec_b64 s[8:9], s[4:5]
	s_xor_b64 s[20:21], exec, s[8:9]
	s_cbranch_execz .LBB73_18
; %bb.17:
	v_and_b32_e32 v13, 0x7fffff, v11
	v_or_b32_e32 v24, 0x800000, v13
	s_mov_b32 s4, 0xfe5163ab
	v_mad_u64_u32 v[13:14], s[4:5], v24, s4, 0
	v_mov_b32_e32 v17, 0
	s_mov_b32 s4, 0x3c439041
	v_mov_b32_e32 v16, v14
	v_mad_u64_u32 v[18:19], s[4:5], v24, s4, v[16:17]
	s_mov_b32 s4, 0xdb629599
	v_lshrrev_b32_e32 v14, 23, v11
	v_mov_b32_e32 v16, v19
	v_mad_u64_u32 v[19:20], s[4:5], v24, s4, v[16:17]
	s_mov_b32 s4, 0xf534ddc0
	v_add_u32_e32 v14, 0xffffff88, v14
	v_mov_b32_e32 v16, v20
	v_mad_u64_u32 v[20:21], s[4:5], v24, s4, v[16:17]
	s_mov_b32 s4, 0xfc2757d1
	v_not_b32_e32 v23, 63
	v_mov_b32_e32 v16, v21
	v_mad_u64_u32 v[21:22], s[4:5], v24, s4, v[16:17]
	v_cmp_lt_u32_e32 vcc, 63, v14
	v_cndmask_b32_e32 v16, 0, v23, vcc
	v_add_u32_e32 v14, v16, v14
	v_mov_b32_e32 v16, v22
	s_mov_b32 s4, 0x4e441529
	v_mad_u64_u32 v[22:23], s[4:5], v24, s4, v[16:17]
	v_not_b32_e32 v25, 31
	v_cmp_lt_u32_e64 s[4:5], 31, v14
	v_cndmask_b32_e64 v16, 0, v25, s[4:5]
	v_add_u32_e32 v14, v16, v14
	v_mov_b32_e32 v16, v23
	s_mov_b32 s8, 0xa2f9836e
	v_mad_u64_u32 v[16:17], s[8:9], v24, s8, v[16:17]
	v_cmp_lt_u32_e64 s[8:9], 31, v14
	v_cndmask_b32_e64 v23, 0, v25, s[8:9]
	v_add_u32_e32 v14, v23, v14
	v_cndmask_b32_e32 v23, v22, v20, vcc
	v_cndmask_b32_e32 v16, v16, v21, vcc
	;; [unrolled: 1-line block ×3, first 2 shown]
	v_cndmask_b32_e64 v24, v16, v23, s[4:5]
	v_cndmask_b32_e64 v16, v17, v16, s[4:5]
	v_cndmask_b32_e32 v17, v21, v19, vcc
	v_cndmask_b32_e64 v21, v23, v17, s[4:5]
	v_sub_u32_e32 v23, 32, v14
	v_cmp_eq_u32_e64 s[10:11], 0, v14
	v_cndmask_b32_e32 v14, v20, v18, vcc
	v_cndmask_b32_e64 v16, v16, v24, s[8:9]
	v_cndmask_b32_e64 v22, v24, v21, s[8:9]
	;; [unrolled: 1-line block ×3, first 2 shown]
	v_alignbit_b32 v24, v16, v22, v23
	v_cndmask_b32_e64 v18, v21, v17, s[8:9]
	v_cndmask_b32_e64 v16, v24, v16, s[10:11]
	v_alignbit_b32 v20, v22, v18, v23
	v_cndmask_b32_e32 v13, v19, v13, vcc
	v_cndmask_b32_e64 v20, v20, v22, s[10:11]
	v_bfe_u32 v24, v16, 29, 1
	v_cndmask_b32_e64 v13, v14, v13, s[4:5]
	v_alignbit_b32 v21, v16, v20, 30
	v_sub_u32_e32 v25, 0, v24
	v_cndmask_b32_e64 v13, v17, v13, s[8:9]
	v_xor_b32_e32 v21, v21, v25
	v_alignbit_b32 v14, v18, v13, v23
	v_cndmask_b32_e64 v14, v14, v18, s[10:11]
	v_ffbh_u32_e32 v18, v21
	v_alignbit_b32 v17, v20, v14, 30
	v_min_u32_e32 v18, 32, v18
	v_alignbit_b32 v13, v14, v13, 30
	v_xor_b32_e32 v17, v17, v25
	v_sub_u32_e32 v19, 31, v18
	v_xor_b32_e32 v13, v13, v25
	v_alignbit_b32 v20, v21, v17, v19
	v_alignbit_b32 v13, v17, v13, v19
	;; [unrolled: 1-line block ×3, first 2 shown]
	v_ffbh_u32_e32 v17, v14
	v_min_u32_e32 v17, 32, v17
	v_lshrrev_b32_e32 v22, 29, v16
	v_not_b32_e32 v19, v17
	v_alignbit_b32 v13, v14, v13, v19
	v_lshlrev_b32_e32 v14, 31, v22
	v_or_b32_e32 v19, 0x33000000, v14
	v_add_lshl_u32 v17, v17, v18, 23
	v_lshrrev_b32_e32 v13, 9, v13
	v_sub_u32_e32 v17, v19, v17
	v_or_b32_e32 v14, 0.5, v14
	v_lshlrev_b32_e32 v18, 23, v18
	v_or_b32_e32 v13, v17, v13
	v_lshrrev_b32_e32 v17, 9, v20
	v_sub_u32_e32 v14, v14, v18
	v_or_b32_e32 v14, v17, v14
	s_mov_b32 s4, 0x3fc90fda
	v_mul_f32_e32 v17, 0x3fc90fda, v14
	v_fma_f32 v18, v14, s4, -v17
	v_fmac_f32_e32 v18, 0x33a22168, v14
	v_fmac_f32_e32 v18, 0x3fc90fda, v13
	v_lshrrev_b32_e32 v13, 30, v16
	v_add_f32_e32 v14, v17, v18
	v_add_u32_e32 v13, v24, v13
.LBB73_18:
	s_andn2_saveexec_b64 s[4:5], s[20:21]
	s_cbranch_execz .LBB73_20
; %bb.19:
	s_mov_b32 s8, 0x3f22f983
	v_mul_f32_e64 v13, |v10|, s8
	v_rndne_f32_e32 v16, v13
	s_mov_b32 s8, 0xbfc90fda
	v_cvt_i32_f32_e32 v13, v16
	v_fma_f32 v14, v16, s8, |v10|
	v_fmac_f32_e32 v14, 0xb3a22168, v16
	v_fmac_f32_e32 v14, 0xa7c234c4, v16
.LBB73_20:
	s_or_b64 exec, exec, s[4:5]
	v_mul_f32_e32 v16, v14, v14
	v_mov_b32_e32 v17, 0x3c0881c4
	v_fmac_f32_e32 v17, 0xb94c1982, v16
	v_mov_b32_e32 v18, 0xbe2aaa9d
	v_fmac_f32_e32 v18, v16, v17
	v_mul_f32_e32 v17, v16, v18
	v_fmac_f32_e32 v14, v14, v17
	v_mov_b32_e32 v17, 0xbab64f3b
	v_fmac_f32_e32 v17, 0x37d75334, v16
	v_mov_b32_e32 v18, 0x3d2aabf7
	;; [unrolled: 2-line block ×3, first 2 shown]
	v_fmac_f32_e32 v17, v16, v18
	v_fma_f32 v16, v16, v17, 1.0
	v_and_b32_e32 v17, 1, v13
	v_lshlrev_b32_e32 v13, 30, v13
	v_cmp_eq_u32_e32 vcc, 0, v17
	v_and_b32_e32 v13, 0x80000000, v13
	v_xor_b32_e32 v11, v11, v10
	v_cndmask_b32_e32 v14, v16, v14, vcc
	v_xor_b32_e32 v11, v11, v13
	s_movk_i32 s4, 0x1f8
	v_xor_b32_e32 v11, v11, v14
	v_mov_b32_e32 v13, 0x7fc00000
	v_cmp_class_f32_e64 vcc, v10, s4
	v_cndmask_b32_e32 v10, v13, v11, vcc
	v_mul_f32_e32 v10, v10, v10
	s_mov_b32 s8, 0xc11de9e7
	v_div_scale_f32 v11, s[4:5], v10, v10, s8
	v_div_scale_f32 v13, vcc, s8, v10, s8
	v_sub_f32_e32 v8, 1.0, v8
	v_rcp_f32_e32 v14, v11
	v_fma_f32 v16, -v11, v14, 1.0
	v_fmac_f32_e32 v14, v16, v14
	v_mul_f32_e32 v16, v13, v14
	v_fma_f32 v17, -v11, v16, v13
	v_fmac_f32_e32 v16, v17, v14
	v_fma_f32 v11, -v11, v16, v13
	v_div_fmas_f32 v11, v11, v14, v16
	v_div_fixup_f32 v10, v11, v10, s8
	v_add_f32_e32 v13, 0, v10
	v_mov_b32_e32 v10, -1.0
.LBB73_21:
	s_or_b64 exec, exec, s[14:15]
	v_and_b32_e32 v9, 0xffff0000, v9
	v_cmp_gt_f32_e32 vcc, 0.5, v9
	v_mov_b32_e32 v14, 0
	v_mov_b32_e32 v11, 1.0
	s_and_saveexec_b64 s[14:15], vcc
	s_cbranch_execz .LBB73_27
; %bb.22:
	v_mul_f32_e32 v11, 0x40490fdb, v9
	s_brev_b32 s4, 18
	v_and_b32_e32 v14, 0x7fffffff, v11
	v_cmp_nlt_f32_e64 s[4:5], |v11|, s4
                                        ; implicit-def: $vgpr16
                                        ; implicit-def: $vgpr17
	s_and_saveexec_b64 s[8:9], s[4:5]
	s_xor_b64 s[20:21], exec, s[8:9]
	s_cbranch_execz .LBB73_24
; %bb.23:
	v_and_b32_e32 v16, 0x7fffff, v14
	v_or_b32_e32 v25, 0x800000, v16
	s_mov_b32 s4, 0xfe5163ab
	v_mad_u64_u32 v[16:17], s[4:5], v25, s4, 0
	v_mov_b32_e32 v18, 0
	s_mov_b32 s4, 0x3c439041
	v_mad_u64_u32 v[19:20], s[4:5], v25, s4, v[17:18]
	s_mov_b32 s4, 0xdb629599
	v_not_b32_e32 v24, 63
	v_mov_b32_e32 v17, v20
	v_mad_u64_u32 v[20:21], s[4:5], v25, s4, v[17:18]
	s_mov_b32 s4, 0xf534ddc0
	v_not_b32_e32 v27, 31
	v_mov_b32_e32 v17, v21
	v_mad_u64_u32 v[21:22], s[4:5], v25, s4, v[17:18]
	v_lshrrev_b32_e32 v17, 23, v14
	v_add_u32_e32 v26, 0xffffff88, v17
	v_mov_b32_e32 v17, v22
	s_mov_b32 s4, 0xfc2757d1
	v_mad_u64_u32 v[22:23], s[4:5], v25, s4, v[17:18]
	v_cmp_lt_u32_e32 vcc, 63, v26
	v_cndmask_b32_e32 v17, 0, v24, vcc
	v_add_u32_e32 v26, v17, v26
	v_mov_b32_e32 v17, v23
	s_mov_b32 s4, 0x4e441529
	v_mad_u64_u32 v[23:24], s[4:5], v25, s4, v[17:18]
	v_cmp_lt_u32_e64 s[4:5], 31, v26
	v_cndmask_b32_e64 v17, 0, v27, s[4:5]
	v_add_u32_e32 v26, v17, v26
	v_mov_b32_e32 v17, v24
	s_mov_b32 s8, 0xa2f9836e
	v_mad_u64_u32 v[17:18], s[8:9], v25, s8, v[17:18]
	v_cmp_lt_u32_e64 s[8:9], 31, v26
	v_cndmask_b32_e64 v24, 0, v27, s[8:9]
	v_cndmask_b32_e32 v25, v23, v21, vcc
	v_cndmask_b32_e32 v17, v17, v22, vcc
	;; [unrolled: 1-line block ×3, first 2 shown]
	v_add_u32_e32 v24, v24, v26
	v_cndmask_b32_e64 v26, v17, v25, s[4:5]
	v_cndmask_b32_e64 v17, v18, v17, s[4:5]
	v_cndmask_b32_e32 v18, v22, v20, vcc
	v_cndmask_b32_e64 v22, v25, v18, s[4:5]
	v_cndmask_b32_e64 v17, v17, v26, s[8:9]
	;; [unrolled: 1-line block ×3, first 2 shown]
	v_sub_u32_e32 v25, 32, v24
	v_alignbit_b32 v26, v17, v23, v25
	v_cmp_eq_u32_e64 s[10:11], 0, v24
	v_cndmask_b32_e64 v24, v26, v17, s[10:11]
	v_cndmask_b32_e32 v17, v21, v19, vcc
	v_cndmask_b32_e64 v18, v18, v17, s[4:5]
	v_cndmask_b32_e64 v19, v22, v18, s[8:9]
	v_alignbit_b32 v21, v23, v19, v25
	v_cndmask_b32_e32 v16, v20, v16, vcc
	v_cndmask_b32_e64 v21, v21, v23, s[10:11]
	v_bfe_u32 v26, v24, 29, 1
	v_cndmask_b32_e64 v16, v17, v16, s[4:5]
	v_alignbit_b32 v22, v24, v21, 30
	v_sub_u32_e32 v27, 0, v26
	v_cndmask_b32_e64 v16, v18, v16, s[8:9]
	v_xor_b32_e32 v22, v22, v27
	v_alignbit_b32 v17, v19, v16, v25
	v_cndmask_b32_e64 v17, v17, v19, s[10:11]
	v_ffbh_u32_e32 v19, v22
	v_alignbit_b32 v18, v21, v17, 30
	v_min_u32_e32 v19, 32, v19
	v_alignbit_b32 v16, v17, v16, 30
	v_xor_b32_e32 v18, v18, v27
	v_sub_u32_e32 v20, 31, v19
	v_xor_b32_e32 v16, v16, v27
	v_alignbit_b32 v21, v22, v18, v20
	v_alignbit_b32 v16, v18, v16, v20
	;; [unrolled: 1-line block ×3, first 2 shown]
	v_ffbh_u32_e32 v18, v17
	v_min_u32_e32 v18, 32, v18
	v_lshrrev_b32_e32 v23, 29, v24
	v_not_b32_e32 v20, v18
	v_alignbit_b32 v16, v17, v16, v20
	v_lshlrev_b32_e32 v17, 31, v23
	v_or_b32_e32 v20, 0x33000000, v17
	v_add_lshl_u32 v18, v18, v19, 23
	v_lshrrev_b32_e32 v16, 9, v16
	v_sub_u32_e32 v18, v20, v18
	v_or_b32_e32 v17, 0.5, v17
	v_lshlrev_b32_e32 v19, 23, v19
	v_or_b32_e32 v16, v18, v16
	v_lshrrev_b32_e32 v18, 9, v21
	v_sub_u32_e32 v17, v17, v19
	v_or_b32_e32 v17, v18, v17
	s_mov_b32 s4, 0x3fc90fda
	v_mul_f32_e32 v18, 0x3fc90fda, v17
	v_fma_f32 v19, v17, s4, -v18
	v_fmac_f32_e32 v19, 0x33a22168, v17
	v_fmac_f32_e32 v19, 0x3fc90fda, v16
	v_lshrrev_b32_e32 v16, 30, v24
	v_add_f32_e32 v17, v18, v19
	v_add_u32_e32 v16, v26, v16
.LBB73_24:
	s_andn2_saveexec_b64 s[4:5], s[20:21]
	s_cbranch_execz .LBB73_26
; %bb.25:
	s_mov_b32 s8, 0x3f22f983
	v_mul_f32_e64 v16, |v11|, s8
	v_rndne_f32_e32 v18, v16
	s_mov_b32 s8, 0xbfc90fda
	v_cvt_i32_f32_e32 v16, v18
	v_fma_f32 v17, v18, s8, |v11|
	v_fmac_f32_e32 v17, 0xb3a22168, v18
	v_fmac_f32_e32 v17, 0xa7c234c4, v18
.LBB73_26:
	s_or_b64 exec, exec, s[4:5]
	v_mul_f32_e32 v18, v17, v17
	v_mov_b32_e32 v19, 0x3c0881c4
	v_fmac_f32_e32 v19, 0xb94c1982, v18
	v_mov_b32_e32 v20, 0xbe2aaa9d
	v_fmac_f32_e32 v20, v18, v19
	v_mul_f32_e32 v19, v18, v20
	v_fmac_f32_e32 v17, v17, v19
	v_mov_b32_e32 v19, 0xbab64f3b
	v_fmac_f32_e32 v19, 0x37d75334, v18
	v_mov_b32_e32 v20, 0x3d2aabf7
	;; [unrolled: 2-line block ×3, first 2 shown]
	v_fmac_f32_e32 v19, v18, v20
	v_fma_f32 v18, v18, v19, 1.0
	v_and_b32_e32 v19, 1, v16
	v_lshlrev_b32_e32 v16, 30, v16
	v_cmp_eq_u32_e32 vcc, 0, v19
	v_and_b32_e32 v16, 0x80000000, v16
	v_xor_b32_e32 v14, v14, v11
	v_cndmask_b32_e32 v17, v18, v17, vcc
	v_xor_b32_e32 v14, v14, v16
	s_movk_i32 s4, 0x1f8
	v_xor_b32_e32 v14, v14, v17
	v_mov_b32_e32 v16, 0x7fc00000
	v_cmp_class_f32_e64 vcc, v11, s4
	v_cndmask_b32_e32 v11, v16, v14, vcc
	v_mul_f32_e32 v11, v11, v11
	s_mov_b32 s8, 0xc11de9e7
	v_div_scale_f32 v14, s[4:5], v11, v11, s8
	v_div_scale_f32 v16, vcc, s8, v11, s8
	v_sub_f32_e32 v9, 1.0, v9
	v_rcp_f32_e32 v17, v14
	v_fma_f32 v18, -v14, v17, 1.0
	v_fmac_f32_e32 v17, v18, v17
	v_mul_f32_e32 v18, v16, v17
	v_fma_f32 v19, -v14, v18, v16
	v_fmac_f32_e32 v18, v19, v17
	v_fma_f32 v14, -v14, v18, v16
	v_div_fmas_f32 v14, v14, v17, v18
	v_div_fixup_f32 v11, v14, v11, s8
	v_add_f32_e32 v14, 0, v11
	v_mov_b32_e32 v11, -1.0
.LBB73_27:
	s_or_b64 exec, exec, s[14:15]
	s_waitcnt vmcnt(1)
	v_lshlrev_b32_e32 v19, 16, v15
	v_cmp_gt_f32_e32 vcc, 0.5, v19
	v_mov_b32_e32 v23, 0
	v_mov_b32_e32 v21, 1.0
	s_and_saveexec_b64 s[14:15], vcc
	s_cbranch_execz .LBB73_33
; %bb.28:
	v_mul_f32_e32 v16, 0x40490fdb, v19
	s_brev_b32 s4, 18
	v_and_b32_e32 v17, 0x7fffffff, v16
	v_cmp_nlt_f32_e64 s[4:5], |v16|, s4
                                        ; implicit-def: $vgpr18
                                        ; implicit-def: $vgpr20
	s_and_saveexec_b64 s[8:9], s[4:5]
	s_xor_b64 s[20:21], exec, s[8:9]
	s_cbranch_execz .LBB73_30
; %bb.29:
	v_and_b32_e32 v18, 0x7fffff, v17
	v_or_b32_e32 v18, 0x800000, v18
	s_mov_b32 s4, 0xfe5163ab
	v_mad_u64_u32 v[20:21], s[4:5], v18, s4, 0
	v_mov_b32_e32 v22, 0
	s_mov_b32 s4, 0x3c439041
	v_mad_u64_u32 v[23:24], s[4:5], v18, s4, v[21:22]
	s_mov_b32 s4, 0xdb629599
	v_not_b32_e32 v28, 63
	v_mov_b32_e32 v21, v24
	v_mad_u64_u32 v[24:25], s[4:5], v18, s4, v[21:22]
	s_mov_b32 s4, 0xf534ddc0
	v_not_b32_e32 v30, 31
	v_mov_b32_e32 v21, v25
	v_mad_u64_u32 v[25:26], s[4:5], v18, s4, v[21:22]
	v_lshrrev_b32_e32 v21, 23, v17
	v_add_u32_e32 v29, 0xffffff88, v21
	v_mov_b32_e32 v21, v26
	s_mov_b32 s4, 0xfc2757d1
	v_mad_u64_u32 v[26:27], s[4:5], v18, s4, v[21:22]
	v_cmp_lt_u32_e32 vcc, 63, v29
	v_cndmask_b32_e32 v21, 0, v28, vcc
	v_add_u32_e32 v29, v21, v29
	v_mov_b32_e32 v21, v27
	s_mov_b32 s4, 0x4e441529
	v_mad_u64_u32 v[27:28], s[4:5], v18, s4, v[21:22]
	v_cmp_lt_u32_e64 s[4:5], 31, v29
	v_cndmask_b32_e64 v21, 0, v30, s[4:5]
	v_add_u32_e32 v29, v21, v29
	v_mov_b32_e32 v21, v28
	s_mov_b32 s8, 0xa2f9836e
	v_mad_u64_u32 v[21:22], s[8:9], v18, s8, v[21:22]
	v_cmp_lt_u32_e64 s[8:9], 31, v29
	v_cndmask_b32_e64 v18, 0, v30, s[8:9]
	v_cndmask_b32_e32 v28, v27, v25, vcc
	v_cndmask_b32_e32 v21, v21, v26, vcc
	;; [unrolled: 1-line block ×3, first 2 shown]
	v_add_u32_e32 v18, v18, v29
	v_cndmask_b32_e64 v29, v21, v28, s[4:5]
	v_cndmask_b32_e64 v21, v22, v21, s[4:5]
	v_cndmask_b32_e32 v22, v26, v24, vcc
	v_cndmask_b32_e64 v26, v28, v22, s[4:5]
	v_cndmask_b32_e64 v21, v21, v29, s[8:9]
	;; [unrolled: 1-line block ×3, first 2 shown]
	v_sub_u32_e32 v28, 32, v18
	v_alignbit_b32 v29, v21, v27, v28
	v_cmp_eq_u32_e64 s[10:11], 0, v18
	v_cndmask_b32_e64 v18, v29, v21, s[10:11]
	v_cndmask_b32_e32 v21, v25, v23, vcc
	v_cndmask_b32_e64 v22, v22, v21, s[4:5]
	v_cndmask_b32_e64 v23, v26, v22, s[8:9]
	v_alignbit_b32 v25, v27, v23, v28
	v_cndmask_b32_e32 v20, v24, v20, vcc
	v_cndmask_b32_e64 v25, v25, v27, s[10:11]
	v_bfe_u32 v29, v18, 29, 1
	v_cndmask_b32_e64 v20, v21, v20, s[4:5]
	v_alignbit_b32 v26, v18, v25, 30
	v_sub_u32_e32 v30, 0, v29
	v_cndmask_b32_e64 v20, v22, v20, s[8:9]
	v_xor_b32_e32 v26, v26, v30
	v_alignbit_b32 v21, v23, v20, v28
	v_cndmask_b32_e64 v21, v21, v23, s[10:11]
	v_ffbh_u32_e32 v23, v26
	v_alignbit_b32 v22, v25, v21, 30
	v_min_u32_e32 v23, 32, v23
	v_alignbit_b32 v20, v21, v20, 30
	v_xor_b32_e32 v22, v22, v30
	v_sub_u32_e32 v24, 31, v23
	v_xor_b32_e32 v20, v20, v30
	v_alignbit_b32 v25, v26, v22, v24
	v_alignbit_b32 v20, v22, v20, v24
	;; [unrolled: 1-line block ×3, first 2 shown]
	v_ffbh_u32_e32 v22, v21
	v_min_u32_e32 v22, 32, v22
	v_lshrrev_b32_e32 v27, 29, v18
	v_not_b32_e32 v24, v22
	v_alignbit_b32 v20, v21, v20, v24
	v_lshlrev_b32_e32 v21, 31, v27
	v_or_b32_e32 v24, 0x33000000, v21
	v_add_lshl_u32 v22, v22, v23, 23
	v_lshrrev_b32_e32 v20, 9, v20
	v_sub_u32_e32 v22, v24, v22
	v_or_b32_e32 v21, 0.5, v21
	v_lshlrev_b32_e32 v23, 23, v23
	v_or_b32_e32 v20, v22, v20
	v_lshrrev_b32_e32 v22, 9, v25
	v_sub_u32_e32 v21, v21, v23
	v_or_b32_e32 v21, v22, v21
	s_mov_b32 s4, 0x3fc90fda
	v_mul_f32_e32 v22, 0x3fc90fda, v21
	v_fma_f32 v23, v21, s4, -v22
	v_fmac_f32_e32 v23, 0x33a22168, v21
	v_fmac_f32_e32 v23, 0x3fc90fda, v20
	v_lshrrev_b32_e32 v18, 30, v18
	v_add_f32_e32 v20, v22, v23
	v_add_u32_e32 v18, v29, v18
.LBB73_30:
	s_andn2_saveexec_b64 s[4:5], s[20:21]
	s_cbranch_execz .LBB73_32
; %bb.31:
	s_mov_b32 s8, 0x3f22f983
	v_mul_f32_e64 v18, |v16|, s8
	v_rndne_f32_e32 v21, v18
	s_mov_b32 s8, 0xbfc90fda
	v_cvt_i32_f32_e32 v18, v21
	v_fma_f32 v20, v21, s8, |v16|
	v_fmac_f32_e32 v20, 0xb3a22168, v21
	v_fmac_f32_e32 v20, 0xa7c234c4, v21
.LBB73_32:
	s_or_b64 exec, exec, s[4:5]
	v_mul_f32_e32 v21, v20, v20
	v_mov_b32_e32 v22, 0x3c0881c4
	v_fmac_f32_e32 v22, 0xb94c1982, v21
	v_mov_b32_e32 v23, 0xbe2aaa9d
	v_fmac_f32_e32 v23, v21, v22
	v_mul_f32_e32 v22, v21, v23
	v_fmac_f32_e32 v20, v20, v22
	v_mov_b32_e32 v22, 0xbab64f3b
	v_fmac_f32_e32 v22, 0x37d75334, v21
	v_mov_b32_e32 v23, 0x3d2aabf7
	;; [unrolled: 2-line block ×3, first 2 shown]
	v_fmac_f32_e32 v22, v21, v23
	v_fma_f32 v21, v21, v22, 1.0
	v_and_b32_e32 v22, 1, v18
	v_lshlrev_b32_e32 v18, 30, v18
	v_cmp_eq_u32_e32 vcc, 0, v22
	v_and_b32_e32 v18, 0x80000000, v18
	v_xor_b32_e32 v17, v17, v16
	v_cndmask_b32_e32 v20, v21, v20, vcc
	v_xor_b32_e32 v17, v17, v18
	s_movk_i32 s4, 0x1f8
	v_xor_b32_e32 v17, v17, v20
	v_mov_b32_e32 v18, 0x7fc00000
	v_cmp_class_f32_e64 vcc, v16, s4
	v_cndmask_b32_e32 v16, v18, v17, vcc
	v_mul_f32_e32 v16, v16, v16
	s_mov_b32 s8, 0xc11de9e7
	v_div_scale_f32 v17, s[4:5], v16, v16, s8
	v_div_scale_f32 v18, vcc, s8, v16, s8
	v_sub_f32_e32 v19, 1.0, v19
	v_rcp_f32_e32 v20, v17
	v_fma_f32 v21, -v17, v20, 1.0
	v_fmac_f32_e32 v20, v21, v20
	v_mul_f32_e32 v21, v18, v20
	v_fma_f32 v22, -v17, v21, v18
	v_fmac_f32_e32 v21, v22, v20
	v_fma_f32 v17, -v17, v21, v18
	v_div_fmas_f32 v17, v17, v20, v21
	v_mov_b32_e32 v21, -1.0
	v_div_fixup_f32 v16, v17, v16, s8
	v_add_f32_e32 v23, 0, v16
.LBB73_33:
	s_or_b64 exec, exec, s[14:15]
	v_and_b32_e32 v20, 0xffff0000, v15
	v_cmp_gt_f32_e32 vcc, 0.5, v20
	v_mov_b32_e32 v24, 0
	v_mov_b32_e32 v22, 1.0
	s_and_saveexec_b64 s[14:15], vcc
	s_cbranch_execz .LBB73_39
; %bb.34:
	v_mul_f32_e32 v15, 0x40490fdb, v20
	s_brev_b32 s4, 18
	v_and_b32_e32 v16, 0x7fffffff, v15
	v_cmp_nlt_f32_e64 s[4:5], |v15|, s4
                                        ; implicit-def: $vgpr17
                                        ; implicit-def: $vgpr18
	s_and_saveexec_b64 s[8:9], s[4:5]
	s_xor_b64 s[20:21], exec, s[8:9]
	s_cbranch_execz .LBB73_36
; %bb.35:
	v_and_b32_e32 v17, 0x7fffff, v16
	v_or_b32_e32 v22, 0x800000, v17
	s_mov_b32 s4, 0xfe5163ab
	v_mad_u64_u32 v[17:18], s[4:5], v22, s4, 0
	v_mov_b32_e32 v25, 0
	s_mov_b32 s4, 0x3c439041
	v_mov_b32_e32 v24, v18
	v_mad_u64_u32 v[26:27], s[4:5], v22, s4, v[24:25]
	s_mov_b32 s4, 0xdb629599
	v_lshrrev_b32_e32 v18, 23, v16
	v_mov_b32_e32 v24, v27
	v_mad_u64_u32 v[27:28], s[4:5], v22, s4, v[24:25]
	s_mov_b32 s4, 0xf534ddc0
	v_add_u32_e32 v18, 0xffffff88, v18
	v_mov_b32_e32 v24, v28
	v_mad_u64_u32 v[28:29], s[4:5], v22, s4, v[24:25]
	s_mov_b32 s4, 0xfc2757d1
	v_not_b32_e32 v31, 63
	v_mov_b32_e32 v24, v29
	v_mad_u64_u32 v[29:30], s[4:5], v22, s4, v[24:25]
	v_cmp_lt_u32_e32 vcc, 63, v18
	v_cndmask_b32_e32 v24, 0, v31, vcc
	v_add_u32_e32 v18, v24, v18
	v_mov_b32_e32 v24, v30
	s_mov_b32 s4, 0x4e441529
	v_mad_u64_u32 v[30:31], s[4:5], v22, s4, v[24:25]
	v_not_b32_e32 v32, 31
	v_cmp_lt_u32_e64 s[4:5], 31, v18
	v_cndmask_b32_e64 v24, 0, v32, s[4:5]
	v_add_u32_e32 v18, v24, v18
	v_mov_b32_e32 v24, v31
	s_mov_b32 s8, 0xa2f9836e
	v_mad_u64_u32 v[24:25], s[8:9], v22, s8, v[24:25]
	v_cmp_lt_u32_e64 s[8:9], 31, v18
	v_cndmask_b32_e64 v22, 0, v32, s[8:9]
	v_add_u32_e32 v18, v22, v18
	v_cndmask_b32_e32 v22, v30, v28, vcc
	v_cndmask_b32_e32 v24, v24, v29, vcc
	;; [unrolled: 1-line block ×3, first 2 shown]
	v_cndmask_b32_e64 v31, v24, v22, s[4:5]
	v_cndmask_b32_e64 v24, v25, v24, s[4:5]
	v_cndmask_b32_e32 v25, v29, v27, vcc
	v_cndmask_b32_e64 v22, v22, v25, s[4:5]
	v_sub_u32_e32 v30, 32, v18
	v_cmp_eq_u32_e64 s[10:11], 0, v18
	v_cndmask_b32_e32 v18, v28, v26, vcc
	v_cndmask_b32_e64 v24, v24, v31, s[8:9]
	v_cndmask_b32_e64 v29, v31, v22, s[8:9]
	v_cndmask_b32_e64 v25, v25, v18, s[4:5]
	v_alignbit_b32 v31, v24, v29, v30
	v_cndmask_b32_e64 v22, v22, v25, s[8:9]
	v_cndmask_b32_e64 v24, v31, v24, s[10:11]
	v_alignbit_b32 v26, v29, v22, v30
	v_cndmask_b32_e32 v17, v27, v17, vcc
	v_cndmask_b32_e64 v26, v26, v29, s[10:11]
	v_bfe_u32 v31, v24, 29, 1
	v_cndmask_b32_e64 v17, v18, v17, s[4:5]
	v_alignbit_b32 v28, v24, v26, 30
	v_sub_u32_e32 v32, 0, v31
	v_cndmask_b32_e64 v17, v25, v17, s[8:9]
	v_xor_b32_e32 v28, v28, v32
	v_alignbit_b32 v18, v22, v17, v30
	v_cndmask_b32_e64 v18, v18, v22, s[10:11]
	v_ffbh_u32_e32 v25, v28
	v_alignbit_b32 v22, v26, v18, 30
	v_min_u32_e32 v25, 32, v25
	v_alignbit_b32 v17, v18, v17, 30
	v_xor_b32_e32 v22, v22, v32
	v_sub_u32_e32 v26, 31, v25
	v_xor_b32_e32 v17, v17, v32
	v_alignbit_b32 v27, v28, v22, v26
	v_alignbit_b32 v17, v22, v17, v26
	;; [unrolled: 1-line block ×3, first 2 shown]
	v_ffbh_u32_e32 v22, v18
	v_min_u32_e32 v22, 32, v22
	v_lshrrev_b32_e32 v29, 29, v24
	v_not_b32_e32 v26, v22
	v_alignbit_b32 v17, v18, v17, v26
	v_lshlrev_b32_e32 v18, 31, v29
	v_or_b32_e32 v26, 0x33000000, v18
	v_add_lshl_u32 v22, v22, v25, 23
	v_lshrrev_b32_e32 v17, 9, v17
	v_sub_u32_e32 v22, v26, v22
	v_or_b32_e32 v18, 0.5, v18
	v_lshlrev_b32_e32 v25, 23, v25
	v_or_b32_e32 v17, v22, v17
	v_lshrrev_b32_e32 v22, 9, v27
	v_sub_u32_e32 v18, v18, v25
	v_or_b32_e32 v18, v22, v18
	s_mov_b32 s4, 0x3fc90fda
	v_mul_f32_e32 v22, 0x3fc90fda, v18
	v_fma_f32 v25, v18, s4, -v22
	v_fmac_f32_e32 v25, 0x33a22168, v18
	v_fmac_f32_e32 v25, 0x3fc90fda, v17
	v_lshrrev_b32_e32 v17, 30, v24
	v_add_f32_e32 v18, v22, v25
	v_add_u32_e32 v17, v31, v17
.LBB73_36:
	s_andn2_saveexec_b64 s[4:5], s[20:21]
	s_cbranch_execz .LBB73_38
; %bb.37:
	s_mov_b32 s8, 0x3f22f983
	v_mul_f32_e64 v17, |v15|, s8
	v_rndne_f32_e32 v22, v17
	s_mov_b32 s8, 0xbfc90fda
	v_cvt_i32_f32_e32 v17, v22
	v_fma_f32 v18, v22, s8, |v15|
	v_fmac_f32_e32 v18, 0xb3a22168, v22
	v_fmac_f32_e32 v18, 0xa7c234c4, v22
.LBB73_38:
	s_or_b64 exec, exec, s[4:5]
	v_mul_f32_e32 v22, v18, v18
	v_mov_b32_e32 v24, 0x3c0881c4
	v_fmac_f32_e32 v24, 0xb94c1982, v22
	v_mov_b32_e32 v25, 0xbe2aaa9d
	v_fmac_f32_e32 v25, v22, v24
	v_mul_f32_e32 v24, v22, v25
	v_fmac_f32_e32 v18, v18, v24
	v_mov_b32_e32 v24, 0xbab64f3b
	v_fmac_f32_e32 v24, 0x37d75334, v22
	v_mov_b32_e32 v25, 0x3d2aabf7
	;; [unrolled: 2-line block ×3, first 2 shown]
	v_fmac_f32_e32 v24, v22, v25
	v_fma_f32 v22, v22, v24, 1.0
	v_and_b32_e32 v24, 1, v17
	v_lshlrev_b32_e32 v17, 30, v17
	v_cmp_eq_u32_e32 vcc, 0, v24
	v_and_b32_e32 v17, 0x80000000, v17
	v_xor_b32_e32 v16, v16, v15
	v_cndmask_b32_e32 v18, v22, v18, vcc
	v_xor_b32_e32 v16, v16, v17
	s_movk_i32 s4, 0x1f8
	v_xor_b32_e32 v16, v16, v18
	v_mov_b32_e32 v17, 0x7fc00000
	v_cmp_class_f32_e64 vcc, v15, s4
	v_cndmask_b32_e32 v15, v17, v16, vcc
	v_mul_f32_e32 v15, v15, v15
	s_mov_b32 s8, 0xc11de9e7
	v_div_scale_f32 v16, s[4:5], v15, v15, s8
	v_div_scale_f32 v17, vcc, s8, v15, s8
	v_sub_f32_e32 v20, 1.0, v20
	v_rcp_f32_e32 v18, v16
	v_fma_f32 v22, -v16, v18, 1.0
	v_fmac_f32_e32 v18, v22, v18
	v_mul_f32_e32 v22, v17, v18
	v_fma_f32 v24, -v16, v22, v17
	v_fmac_f32_e32 v22, v24, v18
	v_fma_f32 v16, -v16, v22, v17
	v_div_fmas_f32 v16, v16, v18, v22
	v_mov_b32_e32 v22, -1.0
	v_div_fixup_f32 v15, v16, v15, s8
	v_add_f32_e32 v24, 0, v15
.LBB73_39:
	s_or_b64 exec, exec, s[14:15]
	s_waitcnt vmcnt(0)
	v_lshlrev_b32_e32 v18, 16, v12
	v_cmp_gt_f32_e32 vcc, 0.5, v18
	v_mov_b32_e32 v25, 0
	v_mov_b32_e32 v16, 1.0
	s_and_saveexec_b64 s[14:15], vcc
	s_cbranch_execz .LBB73_45
; %bb.40:
	v_mul_f32_e32 v15, 0x40490fdb, v18
	s_brev_b32 s4, 18
	v_and_b32_e32 v16, 0x7fffffff, v15
	v_cmp_nlt_f32_e64 s[4:5], |v15|, s4
                                        ; implicit-def: $vgpr17
                                        ; implicit-def: $vgpr25
	s_and_saveexec_b64 s[8:9], s[4:5]
	s_xor_b64 s[20:21], exec, s[8:9]
	s_cbranch_execz .LBB73_42
; %bb.41:
	v_and_b32_e32 v17, 0x7fffff, v16
	v_or_b32_e32 v17, 0x800000, v17
	s_mov_b32 s4, 0xfe5163ab
	v_mad_u64_u32 v[25:26], s[4:5], v17, s4, 0
	v_mov_b32_e32 v27, 0
	s_mov_b32 s4, 0x3c439041
	v_mad_u64_u32 v[28:29], s[4:5], v17, s4, v[26:27]
	s_mov_b32 s4, 0xdb629599
	v_not_b32_e32 v33, 63
	v_mov_b32_e32 v26, v29
	v_mad_u64_u32 v[29:30], s[4:5], v17, s4, v[26:27]
	s_mov_b32 s4, 0xf534ddc0
	v_not_b32_e32 v35, 31
	v_mov_b32_e32 v26, v30
	v_mad_u64_u32 v[30:31], s[4:5], v17, s4, v[26:27]
	v_lshrrev_b32_e32 v26, 23, v16
	v_add_u32_e32 v34, 0xffffff88, v26
	v_mov_b32_e32 v26, v31
	s_mov_b32 s4, 0xfc2757d1
	v_mad_u64_u32 v[31:32], s[4:5], v17, s4, v[26:27]
	v_cmp_lt_u32_e32 vcc, 63, v34
	v_cndmask_b32_e32 v26, 0, v33, vcc
	v_add_u32_e32 v34, v26, v34
	v_mov_b32_e32 v26, v32
	s_mov_b32 s4, 0x4e441529
	v_mad_u64_u32 v[32:33], s[4:5], v17, s4, v[26:27]
	v_cmp_lt_u32_e64 s[4:5], 31, v34
	v_cndmask_b32_e64 v26, 0, v35, s[4:5]
	v_add_u32_e32 v34, v26, v34
	v_mov_b32_e32 v26, v33
	s_mov_b32 s8, 0xa2f9836e
	v_mad_u64_u32 v[26:27], s[8:9], v17, s8, v[26:27]
	v_cmp_lt_u32_e64 s[8:9], 31, v34
	v_cndmask_b32_e64 v17, 0, v35, s[8:9]
	v_cndmask_b32_e32 v33, v32, v30, vcc
	v_cndmask_b32_e32 v26, v26, v31, vcc
	;; [unrolled: 1-line block ×3, first 2 shown]
	v_add_u32_e32 v17, v17, v34
	v_cndmask_b32_e64 v34, v26, v33, s[4:5]
	v_cndmask_b32_e64 v26, v27, v26, s[4:5]
	v_cndmask_b32_e32 v27, v31, v29, vcc
	v_cndmask_b32_e64 v31, v33, v27, s[4:5]
	v_cndmask_b32_e64 v26, v26, v34, s[8:9]
	;; [unrolled: 1-line block ×3, first 2 shown]
	v_sub_u32_e32 v33, 32, v17
	v_alignbit_b32 v34, v26, v32, v33
	v_cmp_eq_u32_e64 s[10:11], 0, v17
	v_cndmask_b32_e64 v17, v34, v26, s[10:11]
	v_cndmask_b32_e32 v26, v30, v28, vcc
	v_cndmask_b32_e64 v27, v27, v26, s[4:5]
	v_cndmask_b32_e64 v28, v31, v27, s[8:9]
	v_alignbit_b32 v30, v32, v28, v33
	v_cndmask_b32_e32 v25, v29, v25, vcc
	v_cndmask_b32_e64 v30, v30, v32, s[10:11]
	v_bfe_u32 v34, v17, 29, 1
	v_cndmask_b32_e64 v25, v26, v25, s[4:5]
	v_alignbit_b32 v31, v17, v30, 30
	v_sub_u32_e32 v35, 0, v34
	v_cndmask_b32_e64 v25, v27, v25, s[8:9]
	v_xor_b32_e32 v31, v31, v35
	v_alignbit_b32 v26, v28, v25, v33
	v_cndmask_b32_e64 v26, v26, v28, s[10:11]
	v_ffbh_u32_e32 v28, v31
	v_alignbit_b32 v27, v30, v26, 30
	v_min_u32_e32 v28, 32, v28
	v_alignbit_b32 v25, v26, v25, 30
	v_xor_b32_e32 v27, v27, v35
	v_sub_u32_e32 v29, 31, v28
	v_xor_b32_e32 v25, v25, v35
	v_alignbit_b32 v30, v31, v27, v29
	v_alignbit_b32 v25, v27, v25, v29
	v_alignbit_b32 v26, v30, v25, 9
	v_ffbh_u32_e32 v27, v26
	v_min_u32_e32 v27, 32, v27
	v_lshrrev_b32_e32 v32, 29, v17
	v_not_b32_e32 v29, v27
	v_alignbit_b32 v25, v26, v25, v29
	v_lshlrev_b32_e32 v26, 31, v32
	v_or_b32_e32 v29, 0x33000000, v26
	v_add_lshl_u32 v27, v27, v28, 23
	v_lshrrev_b32_e32 v25, 9, v25
	v_sub_u32_e32 v27, v29, v27
	v_or_b32_e32 v26, 0.5, v26
	v_lshlrev_b32_e32 v28, 23, v28
	v_or_b32_e32 v25, v27, v25
	v_lshrrev_b32_e32 v27, 9, v30
	v_sub_u32_e32 v26, v26, v28
	v_or_b32_e32 v26, v27, v26
	s_mov_b32 s4, 0x3fc90fda
	v_mul_f32_e32 v27, 0x3fc90fda, v26
	v_fma_f32 v28, v26, s4, -v27
	v_fmac_f32_e32 v28, 0x33a22168, v26
	v_fmac_f32_e32 v28, 0x3fc90fda, v25
	v_lshrrev_b32_e32 v17, 30, v17
	v_add_f32_e32 v25, v27, v28
	v_add_u32_e32 v17, v34, v17
.LBB73_42:
	s_andn2_saveexec_b64 s[4:5], s[20:21]
	s_cbranch_execz .LBB73_44
; %bb.43:
	s_mov_b32 s8, 0x3f22f983
	v_mul_f32_e64 v17, |v15|, s8
	v_rndne_f32_e32 v26, v17
	s_mov_b32 s8, 0xbfc90fda
	v_cvt_i32_f32_e32 v17, v26
	v_fma_f32 v25, v26, s8, |v15|
	v_fmac_f32_e32 v25, 0xb3a22168, v26
	v_fmac_f32_e32 v25, 0xa7c234c4, v26
.LBB73_44:
	s_or_b64 exec, exec, s[4:5]
	v_mul_f32_e32 v26, v25, v25
	v_mov_b32_e32 v27, 0x3c0881c4
	v_fmac_f32_e32 v27, 0xb94c1982, v26
	v_mov_b32_e32 v28, 0xbe2aaa9d
	v_fmac_f32_e32 v28, v26, v27
	v_mul_f32_e32 v27, v26, v28
	v_fmac_f32_e32 v25, v25, v27
	v_mov_b32_e32 v27, 0xbab64f3b
	v_fmac_f32_e32 v27, 0x37d75334, v26
	v_mov_b32_e32 v28, 0x3d2aabf7
	;; [unrolled: 2-line block ×3, first 2 shown]
	v_fmac_f32_e32 v27, v26, v28
	v_fma_f32 v26, v26, v27, 1.0
	v_and_b32_e32 v27, 1, v17
	v_lshlrev_b32_e32 v17, 30, v17
	v_cmp_eq_u32_e32 vcc, 0, v27
	v_and_b32_e32 v17, 0x80000000, v17
	v_xor_b32_e32 v16, v16, v15
	v_cndmask_b32_e32 v25, v26, v25, vcc
	v_xor_b32_e32 v16, v16, v17
	s_movk_i32 s4, 0x1f8
	v_xor_b32_e32 v16, v16, v25
	v_mov_b32_e32 v17, 0x7fc00000
	v_cmp_class_f32_e64 vcc, v15, s4
	v_cndmask_b32_e32 v15, v17, v16, vcc
	v_mul_f32_e32 v15, v15, v15
	s_mov_b32 s8, 0xc11de9e7
	v_div_scale_f32 v16, s[4:5], v15, v15, s8
	v_div_scale_f32 v17, vcc, s8, v15, s8
	v_sub_f32_e32 v18, 1.0, v18
	v_rcp_f32_e32 v25, v16
	v_fma_f32 v26, -v16, v25, 1.0
	v_fmac_f32_e32 v25, v26, v25
	v_mul_f32_e32 v26, v17, v25
	v_fma_f32 v27, -v16, v26, v17
	v_fmac_f32_e32 v26, v27, v25
	v_fma_f32 v16, -v16, v26, v17
	v_div_fmas_f32 v16, v16, v25, v26
	v_div_fixup_f32 v15, v16, v15, s8
	v_add_f32_e32 v25, 0, v15
	v_mov_b32_e32 v16, -1.0
.LBB73_45:
	s_or_b64 exec, exec, s[14:15]
	v_and_b32_e32 v15, 0xffff0000, v12
	v_cmp_gt_f32_e32 vcc, 0.5, v15
	v_mov_b32_e32 v17, 0
	v_mov_b32_e32 v12, 1.0
	s_and_saveexec_b64 s[14:15], vcc
	s_cbranch_execz .LBB73_51
; %bb.46:
	v_mul_f32_e32 v12, 0x40490fdb, v15
	s_brev_b32 s4, 18
	v_and_b32_e32 v17, 0x7fffffff, v12
	v_cmp_nlt_f32_e64 s[4:5], |v12|, s4
                                        ; implicit-def: $vgpr26
                                        ; implicit-def: $vgpr27
	s_and_saveexec_b64 s[8:9], s[4:5]
	s_xor_b64 s[20:21], exec, s[8:9]
	s_cbranch_execz .LBB73_48
; %bb.47:
	v_and_b32_e32 v26, 0x7fffff, v17
	v_or_b32_e32 v35, 0x800000, v26
	s_mov_b32 s4, 0xfe5163ab
	v_mad_u64_u32 v[26:27], s[4:5], v35, s4, 0
	v_mov_b32_e32 v28, 0
	s_mov_b32 s4, 0x3c439041
	v_mad_u64_u32 v[29:30], s[4:5], v35, s4, v[27:28]
	s_mov_b32 s4, 0xdb629599
	v_not_b32_e32 v34, 63
	v_mov_b32_e32 v27, v30
	v_mad_u64_u32 v[30:31], s[4:5], v35, s4, v[27:28]
	s_mov_b32 s4, 0xf534ddc0
	v_not_b32_e32 v37, 31
	v_mov_b32_e32 v27, v31
	v_mad_u64_u32 v[31:32], s[4:5], v35, s4, v[27:28]
	v_lshrrev_b32_e32 v27, 23, v17
	v_add_u32_e32 v36, 0xffffff88, v27
	v_mov_b32_e32 v27, v32
	s_mov_b32 s4, 0xfc2757d1
	v_mad_u64_u32 v[32:33], s[4:5], v35, s4, v[27:28]
	v_cmp_lt_u32_e32 vcc, 63, v36
	v_cndmask_b32_e32 v27, 0, v34, vcc
	v_add_u32_e32 v36, v27, v36
	v_mov_b32_e32 v27, v33
	s_mov_b32 s4, 0x4e441529
	v_mad_u64_u32 v[33:34], s[4:5], v35, s4, v[27:28]
	v_cmp_lt_u32_e64 s[4:5], 31, v36
	v_cndmask_b32_e64 v27, 0, v37, s[4:5]
	v_add_u32_e32 v36, v27, v36
	v_mov_b32_e32 v27, v34
	s_mov_b32 s8, 0xa2f9836e
	v_mad_u64_u32 v[27:28], s[8:9], v35, s8, v[27:28]
	v_cmp_lt_u32_e64 s[8:9], 31, v36
	v_cndmask_b32_e64 v34, 0, v37, s[8:9]
	v_cndmask_b32_e32 v35, v33, v31, vcc
	v_cndmask_b32_e32 v27, v27, v32, vcc
	v_cndmask_b32_e32 v28, v28, v33, vcc
	v_add_u32_e32 v34, v34, v36
	v_cndmask_b32_e64 v36, v27, v35, s[4:5]
	v_cndmask_b32_e64 v27, v28, v27, s[4:5]
	v_cndmask_b32_e32 v28, v32, v30, vcc
	v_cndmask_b32_e64 v32, v35, v28, s[4:5]
	v_cndmask_b32_e64 v27, v27, v36, s[8:9]
	;; [unrolled: 1-line block ×3, first 2 shown]
	v_sub_u32_e32 v35, 32, v34
	v_alignbit_b32 v36, v27, v33, v35
	v_cmp_eq_u32_e64 s[10:11], 0, v34
	v_cndmask_b32_e64 v34, v36, v27, s[10:11]
	v_cndmask_b32_e32 v27, v31, v29, vcc
	v_cndmask_b32_e64 v28, v28, v27, s[4:5]
	v_cndmask_b32_e64 v29, v32, v28, s[8:9]
	v_alignbit_b32 v31, v33, v29, v35
	v_cndmask_b32_e32 v26, v30, v26, vcc
	v_cndmask_b32_e64 v31, v31, v33, s[10:11]
	v_bfe_u32 v36, v34, 29, 1
	v_cndmask_b32_e64 v26, v27, v26, s[4:5]
	v_alignbit_b32 v32, v34, v31, 30
	v_sub_u32_e32 v37, 0, v36
	v_cndmask_b32_e64 v26, v28, v26, s[8:9]
	v_xor_b32_e32 v32, v32, v37
	v_alignbit_b32 v27, v29, v26, v35
	v_cndmask_b32_e64 v27, v27, v29, s[10:11]
	v_ffbh_u32_e32 v29, v32
	v_alignbit_b32 v28, v31, v27, 30
	v_min_u32_e32 v29, 32, v29
	v_alignbit_b32 v26, v27, v26, 30
	v_xor_b32_e32 v28, v28, v37
	v_sub_u32_e32 v30, 31, v29
	v_xor_b32_e32 v26, v26, v37
	v_alignbit_b32 v31, v32, v28, v30
	v_alignbit_b32 v26, v28, v26, v30
	;; [unrolled: 1-line block ×3, first 2 shown]
	v_ffbh_u32_e32 v28, v27
	v_min_u32_e32 v28, 32, v28
	v_lshrrev_b32_e32 v33, 29, v34
	v_not_b32_e32 v30, v28
	v_alignbit_b32 v26, v27, v26, v30
	v_lshlrev_b32_e32 v27, 31, v33
	v_or_b32_e32 v30, 0x33000000, v27
	v_add_lshl_u32 v28, v28, v29, 23
	v_lshrrev_b32_e32 v26, 9, v26
	v_sub_u32_e32 v28, v30, v28
	v_or_b32_e32 v27, 0.5, v27
	v_lshlrev_b32_e32 v29, 23, v29
	v_or_b32_e32 v26, v28, v26
	v_lshrrev_b32_e32 v28, 9, v31
	v_sub_u32_e32 v27, v27, v29
	v_or_b32_e32 v27, v28, v27
	s_mov_b32 s4, 0x3fc90fda
	v_mul_f32_e32 v28, 0x3fc90fda, v27
	v_fma_f32 v29, v27, s4, -v28
	v_fmac_f32_e32 v29, 0x33a22168, v27
	v_fmac_f32_e32 v29, 0x3fc90fda, v26
	v_lshrrev_b32_e32 v26, 30, v34
	v_add_f32_e32 v27, v28, v29
	v_add_u32_e32 v26, v36, v26
.LBB73_48:
	s_andn2_saveexec_b64 s[4:5], s[20:21]
	s_cbranch_execz .LBB73_50
; %bb.49:
	s_mov_b32 s8, 0x3f22f983
	v_mul_f32_e64 v26, |v12|, s8
	v_rndne_f32_e32 v28, v26
	s_mov_b32 s8, 0xbfc90fda
	v_cvt_i32_f32_e32 v26, v28
	v_fma_f32 v27, v28, s8, |v12|
	v_fmac_f32_e32 v27, 0xb3a22168, v28
	v_fmac_f32_e32 v27, 0xa7c234c4, v28
.LBB73_50:
	s_or_b64 exec, exec, s[4:5]
	v_mul_f32_e32 v28, v27, v27
	v_mov_b32_e32 v29, 0x3c0881c4
	v_fmac_f32_e32 v29, 0xb94c1982, v28
	v_mov_b32_e32 v30, 0xbe2aaa9d
	v_fmac_f32_e32 v30, v28, v29
	v_mul_f32_e32 v29, v28, v30
	v_fmac_f32_e32 v27, v27, v29
	v_mov_b32_e32 v29, 0xbab64f3b
	v_fmac_f32_e32 v29, 0x37d75334, v28
	v_mov_b32_e32 v30, 0x3d2aabf7
	;; [unrolled: 2-line block ×3, first 2 shown]
	v_fmac_f32_e32 v29, v28, v30
	v_fma_f32 v28, v28, v29, 1.0
	v_and_b32_e32 v29, 1, v26
	v_lshlrev_b32_e32 v26, 30, v26
	v_cmp_eq_u32_e32 vcc, 0, v29
	v_and_b32_e32 v26, 0x80000000, v26
	v_xor_b32_e32 v17, v17, v12
	v_cndmask_b32_e32 v27, v28, v27, vcc
	v_xor_b32_e32 v17, v17, v26
	s_movk_i32 s4, 0x1f8
	v_xor_b32_e32 v17, v17, v27
	v_mov_b32_e32 v26, 0x7fc00000
	v_cmp_class_f32_e64 vcc, v12, s4
	v_cndmask_b32_e32 v12, v26, v17, vcc
	v_mul_f32_e32 v12, v12, v12
	s_mov_b32 s8, 0xc11de9e7
	v_div_scale_f32 v17, s[4:5], v12, v12, s8
	v_div_scale_f32 v26, vcc, s8, v12, s8
	v_sub_f32_e32 v15, 1.0, v15
	v_rcp_f32_e32 v27, v17
	v_fma_f32 v28, -v17, v27, 1.0
	v_fmac_f32_e32 v27, v28, v27
	v_mul_f32_e32 v28, v26, v27
	v_fma_f32 v29, -v17, v28, v26
	v_fmac_f32_e32 v28, v29, v27
	v_fma_f32 v17, -v17, v28, v26
	v_div_fmas_f32 v17, v17, v27, v28
	v_div_fixup_f32 v12, v17, v12, s8
	v_add_f32_e32 v17, 0, v12
	v_mov_b32_e32 v12, -1.0
.LBB73_51:
	s_or_b64 exec, exec, s[14:15]
	v_mul_f32_e32 v26, v18, v18
	v_div_scale_f32 v27, s[4:5], v26, v26, 1.0
	v_add_f32_e32 v18, 1.0, v18
	v_rcp_f32_e32 v28, v27
	v_fma_f32 v29, -v27, v28, 1.0
	v_fmac_f32_e32 v28, v29, v28
	v_div_scale_f32 v29, vcc, 1.0, v26, 1.0
	v_mul_f32_e32 v30, v29, v28
	v_fma_f32 v31, -v27, v30, v29
	v_fmac_f32_e32 v30, v31, v28
	v_fma_f32 v27, -v27, v30, v29
	v_div_fmas_f32 v27, v27, v28, v30
	v_div_fixup_f32 v26, v27, v26, 1.0
	v_add_f32_e32 v25, v25, v26
	v_mul_f32_e32 v26, v18, v18
	v_div_scale_f32 v27, s[4:5], v26, v26, 1.0
	v_add_f32_e32 v18, 1.0, v18
	v_rcp_f32_e32 v28, v27
	v_fma_f32 v29, -v27, v28, 1.0
	v_fmac_f32_e32 v28, v29, v28
	v_div_scale_f32 v29, vcc, 1.0, v26, 1.0
	v_mul_f32_e32 v30, v29, v28
	v_fma_f32 v31, -v27, v30, v29
	v_fmac_f32_e32 v30, v31, v28
	v_fma_f32 v27, -v27, v30, v29
	v_div_fmas_f32 v27, v27, v28, v30
	v_div_fixup_f32 v26, v27, v26, 1.0
	v_add_f32_e32 v25, v25, v26
	;; [unrolled: 14-line block ×5, first 2 shown]
	v_mul_f32_e32 v26, v18, v18
	v_div_scale_f32 v27, s[4:5], v26, v26, 1.0
	v_rcp_f32_e32 v28, v27
	v_fma_f32 v29, -v27, v28, 1.0
	v_fmac_f32_e32 v28, v29, v28
	v_div_scale_f32 v29, vcc, 1.0, v26, 1.0
	v_mul_f32_e32 v30, v29, v28
	v_fma_f32 v31, -v27, v30, v29
	v_fmac_f32_e32 v30, v31, v28
	v_fma_f32 v27, -v27, v30, v29
	v_div_fmas_f32 v27, v27, v28, v30
	v_div_fixup_f32 v26, v27, v26, 1.0
	v_add_f32_e32 v25, v25, v26
	v_add_f32_e32 v26, 1.0, v18
	v_add_f32_e32 v18, v26, v26
	v_div_scale_f32 v27, s[4:5], v18, v18, 1.0
	v_rcp_f32_e32 v28, v27
	v_fma_f32 v29, -v27, v28, 1.0
	v_fmac_f32_e32 v28, v29, v28
	v_div_scale_f32 v29, vcc, 1.0, v18, 1.0
	v_mul_f32_e32 v30, v29, v28
	v_fma_f32 v31, -v27, v30, v29
	v_fmac_f32_e32 v30, v31, v28
	v_fma_f32 v27, -v27, v30, v29
	v_div_fmas_f32 v27, v27, v28, v30
	v_div_fixup_f32 v18, v27, v18, 1.0
	v_add_f32_e32 v27, 1.0, v18
	v_mul_f32_e32 v18, v26, v26
	v_div_scale_f32 v28, s[4:5], v18, v18, 1.0
	s_mov_b32 s5, 0x3e2aaaab
	s_movk_i32 s4, 0x7fff
	v_rcp_f32_e32 v29, v28
	v_fma_f32 v30, -v28, v29, 1.0
	v_fmac_f32_e32 v29, v30, v29
	v_div_scale_f32 v30, vcc, 1.0, v18, 1.0
	v_mul_f32_e32 v31, v30, v29
	v_fma_f32 v32, -v28, v31, v30
	v_fmac_f32_e32 v31, v32, v29
	v_fma_f32 v28, -v28, v31, v30
	v_div_fmas_f32 v28, v28, v29, v31
	v_mov_b32_e32 v29, 0x3d088889
	v_div_fixup_f32 v28, v28, v18, 1.0
	v_fmac_f32_e32 v29, 0xbcc30c31, v28
	v_fma_f32 v29, -v28, v29, s5
	v_fmac_f32_e32 v27, v28, v29
	v_div_scale_f32 v28, s[8:9], v26, v26, v27
	v_mov_b32_e32 v18, 0x3d088889
	v_rcp_f32_e32 v29, v28
	v_fma_f32 v30, -v28, v29, 1.0
	v_fmac_f32_e32 v29, v30, v29
	v_div_scale_f32 v30, vcc, v27, v26, v27
	v_mul_f32_e32 v31, v30, v29
	v_fma_f32 v32, -v28, v31, v30
	v_fmac_f32_e32 v31, v32, v29
	v_fma_f32 v28, -v28, v31, v30
	v_div_fmas_f32 v28, v28, v29, v31
	v_div_fixup_f32 v26, v28, v26, v27
	v_add_f32_e32 v25, v25, v26
	v_mul_f32_e32 v16, v16, v25
	v_bfe_u32 v25, v16, 16, 1
	v_add3_u32 v25, v16, v25, s4
	v_lshrrev_b32_e32 v26, 16, v25
	v_cmp_o_f32_e32 vcc, v16, v16
	v_mov_b32_e32 v25, 0x7fc0
	v_cndmask_b32_e32 v16, v25, v26, vcc
	v_mul_f32_e32 v26, v19, v19
	v_div_scale_f32 v27, s[8:9], v26, v26, 1.0
	v_add_f32_e32 v19, 1.0, v19
	v_rcp_f32_e32 v28, v27
	v_fma_f32 v29, -v27, v28, 1.0
	v_fmac_f32_e32 v28, v29, v28
	v_div_scale_f32 v29, vcc, 1.0, v26, 1.0
	v_mul_f32_e32 v30, v29, v28
	v_fma_f32 v31, -v27, v30, v29
	v_fmac_f32_e32 v30, v31, v28
	v_fma_f32 v27, -v27, v30, v29
	v_div_fmas_f32 v27, v27, v28, v30
	v_div_fixup_f32 v26, v27, v26, 1.0
	v_add_f32_e32 v23, v23, v26
	v_mul_f32_e32 v26, v19, v19
	v_div_scale_f32 v27, s[8:9], v26, v26, 1.0
	v_add_f32_e32 v19, 1.0, v19
	v_rcp_f32_e32 v28, v27
	v_fma_f32 v29, -v27, v28, 1.0
	v_fmac_f32_e32 v28, v29, v28
	v_div_scale_f32 v29, vcc, 1.0, v26, 1.0
	v_mul_f32_e32 v30, v29, v28
	v_fma_f32 v31, -v27, v30, v29
	v_fmac_f32_e32 v30, v31, v28
	v_fma_f32 v27, -v27, v30, v29
	v_div_fmas_f32 v27, v27, v28, v30
	v_div_fixup_f32 v26, v27, v26, 1.0
	v_add_f32_e32 v23, v23, v26
	;; [unrolled: 14-line block ×6, first 2 shown]
	v_add_f32_e32 v26, v19, v19
	v_div_scale_f32 v27, s[8:9], v26, v26, 1.0
	v_rcp_f32_e32 v28, v27
	v_fma_f32 v29, -v27, v28, 1.0
	v_fmac_f32_e32 v28, v29, v28
	v_div_scale_f32 v29, vcc, 1.0, v26, 1.0
	v_mul_f32_e32 v30, v29, v28
	v_fma_f32 v31, -v27, v30, v29
	v_fmac_f32_e32 v30, v31, v28
	v_fma_f32 v27, -v27, v30, v29
	v_div_fmas_f32 v27, v27, v28, v30
	v_div_fixup_f32 v26, v27, v26, 1.0
	v_mul_f32_e32 v27, v19, v19
	v_div_scale_f32 v28, s[8:9], v27, v27, 1.0
	v_add_f32_e32 v26, 1.0, v26
	v_rcp_f32_e32 v29, v28
	v_fma_f32 v30, -v28, v29, 1.0
	v_fmac_f32_e32 v29, v30, v29
	v_div_scale_f32 v30, vcc, 1.0, v27, 1.0
	v_mul_f32_e32 v31, v30, v29
	v_fma_f32 v32, -v28, v31, v30
	v_fmac_f32_e32 v31, v32, v29
	v_fma_f32 v28, -v28, v31, v30
	v_div_fmas_f32 v28, v28, v29, v31
	v_div_fixup_f32 v27, v28, v27, 1.0
	v_mov_b32_e32 v28, 0x3d088889
	v_fmac_f32_e32 v28, 0xbcc30c31, v27
	v_fma_f32 v28, -v27, v28, s5
	v_fmac_f32_e32 v26, v27, v28
	v_div_scale_f32 v27, s[8:9], v19, v19, v26
	v_rcp_f32_e32 v28, v27
	v_fma_f32 v29, -v27, v28, 1.0
	v_fmac_f32_e32 v28, v29, v28
	v_div_scale_f32 v29, vcc, v26, v19, v26
	v_mul_f32_e32 v30, v29, v28
	v_fma_f32 v31, -v27, v30, v29
	v_fmac_f32_e32 v30, v31, v28
	v_fma_f32 v27, -v27, v30, v29
	v_div_fmas_f32 v27, v27, v28, v30
	v_div_fixup_f32 v19, v27, v19, v26
	v_add_f32_e32 v19, v23, v19
	v_mul_f32_e32 v19, v21, v19
	v_bfe_u32 v21, v19, 16, 1
	v_add3_u32 v21, v19, v21, s4
	v_lshrrev_b32_e32 v21, 16, v21
	v_cmp_o_f32_e32 vcc, v19, v19
	v_cndmask_b32_e32 v19, v25, v21, vcc
	v_mul_f32_e32 v21, v20, v20
	v_div_scale_f32 v23, s[8:9], v21, v21, 1.0
	v_add_f32_e32 v20, 1.0, v20
	v_rcp_f32_e32 v26, v23
	v_fma_f32 v27, -v23, v26, 1.0
	v_fmac_f32_e32 v26, v27, v26
	v_div_scale_f32 v27, vcc, 1.0, v21, 1.0
	v_mul_f32_e32 v28, v27, v26
	v_fma_f32 v29, -v23, v28, v27
	v_fmac_f32_e32 v28, v29, v26
	v_fma_f32 v23, -v23, v28, v27
	v_div_fmas_f32 v23, v23, v26, v28
	v_div_fixup_f32 v21, v23, v21, 1.0
	v_mul_f32_e32 v23, v20, v20
	v_add_f32_e32 v21, v24, v21
	v_div_scale_f32 v24, s[8:9], v23, v23, 1.0
	v_add_f32_e32 v20, 1.0, v20
	v_rcp_f32_e32 v26, v24
	v_fma_f32 v27, -v24, v26, 1.0
	v_fmac_f32_e32 v26, v27, v26
	v_div_scale_f32 v27, vcc, 1.0, v23, 1.0
	v_mul_f32_e32 v28, v27, v26
	v_fma_f32 v29, -v24, v28, v27
	v_fmac_f32_e32 v28, v29, v26
	v_fma_f32 v24, -v24, v28, v27
	v_div_fmas_f32 v24, v24, v26, v28
	v_div_fixup_f32 v23, v24, v23, 1.0
	v_add_f32_e32 v21, v21, v23
	v_mul_f32_e32 v23, v20, v20
	v_div_scale_f32 v24, s[8:9], v23, v23, 1.0
	v_add_f32_e32 v20, 1.0, v20
	v_rcp_f32_e32 v26, v24
	v_fma_f32 v27, -v24, v26, 1.0
	v_fmac_f32_e32 v26, v27, v26
	v_div_scale_f32 v27, vcc, 1.0, v23, 1.0
	v_mul_f32_e32 v28, v27, v26
	v_fma_f32 v29, -v24, v28, v27
	v_fmac_f32_e32 v28, v29, v26
	v_fma_f32 v24, -v24, v28, v27
	v_div_fmas_f32 v24, v24, v26, v28
	v_div_fixup_f32 v23, v24, v23, 1.0
	v_add_f32_e32 v21, v21, v23
	v_mul_f32_e32 v23, v20, v20
	;; [unrolled: 14-line block ×4, first 2 shown]
	v_div_scale_f32 v24, s[8:9], v23, v23, 1.0
	v_add_f32_e32 v20, 1.0, v20
	v_rcp_f32_e32 v26, v24
	v_fma_f32 v27, -v24, v26, 1.0
	v_fmac_f32_e32 v26, v27, v26
	v_div_scale_f32 v27, vcc, 1.0, v23, 1.0
	v_mul_f32_e32 v28, v27, v26
	v_fma_f32 v29, -v24, v28, v27
	v_fmac_f32_e32 v28, v29, v26
	v_fma_f32 v24, -v24, v28, v27
	v_div_fmas_f32 v24, v24, v26, v28
	v_div_fixup_f32 v23, v24, v23, 1.0
	v_add_f32_e32 v21, v21, v23
	v_add_f32_e32 v23, v20, v20
	v_div_scale_f32 v24, s[8:9], v23, v23, 1.0
	v_rcp_f32_e32 v26, v24
	v_fma_f32 v27, -v24, v26, 1.0
	v_fmac_f32_e32 v26, v27, v26
	v_div_scale_f32 v27, vcc, 1.0, v23, 1.0
	v_mul_f32_e32 v28, v27, v26
	v_fma_f32 v29, -v24, v28, v27
	v_fmac_f32_e32 v28, v29, v26
	v_fma_f32 v24, -v24, v28, v27
	v_div_fmas_f32 v24, v24, v26, v28
	v_div_fixup_f32 v23, v24, v23, 1.0
	v_mul_f32_e32 v24, v20, v20
	v_div_scale_f32 v26, s[8:9], v24, v24, 1.0
	v_add_f32_e32 v23, 1.0, v23
	v_rcp_f32_e32 v27, v26
	v_fma_f32 v28, -v26, v27, 1.0
	v_fmac_f32_e32 v27, v28, v27
	v_div_scale_f32 v28, vcc, 1.0, v24, 1.0
	v_mul_f32_e32 v29, v28, v27
	v_fma_f32 v30, -v26, v29, v28
	v_fmac_f32_e32 v29, v30, v27
	v_fma_f32 v26, -v26, v29, v28
	v_div_fmas_f32 v26, v26, v27, v29
	v_div_fixup_f32 v24, v26, v24, 1.0
	v_mov_b32_e32 v26, 0x3d088889
	v_fmac_f32_e32 v26, 0xbcc30c31, v24
	v_fma_f32 v26, -v24, v26, s5
	v_fmac_f32_e32 v23, v24, v26
	v_div_scale_f32 v24, s[8:9], v20, v20, v23
	v_rcp_f32_e32 v26, v24
	v_fma_f32 v27, -v24, v26, 1.0
	v_fmac_f32_e32 v26, v27, v26
	v_div_scale_f32 v27, vcc, v23, v20, v23
	v_mul_f32_e32 v28, v27, v26
	v_fma_f32 v29, -v24, v28, v27
	v_fmac_f32_e32 v28, v29, v26
	v_fma_f32 v24, -v24, v28, v27
	v_div_fmas_f32 v24, v24, v26, v28
	v_div_fixup_f32 v20, v24, v20, v23
	v_add_f32_e32 v20, v21, v20
	v_mul_f32_e32 v20, v22, v20
	v_bfe_u32 v21, v20, 16, 1
	v_add3_u32 v21, v20, v21, s4
	v_and_b32_e32 v21, 0xffff0000, v21
	v_cmp_o_f32_e32 vcc, v20, v20
	v_mov_b32_e32 v20, 0x7fc00000
	v_cndmask_b32_e32 v21, v20, v21, vcc
	v_or_b32_e32 v19, v21, v19
	v_mul_f32_e32 v21, v8, v8
	v_div_scale_f32 v22, s[8:9], v21, v21, 1.0
	v_add_f32_e32 v8, 1.0, v8
	v_rcp_f32_e32 v23, v22
	v_fma_f32 v24, -v22, v23, 1.0
	v_fmac_f32_e32 v23, v24, v23
	v_div_scale_f32 v24, vcc, 1.0, v21, 1.0
	v_mul_f32_e32 v26, v24, v23
	v_fma_f32 v27, -v22, v26, v24
	v_fmac_f32_e32 v26, v27, v23
	v_fma_f32 v22, -v22, v26, v24
	v_div_fmas_f32 v22, v22, v23, v26
	v_div_fixup_f32 v21, v22, v21, 1.0
	v_add_f32_e32 v13, v13, v21
	v_mul_f32_e32 v21, v8, v8
	v_div_scale_f32 v22, s[8:9], v21, v21, 1.0
	v_add_f32_e32 v8, 1.0, v8
	v_rcp_f32_e32 v23, v22
	v_fma_f32 v24, -v22, v23, 1.0
	v_fmac_f32_e32 v23, v24, v23
	v_div_scale_f32 v24, vcc, 1.0, v21, 1.0
	v_mul_f32_e32 v26, v24, v23
	v_fma_f32 v27, -v22, v26, v24
	v_fmac_f32_e32 v26, v27, v23
	v_fma_f32 v22, -v22, v26, v24
	v_div_fmas_f32 v22, v22, v23, v26
	v_div_fixup_f32 v21, v22, v21, 1.0
	v_add_f32_e32 v13, v13, v21
	;; [unrolled: 14-line block ×6, first 2 shown]
	v_add_f32_e32 v21, v8, v8
	v_div_scale_f32 v22, s[8:9], v21, v21, 1.0
	v_rcp_f32_e32 v23, v22
	v_fma_f32 v24, -v22, v23, 1.0
	v_fmac_f32_e32 v23, v24, v23
	v_div_scale_f32 v24, vcc, 1.0, v21, 1.0
	v_mul_f32_e32 v26, v24, v23
	v_fma_f32 v27, -v22, v26, v24
	v_fmac_f32_e32 v26, v27, v23
	v_fma_f32 v22, -v22, v26, v24
	v_div_fmas_f32 v22, v22, v23, v26
	v_div_fixup_f32 v21, v22, v21, 1.0
	v_mul_f32_e32 v22, v8, v8
	v_div_scale_f32 v23, s[8:9], v22, v22, 1.0
	v_add_f32_e32 v21, 1.0, v21
	v_rcp_f32_e32 v24, v23
	v_fma_f32 v26, -v23, v24, 1.0
	v_fmac_f32_e32 v24, v26, v24
	v_div_scale_f32 v26, vcc, 1.0, v22, 1.0
	v_mul_f32_e32 v27, v26, v24
	v_fma_f32 v28, -v23, v27, v26
	v_fmac_f32_e32 v27, v28, v24
	v_fma_f32 v23, -v23, v27, v26
	v_div_fmas_f32 v23, v23, v24, v27
	v_div_fixup_f32 v22, v23, v22, 1.0
	v_mov_b32_e32 v23, 0x3d088889
	v_fmac_f32_e32 v23, 0xbcc30c31, v22
	v_fma_f32 v23, -v22, v23, s5
	v_fmac_f32_e32 v21, v22, v23
	v_div_scale_f32 v22, s[8:9], v8, v8, v21
	v_rcp_f32_e32 v23, v22
	v_fma_f32 v24, -v22, v23, 1.0
	v_fmac_f32_e32 v23, v24, v23
	v_div_scale_f32 v24, vcc, v21, v8, v21
	v_mul_f32_e32 v26, v24, v23
	v_fma_f32 v27, -v22, v26, v24
	v_fmac_f32_e32 v26, v27, v23
	v_fma_f32 v22, -v22, v26, v24
	v_div_fmas_f32 v22, v22, v23, v26
	v_div_fixup_f32 v8, v22, v8, v21
	v_add_f32_e32 v8, v13, v8
	v_mul_f32_e32 v8, v10, v8
	v_bfe_u32 v10, v8, 16, 1
	v_add3_u32 v10, v8, v10, s4
	v_lshrrev_b32_e32 v10, 16, v10
	v_cmp_o_f32_e32 vcc, v8, v8
	v_cndmask_b32_e32 v8, v25, v10, vcc
	v_mul_f32_e32 v10, v9, v9
	v_div_scale_f32 v13, s[8:9], v10, v10, 1.0
	v_add_f32_e32 v9, 1.0, v9
	v_rcp_f32_e32 v21, v13
	v_fma_f32 v22, -v13, v21, 1.0
	v_fmac_f32_e32 v21, v22, v21
	v_div_scale_f32 v22, vcc, 1.0, v10, 1.0
	v_mul_f32_e32 v23, v22, v21
	v_fma_f32 v24, -v13, v23, v22
	v_fmac_f32_e32 v23, v24, v21
	v_fma_f32 v13, -v13, v23, v22
	v_div_fmas_f32 v13, v13, v21, v23
	v_div_fixup_f32 v10, v13, v10, 1.0
	v_mul_f32_e32 v13, v9, v9
	v_add_f32_e32 v10, v14, v10
	v_div_scale_f32 v14, s[8:9], v13, v13, 1.0
	v_add_f32_e32 v9, 1.0, v9
	v_rcp_f32_e32 v21, v14
	v_fma_f32 v22, -v14, v21, 1.0
	v_fmac_f32_e32 v21, v22, v21
	v_div_scale_f32 v22, vcc, 1.0, v13, 1.0
	v_mul_f32_e32 v23, v22, v21
	v_fma_f32 v24, -v14, v23, v22
	v_fmac_f32_e32 v23, v24, v21
	v_fma_f32 v14, -v14, v23, v22
	v_div_fmas_f32 v14, v14, v21, v23
	v_div_fixup_f32 v13, v14, v13, 1.0
	v_add_f32_e32 v10, v10, v13
	v_mul_f32_e32 v13, v9, v9
	v_div_scale_f32 v14, s[8:9], v13, v13, 1.0
	v_add_f32_e32 v9, 1.0, v9
	v_rcp_f32_e32 v21, v14
	v_fma_f32 v22, -v14, v21, 1.0
	v_fmac_f32_e32 v21, v22, v21
	v_div_scale_f32 v22, vcc, 1.0, v13, 1.0
	v_mul_f32_e32 v23, v22, v21
	v_fma_f32 v24, -v14, v23, v22
	v_fmac_f32_e32 v23, v24, v21
	v_fma_f32 v14, -v14, v23, v22
	v_div_fmas_f32 v14, v14, v21, v23
	v_div_fixup_f32 v13, v14, v13, 1.0
	v_add_f32_e32 v10, v10, v13
	v_mul_f32_e32 v13, v9, v9
	;; [unrolled: 14-line block ×4, first 2 shown]
	v_div_scale_f32 v14, s[8:9], v13, v13, 1.0
	v_add_f32_e32 v9, 1.0, v9
	v_rcp_f32_e32 v21, v14
	v_fma_f32 v22, -v14, v21, 1.0
	v_fmac_f32_e32 v21, v22, v21
	v_div_scale_f32 v22, vcc, 1.0, v13, 1.0
	v_mul_f32_e32 v23, v22, v21
	v_fma_f32 v24, -v14, v23, v22
	v_fmac_f32_e32 v23, v24, v21
	v_fma_f32 v14, -v14, v23, v22
	v_div_fmas_f32 v14, v14, v21, v23
	v_div_fixup_f32 v13, v14, v13, 1.0
	v_add_f32_e32 v10, v10, v13
	v_add_f32_e32 v13, v9, v9
	v_div_scale_f32 v14, s[8:9], v13, v13, 1.0
	v_rcp_f32_e32 v21, v14
	v_fma_f32 v22, -v14, v21, 1.0
	v_fmac_f32_e32 v21, v22, v21
	v_div_scale_f32 v22, vcc, 1.0, v13, 1.0
	v_mul_f32_e32 v23, v22, v21
	v_fma_f32 v24, -v14, v23, v22
	v_fmac_f32_e32 v23, v24, v21
	v_fma_f32 v14, -v14, v23, v22
	v_div_fmas_f32 v14, v14, v21, v23
	v_div_fixup_f32 v13, v14, v13, 1.0
	v_mul_f32_e32 v14, v9, v9
	v_div_scale_f32 v21, s[8:9], v14, v14, 1.0
	v_add_f32_e32 v13, 1.0, v13
	v_rcp_f32_e32 v22, v21
	v_fma_f32 v23, -v21, v22, 1.0
	v_fmac_f32_e32 v22, v23, v22
	v_div_scale_f32 v23, vcc, 1.0, v14, 1.0
	v_mul_f32_e32 v24, v23, v22
	v_fma_f32 v26, -v21, v24, v23
	v_fmac_f32_e32 v24, v26, v22
	v_fma_f32 v21, -v21, v24, v23
	v_div_fmas_f32 v21, v21, v22, v24
	v_div_fixup_f32 v14, v21, v14, 1.0
	v_mov_b32_e32 v21, 0x3d088889
	v_fmac_f32_e32 v21, 0xbcc30c31, v14
	v_fma_f32 v21, -v14, v21, s5
	v_fmac_f32_e32 v13, v14, v21
	v_div_scale_f32 v14, s[8:9], v9, v9, v13
	v_rcp_f32_e32 v21, v14
	v_fma_f32 v22, -v14, v21, 1.0
	v_fmac_f32_e32 v21, v22, v21
	v_div_scale_f32 v22, vcc, v13, v9, v13
	v_mul_f32_e32 v23, v22, v21
	v_fma_f32 v24, -v14, v23, v22
	v_fmac_f32_e32 v23, v24, v21
	v_fma_f32 v14, -v14, v23, v22
	v_div_fmas_f32 v14, v14, v21, v23
	v_div_fixup_f32 v9, v14, v9, v13
	v_add_f32_e32 v9, v10, v9
	v_mul_f32_e32 v9, v11, v9
	v_bfe_u32 v10, v9, 16, 1
	v_add3_u32 v10, v9, v10, s4
	v_and_b32_e32 v10, 0xffff0000, v10
	v_cmp_o_f32_e32 vcc, v9, v9
	v_cndmask_b32_e32 v9, v20, v10, vcc
	v_or_b32_e32 v8, v9, v8
	v_mul_f32_e32 v9, v2, v2
	v_div_scale_f32 v10, s[8:9], v9, v9, 1.0
	v_add_f32_e32 v2, 1.0, v2
	v_rcp_f32_e32 v11, v10
	v_fma_f32 v13, -v10, v11, 1.0
	v_fmac_f32_e32 v11, v13, v11
	v_div_scale_f32 v13, vcc, 1.0, v9, 1.0
	v_mul_f32_e32 v14, v13, v11
	v_fma_f32 v21, -v10, v14, v13
	v_fmac_f32_e32 v14, v21, v11
	v_fma_f32 v10, -v10, v14, v13
	v_div_fmas_f32 v10, v10, v11, v14
	v_div_fixup_f32 v9, v10, v9, 1.0
	v_add_f32_e32 v6, v6, v9
	v_mul_f32_e32 v9, v2, v2
	v_div_scale_f32 v10, s[8:9], v9, v9, 1.0
	v_add_f32_e32 v2, 1.0, v2
	v_rcp_f32_e32 v11, v10
	v_fma_f32 v13, -v10, v11, 1.0
	v_fmac_f32_e32 v11, v13, v11
	v_div_scale_f32 v13, vcc, 1.0, v9, 1.0
	v_mul_f32_e32 v14, v13, v11
	v_fma_f32 v21, -v10, v14, v13
	v_fmac_f32_e32 v14, v21, v11
	v_fma_f32 v10, -v10, v14, v13
	v_div_fmas_f32 v10, v10, v11, v14
	v_div_fixup_f32 v9, v10, v9, 1.0
	v_add_f32_e32 v6, v6, v9
	;; [unrolled: 14-line block ×6, first 2 shown]
	v_add_f32_e32 v9, v2, v2
	v_div_scale_f32 v10, s[8:9], v9, v9, 1.0
	v_rcp_f32_e32 v11, v10
	v_fma_f32 v13, -v10, v11, 1.0
	v_fmac_f32_e32 v11, v13, v11
	v_div_scale_f32 v13, vcc, 1.0, v9, 1.0
	v_mul_f32_e32 v14, v13, v11
	v_fma_f32 v21, -v10, v14, v13
	v_fmac_f32_e32 v14, v21, v11
	v_fma_f32 v10, -v10, v14, v13
	v_div_fmas_f32 v10, v10, v11, v14
	v_div_fixup_f32 v9, v10, v9, 1.0
	v_mul_f32_e32 v10, v2, v2
	v_div_scale_f32 v11, s[8:9], v10, v10, 1.0
	v_add_f32_e32 v9, 1.0, v9
	v_rcp_f32_e32 v13, v11
	v_fma_f32 v14, -v11, v13, 1.0
	v_fmac_f32_e32 v13, v14, v13
	v_div_scale_f32 v14, vcc, 1.0, v10, 1.0
	v_mul_f32_e32 v21, v14, v13
	v_fma_f32 v22, -v11, v21, v14
	v_fmac_f32_e32 v21, v22, v13
	v_fma_f32 v11, -v11, v21, v14
	v_div_fmas_f32 v11, v11, v13, v21
	v_div_fixup_f32 v10, v11, v10, 1.0
	v_mov_b32_e32 v11, 0x3d088889
	v_fmac_f32_e32 v11, 0xbcc30c31, v10
	v_fma_f32 v11, -v10, v11, s5
	v_fmac_f32_e32 v9, v10, v11
	v_div_scale_f32 v10, s[8:9], v2, v2, v9
	v_rcp_f32_e32 v11, v10
	v_fma_f32 v13, -v10, v11, 1.0
	v_fmac_f32_e32 v11, v13, v11
	v_div_scale_f32 v13, vcc, v9, v2, v9
	v_mul_f32_e32 v14, v13, v11
	v_fma_f32 v21, -v10, v14, v13
	v_fmac_f32_e32 v14, v21, v11
	v_fma_f32 v10, -v10, v14, v13
	v_div_fmas_f32 v10, v10, v11, v14
	v_div_fixup_f32 v2, v10, v2, v9
	v_add_f32_e32 v2, v6, v2
	v_mul_f32_e32 v2, v4, v2
	v_bfe_u32 v4, v2, 16, 1
	v_add3_u32 v4, v2, v4, s4
	v_lshrrev_b32_e32 v4, 16, v4
	v_cmp_o_f32_e32 vcc, v2, v2
	v_cndmask_b32_e32 v2, v25, v4, vcc
	v_mul_f32_e32 v4, v3, v3
	v_div_scale_f32 v6, s[8:9], v4, v4, 1.0
	v_add_f32_e32 v3, 1.0, v3
	v_rcp_f32_e32 v9, v6
	v_fma_f32 v10, -v6, v9, 1.0
	v_fmac_f32_e32 v9, v10, v9
	v_div_scale_f32 v10, vcc, 1.0, v4, 1.0
	v_mul_f32_e32 v11, v10, v9
	v_fma_f32 v13, -v6, v11, v10
	v_fmac_f32_e32 v11, v13, v9
	v_fma_f32 v6, -v6, v11, v10
	v_div_fmas_f32 v6, v6, v9, v11
	v_div_fixup_f32 v4, v6, v4, 1.0
	v_mul_f32_e32 v6, v3, v3
	v_add_f32_e32 v4, v7, v4
	v_div_scale_f32 v7, s[8:9], v6, v6, 1.0
	v_add_f32_e32 v3, 1.0, v3
	v_rcp_f32_e32 v9, v7
	v_fma_f32 v10, -v7, v9, 1.0
	v_fmac_f32_e32 v9, v10, v9
	v_div_scale_f32 v10, vcc, 1.0, v6, 1.0
	v_mul_f32_e32 v11, v10, v9
	v_fma_f32 v13, -v7, v11, v10
	v_fmac_f32_e32 v11, v13, v9
	v_fma_f32 v7, -v7, v11, v10
	v_div_fmas_f32 v7, v7, v9, v11
	v_div_fixup_f32 v6, v7, v6, 1.0
	v_add_f32_e32 v4, v4, v6
	v_mul_f32_e32 v6, v3, v3
	v_div_scale_f32 v7, s[8:9], v6, v6, 1.0
	v_add_f32_e32 v3, 1.0, v3
	v_rcp_f32_e32 v9, v7
	v_fma_f32 v10, -v7, v9, 1.0
	v_fmac_f32_e32 v9, v10, v9
	v_div_scale_f32 v10, vcc, 1.0, v6, 1.0
	v_mul_f32_e32 v11, v10, v9
	v_fma_f32 v13, -v7, v11, v10
	v_fmac_f32_e32 v11, v13, v9
	v_fma_f32 v7, -v7, v11, v10
	v_div_fmas_f32 v7, v7, v9, v11
	v_div_fixup_f32 v6, v7, v6, 1.0
	v_add_f32_e32 v4, v4, v6
	v_mul_f32_e32 v6, v3, v3
	;; [unrolled: 14-line block ×4, first 2 shown]
	v_div_scale_f32 v7, s[8:9], v6, v6, 1.0
	v_add_f32_e32 v3, 1.0, v3
	v_rcp_f32_e32 v9, v7
	v_fma_f32 v10, -v7, v9, 1.0
	v_fmac_f32_e32 v9, v10, v9
	v_div_scale_f32 v10, vcc, 1.0, v6, 1.0
	v_mul_f32_e32 v11, v10, v9
	v_fma_f32 v13, -v7, v11, v10
	v_fmac_f32_e32 v11, v13, v9
	v_fma_f32 v7, -v7, v11, v10
	v_div_fmas_f32 v7, v7, v9, v11
	v_div_fixup_f32 v6, v7, v6, 1.0
	v_add_f32_e32 v4, v4, v6
	v_add_f32_e32 v6, v3, v3
	v_div_scale_f32 v7, s[8:9], v6, v6, 1.0
	v_rcp_f32_e32 v9, v7
	v_fma_f32 v10, -v7, v9, 1.0
	v_fmac_f32_e32 v9, v10, v9
	v_div_scale_f32 v10, vcc, 1.0, v6, 1.0
	v_mul_f32_e32 v11, v10, v9
	v_fma_f32 v13, -v7, v11, v10
	v_fmac_f32_e32 v11, v13, v9
	v_fma_f32 v7, -v7, v11, v10
	v_div_fmas_f32 v7, v7, v9, v11
	v_div_fixup_f32 v6, v7, v6, 1.0
	v_mul_f32_e32 v7, v3, v3
	v_div_scale_f32 v9, s[8:9], v7, v7, 1.0
	v_add_f32_e32 v6, 1.0, v6
	v_rcp_f32_e32 v10, v9
	v_fma_f32 v11, -v9, v10, 1.0
	v_fmac_f32_e32 v10, v11, v10
	v_div_scale_f32 v11, vcc, 1.0, v7, 1.0
	v_mul_f32_e32 v13, v11, v10
	v_fma_f32 v14, -v9, v13, v11
	v_fmac_f32_e32 v13, v14, v10
	v_fma_f32 v9, -v9, v13, v11
	v_div_fmas_f32 v9, v9, v10, v13
	v_div_fixup_f32 v7, v9, v7, 1.0
	v_mov_b32_e32 v9, 0x3d088889
	v_fmac_f32_e32 v9, 0xbcc30c31, v7
	v_fma_f32 v9, -v7, v9, s5
	v_fmac_f32_e32 v6, v7, v9
	v_div_scale_f32 v7, s[8:9], v3, v3, v6
	v_rcp_f32_e32 v9, v7
	v_fma_f32 v10, -v7, v9, 1.0
	v_fmac_f32_e32 v9, v10, v9
	v_div_scale_f32 v10, vcc, v6, v3, v6
	v_mul_f32_e32 v11, v10, v9
	v_fma_f32 v13, -v7, v11, v10
	v_fmac_f32_e32 v11, v13, v9
	v_fma_f32 v7, -v7, v11, v10
	v_div_fmas_f32 v7, v7, v9, v11
	v_div_fixup_f32 v3, v7, v3, v6
	v_add_f32_e32 v3, v4, v3
	v_mul_f32_e32 v3, v5, v3
	v_bfe_u32 v4, v3, 16, 1
	v_add3_u32 v4, v3, v4, s4
	v_and_b32_e32 v4, 0xffff0000, v4
	v_cmp_o_f32_e32 vcc, v3, v3
	v_cndmask_b32_e32 v3, v20, v4, vcc
	v_or_b32_e32 v2, v3, v2
	v_mul_f32_e32 v3, v15, v15
	v_div_scale_f32 v4, s[8:9], v3, v3, 1.0
	v_rcp_f32_e32 v5, v4
	v_fma_f32 v6, -v4, v5, 1.0
	v_fmac_f32_e32 v5, v6, v5
	v_div_scale_f32 v6, vcc, 1.0, v3, 1.0
	v_mul_f32_e32 v7, v6, v5
	v_fma_f32 v9, -v4, v7, v6
	v_fmac_f32_e32 v7, v9, v5
	v_fma_f32 v4, -v4, v7, v6
	v_div_fmas_f32 v4, v4, v5, v7
	v_div_fixup_f32 v3, v4, v3, 1.0
	v_add_f32_e32 v4, 1.0, v15
	v_mul_f32_e32 v5, v4, v4
	v_div_scale_f32 v6, s[8:9], v5, v5, 1.0
	v_add_f32_e32 v3, v17, v3
	v_add_f32_e32 v4, 1.0, v4
	v_rcp_f32_e32 v7, v6
	v_fma_f32 v9, -v6, v7, 1.0
	v_fmac_f32_e32 v7, v9, v7
	v_div_scale_f32 v9, vcc, 1.0, v5, 1.0
	v_mul_f32_e32 v10, v9, v7
	v_fma_f32 v11, -v6, v10, v9
	v_fmac_f32_e32 v10, v11, v7
	v_fma_f32 v6, -v6, v10, v9
	v_div_fmas_f32 v6, v6, v7, v10
	v_div_fixup_f32 v5, v6, v5, 1.0
	v_add_f32_e32 v3, v3, v5
	v_mul_f32_e32 v5, v4, v4
	v_div_scale_f32 v6, s[8:9], v5, v5, 1.0
	v_add_f32_e32 v4, 1.0, v4
	v_rcp_f32_e32 v7, v6
	v_fma_f32 v9, -v6, v7, 1.0
	v_fmac_f32_e32 v7, v9, v7
	v_div_scale_f32 v9, vcc, 1.0, v5, 1.0
	v_mul_f32_e32 v10, v9, v7
	v_fma_f32 v11, -v6, v10, v9
	v_fmac_f32_e32 v10, v11, v7
	v_fma_f32 v6, -v6, v10, v9
	v_div_fmas_f32 v6, v6, v7, v10
	v_div_fixup_f32 v5, v6, v5, 1.0
	v_add_f32_e32 v3, v3, v5
	v_mul_f32_e32 v5, v4, v4
	v_div_scale_f32 v6, s[8:9], v5, v5, 1.0
	;; [unrolled: 14-line block ×5, first 2 shown]
	v_rcp_f32_e32 v7, v6
	v_fma_f32 v9, -v6, v7, 1.0
	v_fmac_f32_e32 v7, v9, v7
	v_div_scale_f32 v9, vcc, 1.0, v5, 1.0
	v_mul_f32_e32 v10, v9, v7
	v_fma_f32 v11, -v6, v10, v9
	v_fmac_f32_e32 v10, v11, v7
	v_fma_f32 v6, -v6, v10, v9
	v_div_fmas_f32 v6, v6, v7, v10
	v_div_fixup_f32 v5, v6, v5, 1.0
	v_add_f32_e32 v6, v4, v4
	v_div_scale_f32 v7, s[8:9], v6, v6, 1.0
	v_fmac_f32_e32 v18, 0xbcc30c31, v5
	v_rcp_f32_e32 v9, v7
	v_fma_f32 v10, -v7, v9, 1.0
	v_fmac_f32_e32 v9, v10, v9
	v_div_scale_f32 v10, vcc, 1.0, v6, 1.0
	v_mul_f32_e32 v11, v10, v9
	v_fma_f32 v13, -v7, v11, v10
	v_fmac_f32_e32 v11, v13, v9
	v_fma_f32 v7, -v7, v11, v10
	v_div_fmas_f32 v7, v7, v9, v11
	v_div_fixup_f32 v6, v7, v6, 1.0
	v_add_f32_e32 v6, 1.0, v6
	v_fma_f32 v7, -v5, v18, s5
	v_fmac_f32_e32 v6, v5, v7
	v_div_scale_f32 v5, s[8:9], v4, v4, v6
	v_rcp_f32_e32 v7, v5
	v_fma_f32 v9, -v5, v7, 1.0
	v_fmac_f32_e32 v7, v9, v7
	v_div_scale_f32 v9, vcc, v6, v4, v6
	v_mul_f32_e32 v10, v9, v7
	v_fma_f32 v11, -v5, v10, v9
	v_fmac_f32_e32 v10, v11, v7
	v_fma_f32 v5, -v5, v10, v9
	v_div_fmas_f32 v5, v5, v7, v10
	v_div_fixup_f32 v4, v5, v4, v6
	v_add_f32_e32 v3, v3, v4
	v_mul_f32_e32 v3, v12, v3
	v_bfe_u32 v4, v3, 16, 1
	v_add3_u32 v4, v3, v4, s4
	v_and_b32_e32 v4, 0xffff0000, v4
	v_cmp_o_f32_e32 vcc, v3, v3
	s_add_u32 s4, s16, s12
	v_cndmask_b32_e32 v3, v20, v4, vcc
	s_addc_u32 s5, s17, s13
	v_or_b32_e32 v3, v3, v16
	global_store_dword v1, v2, s[4:5]
	global_store_dword v1, v8, s[4:5] offset:1024
	global_store_dword v1, v19, s[4:5] offset:2048
	;; [unrolled: 1-line block ×3, first 2 shown]
	s_branch .LBB73_2
.LBB73_52:
	s_getpc_b64 s[4:5]
	s_add_u32 s4, s4, _ZN2at6native25elementwise_kernel_helperILb0EZZZNS0_20trigamma_kernel_cudaERNS_18TensorIteratorBaseEENKUlvE_clEvENKUlvE2_clEvEUlN3c108BFloat16EE_NS0_6memory8policies11unroll_baseILi256ESt5arrayIPcLm2EE23TrivialOffsetCalculatorILi1EjESG_NS9_15LoadWithoutCastENS9_16StoreWithoutCastELi8ELi1EEEEEvT0_T1_@rel32@lo+4
	s_addc_u32 s5, s5, _ZN2at6native25elementwise_kernel_helperILb0EZZZNS0_20trigamma_kernel_cudaERNS_18TensorIteratorBaseEENKUlvE_clEvENKUlvE2_clEvEUlN3c108BFloat16EE_NS0_6memory8policies11unroll_baseILi256ESt5arrayIPcLm2EE23TrivialOffsetCalculatorILi1EjESG_NS9_15LoadWithoutCastENS9_16StoreWithoutCastELi8ELi1EEEEEvT0_T1_@rel32@hi+12
	s_mov_b32 s12, s6
	v_mov_b32_e32 v31, v0
	v_mov_b32_e32 v0, s16
	;; [unrolled: 1-line block ×6, first 2 shown]
	s_swappc_b64 s[30:31], s[4:5]
	s_endpgm
	.section	.rodata,"a",@progbits
	.p2align	6, 0x0
	.amdhsa_kernel _ZN2at6native29vectorized_elementwise_kernelILi2EZZZNS0_20trigamma_kernel_cudaERNS_18TensorIteratorBaseEENKUlvE_clEvENKUlvE2_clEvEUlN3c108BFloat16EE_St5arrayIPcLm2EEEEviT0_T1_
		.amdhsa_group_segment_fixed_size 0
		.amdhsa_private_segment_fixed_size 0
		.amdhsa_kernarg_size 24
		.amdhsa_user_sgpr_count 6
		.amdhsa_user_sgpr_private_segment_buffer 1
		.amdhsa_user_sgpr_dispatch_ptr 0
		.amdhsa_user_sgpr_queue_ptr 0
		.amdhsa_user_sgpr_kernarg_segment_ptr 1
		.amdhsa_user_sgpr_dispatch_id 0
		.amdhsa_user_sgpr_flat_scratch_init 0
		.amdhsa_user_sgpr_private_segment_size 0
		.amdhsa_uses_dynamic_stack 0
		.amdhsa_system_sgpr_private_segment_wavefront_offset 0
		.amdhsa_system_sgpr_workgroup_id_x 1
		.amdhsa_system_sgpr_workgroup_id_y 0
		.amdhsa_system_sgpr_workgroup_id_z 0
		.amdhsa_system_sgpr_workgroup_info 0
		.amdhsa_system_vgpr_workitem_id 0
		.amdhsa_next_free_vgpr 38
		.amdhsa_next_free_sgpr 33
		.amdhsa_reserve_vcc 1
		.amdhsa_reserve_flat_scratch 0
		.amdhsa_float_round_mode_32 0
		.amdhsa_float_round_mode_16_64 0
		.amdhsa_float_denorm_mode_32 3
		.amdhsa_float_denorm_mode_16_64 3
		.amdhsa_dx10_clamp 1
		.amdhsa_ieee_mode 1
		.amdhsa_fp16_overflow 0
		.amdhsa_exception_fp_ieee_invalid_op 0
		.amdhsa_exception_fp_denorm_src 0
		.amdhsa_exception_fp_ieee_div_zero 0
		.amdhsa_exception_fp_ieee_overflow 0
		.amdhsa_exception_fp_ieee_underflow 0
		.amdhsa_exception_fp_ieee_inexact 0
		.amdhsa_exception_int_div_zero 0
	.end_amdhsa_kernel
	.section	.text._ZN2at6native29vectorized_elementwise_kernelILi2EZZZNS0_20trigamma_kernel_cudaERNS_18TensorIteratorBaseEENKUlvE_clEvENKUlvE2_clEvEUlN3c108BFloat16EE_St5arrayIPcLm2EEEEviT0_T1_,"axG",@progbits,_ZN2at6native29vectorized_elementwise_kernelILi2EZZZNS0_20trigamma_kernel_cudaERNS_18TensorIteratorBaseEENKUlvE_clEvENKUlvE2_clEvEUlN3c108BFloat16EE_St5arrayIPcLm2EEEEviT0_T1_,comdat
.Lfunc_end73:
	.size	_ZN2at6native29vectorized_elementwise_kernelILi2EZZZNS0_20trigamma_kernel_cudaERNS_18TensorIteratorBaseEENKUlvE_clEvENKUlvE2_clEvEUlN3c108BFloat16EE_St5arrayIPcLm2EEEEviT0_T1_, .Lfunc_end73-_ZN2at6native29vectorized_elementwise_kernelILi2EZZZNS0_20trigamma_kernel_cudaERNS_18TensorIteratorBaseEENKUlvE_clEvENKUlvE2_clEvEUlN3c108BFloat16EE_St5arrayIPcLm2EEEEviT0_T1_
                                        ; -- End function
	.set _ZN2at6native29vectorized_elementwise_kernelILi2EZZZNS0_20trigamma_kernel_cudaERNS_18TensorIteratorBaseEENKUlvE_clEvENKUlvE2_clEvEUlN3c108BFloat16EE_St5arrayIPcLm2EEEEviT0_T1_.num_vgpr, max(38, .L_ZN2at6native25elementwise_kernel_helperILb0EZZZNS0_20trigamma_kernel_cudaERNS_18TensorIteratorBaseEENKUlvE_clEvENKUlvE2_clEvEUlN3c108BFloat16EE_NS0_6memory8policies11unroll_baseILi256ESt5arrayIPcLm2EE23TrivialOffsetCalculatorILi1EjESG_NS9_15LoadWithoutCastENS9_16StoreWithoutCastELi8ELi1EEEEEvT0_T1_.num_vgpr)
	.set _ZN2at6native29vectorized_elementwise_kernelILi2EZZZNS0_20trigamma_kernel_cudaERNS_18TensorIteratorBaseEENKUlvE_clEvENKUlvE2_clEvEUlN3c108BFloat16EE_St5arrayIPcLm2EEEEviT0_T1_.num_agpr, max(0, .L_ZN2at6native25elementwise_kernel_helperILb0EZZZNS0_20trigamma_kernel_cudaERNS_18TensorIteratorBaseEENKUlvE_clEvENKUlvE2_clEvEUlN3c108BFloat16EE_NS0_6memory8policies11unroll_baseILi256ESt5arrayIPcLm2EE23TrivialOffsetCalculatorILi1EjESG_NS9_15LoadWithoutCastENS9_16StoreWithoutCastELi8ELi1EEEEEvT0_T1_.num_agpr)
	.set _ZN2at6native29vectorized_elementwise_kernelILi2EZZZNS0_20trigamma_kernel_cudaERNS_18TensorIteratorBaseEENKUlvE_clEvENKUlvE2_clEvEUlN3c108BFloat16EE_St5arrayIPcLm2EEEEviT0_T1_.numbered_sgpr, max(33, .L_ZN2at6native25elementwise_kernel_helperILb0EZZZNS0_20trigamma_kernel_cudaERNS_18TensorIteratorBaseEENKUlvE_clEvENKUlvE2_clEvEUlN3c108BFloat16EE_NS0_6memory8policies11unroll_baseILi256ESt5arrayIPcLm2EE23TrivialOffsetCalculatorILi1EjESG_NS9_15LoadWithoutCastENS9_16StoreWithoutCastELi8ELi1EEEEEvT0_T1_.numbered_sgpr)
	.set _ZN2at6native29vectorized_elementwise_kernelILi2EZZZNS0_20trigamma_kernel_cudaERNS_18TensorIteratorBaseEENKUlvE_clEvENKUlvE2_clEvEUlN3c108BFloat16EE_St5arrayIPcLm2EEEEviT0_T1_.num_named_barrier, max(0, .L_ZN2at6native25elementwise_kernel_helperILb0EZZZNS0_20trigamma_kernel_cudaERNS_18TensorIteratorBaseEENKUlvE_clEvENKUlvE2_clEvEUlN3c108BFloat16EE_NS0_6memory8policies11unroll_baseILi256ESt5arrayIPcLm2EE23TrivialOffsetCalculatorILi1EjESG_NS9_15LoadWithoutCastENS9_16StoreWithoutCastELi8ELi1EEEEEvT0_T1_.num_named_barrier)
	.set _ZN2at6native29vectorized_elementwise_kernelILi2EZZZNS0_20trigamma_kernel_cudaERNS_18TensorIteratorBaseEENKUlvE_clEvENKUlvE2_clEvEUlN3c108BFloat16EE_St5arrayIPcLm2EEEEviT0_T1_.private_seg_size, 0+max(.L_ZN2at6native25elementwise_kernel_helperILb0EZZZNS0_20trigamma_kernel_cudaERNS_18TensorIteratorBaseEENKUlvE_clEvENKUlvE2_clEvEUlN3c108BFloat16EE_NS0_6memory8policies11unroll_baseILi256ESt5arrayIPcLm2EE23TrivialOffsetCalculatorILi1EjESG_NS9_15LoadWithoutCastENS9_16StoreWithoutCastELi8ELi1EEEEEvT0_T1_.private_seg_size)
	.set _ZN2at6native29vectorized_elementwise_kernelILi2EZZZNS0_20trigamma_kernel_cudaERNS_18TensorIteratorBaseEENKUlvE_clEvENKUlvE2_clEvEUlN3c108BFloat16EE_St5arrayIPcLm2EEEEviT0_T1_.uses_vcc, or(1, .L_ZN2at6native25elementwise_kernel_helperILb0EZZZNS0_20trigamma_kernel_cudaERNS_18TensorIteratorBaseEENKUlvE_clEvENKUlvE2_clEvEUlN3c108BFloat16EE_NS0_6memory8policies11unroll_baseILi256ESt5arrayIPcLm2EE23TrivialOffsetCalculatorILi1EjESG_NS9_15LoadWithoutCastENS9_16StoreWithoutCastELi8ELi1EEEEEvT0_T1_.uses_vcc)
	.set _ZN2at6native29vectorized_elementwise_kernelILi2EZZZNS0_20trigamma_kernel_cudaERNS_18TensorIteratorBaseEENKUlvE_clEvENKUlvE2_clEvEUlN3c108BFloat16EE_St5arrayIPcLm2EEEEviT0_T1_.uses_flat_scratch, or(0, .L_ZN2at6native25elementwise_kernel_helperILb0EZZZNS0_20trigamma_kernel_cudaERNS_18TensorIteratorBaseEENKUlvE_clEvENKUlvE2_clEvEUlN3c108BFloat16EE_NS0_6memory8policies11unroll_baseILi256ESt5arrayIPcLm2EE23TrivialOffsetCalculatorILi1EjESG_NS9_15LoadWithoutCastENS9_16StoreWithoutCastELi8ELi1EEEEEvT0_T1_.uses_flat_scratch)
	.set _ZN2at6native29vectorized_elementwise_kernelILi2EZZZNS0_20trigamma_kernel_cudaERNS_18TensorIteratorBaseEENKUlvE_clEvENKUlvE2_clEvEUlN3c108BFloat16EE_St5arrayIPcLm2EEEEviT0_T1_.has_dyn_sized_stack, or(0, .L_ZN2at6native25elementwise_kernel_helperILb0EZZZNS0_20trigamma_kernel_cudaERNS_18TensorIteratorBaseEENKUlvE_clEvENKUlvE2_clEvEUlN3c108BFloat16EE_NS0_6memory8policies11unroll_baseILi256ESt5arrayIPcLm2EE23TrivialOffsetCalculatorILi1EjESG_NS9_15LoadWithoutCastENS9_16StoreWithoutCastELi8ELi1EEEEEvT0_T1_.has_dyn_sized_stack)
	.set _ZN2at6native29vectorized_elementwise_kernelILi2EZZZNS0_20trigamma_kernel_cudaERNS_18TensorIteratorBaseEENKUlvE_clEvENKUlvE2_clEvEUlN3c108BFloat16EE_St5arrayIPcLm2EEEEviT0_T1_.has_recursion, or(0, .L_ZN2at6native25elementwise_kernel_helperILb0EZZZNS0_20trigamma_kernel_cudaERNS_18TensorIteratorBaseEENKUlvE_clEvENKUlvE2_clEvEUlN3c108BFloat16EE_NS0_6memory8policies11unroll_baseILi256ESt5arrayIPcLm2EE23TrivialOffsetCalculatorILi1EjESG_NS9_15LoadWithoutCastENS9_16StoreWithoutCastELi8ELi1EEEEEvT0_T1_.has_recursion)
	.set _ZN2at6native29vectorized_elementwise_kernelILi2EZZZNS0_20trigamma_kernel_cudaERNS_18TensorIteratorBaseEENKUlvE_clEvENKUlvE2_clEvEUlN3c108BFloat16EE_St5arrayIPcLm2EEEEviT0_T1_.has_indirect_call, or(0, .L_ZN2at6native25elementwise_kernel_helperILb0EZZZNS0_20trigamma_kernel_cudaERNS_18TensorIteratorBaseEENKUlvE_clEvENKUlvE2_clEvEUlN3c108BFloat16EE_NS0_6memory8policies11unroll_baseILi256ESt5arrayIPcLm2EE23TrivialOffsetCalculatorILi1EjESG_NS9_15LoadWithoutCastENS9_16StoreWithoutCastELi8ELi1EEEEEvT0_T1_.has_indirect_call)
	.section	.AMDGPU.csdata,"",@progbits
; Kernel info:
; codeLenInByte = 14464
; TotalNumSgprs: 37
; NumVgprs: 38
; ScratchSize: 0
; MemoryBound: 0
; FloatMode: 240
; IeeeMode: 1
; LDSByteSize: 0 bytes/workgroup (compile time only)
; SGPRBlocks: 4
; VGPRBlocks: 9
; NumSGPRsForWavesPerEU: 37
; NumVGPRsForWavesPerEU: 38
; Occupancy: 6
; WaveLimiterHint : 1
; COMPUTE_PGM_RSRC2:SCRATCH_EN: 0
; COMPUTE_PGM_RSRC2:USER_SGPR: 6
; COMPUTE_PGM_RSRC2:TRAP_HANDLER: 0
; COMPUTE_PGM_RSRC2:TGID_X_EN: 1
; COMPUTE_PGM_RSRC2:TGID_Y_EN: 0
; COMPUTE_PGM_RSRC2:TGID_Z_EN: 0
; COMPUTE_PGM_RSRC2:TIDIG_COMP_CNT: 0
	.section	.text._ZN2at6native27unrolled_elementwise_kernelIZZZNS0_20trigamma_kernel_cudaERNS_18TensorIteratorBaseEENKUlvE_clEvENKUlvE2_clEvEUlN3c108BFloat16EE_St5arrayIPcLm2EELi4E23TrivialOffsetCalculatorILi1EjESD_NS0_6memory15LoadWithoutCastENSE_16StoreWithoutCastEEEviT_T0_T2_T3_T4_T5_,"axG",@progbits,_ZN2at6native27unrolled_elementwise_kernelIZZZNS0_20trigamma_kernel_cudaERNS_18TensorIteratorBaseEENKUlvE_clEvENKUlvE2_clEvEUlN3c108BFloat16EE_St5arrayIPcLm2EELi4E23TrivialOffsetCalculatorILi1EjESD_NS0_6memory15LoadWithoutCastENSE_16StoreWithoutCastEEEviT_T0_T2_T3_T4_T5_,comdat
	.globl	_ZN2at6native27unrolled_elementwise_kernelIZZZNS0_20trigamma_kernel_cudaERNS_18TensorIteratorBaseEENKUlvE_clEvENKUlvE2_clEvEUlN3c108BFloat16EE_St5arrayIPcLm2EELi4E23TrivialOffsetCalculatorILi1EjESD_NS0_6memory15LoadWithoutCastENSE_16StoreWithoutCastEEEviT_T0_T2_T3_T4_T5_ ; -- Begin function _ZN2at6native27unrolled_elementwise_kernelIZZZNS0_20trigamma_kernel_cudaERNS_18TensorIteratorBaseEENKUlvE_clEvENKUlvE2_clEvEUlN3c108BFloat16EE_St5arrayIPcLm2EELi4E23TrivialOffsetCalculatorILi1EjESD_NS0_6memory15LoadWithoutCastENSE_16StoreWithoutCastEEEviT_T0_T2_T3_T4_T5_
	.p2align	8
	.type	_ZN2at6native27unrolled_elementwise_kernelIZZZNS0_20trigamma_kernel_cudaERNS_18TensorIteratorBaseEENKUlvE_clEvENKUlvE2_clEvEUlN3c108BFloat16EE_St5arrayIPcLm2EELi4E23TrivialOffsetCalculatorILi1EjESD_NS0_6memory15LoadWithoutCastENSE_16StoreWithoutCastEEEviT_T0_T2_T3_T4_T5_,@function
_ZN2at6native27unrolled_elementwise_kernelIZZZNS0_20trigamma_kernel_cudaERNS_18TensorIteratorBaseEENKUlvE_clEvENKUlvE2_clEvEUlN3c108BFloat16EE_St5arrayIPcLm2EELi4E23TrivialOffsetCalculatorILi1EjESD_NS0_6memory15LoadWithoutCastENSE_16StoreWithoutCastEEEviT_T0_T2_T3_T4_T5_: ; @_ZN2at6native27unrolled_elementwise_kernelIZZZNS0_20trigamma_kernel_cudaERNS_18TensorIteratorBaseEENKUlvE_clEvENKUlvE2_clEvEUlN3c108BFloat16EE_St5arrayIPcLm2EELi4E23TrivialOffsetCalculatorILi1EjESD_NS0_6memory15LoadWithoutCastENSE_16StoreWithoutCastEEEviT_T0_T2_T3_T4_T5_
; %bb.0:
	s_load_dword s0, s[4:5], 0x0
	s_load_dwordx4 s[8:11], s[4:5], 0x8
	s_lshl_b32 s16, s6, 10
	v_mov_b32_e32 v7, 0
	v_or_b32_e32 v1, s16, v0
	s_waitcnt lgkmcnt(0)
	s_sub_i32 s17, s0, s16
	v_cmp_gt_i32_e64 s[0:1], s17, v0
	v_mov_b32_e32 v4, 0
	v_mov_b32_e32 v3, v0
	s_and_saveexec_b64 s[2:3], s[0:1]
	s_cbranch_execz .LBB74_2
; %bb.1:
	v_mov_b32_e32 v2, 0
	v_lshlrev_b64 v[2:3], 1, v[1:2]
	v_mov_b32_e32 v4, s11
	v_add_co_u32_e32 v2, vcc, s10, v2
	v_addc_co_u32_e32 v3, vcc, v4, v3, vcc
	global_load_ushort v2, v[2:3], off
	v_or_b32_e32 v3, 0x100, v0
	s_waitcnt vmcnt(0)
	v_lshlrev_b32_e32 v4, 16, v2
.LBB74_2:
	s_or_b64 exec, exec, s[2:3]
	v_cmp_gt_i32_e32 vcc, s17, v3
	s_and_saveexec_b64 s[2:3], vcc
	s_cbranch_execz .LBB74_4
; %bb.3:
	v_add_u32_e32 v5, s16, v3
	v_mov_b32_e32 v6, 0
	v_lshlrev_b64 v[5:6], 1, v[5:6]
	v_mov_b32_e32 v2, s11
	v_add_co_u32_e32 v5, vcc, s10, v5
	v_addc_co_u32_e32 v6, vcc, v2, v6, vcc
	global_load_ushort v2, v[5:6], off
	v_add_u32_e32 v3, 0x100, v3
	s_waitcnt vmcnt(0)
	v_lshlrev_b32_e32 v7, 16, v2
.LBB74_4:
	s_or_b64 exec, exec, s[2:3]
	v_cmp_gt_i32_e32 vcc, s17, v3
	v_mov_b32_e32 v2, 0
	v_mov_b32_e32 v5, 0
	s_and_saveexec_b64 s[2:3], vcc
	s_cbranch_execnz .LBB74_7
; %bb.5:
	s_or_b64 exec, exec, s[2:3]
	v_cmp_gt_i32_e32 vcc, s17, v3
	s_and_saveexec_b64 s[2:3], vcc
	s_cbranch_execnz .LBB74_8
.LBB74_6:
	s_or_b64 exec, exec, s[2:3]
                                        ; implicit-def: $vgpr3
	s_and_saveexec_b64 s[10:11], s[0:1]
	s_cbranch_execnz .LBB74_9
	s_branch .LBB74_16
.LBB74_7:
	v_add_u32_e32 v5, s16, v3
	v_mov_b32_e32 v6, 0
	v_lshlrev_b64 v[5:6], 1, v[5:6]
	v_mov_b32_e32 v8, s11
	v_add_co_u32_e32 v5, vcc, s10, v5
	v_addc_co_u32_e32 v6, vcc, v8, v6, vcc
	global_load_ushort v5, v[5:6], off
	v_add_u32_e32 v3, 0x100, v3
	s_waitcnt vmcnt(0)
	v_lshlrev_b32_e32 v5, 16, v5
	s_or_b64 exec, exec, s[2:3]
	v_cmp_gt_i32_e32 vcc, s17, v3
	s_and_saveexec_b64 s[2:3], vcc
	s_cbranch_execz .LBB74_6
.LBB74_8:
	v_add_u32_e32 v2, s16, v3
	v_mov_b32_e32 v3, 0
	v_lshlrev_b64 v[2:3], 1, v[2:3]
	v_mov_b32_e32 v6, s11
	v_add_co_u32_e32 v2, vcc, s10, v2
	v_addc_co_u32_e32 v3, vcc, v6, v3, vcc
	global_load_ushort v2, v[2:3], off
	s_waitcnt vmcnt(0)
	v_lshlrev_b32_e32 v2, 16, v2
	s_or_b64 exec, exec, s[2:3]
                                        ; implicit-def: $vgpr3
	s_and_saveexec_b64 s[10:11], s[0:1]
	s_cbranch_execz .LBB74_16
.LBB74_9:
	v_cmp_gt_f32_e32 vcc, 0.5, v4
	v_mov_b32_e32 v6, 0
	v_mov_b32_e32 v3, 1.0
	s_and_saveexec_b64 s[12:13], vcc
	s_cbranch_execz .LBB74_15
; %bb.10:
	v_mul_f32_e32 v3, 0x40490fdb, v4
	s_brev_b32 s2, 18
	v_and_b32_e32 v6, 0x7fffffff, v3
	v_cmp_nlt_f32_e64 s[2:3], |v3|, s2
                                        ; implicit-def: $vgpr8
                                        ; implicit-def: $vgpr9
	s_and_saveexec_b64 s[4:5], s[2:3]
	s_xor_b64 s[14:15], exec, s[4:5]
	s_cbranch_execz .LBB74_12
; %bb.11:
	v_and_b32_e32 v8, 0x7fffff, v6
	v_or_b32_e32 v17, 0x800000, v8
	s_mov_b32 s2, 0xfe5163ab
	v_mad_u64_u32 v[8:9], s[2:3], v17, s2, 0
	v_mov_b32_e32 v10, 0
	s_mov_b32 s2, 0x3c439041
	v_mad_u64_u32 v[11:12], s[2:3], v17, s2, v[9:10]
	s_mov_b32 s2, 0xdb629599
	v_not_b32_e32 v16, 63
	v_mov_b32_e32 v9, v12
	v_mad_u64_u32 v[12:13], s[2:3], v17, s2, v[9:10]
	s_mov_b32 s2, 0xf534ddc0
	v_not_b32_e32 v19, 31
	v_mov_b32_e32 v9, v13
	v_mad_u64_u32 v[13:14], s[2:3], v17, s2, v[9:10]
	v_lshrrev_b32_e32 v9, 23, v6
	v_add_u32_e32 v18, 0xffffff88, v9
	v_mov_b32_e32 v9, v14
	s_mov_b32 s2, 0xfc2757d1
	v_mad_u64_u32 v[14:15], s[2:3], v17, s2, v[9:10]
	v_cmp_lt_u32_e32 vcc, 63, v18
	v_cndmask_b32_e32 v9, 0, v16, vcc
	v_add_u32_e32 v18, v9, v18
	v_mov_b32_e32 v9, v15
	s_mov_b32 s2, 0x4e441529
	v_mad_u64_u32 v[15:16], s[2:3], v17, s2, v[9:10]
	v_cmp_lt_u32_e64 s[2:3], 31, v18
	v_cndmask_b32_e64 v9, 0, v19, s[2:3]
	v_add_u32_e32 v18, v9, v18
	v_mov_b32_e32 v9, v16
	s_mov_b32 s4, 0xa2f9836e
	v_mad_u64_u32 v[9:10], s[4:5], v17, s4, v[9:10]
	v_cmp_lt_u32_e64 s[4:5], 31, v18
	v_cndmask_b32_e64 v16, 0, v19, s[4:5]
	v_cndmask_b32_e32 v17, v15, v13, vcc
	v_cndmask_b32_e32 v9, v9, v14, vcc
	;; [unrolled: 1-line block ×3, first 2 shown]
	v_add_u32_e32 v16, v16, v18
	v_cndmask_b32_e64 v18, v9, v17, s[2:3]
	v_cndmask_b32_e64 v9, v10, v9, s[2:3]
	v_cndmask_b32_e32 v10, v14, v12, vcc
	v_cndmask_b32_e64 v14, v17, v10, s[2:3]
	v_cndmask_b32_e64 v9, v9, v18, s[4:5]
	;; [unrolled: 1-line block ×3, first 2 shown]
	v_sub_u32_e32 v17, 32, v16
	v_alignbit_b32 v18, v9, v15, v17
	v_cmp_eq_u32_e64 s[6:7], 0, v16
	v_cndmask_b32_e64 v16, v18, v9, s[6:7]
	v_cndmask_b32_e32 v9, v13, v11, vcc
	v_cndmask_b32_e64 v10, v10, v9, s[2:3]
	v_cndmask_b32_e64 v11, v14, v10, s[4:5]
	v_alignbit_b32 v13, v15, v11, v17
	v_cndmask_b32_e32 v8, v12, v8, vcc
	v_cndmask_b32_e64 v13, v13, v15, s[6:7]
	v_bfe_u32 v18, v16, 29, 1
	v_cndmask_b32_e64 v8, v9, v8, s[2:3]
	v_alignbit_b32 v14, v16, v13, 30
	v_sub_u32_e32 v19, 0, v18
	v_cndmask_b32_e64 v8, v10, v8, s[4:5]
	v_xor_b32_e32 v14, v14, v19
	v_alignbit_b32 v9, v11, v8, v17
	v_cndmask_b32_e64 v9, v9, v11, s[6:7]
	v_ffbh_u32_e32 v11, v14
	v_alignbit_b32 v10, v13, v9, 30
	v_min_u32_e32 v11, 32, v11
	v_alignbit_b32 v8, v9, v8, 30
	v_xor_b32_e32 v10, v10, v19
	v_sub_u32_e32 v12, 31, v11
	v_xor_b32_e32 v8, v8, v19
	v_alignbit_b32 v13, v14, v10, v12
	v_alignbit_b32 v8, v10, v8, v12
	;; [unrolled: 1-line block ×3, first 2 shown]
	v_ffbh_u32_e32 v10, v9
	v_min_u32_e32 v10, 32, v10
	v_lshrrev_b32_e32 v15, 29, v16
	v_not_b32_e32 v12, v10
	v_alignbit_b32 v8, v9, v8, v12
	v_lshlrev_b32_e32 v9, 31, v15
	v_or_b32_e32 v12, 0x33000000, v9
	v_add_lshl_u32 v10, v10, v11, 23
	v_lshrrev_b32_e32 v8, 9, v8
	v_sub_u32_e32 v10, v12, v10
	v_or_b32_e32 v9, 0.5, v9
	v_lshlrev_b32_e32 v11, 23, v11
	v_or_b32_e32 v8, v10, v8
	v_lshrrev_b32_e32 v10, 9, v13
	v_sub_u32_e32 v9, v9, v11
	v_or_b32_e32 v9, v10, v9
	s_mov_b32 s2, 0x3fc90fda
	v_mul_f32_e32 v10, 0x3fc90fda, v9
	v_fma_f32 v11, v9, s2, -v10
	v_fmac_f32_e32 v11, 0x33a22168, v9
	v_fmac_f32_e32 v11, 0x3fc90fda, v8
	v_lshrrev_b32_e32 v8, 30, v16
	v_add_f32_e32 v9, v10, v11
	v_add_u32_e32 v8, v18, v8
.LBB74_12:
	s_andn2_saveexec_b64 s[2:3], s[14:15]
	s_cbranch_execz .LBB74_14
; %bb.13:
	s_mov_b32 s4, 0x3f22f983
	v_mul_f32_e64 v8, |v3|, s4
	v_rndne_f32_e32 v10, v8
	s_mov_b32 s4, 0xbfc90fda
	v_cvt_i32_f32_e32 v8, v10
	v_fma_f32 v9, v10, s4, |v3|
	v_fmac_f32_e32 v9, 0xb3a22168, v10
	v_fmac_f32_e32 v9, 0xa7c234c4, v10
.LBB74_14:
	s_or_b64 exec, exec, s[2:3]
	v_mul_f32_e32 v10, v9, v9
	v_mov_b32_e32 v11, 0x3c0881c4
	v_fmac_f32_e32 v11, 0xb94c1982, v10
	v_mov_b32_e32 v12, 0xbe2aaa9d
	v_fmac_f32_e32 v12, v10, v11
	v_mul_f32_e32 v11, v10, v12
	v_fmac_f32_e32 v9, v9, v11
	v_mov_b32_e32 v11, 0xbab64f3b
	v_fmac_f32_e32 v11, 0x37d75334, v10
	v_mov_b32_e32 v12, 0x3d2aabf7
	v_fmac_f32_e32 v12, v10, v11
	v_mov_b32_e32 v11, 0xbf000004
	v_fmac_f32_e32 v11, v10, v12
	v_fma_f32 v10, v10, v11, 1.0
	v_and_b32_e32 v11, 1, v8
	v_lshlrev_b32_e32 v8, 30, v8
	v_cmp_eq_u32_e32 vcc, 0, v11
	v_and_b32_e32 v8, 0x80000000, v8
	v_xor_b32_e32 v6, v6, v3
	v_cndmask_b32_e32 v9, v10, v9, vcc
	v_xor_b32_e32 v6, v6, v8
	s_movk_i32 s2, 0x1f8
	v_xor_b32_e32 v6, v6, v9
	v_mov_b32_e32 v8, 0x7fc00000
	v_cmp_class_f32_e64 vcc, v3, s2
	v_cndmask_b32_e32 v3, v8, v6, vcc
	v_mul_f32_e32 v3, v3, v3
	s_mov_b32 s4, 0xc11de9e7
	v_div_scale_f32 v6, s[2:3], v3, v3, s4
	v_div_scale_f32 v8, vcc, s4, v3, s4
	v_sub_f32_e32 v4, 1.0, v4
	v_rcp_f32_e32 v9, v6
	v_fma_f32 v10, -v6, v9, 1.0
	v_fmac_f32_e32 v9, v10, v9
	v_mul_f32_e32 v10, v8, v9
	v_fma_f32 v11, -v6, v10, v8
	v_fmac_f32_e32 v10, v11, v9
	v_fma_f32 v6, -v6, v10, v8
	v_div_fmas_f32 v6, v6, v9, v10
	v_div_fixup_f32 v3, v6, v3, s4
	v_add_f32_e32 v6, 0, v3
	v_mov_b32_e32 v3, -1.0
.LBB74_15:
	s_or_b64 exec, exec, s[12:13]
	v_mul_f32_e32 v8, v4, v4
	v_div_scale_f32 v9, s[2:3], v8, v8, 1.0
	v_add_f32_e32 v4, 1.0, v4
	v_rcp_f32_e32 v10, v9
	v_fma_f32 v11, -v9, v10, 1.0
	v_fmac_f32_e32 v10, v11, v10
	v_div_scale_f32 v11, vcc, 1.0, v8, 1.0
	v_mul_f32_e32 v12, v11, v10
	v_fma_f32 v13, -v9, v12, v11
	v_fmac_f32_e32 v12, v13, v10
	v_fma_f32 v9, -v9, v12, v11
	v_div_fmas_f32 v9, v9, v10, v12
	v_div_fixup_f32 v8, v9, v8, 1.0
	v_add_f32_e32 v6, v6, v8
	v_mul_f32_e32 v8, v4, v4
	v_div_scale_f32 v9, s[2:3], v8, v8, 1.0
	v_add_f32_e32 v4, 1.0, v4
	v_rcp_f32_e32 v10, v9
	v_fma_f32 v11, -v9, v10, 1.0
	v_fmac_f32_e32 v10, v11, v10
	v_div_scale_f32 v11, vcc, 1.0, v8, 1.0
	v_mul_f32_e32 v12, v11, v10
	v_fma_f32 v13, -v9, v12, v11
	v_fmac_f32_e32 v12, v13, v10
	v_fma_f32 v9, -v9, v12, v11
	v_div_fmas_f32 v9, v9, v10, v12
	v_div_fixup_f32 v8, v9, v8, 1.0
	v_add_f32_e32 v6, v6, v8
	;; [unrolled: 14-line block ×6, first 2 shown]
	v_mul_f32_e32 v8, v4, v4
	v_div_scale_f32 v9, s[2:3], v8, v8, 1.0
	v_rcp_f32_e32 v10, v9
	v_fma_f32 v11, -v9, v10, 1.0
	v_fmac_f32_e32 v10, v11, v10
	v_div_scale_f32 v11, vcc, 1.0, v8, 1.0
	v_mul_f32_e32 v12, v11, v10
	v_fma_f32 v13, -v9, v12, v11
	v_fmac_f32_e32 v12, v13, v10
	v_fma_f32 v9, -v9, v12, v11
	v_div_fmas_f32 v9, v9, v10, v12
	v_div_fixup_f32 v8, v9, v8, 1.0
	v_add_f32_e32 v9, v4, v4
	v_div_scale_f32 v10, s[2:3], v9, v9, 1.0
	s_mov_b32 s2, 0x3e2aaaab
	v_rcp_f32_e32 v11, v10
	v_fma_f32 v12, -v10, v11, 1.0
	v_fmac_f32_e32 v11, v12, v11
	v_div_scale_f32 v12, vcc, 1.0, v9, 1.0
	v_mul_f32_e32 v13, v12, v11
	v_fma_f32 v14, -v10, v13, v12
	v_fmac_f32_e32 v13, v14, v11
	v_fma_f32 v10, -v10, v13, v12
	v_div_fmas_f32 v10, v10, v11, v13
	v_div_fixup_f32 v9, v10, v9, 1.0
	v_mov_b32_e32 v10, 0x3d088889
	v_fmac_f32_e32 v10, 0xbcc30c31, v8
	v_add_f32_e32 v9, 1.0, v9
	v_fma_f32 v10, -v8, v10, s2
	v_fmac_f32_e32 v9, v8, v10
	v_div_scale_f32 v8, s[2:3], v4, v4, v9
	s_movk_i32 s2, 0x7fff
	v_rcp_f32_e32 v10, v8
	v_fma_f32 v11, -v8, v10, 1.0
	v_fmac_f32_e32 v10, v11, v10
	v_div_scale_f32 v11, vcc, v9, v4, v9
	v_mul_f32_e32 v12, v11, v10
	v_fma_f32 v13, -v8, v12, v11
	v_fmac_f32_e32 v12, v13, v10
	v_fma_f32 v8, -v8, v12, v11
	v_div_fmas_f32 v8, v8, v10, v12
	v_div_fixup_f32 v4, v8, v4, v9
	v_add_f32_e32 v4, v6, v4
	v_mul_f32_e32 v3, v3, v4
	v_bfe_u32 v4, v3, 16, 1
	v_add3_u32 v4, v3, v4, s2
	v_cmp_o_f32_e32 vcc, v3, v3
	v_mov_b32_e32 v3, 0x7fc0
	v_cndmask_b32_sdwa v3, v3, v4, vcc dst_sel:DWORD dst_unused:UNUSED_PAD src0_sel:DWORD src1_sel:WORD_1
.LBB74_16:
	s_or_b64 exec, exec, s[10:11]
	v_or_b32_e32 v4, 0x100, v0
	v_cmp_gt_i32_e32 vcc, s17, v4
                                        ; implicit-def: $vgpr6
	s_and_saveexec_b64 s[10:11], vcc
	s_cbranch_execz .LBB74_24
; %bb.17:
	v_cmp_gt_f32_e32 vcc, 0.5, v7
	v_mov_b32_e32 v8, 0
	v_mov_b32_e32 v6, 1.0
	s_and_saveexec_b64 s[12:13], vcc
	s_cbranch_execz .LBB74_23
; %bb.18:
	v_mul_f32_e32 v6, 0x40490fdb, v7
	s_brev_b32 s2, 18
	v_and_b32_e32 v8, 0x7fffffff, v6
	v_cmp_nlt_f32_e64 s[2:3], |v6|, s2
                                        ; implicit-def: $vgpr9
                                        ; implicit-def: $vgpr10
	s_and_saveexec_b64 s[4:5], s[2:3]
	s_xor_b64 s[14:15], exec, s[4:5]
	s_cbranch_execz .LBB74_20
; %bb.19:
	v_and_b32_e32 v9, 0x7fffff, v8
	v_or_b32_e32 v18, 0x800000, v9
	s_mov_b32 s2, 0xfe5163ab
	v_mad_u64_u32 v[9:10], s[2:3], v18, s2, 0
	v_mov_b32_e32 v11, 0
	s_mov_b32 s2, 0x3c439041
	v_mad_u64_u32 v[12:13], s[2:3], v18, s2, v[10:11]
	s_mov_b32 s2, 0xdb629599
	v_not_b32_e32 v17, 63
	v_mov_b32_e32 v10, v13
	v_mad_u64_u32 v[13:14], s[2:3], v18, s2, v[10:11]
	s_mov_b32 s2, 0xf534ddc0
	v_not_b32_e32 v20, 31
	v_mov_b32_e32 v10, v14
	v_mad_u64_u32 v[14:15], s[2:3], v18, s2, v[10:11]
	v_lshrrev_b32_e32 v10, 23, v8
	v_add_u32_e32 v19, 0xffffff88, v10
	v_mov_b32_e32 v10, v15
	s_mov_b32 s2, 0xfc2757d1
	v_mad_u64_u32 v[15:16], s[2:3], v18, s2, v[10:11]
	v_cmp_lt_u32_e32 vcc, 63, v19
	v_cndmask_b32_e32 v10, 0, v17, vcc
	v_add_u32_e32 v19, v10, v19
	v_mov_b32_e32 v10, v16
	s_mov_b32 s2, 0x4e441529
	v_mad_u64_u32 v[16:17], s[2:3], v18, s2, v[10:11]
	v_cmp_lt_u32_e64 s[2:3], 31, v19
	v_cndmask_b32_e64 v10, 0, v20, s[2:3]
	v_add_u32_e32 v19, v10, v19
	v_mov_b32_e32 v10, v17
	s_mov_b32 s4, 0xa2f9836e
	v_mad_u64_u32 v[10:11], s[4:5], v18, s4, v[10:11]
	v_cmp_lt_u32_e64 s[4:5], 31, v19
	v_cndmask_b32_e64 v17, 0, v20, s[4:5]
	v_cndmask_b32_e32 v18, v16, v14, vcc
	v_cndmask_b32_e32 v10, v10, v15, vcc
	;; [unrolled: 1-line block ×3, first 2 shown]
	v_add_u32_e32 v17, v17, v19
	v_cndmask_b32_e64 v19, v10, v18, s[2:3]
	v_cndmask_b32_e64 v10, v11, v10, s[2:3]
	v_cndmask_b32_e32 v11, v15, v13, vcc
	v_cndmask_b32_e64 v15, v18, v11, s[2:3]
	v_cndmask_b32_e64 v10, v10, v19, s[4:5]
	v_cndmask_b32_e64 v16, v19, v15, s[4:5]
	v_sub_u32_e32 v18, 32, v17
	v_alignbit_b32 v19, v10, v16, v18
	v_cmp_eq_u32_e64 s[6:7], 0, v17
	v_cndmask_b32_e64 v17, v19, v10, s[6:7]
	v_cndmask_b32_e32 v10, v14, v12, vcc
	v_cndmask_b32_e64 v11, v11, v10, s[2:3]
	v_cndmask_b32_e64 v12, v15, v11, s[4:5]
	v_alignbit_b32 v14, v16, v12, v18
	v_cndmask_b32_e32 v9, v13, v9, vcc
	v_cndmask_b32_e64 v14, v14, v16, s[6:7]
	v_bfe_u32 v19, v17, 29, 1
	v_cndmask_b32_e64 v9, v10, v9, s[2:3]
	v_alignbit_b32 v15, v17, v14, 30
	v_sub_u32_e32 v20, 0, v19
	v_cndmask_b32_e64 v9, v11, v9, s[4:5]
	v_xor_b32_e32 v15, v15, v20
	v_alignbit_b32 v10, v12, v9, v18
	v_cndmask_b32_e64 v10, v10, v12, s[6:7]
	v_ffbh_u32_e32 v12, v15
	v_alignbit_b32 v11, v14, v10, 30
	v_min_u32_e32 v12, 32, v12
	v_alignbit_b32 v9, v10, v9, 30
	v_xor_b32_e32 v11, v11, v20
	v_sub_u32_e32 v13, 31, v12
	v_xor_b32_e32 v9, v9, v20
	v_alignbit_b32 v14, v15, v11, v13
	v_alignbit_b32 v9, v11, v9, v13
	;; [unrolled: 1-line block ×3, first 2 shown]
	v_ffbh_u32_e32 v11, v10
	v_min_u32_e32 v11, 32, v11
	v_lshrrev_b32_e32 v16, 29, v17
	v_not_b32_e32 v13, v11
	v_alignbit_b32 v9, v10, v9, v13
	v_lshlrev_b32_e32 v10, 31, v16
	v_or_b32_e32 v13, 0x33000000, v10
	v_add_lshl_u32 v11, v11, v12, 23
	v_lshrrev_b32_e32 v9, 9, v9
	v_sub_u32_e32 v11, v13, v11
	v_or_b32_e32 v10, 0.5, v10
	v_lshlrev_b32_e32 v12, 23, v12
	v_or_b32_e32 v9, v11, v9
	v_lshrrev_b32_e32 v11, 9, v14
	v_sub_u32_e32 v10, v10, v12
	v_or_b32_e32 v10, v11, v10
	s_mov_b32 s2, 0x3fc90fda
	v_mul_f32_e32 v11, 0x3fc90fda, v10
	v_fma_f32 v12, v10, s2, -v11
	v_fmac_f32_e32 v12, 0x33a22168, v10
	v_fmac_f32_e32 v12, 0x3fc90fda, v9
	v_lshrrev_b32_e32 v9, 30, v17
	v_add_f32_e32 v10, v11, v12
	v_add_u32_e32 v9, v19, v9
.LBB74_20:
	s_andn2_saveexec_b64 s[2:3], s[14:15]
	s_cbranch_execz .LBB74_22
; %bb.21:
	s_mov_b32 s4, 0x3f22f983
	v_mul_f32_e64 v9, |v6|, s4
	v_rndne_f32_e32 v11, v9
	s_mov_b32 s4, 0xbfc90fda
	v_cvt_i32_f32_e32 v9, v11
	v_fma_f32 v10, v11, s4, |v6|
	v_fmac_f32_e32 v10, 0xb3a22168, v11
	v_fmac_f32_e32 v10, 0xa7c234c4, v11
.LBB74_22:
	s_or_b64 exec, exec, s[2:3]
	v_mul_f32_e32 v11, v10, v10
	v_mov_b32_e32 v12, 0x3c0881c4
	v_fmac_f32_e32 v12, 0xb94c1982, v11
	v_mov_b32_e32 v13, 0xbe2aaa9d
	v_fmac_f32_e32 v13, v11, v12
	v_mul_f32_e32 v12, v11, v13
	v_fmac_f32_e32 v10, v10, v12
	v_mov_b32_e32 v12, 0xbab64f3b
	v_fmac_f32_e32 v12, 0x37d75334, v11
	v_mov_b32_e32 v13, 0x3d2aabf7
	;; [unrolled: 2-line block ×3, first 2 shown]
	v_fmac_f32_e32 v12, v11, v13
	v_fma_f32 v11, v11, v12, 1.0
	v_and_b32_e32 v12, 1, v9
	v_lshlrev_b32_e32 v9, 30, v9
	v_cmp_eq_u32_e32 vcc, 0, v12
	v_and_b32_e32 v9, 0x80000000, v9
	v_xor_b32_e32 v8, v8, v6
	v_cndmask_b32_e32 v10, v11, v10, vcc
	v_xor_b32_e32 v8, v8, v9
	s_movk_i32 s2, 0x1f8
	v_xor_b32_e32 v8, v8, v10
	v_mov_b32_e32 v9, 0x7fc00000
	v_cmp_class_f32_e64 vcc, v6, s2
	v_cndmask_b32_e32 v6, v9, v8, vcc
	v_mul_f32_e32 v6, v6, v6
	s_mov_b32 s4, 0xc11de9e7
	v_div_scale_f32 v8, s[2:3], v6, v6, s4
	v_div_scale_f32 v9, vcc, s4, v6, s4
	v_sub_f32_e32 v7, 1.0, v7
	v_rcp_f32_e32 v10, v8
	v_fma_f32 v11, -v8, v10, 1.0
	v_fmac_f32_e32 v10, v11, v10
	v_mul_f32_e32 v11, v9, v10
	v_fma_f32 v12, -v8, v11, v9
	v_fmac_f32_e32 v11, v12, v10
	v_fma_f32 v8, -v8, v11, v9
	v_div_fmas_f32 v8, v8, v10, v11
	v_div_fixup_f32 v6, v8, v6, s4
	v_add_f32_e32 v8, 0, v6
	v_mov_b32_e32 v6, -1.0
.LBB74_23:
	s_or_b64 exec, exec, s[12:13]
	v_mul_f32_e32 v9, v7, v7
	v_div_scale_f32 v10, s[2:3], v9, v9, 1.0
	v_add_f32_e32 v7, 1.0, v7
	v_rcp_f32_e32 v11, v10
	v_fma_f32 v12, -v10, v11, 1.0
	v_fmac_f32_e32 v11, v12, v11
	v_div_scale_f32 v12, vcc, 1.0, v9, 1.0
	v_mul_f32_e32 v13, v12, v11
	v_fma_f32 v14, -v10, v13, v12
	v_fmac_f32_e32 v13, v14, v11
	v_fma_f32 v10, -v10, v13, v12
	v_div_fmas_f32 v10, v10, v11, v13
	v_div_fixup_f32 v9, v10, v9, 1.0
	v_add_f32_e32 v8, v8, v9
	v_mul_f32_e32 v9, v7, v7
	v_div_scale_f32 v10, s[2:3], v9, v9, 1.0
	v_add_f32_e32 v7, 1.0, v7
	v_rcp_f32_e32 v11, v10
	v_fma_f32 v12, -v10, v11, 1.0
	v_fmac_f32_e32 v11, v12, v11
	v_div_scale_f32 v12, vcc, 1.0, v9, 1.0
	v_mul_f32_e32 v13, v12, v11
	v_fma_f32 v14, -v10, v13, v12
	v_fmac_f32_e32 v13, v14, v11
	v_fma_f32 v10, -v10, v13, v12
	v_div_fmas_f32 v10, v10, v11, v13
	v_div_fixup_f32 v9, v10, v9, 1.0
	v_add_f32_e32 v8, v8, v9
	;; [unrolled: 14-line block ×6, first 2 shown]
	v_mul_f32_e32 v9, v7, v7
	v_div_scale_f32 v10, s[2:3], v9, v9, 1.0
	v_rcp_f32_e32 v11, v10
	v_fma_f32 v12, -v10, v11, 1.0
	v_fmac_f32_e32 v11, v12, v11
	v_div_scale_f32 v12, vcc, 1.0, v9, 1.0
	v_mul_f32_e32 v13, v12, v11
	v_fma_f32 v14, -v10, v13, v12
	v_fmac_f32_e32 v13, v14, v11
	v_fma_f32 v10, -v10, v13, v12
	v_div_fmas_f32 v10, v10, v11, v13
	v_div_fixup_f32 v9, v10, v9, 1.0
	v_add_f32_e32 v10, v7, v7
	v_div_scale_f32 v11, s[2:3], v10, v10, 1.0
	s_mov_b32 s2, 0x3e2aaaab
	v_rcp_f32_e32 v12, v11
	v_fma_f32 v13, -v11, v12, 1.0
	v_fmac_f32_e32 v12, v13, v12
	v_div_scale_f32 v13, vcc, 1.0, v10, 1.0
	v_mul_f32_e32 v14, v13, v12
	v_fma_f32 v15, -v11, v14, v13
	v_fmac_f32_e32 v14, v15, v12
	v_fma_f32 v11, -v11, v14, v13
	v_div_fmas_f32 v11, v11, v12, v14
	v_div_fixup_f32 v10, v11, v10, 1.0
	v_mov_b32_e32 v11, 0x3d088889
	v_fmac_f32_e32 v11, 0xbcc30c31, v9
	v_add_f32_e32 v10, 1.0, v10
	v_fma_f32 v11, -v9, v11, s2
	v_fmac_f32_e32 v10, v9, v11
	v_div_scale_f32 v9, s[2:3], v7, v7, v10
	s_movk_i32 s2, 0x7fff
	v_rcp_f32_e32 v11, v9
	v_fma_f32 v12, -v9, v11, 1.0
	v_fmac_f32_e32 v11, v12, v11
	v_div_scale_f32 v12, vcc, v10, v7, v10
	v_mul_f32_e32 v13, v12, v11
	v_fma_f32 v14, -v9, v13, v12
	v_fmac_f32_e32 v13, v14, v11
	v_fma_f32 v9, -v9, v13, v12
	v_div_fmas_f32 v9, v9, v11, v13
	v_div_fixup_f32 v7, v9, v7, v10
	v_add_f32_e32 v7, v8, v7
	v_mul_f32_e32 v6, v6, v7
	v_bfe_u32 v7, v6, 16, 1
	v_add3_u32 v7, v6, v7, s2
	v_cmp_o_f32_e32 vcc, v6, v6
	v_mov_b32_e32 v6, 0x7fc0
	v_cndmask_b32_sdwa v6, v6, v7, vcc dst_sel:DWORD dst_unused:UNUSED_PAD src0_sel:DWORD src1_sel:WORD_1
.LBB74_24:
	s_or_b64 exec, exec, s[10:11]
	v_or_b32_e32 v7, 0x200, v0
	v_cmp_gt_i32_e32 vcc, s17, v7
                                        ; implicit-def: $vgpr7
	s_and_saveexec_b64 s[10:11], vcc
	s_cbranch_execz .LBB74_32
; %bb.25:
	v_cmp_gt_f32_e32 vcc, 0.5, v5
	v_mov_b32_e32 v8, 0
	v_mov_b32_e32 v7, 1.0
	s_and_saveexec_b64 s[12:13], vcc
	s_cbranch_execz .LBB74_31
; %bb.26:
	v_mul_f32_e32 v7, 0x40490fdb, v5
	s_brev_b32 s2, 18
	v_and_b32_e32 v8, 0x7fffffff, v7
	v_cmp_nlt_f32_e64 s[2:3], |v7|, s2
                                        ; implicit-def: $vgpr9
                                        ; implicit-def: $vgpr10
	s_and_saveexec_b64 s[4:5], s[2:3]
	s_xor_b64 s[14:15], exec, s[4:5]
	s_cbranch_execz .LBB74_28
; %bb.27:
	v_and_b32_e32 v9, 0x7fffff, v8
	v_or_b32_e32 v18, 0x800000, v9
	s_mov_b32 s2, 0xfe5163ab
	v_mad_u64_u32 v[9:10], s[2:3], v18, s2, 0
	v_mov_b32_e32 v11, 0
	s_mov_b32 s2, 0x3c439041
	v_mad_u64_u32 v[12:13], s[2:3], v18, s2, v[10:11]
	s_mov_b32 s2, 0xdb629599
	v_not_b32_e32 v17, 63
	v_mov_b32_e32 v10, v13
	v_mad_u64_u32 v[13:14], s[2:3], v18, s2, v[10:11]
	s_mov_b32 s2, 0xf534ddc0
	v_not_b32_e32 v20, 31
	v_mov_b32_e32 v10, v14
	v_mad_u64_u32 v[14:15], s[2:3], v18, s2, v[10:11]
	v_lshrrev_b32_e32 v10, 23, v8
	v_add_u32_e32 v19, 0xffffff88, v10
	v_mov_b32_e32 v10, v15
	s_mov_b32 s2, 0xfc2757d1
	v_mad_u64_u32 v[15:16], s[2:3], v18, s2, v[10:11]
	v_cmp_lt_u32_e32 vcc, 63, v19
	v_cndmask_b32_e32 v10, 0, v17, vcc
	v_add_u32_e32 v19, v10, v19
	v_mov_b32_e32 v10, v16
	s_mov_b32 s2, 0x4e441529
	v_mad_u64_u32 v[16:17], s[2:3], v18, s2, v[10:11]
	v_cmp_lt_u32_e64 s[2:3], 31, v19
	v_cndmask_b32_e64 v10, 0, v20, s[2:3]
	v_add_u32_e32 v19, v10, v19
	v_mov_b32_e32 v10, v17
	s_mov_b32 s4, 0xa2f9836e
	v_mad_u64_u32 v[10:11], s[4:5], v18, s4, v[10:11]
	v_cmp_lt_u32_e64 s[4:5], 31, v19
	v_cndmask_b32_e64 v17, 0, v20, s[4:5]
	v_cndmask_b32_e32 v18, v16, v14, vcc
	v_cndmask_b32_e32 v10, v10, v15, vcc
	v_cndmask_b32_e32 v11, v11, v16, vcc
	v_add_u32_e32 v17, v17, v19
	v_cndmask_b32_e64 v19, v10, v18, s[2:3]
	v_cndmask_b32_e64 v10, v11, v10, s[2:3]
	v_cndmask_b32_e32 v11, v15, v13, vcc
	v_cndmask_b32_e64 v15, v18, v11, s[2:3]
	v_cndmask_b32_e64 v10, v10, v19, s[4:5]
	;; [unrolled: 1-line block ×3, first 2 shown]
	v_sub_u32_e32 v18, 32, v17
	v_alignbit_b32 v19, v10, v16, v18
	v_cmp_eq_u32_e64 s[6:7], 0, v17
	v_cndmask_b32_e64 v17, v19, v10, s[6:7]
	v_cndmask_b32_e32 v10, v14, v12, vcc
	v_cndmask_b32_e64 v11, v11, v10, s[2:3]
	v_cndmask_b32_e64 v12, v15, v11, s[4:5]
	v_alignbit_b32 v14, v16, v12, v18
	v_cndmask_b32_e32 v9, v13, v9, vcc
	v_cndmask_b32_e64 v14, v14, v16, s[6:7]
	v_bfe_u32 v19, v17, 29, 1
	v_cndmask_b32_e64 v9, v10, v9, s[2:3]
	v_alignbit_b32 v15, v17, v14, 30
	v_sub_u32_e32 v20, 0, v19
	v_cndmask_b32_e64 v9, v11, v9, s[4:5]
	v_xor_b32_e32 v15, v15, v20
	v_alignbit_b32 v10, v12, v9, v18
	v_cndmask_b32_e64 v10, v10, v12, s[6:7]
	v_ffbh_u32_e32 v12, v15
	v_alignbit_b32 v11, v14, v10, 30
	v_min_u32_e32 v12, 32, v12
	v_alignbit_b32 v9, v10, v9, 30
	v_xor_b32_e32 v11, v11, v20
	v_sub_u32_e32 v13, 31, v12
	v_xor_b32_e32 v9, v9, v20
	v_alignbit_b32 v14, v15, v11, v13
	v_alignbit_b32 v9, v11, v9, v13
	;; [unrolled: 1-line block ×3, first 2 shown]
	v_ffbh_u32_e32 v11, v10
	v_min_u32_e32 v11, 32, v11
	v_lshrrev_b32_e32 v16, 29, v17
	v_not_b32_e32 v13, v11
	v_alignbit_b32 v9, v10, v9, v13
	v_lshlrev_b32_e32 v10, 31, v16
	v_or_b32_e32 v13, 0x33000000, v10
	v_add_lshl_u32 v11, v11, v12, 23
	v_lshrrev_b32_e32 v9, 9, v9
	v_sub_u32_e32 v11, v13, v11
	v_or_b32_e32 v10, 0.5, v10
	v_lshlrev_b32_e32 v12, 23, v12
	v_or_b32_e32 v9, v11, v9
	v_lshrrev_b32_e32 v11, 9, v14
	v_sub_u32_e32 v10, v10, v12
	v_or_b32_e32 v10, v11, v10
	s_mov_b32 s2, 0x3fc90fda
	v_mul_f32_e32 v11, 0x3fc90fda, v10
	v_fma_f32 v12, v10, s2, -v11
	v_fmac_f32_e32 v12, 0x33a22168, v10
	v_fmac_f32_e32 v12, 0x3fc90fda, v9
	v_lshrrev_b32_e32 v9, 30, v17
	v_add_f32_e32 v10, v11, v12
	v_add_u32_e32 v9, v19, v9
.LBB74_28:
	s_andn2_saveexec_b64 s[2:3], s[14:15]
	s_cbranch_execz .LBB74_30
; %bb.29:
	s_mov_b32 s4, 0x3f22f983
	v_mul_f32_e64 v9, |v7|, s4
	v_rndne_f32_e32 v11, v9
	s_mov_b32 s4, 0xbfc90fda
	v_cvt_i32_f32_e32 v9, v11
	v_fma_f32 v10, v11, s4, |v7|
	v_fmac_f32_e32 v10, 0xb3a22168, v11
	v_fmac_f32_e32 v10, 0xa7c234c4, v11
.LBB74_30:
	s_or_b64 exec, exec, s[2:3]
	v_mul_f32_e32 v11, v10, v10
	v_mov_b32_e32 v12, 0x3c0881c4
	v_fmac_f32_e32 v12, 0xb94c1982, v11
	v_mov_b32_e32 v13, 0xbe2aaa9d
	v_fmac_f32_e32 v13, v11, v12
	v_mul_f32_e32 v12, v11, v13
	v_fmac_f32_e32 v10, v10, v12
	v_mov_b32_e32 v12, 0xbab64f3b
	v_fmac_f32_e32 v12, 0x37d75334, v11
	v_mov_b32_e32 v13, 0x3d2aabf7
	;; [unrolled: 2-line block ×3, first 2 shown]
	v_fmac_f32_e32 v12, v11, v13
	v_fma_f32 v11, v11, v12, 1.0
	v_and_b32_e32 v12, 1, v9
	v_lshlrev_b32_e32 v9, 30, v9
	v_cmp_eq_u32_e32 vcc, 0, v12
	v_and_b32_e32 v9, 0x80000000, v9
	v_xor_b32_e32 v8, v8, v7
	v_cndmask_b32_e32 v10, v11, v10, vcc
	v_xor_b32_e32 v8, v8, v9
	s_movk_i32 s2, 0x1f8
	v_xor_b32_e32 v8, v8, v10
	v_mov_b32_e32 v9, 0x7fc00000
	v_cmp_class_f32_e64 vcc, v7, s2
	v_cndmask_b32_e32 v7, v9, v8, vcc
	v_mul_f32_e32 v7, v7, v7
	s_mov_b32 s4, 0xc11de9e7
	v_div_scale_f32 v8, s[2:3], v7, v7, s4
	v_div_scale_f32 v9, vcc, s4, v7, s4
	v_sub_f32_e32 v5, 1.0, v5
	v_rcp_f32_e32 v10, v8
	v_fma_f32 v11, -v8, v10, 1.0
	v_fmac_f32_e32 v10, v11, v10
	v_mul_f32_e32 v11, v9, v10
	v_fma_f32 v12, -v8, v11, v9
	v_fmac_f32_e32 v11, v12, v10
	v_fma_f32 v8, -v8, v11, v9
	v_div_fmas_f32 v8, v8, v10, v11
	v_div_fixup_f32 v7, v8, v7, s4
	v_add_f32_e32 v8, 0, v7
	v_mov_b32_e32 v7, -1.0
.LBB74_31:
	s_or_b64 exec, exec, s[12:13]
	v_mul_f32_e32 v9, v5, v5
	v_div_scale_f32 v10, s[2:3], v9, v9, 1.0
	v_add_f32_e32 v5, 1.0, v5
	v_rcp_f32_e32 v11, v10
	v_fma_f32 v12, -v10, v11, 1.0
	v_fmac_f32_e32 v11, v12, v11
	v_div_scale_f32 v12, vcc, 1.0, v9, 1.0
	v_mul_f32_e32 v13, v12, v11
	v_fma_f32 v14, -v10, v13, v12
	v_fmac_f32_e32 v13, v14, v11
	v_fma_f32 v10, -v10, v13, v12
	v_div_fmas_f32 v10, v10, v11, v13
	v_div_fixup_f32 v9, v10, v9, 1.0
	v_add_f32_e32 v8, v8, v9
	v_mul_f32_e32 v9, v5, v5
	v_div_scale_f32 v10, s[2:3], v9, v9, 1.0
	v_add_f32_e32 v5, 1.0, v5
	v_rcp_f32_e32 v11, v10
	v_fma_f32 v12, -v10, v11, 1.0
	v_fmac_f32_e32 v11, v12, v11
	v_div_scale_f32 v12, vcc, 1.0, v9, 1.0
	v_mul_f32_e32 v13, v12, v11
	v_fma_f32 v14, -v10, v13, v12
	v_fmac_f32_e32 v13, v14, v11
	v_fma_f32 v10, -v10, v13, v12
	v_div_fmas_f32 v10, v10, v11, v13
	v_div_fixup_f32 v9, v10, v9, 1.0
	v_add_f32_e32 v8, v8, v9
	;; [unrolled: 14-line block ×6, first 2 shown]
	v_mul_f32_e32 v9, v5, v5
	v_div_scale_f32 v10, s[2:3], v9, v9, 1.0
	v_rcp_f32_e32 v11, v10
	v_fma_f32 v12, -v10, v11, 1.0
	v_fmac_f32_e32 v11, v12, v11
	v_div_scale_f32 v12, vcc, 1.0, v9, 1.0
	v_mul_f32_e32 v13, v12, v11
	v_fma_f32 v14, -v10, v13, v12
	v_fmac_f32_e32 v13, v14, v11
	v_fma_f32 v10, -v10, v13, v12
	v_div_fmas_f32 v10, v10, v11, v13
	v_div_fixup_f32 v9, v10, v9, 1.0
	v_add_f32_e32 v10, v5, v5
	v_div_scale_f32 v11, s[2:3], v10, v10, 1.0
	s_mov_b32 s2, 0x3e2aaaab
	v_rcp_f32_e32 v12, v11
	v_fma_f32 v13, -v11, v12, 1.0
	v_fmac_f32_e32 v12, v13, v12
	v_div_scale_f32 v13, vcc, 1.0, v10, 1.0
	v_mul_f32_e32 v14, v13, v12
	v_fma_f32 v15, -v11, v14, v13
	v_fmac_f32_e32 v14, v15, v12
	v_fma_f32 v11, -v11, v14, v13
	v_div_fmas_f32 v11, v11, v12, v14
	v_div_fixup_f32 v10, v11, v10, 1.0
	v_mov_b32_e32 v11, 0x3d088889
	v_fmac_f32_e32 v11, 0xbcc30c31, v9
	v_add_f32_e32 v10, 1.0, v10
	v_fma_f32 v11, -v9, v11, s2
	v_fmac_f32_e32 v10, v9, v11
	v_div_scale_f32 v9, s[2:3], v5, v5, v10
	s_movk_i32 s2, 0x7fff
	v_rcp_f32_e32 v11, v9
	v_fma_f32 v12, -v9, v11, 1.0
	v_fmac_f32_e32 v11, v12, v11
	v_div_scale_f32 v12, vcc, v10, v5, v10
	v_mul_f32_e32 v13, v12, v11
	v_fma_f32 v14, -v9, v13, v12
	v_fmac_f32_e32 v13, v14, v11
	v_fma_f32 v9, -v9, v13, v12
	v_div_fmas_f32 v9, v9, v11, v13
	v_div_fixup_f32 v5, v9, v5, v10
	v_add_f32_e32 v5, v8, v5
	v_mul_f32_e32 v5, v7, v5
	v_bfe_u32 v7, v5, 16, 1
	v_add3_u32 v7, v5, v7, s2
	v_cmp_o_f32_e32 vcc, v5, v5
	v_mov_b32_e32 v5, 0x7fc0
	v_cndmask_b32_sdwa v7, v5, v7, vcc dst_sel:DWORD dst_unused:UNUSED_PAD src0_sel:DWORD src1_sel:WORD_1
.LBB74_32:
	s_or_b64 exec, exec, s[10:11]
	v_or_b32_e32 v5, 0x300, v0
	v_cmp_gt_i32_e32 vcc, s17, v5
                                        ; implicit-def: $vgpr5
	s_and_saveexec_b64 s[10:11], vcc
	s_cbranch_execnz .LBB74_38
; %bb.33:
	s_or_b64 exec, exec, s[10:11]
	s_and_saveexec_b64 s[2:3], s[0:1]
	s_xor_b64 s[0:1], exec, s[2:3]
	s_cbranch_execnz .LBB74_45
.LBB74_34:
	s_or_b64 exec, exec, s[0:1]
	v_cmp_gt_i32_e32 vcc, s17, v0
	s_and_saveexec_b64 s[0:1], vcc
	s_cbranch_execnz .LBB74_46
.LBB74_35:
	s_or_b64 exec, exec, s[0:1]
	v_cmp_gt_i32_e32 vcc, s17, v0
	s_and_saveexec_b64 s[0:1], vcc
	s_cbranch_execnz .LBB74_47
.LBB74_36:
	s_or_b64 exec, exec, s[0:1]
	v_cmp_gt_i32_e32 vcc, s17, v0
	s_and_saveexec_b64 s[0:1], vcc
	s_cbranch_execnz .LBB74_48
.LBB74_37:
	s_endpgm
.LBB74_38:
	v_cmp_gt_f32_e32 vcc, 0.5, v2
	v_mov_b32_e32 v8, 0
	v_mov_b32_e32 v5, 1.0
	s_and_saveexec_b64 s[12:13], vcc
	s_cbranch_execz .LBB74_44
; %bb.39:
	v_mul_f32_e32 v5, 0x40490fdb, v2
	s_brev_b32 s2, 18
	v_and_b32_e32 v8, 0x7fffffff, v5
	v_cmp_nlt_f32_e64 s[2:3], |v5|, s2
                                        ; implicit-def: $vgpr9
                                        ; implicit-def: $vgpr10
	s_and_saveexec_b64 s[4:5], s[2:3]
	s_xor_b64 s[14:15], exec, s[4:5]
	s_cbranch_execz .LBB74_41
; %bb.40:
	v_and_b32_e32 v9, 0x7fffff, v8
	v_or_b32_e32 v18, 0x800000, v9
	s_mov_b32 s2, 0xfe5163ab
	v_mad_u64_u32 v[9:10], s[2:3], v18, s2, 0
	v_mov_b32_e32 v11, 0
	s_mov_b32 s2, 0x3c439041
	v_mad_u64_u32 v[12:13], s[2:3], v18, s2, v[10:11]
	s_mov_b32 s2, 0xdb629599
	v_not_b32_e32 v17, 63
	v_mov_b32_e32 v10, v13
	v_mad_u64_u32 v[13:14], s[2:3], v18, s2, v[10:11]
	s_mov_b32 s2, 0xf534ddc0
	v_not_b32_e32 v20, 31
	v_mov_b32_e32 v10, v14
	v_mad_u64_u32 v[14:15], s[2:3], v18, s2, v[10:11]
	v_lshrrev_b32_e32 v10, 23, v8
	v_add_u32_e32 v19, 0xffffff88, v10
	v_mov_b32_e32 v10, v15
	s_mov_b32 s2, 0xfc2757d1
	v_mad_u64_u32 v[15:16], s[2:3], v18, s2, v[10:11]
	v_cmp_lt_u32_e32 vcc, 63, v19
	v_cndmask_b32_e32 v10, 0, v17, vcc
	v_add_u32_e32 v19, v10, v19
	v_mov_b32_e32 v10, v16
	s_mov_b32 s2, 0x4e441529
	v_mad_u64_u32 v[16:17], s[2:3], v18, s2, v[10:11]
	v_cmp_lt_u32_e64 s[2:3], 31, v19
	v_cndmask_b32_e64 v10, 0, v20, s[2:3]
	v_add_u32_e32 v19, v10, v19
	v_mov_b32_e32 v10, v17
	s_mov_b32 s4, 0xa2f9836e
	v_mad_u64_u32 v[10:11], s[4:5], v18, s4, v[10:11]
	v_cmp_lt_u32_e64 s[4:5], 31, v19
	v_cndmask_b32_e64 v17, 0, v20, s[4:5]
	v_cndmask_b32_e32 v18, v16, v14, vcc
	v_cndmask_b32_e32 v10, v10, v15, vcc
	;; [unrolled: 1-line block ×3, first 2 shown]
	v_add_u32_e32 v17, v17, v19
	v_cndmask_b32_e64 v19, v10, v18, s[2:3]
	v_cndmask_b32_e64 v10, v11, v10, s[2:3]
	v_cndmask_b32_e32 v11, v15, v13, vcc
	v_cndmask_b32_e64 v15, v18, v11, s[2:3]
	v_cndmask_b32_e64 v10, v10, v19, s[4:5]
	;; [unrolled: 1-line block ×3, first 2 shown]
	v_sub_u32_e32 v18, 32, v17
	v_alignbit_b32 v19, v10, v16, v18
	v_cmp_eq_u32_e64 s[6:7], 0, v17
	v_cndmask_b32_e64 v17, v19, v10, s[6:7]
	v_cndmask_b32_e32 v10, v14, v12, vcc
	v_cndmask_b32_e64 v11, v11, v10, s[2:3]
	v_cndmask_b32_e64 v12, v15, v11, s[4:5]
	v_alignbit_b32 v14, v16, v12, v18
	v_cndmask_b32_e32 v9, v13, v9, vcc
	v_cndmask_b32_e64 v14, v14, v16, s[6:7]
	v_bfe_u32 v19, v17, 29, 1
	v_cndmask_b32_e64 v9, v10, v9, s[2:3]
	v_alignbit_b32 v15, v17, v14, 30
	v_sub_u32_e32 v20, 0, v19
	v_cndmask_b32_e64 v9, v11, v9, s[4:5]
	v_xor_b32_e32 v15, v15, v20
	v_alignbit_b32 v10, v12, v9, v18
	v_cndmask_b32_e64 v10, v10, v12, s[6:7]
	v_ffbh_u32_e32 v12, v15
	v_alignbit_b32 v11, v14, v10, 30
	v_min_u32_e32 v12, 32, v12
	v_alignbit_b32 v9, v10, v9, 30
	v_xor_b32_e32 v11, v11, v20
	v_sub_u32_e32 v13, 31, v12
	v_xor_b32_e32 v9, v9, v20
	v_alignbit_b32 v14, v15, v11, v13
	v_alignbit_b32 v9, v11, v9, v13
	;; [unrolled: 1-line block ×3, first 2 shown]
	v_ffbh_u32_e32 v11, v10
	v_min_u32_e32 v11, 32, v11
	v_lshrrev_b32_e32 v16, 29, v17
	v_not_b32_e32 v13, v11
	v_alignbit_b32 v9, v10, v9, v13
	v_lshlrev_b32_e32 v10, 31, v16
	v_or_b32_e32 v13, 0x33000000, v10
	v_add_lshl_u32 v11, v11, v12, 23
	v_lshrrev_b32_e32 v9, 9, v9
	v_sub_u32_e32 v11, v13, v11
	v_or_b32_e32 v10, 0.5, v10
	v_lshlrev_b32_e32 v12, 23, v12
	v_or_b32_e32 v9, v11, v9
	v_lshrrev_b32_e32 v11, 9, v14
	v_sub_u32_e32 v10, v10, v12
	v_or_b32_e32 v10, v11, v10
	s_mov_b32 s2, 0x3fc90fda
	v_mul_f32_e32 v11, 0x3fc90fda, v10
	v_fma_f32 v12, v10, s2, -v11
	v_fmac_f32_e32 v12, 0x33a22168, v10
	v_fmac_f32_e32 v12, 0x3fc90fda, v9
	v_lshrrev_b32_e32 v9, 30, v17
	v_add_f32_e32 v10, v11, v12
	v_add_u32_e32 v9, v19, v9
.LBB74_41:
	s_andn2_saveexec_b64 s[2:3], s[14:15]
	s_cbranch_execz .LBB74_43
; %bb.42:
	s_mov_b32 s4, 0x3f22f983
	v_mul_f32_e64 v9, |v5|, s4
	v_rndne_f32_e32 v11, v9
	s_mov_b32 s4, 0xbfc90fda
	v_cvt_i32_f32_e32 v9, v11
	v_fma_f32 v10, v11, s4, |v5|
	v_fmac_f32_e32 v10, 0xb3a22168, v11
	v_fmac_f32_e32 v10, 0xa7c234c4, v11
.LBB74_43:
	s_or_b64 exec, exec, s[2:3]
	v_mul_f32_e32 v11, v10, v10
	v_mov_b32_e32 v12, 0x3c0881c4
	v_fmac_f32_e32 v12, 0xb94c1982, v11
	v_mov_b32_e32 v13, 0xbe2aaa9d
	v_fmac_f32_e32 v13, v11, v12
	v_mul_f32_e32 v12, v11, v13
	v_fmac_f32_e32 v10, v10, v12
	v_mov_b32_e32 v12, 0xbab64f3b
	v_fmac_f32_e32 v12, 0x37d75334, v11
	v_mov_b32_e32 v13, 0x3d2aabf7
	;; [unrolled: 2-line block ×3, first 2 shown]
	v_fmac_f32_e32 v12, v11, v13
	v_fma_f32 v11, v11, v12, 1.0
	v_and_b32_e32 v12, 1, v9
	v_lshlrev_b32_e32 v9, 30, v9
	v_cmp_eq_u32_e32 vcc, 0, v12
	v_and_b32_e32 v9, 0x80000000, v9
	v_xor_b32_e32 v8, v8, v5
	v_cndmask_b32_e32 v10, v11, v10, vcc
	v_xor_b32_e32 v8, v8, v9
	s_movk_i32 s2, 0x1f8
	v_xor_b32_e32 v8, v8, v10
	v_mov_b32_e32 v9, 0x7fc00000
	v_cmp_class_f32_e64 vcc, v5, s2
	v_cndmask_b32_e32 v5, v9, v8, vcc
	v_mul_f32_e32 v5, v5, v5
	s_mov_b32 s4, 0xc11de9e7
	v_div_scale_f32 v8, s[2:3], v5, v5, s4
	v_div_scale_f32 v9, vcc, s4, v5, s4
	v_sub_f32_e32 v2, 1.0, v2
	v_rcp_f32_e32 v10, v8
	v_fma_f32 v11, -v8, v10, 1.0
	v_fmac_f32_e32 v10, v11, v10
	v_mul_f32_e32 v11, v9, v10
	v_fma_f32 v12, -v8, v11, v9
	v_fmac_f32_e32 v11, v12, v10
	v_fma_f32 v8, -v8, v11, v9
	v_div_fmas_f32 v8, v8, v10, v11
	v_div_fixup_f32 v5, v8, v5, s4
	v_add_f32_e32 v8, 0, v5
	v_mov_b32_e32 v5, -1.0
.LBB74_44:
	s_or_b64 exec, exec, s[12:13]
	v_mul_f32_e32 v9, v2, v2
	v_div_scale_f32 v10, s[2:3], v9, v9, 1.0
	v_add_f32_e32 v2, 1.0, v2
	v_rcp_f32_e32 v11, v10
	v_fma_f32 v12, -v10, v11, 1.0
	v_fmac_f32_e32 v11, v12, v11
	v_div_scale_f32 v12, vcc, 1.0, v9, 1.0
	v_mul_f32_e32 v13, v12, v11
	v_fma_f32 v14, -v10, v13, v12
	v_fmac_f32_e32 v13, v14, v11
	v_fma_f32 v10, -v10, v13, v12
	v_div_fmas_f32 v10, v10, v11, v13
	v_div_fixup_f32 v9, v10, v9, 1.0
	v_add_f32_e32 v8, v8, v9
	v_mul_f32_e32 v9, v2, v2
	v_div_scale_f32 v10, s[2:3], v9, v9, 1.0
	v_add_f32_e32 v2, 1.0, v2
	v_rcp_f32_e32 v11, v10
	v_fma_f32 v12, -v10, v11, 1.0
	v_fmac_f32_e32 v11, v12, v11
	v_div_scale_f32 v12, vcc, 1.0, v9, 1.0
	v_mul_f32_e32 v13, v12, v11
	v_fma_f32 v14, -v10, v13, v12
	v_fmac_f32_e32 v13, v14, v11
	v_fma_f32 v10, -v10, v13, v12
	v_div_fmas_f32 v10, v10, v11, v13
	v_div_fixup_f32 v9, v10, v9, 1.0
	v_add_f32_e32 v8, v8, v9
	;; [unrolled: 14-line block ×6, first 2 shown]
	v_mul_f32_e32 v9, v2, v2
	v_div_scale_f32 v10, s[2:3], v9, v9, 1.0
	v_rcp_f32_e32 v11, v10
	v_fma_f32 v12, -v10, v11, 1.0
	v_fmac_f32_e32 v11, v12, v11
	v_div_scale_f32 v12, vcc, 1.0, v9, 1.0
	v_mul_f32_e32 v13, v12, v11
	v_fma_f32 v14, -v10, v13, v12
	v_fmac_f32_e32 v13, v14, v11
	v_fma_f32 v10, -v10, v13, v12
	v_div_fmas_f32 v10, v10, v11, v13
	v_div_fixup_f32 v9, v10, v9, 1.0
	v_add_f32_e32 v10, v2, v2
	v_div_scale_f32 v11, s[2:3], v10, v10, 1.0
	s_mov_b32 s2, 0x3e2aaaab
	v_rcp_f32_e32 v12, v11
	v_fma_f32 v13, -v11, v12, 1.0
	v_fmac_f32_e32 v12, v13, v12
	v_div_scale_f32 v13, vcc, 1.0, v10, 1.0
	v_mul_f32_e32 v14, v13, v12
	v_fma_f32 v15, -v11, v14, v13
	v_fmac_f32_e32 v14, v15, v12
	v_fma_f32 v11, -v11, v14, v13
	v_div_fmas_f32 v11, v11, v12, v14
	v_div_fixup_f32 v10, v11, v10, 1.0
	v_mov_b32_e32 v11, 0x3d088889
	v_fmac_f32_e32 v11, 0xbcc30c31, v9
	v_add_f32_e32 v10, 1.0, v10
	v_fma_f32 v11, -v9, v11, s2
	v_fmac_f32_e32 v10, v9, v11
	v_div_scale_f32 v9, s[2:3], v2, v2, v10
	s_movk_i32 s2, 0x7fff
	v_rcp_f32_e32 v11, v9
	v_fma_f32 v12, -v9, v11, 1.0
	v_fmac_f32_e32 v11, v12, v11
	v_div_scale_f32 v12, vcc, v10, v2, v10
	v_mul_f32_e32 v13, v12, v11
	v_fma_f32 v14, -v9, v13, v12
	v_fmac_f32_e32 v13, v14, v11
	v_fma_f32 v9, -v9, v13, v12
	v_div_fmas_f32 v9, v9, v11, v13
	v_div_fixup_f32 v2, v9, v2, v10
	v_add_f32_e32 v2, v8, v2
	v_mul_f32_e32 v2, v5, v2
	v_bfe_u32 v5, v2, 16, 1
	v_add3_u32 v5, v2, v5, s2
	v_cmp_o_f32_e32 vcc, v2, v2
	v_mov_b32_e32 v2, 0x7fc0
	v_cndmask_b32_sdwa v5, v2, v5, vcc dst_sel:DWORD dst_unused:UNUSED_PAD src0_sel:DWORD src1_sel:WORD_1
	s_or_b64 exec, exec, s[10:11]
	s_and_saveexec_b64 s[2:3], s[0:1]
	s_xor_b64 s[0:1], exec, s[2:3]
	s_cbranch_execz .LBB74_34
.LBB74_45:
	v_mov_b32_e32 v2, 0
	v_lshlrev_b64 v[0:1], 1, v[1:2]
	v_mov_b32_e32 v2, s9
	v_add_co_u32_e32 v0, vcc, s8, v0
	v_addc_co_u32_e32 v1, vcc, v2, v1, vcc
	global_store_short v[0:1], v3, off
	v_mov_b32_e32 v0, v4
	s_or_b64 exec, exec, s[0:1]
	v_cmp_gt_i32_e32 vcc, s17, v0
	s_and_saveexec_b64 s[0:1], vcc
	s_cbranch_execz .LBB74_35
.LBB74_46:
	v_add_u32_e32 v2, 0x100, v0
	v_add_u32_e32 v0, s16, v0
	v_mov_b32_e32 v1, 0
	v_lshlrev_b64 v[0:1], 1, v[0:1]
	v_mov_b32_e32 v3, s9
	v_add_co_u32_e32 v0, vcc, s8, v0
	v_addc_co_u32_e32 v1, vcc, v3, v1, vcc
	global_store_short v[0:1], v6, off
	v_mov_b32_e32 v0, v2
	s_or_b64 exec, exec, s[0:1]
	v_cmp_gt_i32_e32 vcc, s17, v0
	s_and_saveexec_b64 s[0:1], vcc
	s_cbranch_execz .LBB74_36
.LBB74_47:
	v_add_u32_e32 v2, 0x100, v0
	v_add_u32_e32 v0, s16, v0
	v_mov_b32_e32 v1, 0
	v_lshlrev_b64 v[0:1], 1, v[0:1]
	v_mov_b32_e32 v3, s9
	v_add_co_u32_e32 v0, vcc, s8, v0
	v_addc_co_u32_e32 v1, vcc, v3, v1, vcc
	global_store_short v[0:1], v7, off
	v_mov_b32_e32 v0, v2
	s_or_b64 exec, exec, s[0:1]
	v_cmp_gt_i32_e32 vcc, s17, v0
	s_and_saveexec_b64 s[0:1], vcc
	s_cbranch_execz .LBB74_37
.LBB74_48:
	v_add_u32_e32 v0, s16, v0
	v_mov_b32_e32 v1, 0
	v_lshlrev_b64 v[0:1], 1, v[0:1]
	v_mov_b32_e32 v2, s9
	v_add_co_u32_e32 v0, vcc, s8, v0
	v_addc_co_u32_e32 v1, vcc, v2, v1, vcc
	global_store_short v[0:1], v5, off
	s_endpgm
	.section	.rodata,"a",@progbits
	.p2align	6, 0x0
	.amdhsa_kernel _ZN2at6native27unrolled_elementwise_kernelIZZZNS0_20trigamma_kernel_cudaERNS_18TensorIteratorBaseEENKUlvE_clEvENKUlvE2_clEvEUlN3c108BFloat16EE_St5arrayIPcLm2EELi4E23TrivialOffsetCalculatorILi1EjESD_NS0_6memory15LoadWithoutCastENSE_16StoreWithoutCastEEEviT_T0_T2_T3_T4_T5_
		.amdhsa_group_segment_fixed_size 0
		.amdhsa_private_segment_fixed_size 0
		.amdhsa_kernarg_size 28
		.amdhsa_user_sgpr_count 6
		.amdhsa_user_sgpr_private_segment_buffer 1
		.amdhsa_user_sgpr_dispatch_ptr 0
		.amdhsa_user_sgpr_queue_ptr 0
		.amdhsa_user_sgpr_kernarg_segment_ptr 1
		.amdhsa_user_sgpr_dispatch_id 0
		.amdhsa_user_sgpr_flat_scratch_init 0
		.amdhsa_user_sgpr_private_segment_size 0
		.amdhsa_uses_dynamic_stack 0
		.amdhsa_system_sgpr_private_segment_wavefront_offset 0
		.amdhsa_system_sgpr_workgroup_id_x 1
		.amdhsa_system_sgpr_workgroup_id_y 0
		.amdhsa_system_sgpr_workgroup_id_z 0
		.amdhsa_system_sgpr_workgroup_info 0
		.amdhsa_system_vgpr_workitem_id 0
		.amdhsa_next_free_vgpr 21
		.amdhsa_next_free_sgpr 18
		.amdhsa_reserve_vcc 1
		.amdhsa_reserve_flat_scratch 0
		.amdhsa_float_round_mode_32 0
		.amdhsa_float_round_mode_16_64 0
		.amdhsa_float_denorm_mode_32 3
		.amdhsa_float_denorm_mode_16_64 3
		.amdhsa_dx10_clamp 1
		.amdhsa_ieee_mode 1
		.amdhsa_fp16_overflow 0
		.amdhsa_exception_fp_ieee_invalid_op 0
		.amdhsa_exception_fp_denorm_src 0
		.amdhsa_exception_fp_ieee_div_zero 0
		.amdhsa_exception_fp_ieee_overflow 0
		.amdhsa_exception_fp_ieee_underflow 0
		.amdhsa_exception_fp_ieee_inexact 0
		.amdhsa_exception_int_div_zero 0
	.end_amdhsa_kernel
	.section	.text._ZN2at6native27unrolled_elementwise_kernelIZZZNS0_20trigamma_kernel_cudaERNS_18TensorIteratorBaseEENKUlvE_clEvENKUlvE2_clEvEUlN3c108BFloat16EE_St5arrayIPcLm2EELi4E23TrivialOffsetCalculatorILi1EjESD_NS0_6memory15LoadWithoutCastENSE_16StoreWithoutCastEEEviT_T0_T2_T3_T4_T5_,"axG",@progbits,_ZN2at6native27unrolled_elementwise_kernelIZZZNS0_20trigamma_kernel_cudaERNS_18TensorIteratorBaseEENKUlvE_clEvENKUlvE2_clEvEUlN3c108BFloat16EE_St5arrayIPcLm2EELi4E23TrivialOffsetCalculatorILi1EjESD_NS0_6memory15LoadWithoutCastENSE_16StoreWithoutCastEEEviT_T0_T2_T3_T4_T5_,comdat
.Lfunc_end74:
	.size	_ZN2at6native27unrolled_elementwise_kernelIZZZNS0_20trigamma_kernel_cudaERNS_18TensorIteratorBaseEENKUlvE_clEvENKUlvE2_clEvEUlN3c108BFloat16EE_St5arrayIPcLm2EELi4E23TrivialOffsetCalculatorILi1EjESD_NS0_6memory15LoadWithoutCastENSE_16StoreWithoutCastEEEviT_T0_T2_T3_T4_T5_, .Lfunc_end74-_ZN2at6native27unrolled_elementwise_kernelIZZZNS0_20trigamma_kernel_cudaERNS_18TensorIteratorBaseEENKUlvE_clEvENKUlvE2_clEvEUlN3c108BFloat16EE_St5arrayIPcLm2EELi4E23TrivialOffsetCalculatorILi1EjESD_NS0_6memory15LoadWithoutCastENSE_16StoreWithoutCastEEEviT_T0_T2_T3_T4_T5_
                                        ; -- End function
	.set _ZN2at6native27unrolled_elementwise_kernelIZZZNS0_20trigamma_kernel_cudaERNS_18TensorIteratorBaseEENKUlvE_clEvENKUlvE2_clEvEUlN3c108BFloat16EE_St5arrayIPcLm2EELi4E23TrivialOffsetCalculatorILi1EjESD_NS0_6memory15LoadWithoutCastENSE_16StoreWithoutCastEEEviT_T0_T2_T3_T4_T5_.num_vgpr, 21
	.set _ZN2at6native27unrolled_elementwise_kernelIZZZNS0_20trigamma_kernel_cudaERNS_18TensorIteratorBaseEENKUlvE_clEvENKUlvE2_clEvEUlN3c108BFloat16EE_St5arrayIPcLm2EELi4E23TrivialOffsetCalculatorILi1EjESD_NS0_6memory15LoadWithoutCastENSE_16StoreWithoutCastEEEviT_T0_T2_T3_T4_T5_.num_agpr, 0
	.set _ZN2at6native27unrolled_elementwise_kernelIZZZNS0_20trigamma_kernel_cudaERNS_18TensorIteratorBaseEENKUlvE_clEvENKUlvE2_clEvEUlN3c108BFloat16EE_St5arrayIPcLm2EELi4E23TrivialOffsetCalculatorILi1EjESD_NS0_6memory15LoadWithoutCastENSE_16StoreWithoutCastEEEviT_T0_T2_T3_T4_T5_.numbered_sgpr, 18
	.set _ZN2at6native27unrolled_elementwise_kernelIZZZNS0_20trigamma_kernel_cudaERNS_18TensorIteratorBaseEENKUlvE_clEvENKUlvE2_clEvEUlN3c108BFloat16EE_St5arrayIPcLm2EELi4E23TrivialOffsetCalculatorILi1EjESD_NS0_6memory15LoadWithoutCastENSE_16StoreWithoutCastEEEviT_T0_T2_T3_T4_T5_.num_named_barrier, 0
	.set _ZN2at6native27unrolled_elementwise_kernelIZZZNS0_20trigamma_kernel_cudaERNS_18TensorIteratorBaseEENKUlvE_clEvENKUlvE2_clEvEUlN3c108BFloat16EE_St5arrayIPcLm2EELi4E23TrivialOffsetCalculatorILi1EjESD_NS0_6memory15LoadWithoutCastENSE_16StoreWithoutCastEEEviT_T0_T2_T3_T4_T5_.private_seg_size, 0
	.set _ZN2at6native27unrolled_elementwise_kernelIZZZNS0_20trigamma_kernel_cudaERNS_18TensorIteratorBaseEENKUlvE_clEvENKUlvE2_clEvEUlN3c108BFloat16EE_St5arrayIPcLm2EELi4E23TrivialOffsetCalculatorILi1EjESD_NS0_6memory15LoadWithoutCastENSE_16StoreWithoutCastEEEviT_T0_T2_T3_T4_T5_.uses_vcc, 1
	.set _ZN2at6native27unrolled_elementwise_kernelIZZZNS0_20trigamma_kernel_cudaERNS_18TensorIteratorBaseEENKUlvE_clEvENKUlvE2_clEvEUlN3c108BFloat16EE_St5arrayIPcLm2EELi4E23TrivialOffsetCalculatorILi1EjESD_NS0_6memory15LoadWithoutCastENSE_16StoreWithoutCastEEEviT_T0_T2_T3_T4_T5_.uses_flat_scratch, 0
	.set _ZN2at6native27unrolled_elementwise_kernelIZZZNS0_20trigamma_kernel_cudaERNS_18TensorIteratorBaseEENKUlvE_clEvENKUlvE2_clEvEUlN3c108BFloat16EE_St5arrayIPcLm2EELi4E23TrivialOffsetCalculatorILi1EjESD_NS0_6memory15LoadWithoutCastENSE_16StoreWithoutCastEEEviT_T0_T2_T3_T4_T5_.has_dyn_sized_stack, 0
	.set _ZN2at6native27unrolled_elementwise_kernelIZZZNS0_20trigamma_kernel_cudaERNS_18TensorIteratorBaseEENKUlvE_clEvENKUlvE2_clEvEUlN3c108BFloat16EE_St5arrayIPcLm2EELi4E23TrivialOffsetCalculatorILi1EjESD_NS0_6memory15LoadWithoutCastENSE_16StoreWithoutCastEEEviT_T0_T2_T3_T4_T5_.has_recursion, 0
	.set _ZN2at6native27unrolled_elementwise_kernelIZZZNS0_20trigamma_kernel_cudaERNS_18TensorIteratorBaseEENKUlvE_clEvENKUlvE2_clEvEUlN3c108BFloat16EE_St5arrayIPcLm2EELi4E23TrivialOffsetCalculatorILi1EjESD_NS0_6memory15LoadWithoutCastENSE_16StoreWithoutCastEEEviT_T0_T2_T3_T4_T5_.has_indirect_call, 0
	.section	.AMDGPU.csdata,"",@progbits
; Kernel info:
; codeLenInByte = 7868
; TotalNumSgprs: 22
; NumVgprs: 21
; ScratchSize: 0
; MemoryBound: 0
; FloatMode: 240
; IeeeMode: 1
; LDSByteSize: 0 bytes/workgroup (compile time only)
; SGPRBlocks: 2
; VGPRBlocks: 5
; NumSGPRsForWavesPerEU: 22
; NumVGPRsForWavesPerEU: 21
; Occupancy: 10
; WaveLimiterHint : 0
; COMPUTE_PGM_RSRC2:SCRATCH_EN: 0
; COMPUTE_PGM_RSRC2:USER_SGPR: 6
; COMPUTE_PGM_RSRC2:TRAP_HANDLER: 0
; COMPUTE_PGM_RSRC2:TGID_X_EN: 1
; COMPUTE_PGM_RSRC2:TGID_Y_EN: 0
; COMPUTE_PGM_RSRC2:TGID_Z_EN: 0
; COMPUTE_PGM_RSRC2:TIDIG_COMP_CNT: 0
	.section	.text._ZN2at6native32elementwise_kernel_manual_unrollILi128ELi8EZNS0_22gpu_kernel_impl_nocastIZZZNS0_20trigamma_kernel_cudaERNS_18TensorIteratorBaseEENKUlvE_clEvENKUlvE2_clEvEUlN3c108BFloat16EE_EEvS4_RKT_EUlibE_EEviT1_,"axG",@progbits,_ZN2at6native32elementwise_kernel_manual_unrollILi128ELi8EZNS0_22gpu_kernel_impl_nocastIZZZNS0_20trigamma_kernel_cudaERNS_18TensorIteratorBaseEENKUlvE_clEvENKUlvE2_clEvEUlN3c108BFloat16EE_EEvS4_RKT_EUlibE_EEviT1_,comdat
	.globl	_ZN2at6native32elementwise_kernel_manual_unrollILi128ELi8EZNS0_22gpu_kernel_impl_nocastIZZZNS0_20trigamma_kernel_cudaERNS_18TensorIteratorBaseEENKUlvE_clEvENKUlvE2_clEvEUlN3c108BFloat16EE_EEvS4_RKT_EUlibE_EEviT1_ ; -- Begin function _ZN2at6native32elementwise_kernel_manual_unrollILi128ELi8EZNS0_22gpu_kernel_impl_nocastIZZZNS0_20trigamma_kernel_cudaERNS_18TensorIteratorBaseEENKUlvE_clEvENKUlvE2_clEvEUlN3c108BFloat16EE_EEvS4_RKT_EUlibE_EEviT1_
	.p2align	8
	.type	_ZN2at6native32elementwise_kernel_manual_unrollILi128ELi8EZNS0_22gpu_kernel_impl_nocastIZZZNS0_20trigamma_kernel_cudaERNS_18TensorIteratorBaseEENKUlvE_clEvENKUlvE2_clEvEUlN3c108BFloat16EE_EEvS4_RKT_EUlibE_EEviT1_,@function
_ZN2at6native32elementwise_kernel_manual_unrollILi128ELi8EZNS0_22gpu_kernel_impl_nocastIZZZNS0_20trigamma_kernel_cudaERNS_18TensorIteratorBaseEENKUlvE_clEvENKUlvE2_clEvEUlN3c108BFloat16EE_EEvS4_RKT_EUlibE_EEviT1_: ; @_ZN2at6native32elementwise_kernel_manual_unrollILi128ELi8EZNS0_22gpu_kernel_impl_nocastIZZZNS0_20trigamma_kernel_cudaERNS_18TensorIteratorBaseEENKUlvE_clEvENKUlvE2_clEvEUlN3c108BFloat16EE_EEvS4_RKT_EUlibE_EEviT1_
; %bb.0:
	s_load_dword s55, s[4:5], 0x0
	s_load_dword s33, s[4:5], 0x8
	s_add_u32 s34, s4, 8
	s_addc_u32 s35, s5, 0
	v_lshl_or_b32 v7, s6, 10, v0
	v_or_b32_e32 v18, 0x380, v7
	s_waitcnt lgkmcnt(0)
	s_add_i32 s54, s33, -1
	s_cmp_gt_u32 s54, 1
	v_cmp_le_i32_e32 vcc, s55, v18
	s_cselect_b64 s[36:37], -1, 0
	s_and_saveexec_b64 s[0:1], vcc
	s_xor_b64 s[38:39], exec, s[0:1]
	s_cbranch_execz .LBB75_7
; %bb.1:
	s_load_dwordx4 s[24:27], s[34:35], 0x4
	s_load_dwordx2 s[40:41], s[34:35], 0x14
	s_load_dwordx4 s[20:23], s[34:35], 0xc4
	s_load_dwordx4 s[16:19], s[34:35], 0x148
	s_cmp_lg_u32 s33, 0
	s_cselect_b64 s[46:47], -1, 0
	s_add_u32 s44, s34, 0xc4
	s_addc_u32 s45, s35, 0
	s_min_u32 s56, s54, 15
	s_cmp_gt_u32 s33, 1
	s_cselect_b64 s[42:43], -1, 0
	v_cmp_gt_i32_e32 vcc, s55, v7
	s_and_saveexec_b64 s[48:49], vcc
	s_cbranch_execz .LBB75_14
; %bb.2:
	s_andn2_b64 vcc, exec, s[36:37]
	s_cbranch_vccnz .LBB75_21
; %bb.3:
	s_andn2_b64 vcc, exec, s[46:47]
	s_cbranch_vccnz .LBB75_177
; %bb.4:
	s_add_i32 s58, s56, 1
	s_cmp_eq_u32 s54, 2
	s_cbranch_scc1 .LBB75_179
; %bb.5:
	s_and_b32 s57, s58, 28
	v_mov_b32_e32 v2, 0
	s_mov_b32 s59, 0
	s_mov_b64 s[50:51], s[34:35]
	s_mov_b64 s[52:53], s[44:45]
	v_mov_b32_e32 v0, 0
	v_mov_b32_e32 v1, v7
.LBB75_6:                               ; =>This Inner Loop Header: Depth=1
	s_load_dwordx8 s[8:15], s[50:51], 0x4
	s_load_dwordx4 s[28:31], s[50:51], 0x24
	s_load_dwordx8 s[0:7], s[52:53], 0x0
	s_add_u32 s50, s50, 48
	s_addc_u32 s51, s51, 0
	s_waitcnt lgkmcnt(0)
	v_mul_hi_u32 v3, s9, v1
	s_add_i32 s59, s59, 4
	s_add_u32 s52, s52, 32
	s_addc_u32 s53, s53, 0
	v_add_u32_e32 v3, v1, v3
	v_lshrrev_b32_e32 v3, s10, v3
	v_mul_lo_u32 v4, v3, s8
	v_mul_hi_u32 v5, s12, v3
	s_cmp_lg_u32 s57, s59
	v_sub_u32_e32 v1, v1, v4
	v_add_u32_e32 v4, v3, v5
	v_mul_lo_u32 v5, v1, s0
	v_mul_lo_u32 v6, v1, s1
	v_lshrrev_b32_e32 v1, s13, v4
	v_mul_lo_u32 v4, v1, s11
	v_mul_hi_u32 v8, s15, v1
	v_sub_u32_e32 v3, v3, v4
	v_add_u32_e32 v4, v1, v8
	v_lshrrev_b32_e32 v4, s28, v4
	v_mul_hi_u32 v9, s30, v4
	v_mul_lo_u32 v10, v4, s14
	v_mul_lo_u32 v8, v3, s2
	;; [unrolled: 1-line block ×3, first 2 shown]
	v_sub_u32_e32 v10, v1, v10
	v_add_u32_e32 v1, v4, v9
	v_lshrrev_b32_e32 v1, s31, v1
	v_mul_lo_u32 v9, v1, s29
	v_mul_lo_u32 v11, v10, s4
	;; [unrolled: 1-line block ×3, first 2 shown]
	v_add3_u32 v0, v5, v0, v8
	v_sub_u32_e32 v4, v4, v9
	v_mul_lo_u32 v9, v4, s6
	v_mul_lo_u32 v4, v4, s7
	v_add3_u32 v2, v6, v2, v3
	v_add3_u32 v0, v11, v0, v9
	;; [unrolled: 1-line block ×3, first 2 shown]
	s_cbranch_scc1 .LBB75_6
	s_branch .LBB75_180
.LBB75_7:
	s_andn2_saveexec_b64 s[0:1], s[38:39]
	s_cbranch_execz .LBB75_305
.LBB75_8:
	v_cndmask_b32_e64 v0, 0, 1, s[36:37]
	v_cmp_ne_u32_e64 s[0:1], 1, v0
	s_andn2_b64 vcc, exec, s[36:37]
	s_cbranch_vccnz .LBB75_20
; %bb.9:
	s_cmp_lg_u32 s33, 0
	s_waitcnt lgkmcnt(0)
	s_mov_b32 s26, 0
	s_cbranch_scc0 .LBB75_23
; %bb.10:
	s_min_u32 s27, s54, 15
	s_add_i32 s27, s27, 1
	s_cmp_eq_u32 s54, 2
	s_cbranch_scc1 .LBB75_24
; %bb.11:
	s_and_b32 s26, s27, 28
	s_add_u32 s2, s34, 0xc4
	s_addc_u32 s3, s35, 0
	v_mov_b32_e32 v9, 0
	s_mov_b32 s28, 0
	s_mov_b64 s[24:25], s[34:35]
	v_mov_b32_e32 v0, 0
	v_mov_b32_e32 v1, v7
.LBB75_12:                              ; =>This Inner Loop Header: Depth=1
	s_load_dwordx8 s[12:19], s[24:25], 0x4
	s_load_dwordx4 s[20:23], s[24:25], 0x24
	s_load_dwordx8 s[4:11], s[2:3], 0x0
	s_add_u32 s24, s24, 48
	s_addc_u32 s25, s25, 0
	s_waitcnt lgkmcnt(0)
	v_mul_hi_u32 v2, s13, v1
	s_add_i32 s28, s28, 4
	s_add_u32 s2, s2, 32
	s_addc_u32 s3, s3, 0
	v_add_u32_e32 v2, v1, v2
	v_lshrrev_b32_e32 v2, s14, v2
	v_mul_lo_u32 v3, v2, s12
	v_mul_hi_u32 v4, s16, v2
	s_cmp_lg_u32 s26, s28
	v_sub_u32_e32 v1, v1, v3
	v_add_u32_e32 v3, v2, v4
	v_mul_lo_u32 v4, v1, s4
	v_mul_lo_u32 v5, v1, s5
	v_lshrrev_b32_e32 v1, s17, v3
	v_mul_lo_u32 v3, v1, s15
	v_mul_hi_u32 v6, s19, v1
	v_sub_u32_e32 v2, v2, v3
	v_add_u32_e32 v3, v1, v6
	v_lshrrev_b32_e32 v3, s20, v3
	v_mul_hi_u32 v8, s22, v3
	v_mul_lo_u32 v10, v3, s18
	v_mul_lo_u32 v6, v2, s6
	;; [unrolled: 1-line block ×3, first 2 shown]
	v_sub_u32_e32 v10, v1, v10
	v_add_u32_e32 v1, v3, v8
	v_lshrrev_b32_e32 v1, s23, v1
	v_mul_lo_u32 v8, v1, s21
	v_mul_lo_u32 v11, v10, s8
	;; [unrolled: 1-line block ×3, first 2 shown]
	v_add3_u32 v0, v4, v0, v6
	v_sub_u32_e32 v3, v3, v8
	v_mul_lo_u32 v8, v3, s10
	v_mul_lo_u32 v3, v3, s11
	v_add3_u32 v2, v5, v9, v2
	v_add3_u32 v0, v11, v0, v8
	v_add3_u32 v9, v10, v2, v3
	s_cbranch_scc1 .LBB75_12
; %bb.13:
	s_and_b32 s6, s27, 3
	s_cmp_eq_u32 s6, 0
	s_cbranch_scc0 .LBB75_25
	s_branch .LBB75_27
.LBB75_14:
	s_or_b64 exec, exec, s[48:49]
	v_cmp_gt_i32_e32 vcc, s55, v7
	s_and_saveexec_b64 s[48:49], vcc
	s_cbranch_execz .LBB75_193
.LBB75_15:
	s_andn2_b64 vcc, exec, s[36:37]
	s_cbranch_vccnz .LBB75_22
; %bb.16:
	s_andn2_b64 vcc, exec, s[46:47]
	s_cbranch_vccnz .LBB75_178
; %bb.17:
	s_add_i32 s58, s56, 1
	s_cmp_eq_u32 s54, 2
	s_cbranch_scc1 .LBB75_201
; %bb.18:
	s_and_b32 s57, s58, 28
	v_mov_b32_e32 v2, 0
	s_mov_b32 s59, 0
	s_mov_b64 s[50:51], s[34:35]
	s_mov_b64 s[52:53], s[44:45]
	v_mov_b32_e32 v0, 0
	v_mov_b32_e32 v1, v7
.LBB75_19:                              ; =>This Inner Loop Header: Depth=1
	s_load_dwordx8 s[8:15], s[50:51], 0x4
	s_load_dwordx4 s[28:31], s[50:51], 0x24
	s_load_dwordx8 s[0:7], s[52:53], 0x0
	s_add_u32 s50, s50, 48
	s_addc_u32 s51, s51, 0
	s_waitcnt lgkmcnt(0)
	v_mul_hi_u32 v3, s9, v1
	s_add_i32 s59, s59, 4
	s_add_u32 s52, s52, 32
	s_addc_u32 s53, s53, 0
	v_add_u32_e32 v3, v1, v3
	v_lshrrev_b32_e32 v3, s10, v3
	v_mul_lo_u32 v4, v3, s8
	v_mul_hi_u32 v5, s12, v3
	s_cmp_eq_u32 s57, s59
	v_sub_u32_e32 v1, v1, v4
	v_add_u32_e32 v4, v3, v5
	v_mul_lo_u32 v5, v1, s0
	v_mul_lo_u32 v6, v1, s1
	v_lshrrev_b32_e32 v1, s13, v4
	v_mul_lo_u32 v4, v1, s11
	v_mul_hi_u32 v8, s15, v1
	v_sub_u32_e32 v3, v3, v4
	v_add_u32_e32 v4, v1, v8
	v_lshrrev_b32_e32 v4, s28, v4
	v_mul_hi_u32 v9, s30, v4
	v_mul_lo_u32 v10, v4, s14
	v_mul_lo_u32 v8, v3, s2
	;; [unrolled: 1-line block ×3, first 2 shown]
	v_sub_u32_e32 v10, v1, v10
	v_add_u32_e32 v1, v4, v9
	v_lshrrev_b32_e32 v1, s31, v1
	v_mul_lo_u32 v9, v1, s29
	v_mul_lo_u32 v11, v10, s4
	;; [unrolled: 1-line block ×3, first 2 shown]
	v_add3_u32 v0, v5, v0, v8
	v_sub_u32_e32 v4, v4, v9
	v_mul_lo_u32 v9, v4, s6
	v_mul_lo_u32 v4, v4, s7
	v_add3_u32 v2, v6, v2, v3
	v_add3_u32 v0, v11, v0, v9
	;; [unrolled: 1-line block ×3, first 2 shown]
	s_cbranch_scc0 .LBB75_19
	s_branch .LBB75_202
.LBB75_20:
                                        ; implicit-def: $vgpr0
                                        ; implicit-def: $vgpr9
	s_branch .LBB75_28
.LBB75_21:
                                        ; implicit-def: $vgpr0
                                        ; implicit-def: $vgpr2
	s_branch .LBB75_184
.LBB75_22:
                                        ; implicit-def: $vgpr0
                                        ; implicit-def: $vgpr2
	s_branch .LBB75_206
.LBB75_23:
	v_mov_b32_e32 v0, 0
	v_mov_b32_e32 v9, 0
	s_branch .LBB75_27
.LBB75_24:
	v_mov_b32_e32 v0, 0
	v_mov_b32_e32 v9, 0
	;; [unrolled: 1-line block ×3, first 2 shown]
	s_and_b32 s6, s27, 3
	s_cmp_eq_u32 s6, 0
	s_cbranch_scc1 .LBB75_27
.LBB75_25:
	s_lshl_b32 s2, s26, 3
	s_add_u32 s2, s34, s2
	s_addc_u32 s3, s35, 0
	s_add_u32 s2, s2, 0xc4
	s_addc_u32 s3, s3, 0
	s_mul_i32 s4, s26, 12
	s_add_u32 s4, s34, s4
	s_addc_u32 s5, s35, 0
.LBB75_26:                              ; =>This Inner Loop Header: Depth=1
	s_load_dwordx2 s[8:9], s[4:5], 0x4
	s_load_dword s7, s[4:5], 0xc
	s_load_dwordx2 s[10:11], s[2:3], 0x0
	s_add_u32 s4, s4, 12
	s_addc_u32 s5, s5, 0
	s_waitcnt lgkmcnt(0)
	v_mul_hi_u32 v2, s9, v1
	s_add_u32 s2, s2, 8
	s_addc_u32 s3, s3, 0
	s_add_i32 s6, s6, -1
	v_add_u32_e32 v2, v1, v2
	v_lshrrev_b32_e32 v2, s7, v2
	v_mul_lo_u32 v3, v2, s8
	s_cmp_lg_u32 s6, 0
	v_sub_u32_e32 v3, v1, v3
	v_mad_u64_u32 v[0:1], s[8:9], v3, s10, v[0:1]
	v_mad_u64_u32 v[9:10], s[8:9], v3, s11, v[9:10]
	v_mov_b32_e32 v1, v2
	s_cbranch_scc1 .LBB75_26
.LBB75_27:
	s_cbranch_execnz .LBB75_30
.LBB75_28:
	s_load_dwordx4 s[4:7], s[34:35], 0x4
	s_load_dwordx2 s[2:3], s[34:35], 0xc4
	s_cmp_lt_u32 s33, 2
	s_waitcnt lgkmcnt(0)
	v_mul_hi_u32 v0, s5, v7
	v_add_u32_e32 v0, v7, v0
	v_lshrrev_b32_e32 v1, s6, v0
	v_mul_lo_u32 v0, v1, s4
	v_sub_u32_e32 v2, v7, v0
	v_mul_lo_u32 v0, v2, s2
	v_mul_lo_u32 v9, v2, s3
	s_cbranch_scc1 .LBB75_30
; %bb.29:
	s_load_dwordx4 s[4:7], s[34:35], 0x10
	s_load_dwordx2 s[2:3], s[34:35], 0xcc
	s_waitcnt lgkmcnt(0)
	v_mul_hi_u32 v2, s5, v1
	v_add_u32_e32 v2, v1, v2
	v_lshrrev_b32_e32 v2, s6, v2
	v_mul_lo_u32 v2, v2, s4
	v_sub_u32_e32 v2, v1, v2
	v_mad_u64_u32 v[0:1], s[4:5], v2, s2, v[0:1]
	v_mad_u64_u32 v[9:10], s[2:3], v2, s3, v[9:10]
.LBB75_30:
	s_and_b64 vcc, exec, s[0:1]
	v_add_u32_e32 v3, 0x80, v7
	s_cbranch_vccnz .LBB75_36
; %bb.31:
	s_cmp_lg_u32 s33, 0
	s_waitcnt lgkmcnt(0)
	s_mov_b32 s26, 0
	s_cbranch_scc0 .LBB75_37
; %bb.32:
	s_min_u32 s27, s54, 15
	s_add_i32 s27, s27, 1
	s_cmp_eq_u32 s54, 2
	s_cbranch_scc1 .LBB75_38
; %bb.33:
	s_and_b32 s26, s27, 28
	s_add_u32 s2, s34, 0xc4
	s_addc_u32 s3, s35, 0
	v_mov_b32_e32 v10, 0
	s_mov_b32 s28, 0
	s_mov_b64 s[24:25], s[34:35]
	v_mov_b32_e32 v1, 0
	v_mov_b32_e32 v2, v3
.LBB75_34:                              ; =>This Inner Loop Header: Depth=1
	s_load_dwordx8 s[12:19], s[24:25], 0x4
	s_load_dwordx4 s[20:23], s[24:25], 0x24
	s_load_dwordx8 s[4:11], s[2:3], 0x0
	s_add_u32 s24, s24, 48
	s_addc_u32 s25, s25, 0
	s_waitcnt lgkmcnt(0)
	v_mul_hi_u32 v4, s13, v2
	s_add_i32 s28, s28, 4
	s_add_u32 s2, s2, 32
	s_addc_u32 s3, s3, 0
	v_add_u32_e32 v4, v2, v4
	v_lshrrev_b32_e32 v4, s14, v4
	v_mul_lo_u32 v5, v4, s12
	v_mul_hi_u32 v6, s16, v4
	s_cmp_lg_u32 s26, s28
	v_sub_u32_e32 v2, v2, v5
	v_add_u32_e32 v5, v4, v6
	v_mul_lo_u32 v6, v2, s4
	v_mul_lo_u32 v8, v2, s5
	v_lshrrev_b32_e32 v2, s17, v5
	v_mul_lo_u32 v5, v2, s15
	v_mul_hi_u32 v11, s19, v2
	v_sub_u32_e32 v4, v4, v5
	v_add_u32_e32 v5, v2, v11
	v_lshrrev_b32_e32 v5, s20, v5
	v_mul_hi_u32 v12, s22, v5
	v_mul_lo_u32 v13, v5, s18
	v_mul_lo_u32 v11, v4, s6
	;; [unrolled: 1-line block ×3, first 2 shown]
	v_sub_u32_e32 v13, v2, v13
	v_add_u32_e32 v2, v5, v12
	v_lshrrev_b32_e32 v2, s23, v2
	v_mul_lo_u32 v12, v2, s21
	v_mul_lo_u32 v14, v13, s8
	;; [unrolled: 1-line block ×3, first 2 shown]
	v_add3_u32 v1, v6, v1, v11
	v_sub_u32_e32 v5, v5, v12
	v_mul_lo_u32 v12, v5, s10
	v_mul_lo_u32 v5, v5, s11
	v_add3_u32 v4, v8, v10, v4
	v_add3_u32 v1, v14, v1, v12
	;; [unrolled: 1-line block ×3, first 2 shown]
	s_cbranch_scc1 .LBB75_34
; %bb.35:
	s_and_b32 s6, s27, 3
	s_cmp_eq_u32 s6, 0
	s_cbranch_scc0 .LBB75_39
	s_branch .LBB75_41
.LBB75_36:
                                        ; implicit-def: $vgpr1
                                        ; implicit-def: $vgpr10
	s_branch .LBB75_42
.LBB75_37:
	v_mov_b32_e32 v1, 0
	v_mov_b32_e32 v10, 0
	s_branch .LBB75_41
.LBB75_38:
	v_mov_b32_e32 v1, 0
	v_mov_b32_e32 v10, 0
	;; [unrolled: 1-line block ×3, first 2 shown]
	s_and_b32 s6, s27, 3
	s_cmp_eq_u32 s6, 0
	s_cbranch_scc1 .LBB75_41
.LBB75_39:
	s_lshl_b32 s2, s26, 3
	s_add_u32 s2, s34, s2
	s_addc_u32 s3, s35, 0
	s_add_u32 s2, s2, 0xc4
	s_addc_u32 s3, s3, 0
	s_mul_i32 s4, s26, 12
	s_add_u32 s4, s34, s4
	s_addc_u32 s5, s35, 0
.LBB75_40:                              ; =>This Inner Loop Header: Depth=1
	s_load_dwordx2 s[8:9], s[4:5], 0x4
	s_load_dword s7, s[4:5], 0xc
	s_load_dwordx2 s[10:11], s[2:3], 0x0
	s_add_u32 s4, s4, 12
	s_addc_u32 s5, s5, 0
	s_waitcnt lgkmcnt(0)
	v_mul_hi_u32 v4, s9, v2
	s_add_u32 s2, s2, 8
	s_addc_u32 s3, s3, 0
	s_add_i32 s6, s6, -1
	v_add_u32_e32 v4, v2, v4
	v_lshrrev_b32_e32 v4, s7, v4
	v_mul_lo_u32 v5, v4, s8
	s_cmp_lg_u32 s6, 0
	v_sub_u32_e32 v5, v2, v5
	v_mad_u64_u32 v[1:2], s[8:9], v5, s10, v[1:2]
	v_mad_u64_u32 v[10:11], s[8:9], v5, s11, v[10:11]
	v_mov_b32_e32 v2, v4
	s_cbranch_scc1 .LBB75_40
.LBB75_41:
	s_cbranch_execnz .LBB75_44
.LBB75_42:
	s_load_dwordx4 s[4:7], s[34:35], 0x4
	s_load_dwordx2 s[2:3], s[34:35], 0xc4
	s_cmp_lt_u32 s33, 2
	s_waitcnt lgkmcnt(0)
	v_mul_hi_u32 v1, s5, v3
	v_add_u32_e32 v1, v3, v1
	v_lshrrev_b32_e32 v2, s6, v1
	v_mul_lo_u32 v1, v2, s4
	v_sub_u32_e32 v3, v3, v1
	v_mul_lo_u32 v1, v3, s2
	v_mul_lo_u32 v10, v3, s3
	s_cbranch_scc1 .LBB75_44
; %bb.43:
	s_load_dwordx4 s[4:7], s[34:35], 0x10
	s_load_dwordx2 s[2:3], s[34:35], 0xcc
	s_waitcnt lgkmcnt(0)
	v_mul_hi_u32 v3, s5, v2
	v_add_u32_e32 v3, v2, v3
	v_lshrrev_b32_e32 v3, s6, v3
	v_mul_lo_u32 v3, v3, s4
	v_sub_u32_e32 v3, v2, v3
	v_mad_u64_u32 v[1:2], s[4:5], v3, s2, v[1:2]
	v_mad_u64_u32 v[10:11], s[2:3], v3, s3, v[10:11]
.LBB75_44:
	s_and_b64 vcc, exec, s[0:1]
	v_add_u32_e32 v4, 0x100, v7
	s_cbranch_vccnz .LBB75_50
; %bb.45:
	s_cmp_lg_u32 s33, 0
	s_waitcnt lgkmcnt(0)
	s_mov_b32 s26, 0
	s_cbranch_scc0 .LBB75_51
; %bb.46:
	s_min_u32 s27, s54, 15
	s_add_i32 s27, s27, 1
	s_cmp_eq_u32 s54, 2
	s_cbranch_scc1 .LBB75_52
; %bb.47:
	s_and_b32 s26, s27, 28
	s_add_u32 s2, s34, 0xc4
	s_addc_u32 s3, s35, 0
	v_mov_b32_e32 v11, 0
	s_mov_b32 s28, 0
	s_mov_b64 s[24:25], s[34:35]
	v_mov_b32_e32 v2, 0
	v_mov_b32_e32 v3, v4
.LBB75_48:                              ; =>This Inner Loop Header: Depth=1
	s_load_dwordx8 s[12:19], s[24:25], 0x4
	s_load_dwordx4 s[20:23], s[24:25], 0x24
	s_load_dwordx8 s[4:11], s[2:3], 0x0
	s_add_u32 s24, s24, 48
	s_addc_u32 s25, s25, 0
	s_waitcnt lgkmcnt(0)
	v_mul_hi_u32 v5, s13, v3
	s_add_i32 s28, s28, 4
	s_add_u32 s2, s2, 32
	s_addc_u32 s3, s3, 0
	v_add_u32_e32 v5, v3, v5
	v_lshrrev_b32_e32 v5, s14, v5
	v_mul_lo_u32 v6, v5, s12
	v_mul_hi_u32 v8, s16, v5
	s_cmp_lg_u32 s26, s28
	v_sub_u32_e32 v3, v3, v6
	v_add_u32_e32 v6, v5, v8
	v_mul_lo_u32 v8, v3, s4
	v_mul_lo_u32 v12, v3, s5
	v_lshrrev_b32_e32 v3, s17, v6
	v_mul_lo_u32 v6, v3, s15
	v_mul_hi_u32 v13, s19, v3
	v_sub_u32_e32 v5, v5, v6
	v_add_u32_e32 v6, v3, v13
	v_lshrrev_b32_e32 v6, s20, v6
	v_mul_hi_u32 v14, s22, v6
	v_mul_lo_u32 v15, v6, s18
	v_mul_lo_u32 v13, v5, s6
	;; [unrolled: 1-line block ×3, first 2 shown]
	v_sub_u32_e32 v15, v3, v15
	v_add_u32_e32 v3, v6, v14
	v_lshrrev_b32_e32 v3, s23, v3
	v_mul_lo_u32 v14, v3, s21
	v_mul_lo_u32 v16, v15, s8
	;; [unrolled: 1-line block ×3, first 2 shown]
	v_add3_u32 v2, v8, v2, v13
	v_sub_u32_e32 v6, v6, v14
	v_mul_lo_u32 v14, v6, s10
	v_mul_lo_u32 v6, v6, s11
	v_add3_u32 v5, v12, v11, v5
	v_add3_u32 v2, v16, v2, v14
	v_add3_u32 v11, v15, v5, v6
	s_cbranch_scc1 .LBB75_48
; %bb.49:
	s_and_b32 s6, s27, 3
	s_cmp_eq_u32 s6, 0
	s_cbranch_scc0 .LBB75_53
	s_branch .LBB75_55
.LBB75_50:
                                        ; implicit-def: $vgpr2
                                        ; implicit-def: $vgpr11
	s_branch .LBB75_56
.LBB75_51:
	v_mov_b32_e32 v2, 0
	v_mov_b32_e32 v11, 0
	s_branch .LBB75_55
.LBB75_52:
	v_mov_b32_e32 v2, 0
	v_mov_b32_e32 v11, 0
	;; [unrolled: 1-line block ×3, first 2 shown]
	s_and_b32 s6, s27, 3
	s_cmp_eq_u32 s6, 0
	s_cbranch_scc1 .LBB75_55
.LBB75_53:
	s_lshl_b32 s2, s26, 3
	s_add_u32 s2, s34, s2
	s_addc_u32 s3, s35, 0
	s_add_u32 s2, s2, 0xc4
	s_addc_u32 s3, s3, 0
	s_mul_i32 s4, s26, 12
	s_add_u32 s4, s34, s4
	s_addc_u32 s5, s35, 0
.LBB75_54:                              ; =>This Inner Loop Header: Depth=1
	s_load_dwordx2 s[8:9], s[4:5], 0x4
	s_load_dword s7, s[4:5], 0xc
	s_load_dwordx2 s[10:11], s[2:3], 0x0
	s_add_u32 s4, s4, 12
	s_addc_u32 s5, s5, 0
	s_waitcnt lgkmcnt(0)
	v_mul_hi_u32 v5, s9, v3
	s_add_u32 s2, s2, 8
	s_addc_u32 s3, s3, 0
	s_add_i32 s6, s6, -1
	v_add_u32_e32 v5, v3, v5
	v_lshrrev_b32_e32 v5, s7, v5
	v_mul_lo_u32 v6, v5, s8
	s_cmp_lg_u32 s6, 0
	v_sub_u32_e32 v6, v3, v6
	v_mad_u64_u32 v[2:3], s[8:9], v6, s10, v[2:3]
	v_mad_u64_u32 v[11:12], s[8:9], v6, s11, v[11:12]
	v_mov_b32_e32 v3, v5
	s_cbranch_scc1 .LBB75_54
.LBB75_55:
	s_cbranch_execnz .LBB75_58
.LBB75_56:
	s_load_dwordx4 s[4:7], s[34:35], 0x4
	s_load_dwordx2 s[2:3], s[34:35], 0xc4
	s_cmp_lt_u32 s33, 2
	s_waitcnt lgkmcnt(0)
	v_mul_hi_u32 v2, s5, v4
	v_add_u32_e32 v2, v4, v2
	v_lshrrev_b32_e32 v3, s6, v2
	v_mul_lo_u32 v2, v3, s4
	v_sub_u32_e32 v4, v4, v2
	v_mul_lo_u32 v2, v4, s2
	v_mul_lo_u32 v11, v4, s3
	s_cbranch_scc1 .LBB75_58
; %bb.57:
	s_load_dwordx4 s[4:7], s[34:35], 0x10
	s_load_dwordx2 s[2:3], s[34:35], 0xcc
	s_waitcnt lgkmcnt(0)
	v_mul_hi_u32 v4, s5, v3
	v_add_u32_e32 v4, v3, v4
	v_lshrrev_b32_e32 v4, s6, v4
	v_mul_lo_u32 v4, v4, s4
	v_sub_u32_e32 v4, v3, v4
	v_mad_u64_u32 v[2:3], s[4:5], v4, s2, v[2:3]
	v_mad_u64_u32 v[11:12], s[2:3], v4, s3, v[11:12]
.LBB75_58:
	s_and_b64 vcc, exec, s[0:1]
	v_add_u32_e32 v5, 0x180, v7
	s_cbranch_vccnz .LBB75_64
; %bb.59:
	s_cmp_lg_u32 s33, 0
	s_waitcnt lgkmcnt(0)
	s_mov_b32 s26, 0
	s_cbranch_scc0 .LBB75_65
; %bb.60:
	s_min_u32 s27, s54, 15
	s_add_i32 s27, s27, 1
	s_cmp_eq_u32 s54, 2
	s_cbranch_scc1 .LBB75_66
; %bb.61:
	s_and_b32 s26, s27, 28
	s_add_u32 s2, s34, 0xc4
	s_addc_u32 s3, s35, 0
	v_mov_b32_e32 v12, 0
	s_mov_b32 s28, 0
	s_mov_b64 s[24:25], s[34:35]
	v_mov_b32_e32 v3, 0
	v_mov_b32_e32 v4, v5
.LBB75_62:                              ; =>This Inner Loop Header: Depth=1
	s_load_dwordx8 s[12:19], s[24:25], 0x4
	s_load_dwordx4 s[20:23], s[24:25], 0x24
	s_load_dwordx8 s[4:11], s[2:3], 0x0
	s_add_u32 s24, s24, 48
	s_addc_u32 s25, s25, 0
	s_waitcnt lgkmcnt(0)
	v_mul_hi_u32 v6, s13, v4
	s_add_i32 s28, s28, 4
	s_add_u32 s2, s2, 32
	s_addc_u32 s3, s3, 0
	v_add_u32_e32 v6, v4, v6
	v_lshrrev_b32_e32 v6, s14, v6
	v_mul_lo_u32 v8, v6, s12
	v_mul_hi_u32 v13, s16, v6
	s_cmp_lg_u32 s26, s28
	v_sub_u32_e32 v4, v4, v8
	v_add_u32_e32 v8, v6, v13
	v_mul_lo_u32 v13, v4, s4
	v_mul_lo_u32 v14, v4, s5
	v_lshrrev_b32_e32 v4, s17, v8
	v_mul_lo_u32 v8, v4, s15
	v_mul_hi_u32 v15, s19, v4
	v_sub_u32_e32 v6, v6, v8
	v_add_u32_e32 v8, v4, v15
	v_lshrrev_b32_e32 v8, s20, v8
	v_mul_hi_u32 v16, s22, v8
	v_mul_lo_u32 v17, v8, s18
	v_mul_lo_u32 v15, v6, s6
	;; [unrolled: 1-line block ×3, first 2 shown]
	v_sub_u32_e32 v17, v4, v17
	v_add_u32_e32 v4, v8, v16
	v_lshrrev_b32_e32 v4, s23, v4
	v_mul_lo_u32 v16, v4, s21
	v_mul_lo_u32 v19, v17, s8
	;; [unrolled: 1-line block ×3, first 2 shown]
	v_add3_u32 v3, v13, v3, v15
	v_sub_u32_e32 v8, v8, v16
	v_mul_lo_u32 v16, v8, s10
	v_mul_lo_u32 v8, v8, s11
	v_add3_u32 v6, v14, v12, v6
	v_add3_u32 v3, v19, v3, v16
	;; [unrolled: 1-line block ×3, first 2 shown]
	s_cbranch_scc1 .LBB75_62
; %bb.63:
	s_and_b32 s6, s27, 3
	s_cmp_eq_u32 s6, 0
	s_cbranch_scc0 .LBB75_67
	s_branch .LBB75_69
.LBB75_64:
                                        ; implicit-def: $vgpr3
                                        ; implicit-def: $vgpr12
	s_branch .LBB75_70
.LBB75_65:
	v_mov_b32_e32 v3, 0
	v_mov_b32_e32 v12, 0
	s_branch .LBB75_69
.LBB75_66:
	v_mov_b32_e32 v3, 0
	v_mov_b32_e32 v12, 0
	;; [unrolled: 1-line block ×3, first 2 shown]
	s_and_b32 s6, s27, 3
	s_cmp_eq_u32 s6, 0
	s_cbranch_scc1 .LBB75_69
.LBB75_67:
	s_lshl_b32 s2, s26, 3
	s_add_u32 s2, s34, s2
	s_addc_u32 s3, s35, 0
	s_add_u32 s2, s2, 0xc4
	s_addc_u32 s3, s3, 0
	s_mul_i32 s4, s26, 12
	s_add_u32 s4, s34, s4
	s_addc_u32 s5, s35, 0
.LBB75_68:                              ; =>This Inner Loop Header: Depth=1
	s_load_dwordx2 s[8:9], s[4:5], 0x4
	s_load_dword s7, s[4:5], 0xc
	s_load_dwordx2 s[10:11], s[2:3], 0x0
	s_add_u32 s4, s4, 12
	s_addc_u32 s5, s5, 0
	s_waitcnt lgkmcnt(0)
	v_mul_hi_u32 v6, s9, v4
	s_add_u32 s2, s2, 8
	s_addc_u32 s3, s3, 0
	s_add_i32 s6, s6, -1
	v_add_u32_e32 v6, v4, v6
	v_lshrrev_b32_e32 v6, s7, v6
	v_mul_lo_u32 v8, v6, s8
	s_cmp_lg_u32 s6, 0
	v_sub_u32_e32 v8, v4, v8
	v_mad_u64_u32 v[3:4], s[8:9], v8, s10, v[3:4]
	v_mad_u64_u32 v[12:13], s[8:9], v8, s11, v[12:13]
	v_mov_b32_e32 v4, v6
	s_cbranch_scc1 .LBB75_68
.LBB75_69:
	s_cbranch_execnz .LBB75_72
.LBB75_70:
	s_load_dwordx4 s[4:7], s[34:35], 0x4
	s_load_dwordx2 s[2:3], s[34:35], 0xc4
	s_cmp_lt_u32 s33, 2
	s_waitcnt lgkmcnt(0)
	v_mul_hi_u32 v3, s5, v5
	v_add_u32_e32 v3, v5, v3
	v_lshrrev_b32_e32 v4, s6, v3
	v_mul_lo_u32 v3, v4, s4
	v_sub_u32_e32 v5, v5, v3
	v_mul_lo_u32 v3, v5, s2
	v_mul_lo_u32 v12, v5, s3
	s_cbranch_scc1 .LBB75_72
; %bb.71:
	s_load_dwordx4 s[4:7], s[34:35], 0x10
	s_load_dwordx2 s[2:3], s[34:35], 0xcc
	s_waitcnt lgkmcnt(0)
	v_mul_hi_u32 v5, s5, v4
	v_add_u32_e32 v5, v4, v5
	v_lshrrev_b32_e32 v5, s6, v5
	v_mul_lo_u32 v5, v5, s4
	v_sub_u32_e32 v5, v4, v5
	v_mad_u64_u32 v[3:4], s[4:5], v5, s2, v[3:4]
	v_mad_u64_u32 v[12:13], s[2:3], v5, s3, v[12:13]
.LBB75_72:
	s_and_b64 vcc, exec, s[0:1]
	v_add_u32_e32 v6, 0x200, v7
	s_cbranch_vccnz .LBB75_78
; %bb.73:
	s_cmp_lg_u32 s33, 0
	s_waitcnt lgkmcnt(0)
	s_mov_b32 s26, 0
	s_cbranch_scc0 .LBB75_79
; %bb.74:
	s_min_u32 s27, s54, 15
	s_add_i32 s27, s27, 1
	s_cmp_eq_u32 s54, 2
	s_cbranch_scc1 .LBB75_80
; %bb.75:
	s_and_b32 s26, s27, 28
	s_add_u32 s2, s34, 0xc4
	s_addc_u32 s3, s35, 0
	v_mov_b32_e32 v13, 0
	s_mov_b32 s28, 0
	s_mov_b64 s[24:25], s[34:35]
	v_mov_b32_e32 v4, 0
	v_mov_b32_e32 v5, v6
.LBB75_76:                              ; =>This Inner Loop Header: Depth=1
	s_load_dwordx8 s[12:19], s[24:25], 0x4
	s_load_dwordx4 s[20:23], s[24:25], 0x24
	s_load_dwordx8 s[4:11], s[2:3], 0x0
	s_add_u32 s24, s24, 48
	s_addc_u32 s25, s25, 0
	s_waitcnt lgkmcnt(0)
	v_mul_hi_u32 v8, s13, v5
	s_add_i32 s28, s28, 4
	s_add_u32 s2, s2, 32
	s_addc_u32 s3, s3, 0
	v_add_u32_e32 v8, v5, v8
	v_lshrrev_b32_e32 v8, s14, v8
	v_mul_lo_u32 v14, v8, s12
	v_mul_hi_u32 v15, s16, v8
	s_cmp_lg_u32 s26, s28
	v_sub_u32_e32 v5, v5, v14
	v_add_u32_e32 v14, v8, v15
	v_mul_lo_u32 v15, v5, s4
	v_mul_lo_u32 v16, v5, s5
	v_lshrrev_b32_e32 v5, s17, v14
	v_mul_lo_u32 v14, v5, s15
	v_mul_hi_u32 v17, s19, v5
	v_sub_u32_e32 v8, v8, v14
	v_add_u32_e32 v14, v5, v17
	v_lshrrev_b32_e32 v14, s20, v14
	v_mul_hi_u32 v19, s22, v14
	v_mul_lo_u32 v20, v14, s18
	v_mul_lo_u32 v17, v8, s6
	;; [unrolled: 1-line block ×3, first 2 shown]
	v_sub_u32_e32 v20, v5, v20
	v_add_u32_e32 v5, v14, v19
	v_lshrrev_b32_e32 v5, s23, v5
	v_mul_lo_u32 v19, v5, s21
	v_mul_lo_u32 v21, v20, s8
	;; [unrolled: 1-line block ×3, first 2 shown]
	v_add3_u32 v4, v15, v4, v17
	v_sub_u32_e32 v14, v14, v19
	v_mul_lo_u32 v19, v14, s10
	v_mul_lo_u32 v14, v14, s11
	v_add3_u32 v8, v16, v13, v8
	v_add3_u32 v4, v21, v4, v19
	;; [unrolled: 1-line block ×3, first 2 shown]
	s_cbranch_scc1 .LBB75_76
; %bb.77:
	s_and_b32 s6, s27, 3
	s_cmp_eq_u32 s6, 0
	s_cbranch_scc0 .LBB75_81
	s_branch .LBB75_83
.LBB75_78:
                                        ; implicit-def: $vgpr4
                                        ; implicit-def: $vgpr13
	s_branch .LBB75_84
.LBB75_79:
	v_mov_b32_e32 v4, 0
	v_mov_b32_e32 v13, 0
	s_branch .LBB75_83
.LBB75_80:
	v_mov_b32_e32 v4, 0
	v_mov_b32_e32 v13, 0
	;; [unrolled: 1-line block ×3, first 2 shown]
	s_and_b32 s6, s27, 3
	s_cmp_eq_u32 s6, 0
	s_cbranch_scc1 .LBB75_83
.LBB75_81:
	s_lshl_b32 s2, s26, 3
	s_add_u32 s2, s34, s2
	s_addc_u32 s3, s35, 0
	s_add_u32 s2, s2, 0xc4
	s_addc_u32 s3, s3, 0
	s_mul_i32 s4, s26, 12
	s_add_u32 s4, s34, s4
	s_addc_u32 s5, s35, 0
.LBB75_82:                              ; =>This Inner Loop Header: Depth=1
	s_load_dwordx2 s[8:9], s[4:5], 0x4
	s_load_dword s7, s[4:5], 0xc
	s_load_dwordx2 s[10:11], s[2:3], 0x0
	s_add_u32 s4, s4, 12
	s_addc_u32 s5, s5, 0
	s_waitcnt lgkmcnt(0)
	v_mul_hi_u32 v8, s9, v5
	s_add_u32 s2, s2, 8
	s_addc_u32 s3, s3, 0
	s_add_i32 s6, s6, -1
	v_add_u32_e32 v8, v5, v8
	v_lshrrev_b32_e32 v8, s7, v8
	v_mul_lo_u32 v14, v8, s8
	s_cmp_lg_u32 s6, 0
	v_sub_u32_e32 v14, v5, v14
	v_mad_u64_u32 v[4:5], s[8:9], v14, s10, v[4:5]
	v_mad_u64_u32 v[13:14], s[8:9], v14, s11, v[13:14]
	v_mov_b32_e32 v5, v8
	s_cbranch_scc1 .LBB75_82
.LBB75_83:
	s_cbranch_execnz .LBB75_86
.LBB75_84:
	s_load_dwordx4 s[4:7], s[34:35], 0x4
	s_load_dwordx2 s[2:3], s[34:35], 0xc4
	s_cmp_lt_u32 s33, 2
	s_waitcnt lgkmcnt(0)
	v_mul_hi_u32 v4, s5, v6
	v_add_u32_e32 v4, v6, v4
	v_lshrrev_b32_e32 v5, s6, v4
	v_mul_lo_u32 v4, v5, s4
	v_sub_u32_e32 v6, v6, v4
	v_mul_lo_u32 v4, v6, s2
	v_mul_lo_u32 v13, v6, s3
	s_cbranch_scc1 .LBB75_86
; %bb.85:
	s_load_dwordx4 s[4:7], s[34:35], 0x10
	s_load_dwordx2 s[2:3], s[34:35], 0xcc
	s_waitcnt lgkmcnt(0)
	v_mul_hi_u32 v6, s5, v5
	v_add_u32_e32 v6, v5, v6
	v_lshrrev_b32_e32 v6, s6, v6
	v_mul_lo_u32 v6, v6, s4
	v_sub_u32_e32 v6, v5, v6
	v_mad_u64_u32 v[4:5], s[4:5], v6, s2, v[4:5]
	v_mad_u64_u32 v[13:14], s[2:3], v6, s3, v[13:14]
.LBB75_86:
	s_and_b64 vcc, exec, s[0:1]
	v_add_u32_e32 v8, 0x280, v7
	s_cbranch_vccnz .LBB75_92
; %bb.87:
	s_cmp_lg_u32 s33, 0
	s_waitcnt lgkmcnt(0)
	s_mov_b32 s26, 0
	s_cbranch_scc0 .LBB75_93
; %bb.88:
	s_min_u32 s27, s54, 15
	s_add_i32 s27, s27, 1
	s_cmp_eq_u32 s54, 2
	s_cbranch_scc1 .LBB75_94
; %bb.89:
	s_and_b32 s26, s27, 28
	s_add_u32 s2, s34, 0xc4
	s_addc_u32 s3, s35, 0
	v_mov_b32_e32 v14, 0
	s_mov_b32 s28, 0
	s_mov_b64 s[24:25], s[34:35]
	v_mov_b32_e32 v5, 0
	v_mov_b32_e32 v6, v8
.LBB75_90:                              ; =>This Inner Loop Header: Depth=1
	s_load_dwordx8 s[12:19], s[24:25], 0x4
	s_load_dwordx4 s[20:23], s[24:25], 0x24
	s_load_dwordx8 s[4:11], s[2:3], 0x0
	s_add_u32 s24, s24, 48
	s_addc_u32 s25, s25, 0
	s_waitcnt lgkmcnt(0)
	v_mul_hi_u32 v15, s13, v6
	s_add_i32 s28, s28, 4
	s_add_u32 s2, s2, 32
	s_addc_u32 s3, s3, 0
	v_add_u32_e32 v15, v6, v15
	v_lshrrev_b32_e32 v15, s14, v15
	v_mul_lo_u32 v16, v15, s12
	v_mul_hi_u32 v17, s16, v15
	s_cmp_lg_u32 s26, s28
	v_sub_u32_e32 v6, v6, v16
	v_add_u32_e32 v16, v15, v17
	v_mul_lo_u32 v17, v6, s4
	v_mul_lo_u32 v19, v6, s5
	v_lshrrev_b32_e32 v6, s17, v16
	v_mul_lo_u32 v16, v6, s15
	v_mul_hi_u32 v20, s19, v6
	v_sub_u32_e32 v15, v15, v16
	v_add_u32_e32 v16, v6, v20
	v_lshrrev_b32_e32 v16, s20, v16
	v_mul_hi_u32 v21, s22, v16
	v_mul_lo_u32 v22, v16, s18
	v_mul_lo_u32 v20, v15, s6
	;; [unrolled: 1-line block ×3, first 2 shown]
	v_sub_u32_e32 v22, v6, v22
	v_add_u32_e32 v6, v16, v21
	v_lshrrev_b32_e32 v6, s23, v6
	v_mul_lo_u32 v21, v6, s21
	v_mul_lo_u32 v23, v22, s8
	;; [unrolled: 1-line block ×3, first 2 shown]
	v_add3_u32 v5, v17, v5, v20
	v_sub_u32_e32 v16, v16, v21
	v_mul_lo_u32 v21, v16, s10
	v_mul_lo_u32 v16, v16, s11
	v_add3_u32 v14, v19, v14, v15
	v_add3_u32 v5, v23, v5, v21
	;; [unrolled: 1-line block ×3, first 2 shown]
	s_cbranch_scc1 .LBB75_90
; %bb.91:
	s_and_b32 s6, s27, 3
	s_cmp_eq_u32 s6, 0
	s_cbranch_scc0 .LBB75_95
	s_branch .LBB75_97
.LBB75_92:
                                        ; implicit-def: $vgpr5
                                        ; implicit-def: $vgpr14
	s_branch .LBB75_98
.LBB75_93:
	v_mov_b32_e32 v5, 0
	v_mov_b32_e32 v14, 0
	s_branch .LBB75_97
.LBB75_94:
	v_mov_b32_e32 v5, 0
	v_mov_b32_e32 v14, 0
	v_mov_b32_e32 v6, v8
	s_and_b32 s6, s27, 3
	s_cmp_eq_u32 s6, 0
	s_cbranch_scc1 .LBB75_97
.LBB75_95:
	s_lshl_b32 s2, s26, 3
	s_add_u32 s2, s34, s2
	s_addc_u32 s3, s35, 0
	s_add_u32 s2, s2, 0xc4
	s_addc_u32 s3, s3, 0
	s_mul_i32 s4, s26, 12
	s_add_u32 s4, s34, s4
	s_addc_u32 s5, s35, 0
.LBB75_96:                              ; =>This Inner Loop Header: Depth=1
	s_load_dwordx2 s[8:9], s[4:5], 0x4
	s_load_dword s7, s[4:5], 0xc
	s_load_dwordx2 s[10:11], s[2:3], 0x0
	s_add_u32 s4, s4, 12
	s_addc_u32 s5, s5, 0
	s_waitcnt lgkmcnt(0)
	v_mul_hi_u32 v15, s9, v6
	s_add_u32 s2, s2, 8
	s_addc_u32 s3, s3, 0
	s_add_i32 s6, s6, -1
	v_add_u32_e32 v15, v6, v15
	v_lshrrev_b32_e32 v16, s7, v15
	v_mul_lo_u32 v15, v16, s8
	s_cmp_lg_u32 s6, 0
	v_sub_u32_e32 v15, v6, v15
	v_mad_u64_u32 v[5:6], s[8:9], v15, s10, v[5:6]
	v_mad_u64_u32 v[14:15], s[8:9], v15, s11, v[14:15]
	v_mov_b32_e32 v6, v16
	s_cbranch_scc1 .LBB75_96
.LBB75_97:
	s_cbranch_execnz .LBB75_100
.LBB75_98:
	s_load_dwordx4 s[4:7], s[34:35], 0x4
	s_load_dwordx2 s[2:3], s[34:35], 0xc4
	s_cmp_lt_u32 s33, 2
	s_waitcnt lgkmcnt(0)
	v_mul_hi_u32 v5, s5, v8
	v_add_u32_e32 v5, v8, v5
	v_lshrrev_b32_e32 v6, s6, v5
	v_mul_lo_u32 v5, v6, s4
	v_sub_u32_e32 v8, v8, v5
	v_mul_lo_u32 v5, v8, s2
	v_mul_lo_u32 v14, v8, s3
	s_cbranch_scc1 .LBB75_100
; %bb.99:
	s_load_dwordx4 s[4:7], s[34:35], 0x10
	s_load_dwordx2 s[2:3], s[34:35], 0xcc
	s_waitcnt lgkmcnt(0)
	v_mul_hi_u32 v8, s5, v6
	v_add_u32_e32 v8, v6, v8
	v_lshrrev_b32_e32 v8, s6, v8
	v_mul_lo_u32 v8, v8, s4
	v_sub_u32_e32 v8, v6, v8
	v_mad_u64_u32 v[5:6], s[4:5], v8, s2, v[5:6]
	v_mad_u64_u32 v[14:15], s[2:3], v8, s3, v[14:15]
.LBB75_100:
	s_and_b64 vcc, exec, s[0:1]
	v_add_u32_e32 v8, 0x300, v7
	s_cbranch_vccnz .LBB75_106
; %bb.101:
	s_cmp_lg_u32 s33, 0
	s_waitcnt lgkmcnt(0)
	s_mov_b32 s26, 0
	s_cbranch_scc0 .LBB75_107
; %bb.102:
	s_min_u32 s27, s54, 15
	s_add_i32 s27, s27, 1
	s_cmp_eq_u32 s54, 2
	s_cbranch_scc1 .LBB75_108
; %bb.103:
	s_and_b32 s26, s27, 28
	s_add_u32 s2, s34, 0xc4
	s_addc_u32 s3, s35, 0
	v_mov_b32_e32 v15, 0
	s_mov_b32 s28, 0
	s_mov_b64 s[24:25], s[34:35]
	v_mov_b32_e32 v6, 0
	v_mov_b32_e32 v7, v8
.LBB75_104:                             ; =>This Inner Loop Header: Depth=1
	s_load_dwordx8 s[12:19], s[24:25], 0x4
	s_load_dwordx4 s[20:23], s[24:25], 0x24
	s_load_dwordx8 s[4:11], s[2:3], 0x0
	s_add_u32 s24, s24, 48
	s_addc_u32 s25, s25, 0
	s_waitcnt lgkmcnt(0)
	v_mul_hi_u32 v16, s13, v7
	s_add_i32 s28, s28, 4
	s_add_u32 s2, s2, 32
	s_addc_u32 s3, s3, 0
	v_add_u32_e32 v16, v7, v16
	v_lshrrev_b32_e32 v16, s14, v16
	v_mul_lo_u32 v17, v16, s12
	v_mul_hi_u32 v19, s16, v16
	s_cmp_lg_u32 s26, s28
	v_sub_u32_e32 v7, v7, v17
	v_add_u32_e32 v17, v16, v19
	v_mul_lo_u32 v19, v7, s4
	v_mul_lo_u32 v20, v7, s5
	v_lshrrev_b32_e32 v7, s17, v17
	v_mul_lo_u32 v17, v7, s15
	v_mul_hi_u32 v21, s19, v7
	v_sub_u32_e32 v16, v16, v17
	v_add_u32_e32 v17, v7, v21
	v_lshrrev_b32_e32 v17, s20, v17
	v_mul_hi_u32 v22, s22, v17
	v_mul_lo_u32 v23, v17, s18
	v_mul_lo_u32 v21, v16, s6
	;; [unrolled: 1-line block ×3, first 2 shown]
	v_sub_u32_e32 v23, v7, v23
	v_add_u32_e32 v7, v17, v22
	v_lshrrev_b32_e32 v7, s23, v7
	v_mul_lo_u32 v22, v7, s21
	v_mul_lo_u32 v24, v23, s8
	;; [unrolled: 1-line block ×3, first 2 shown]
	v_add3_u32 v6, v19, v6, v21
	v_sub_u32_e32 v17, v17, v22
	v_mul_lo_u32 v22, v17, s10
	v_mul_lo_u32 v17, v17, s11
	v_add3_u32 v15, v20, v15, v16
	v_add3_u32 v6, v24, v6, v22
	;; [unrolled: 1-line block ×3, first 2 shown]
	s_cbranch_scc1 .LBB75_104
; %bb.105:
	s_and_b32 s6, s27, 3
	s_cmp_eq_u32 s6, 0
	s_cbranch_scc0 .LBB75_109
	s_branch .LBB75_111
.LBB75_106:
                                        ; implicit-def: $vgpr6
                                        ; implicit-def: $vgpr15
	s_branch .LBB75_112
.LBB75_107:
	v_mov_b32_e32 v6, 0
	v_mov_b32_e32 v15, 0
	s_branch .LBB75_111
.LBB75_108:
	v_mov_b32_e32 v6, 0
	v_mov_b32_e32 v15, 0
	;; [unrolled: 1-line block ×3, first 2 shown]
	s_and_b32 s6, s27, 3
	s_cmp_eq_u32 s6, 0
	s_cbranch_scc1 .LBB75_111
.LBB75_109:
	s_lshl_b32 s2, s26, 3
	s_add_u32 s2, s34, s2
	s_addc_u32 s3, s35, 0
	s_add_u32 s2, s2, 0xc4
	s_addc_u32 s3, s3, 0
	s_mul_i32 s4, s26, 12
	s_add_u32 s4, s34, s4
	s_addc_u32 s5, s35, 0
.LBB75_110:                             ; =>This Inner Loop Header: Depth=1
	s_load_dwordx2 s[8:9], s[4:5], 0x4
	s_load_dword s7, s[4:5], 0xc
	s_load_dwordx2 s[10:11], s[2:3], 0x0
	s_add_u32 s4, s4, 12
	s_addc_u32 s5, s5, 0
	s_waitcnt lgkmcnt(0)
	v_mul_hi_u32 v16, s9, v7
	s_add_u32 s2, s2, 8
	s_addc_u32 s3, s3, 0
	s_add_i32 s6, s6, -1
	v_add_u32_e32 v16, v7, v16
	v_lshrrev_b32_e32 v17, s7, v16
	v_mul_lo_u32 v16, v17, s8
	s_cmp_lg_u32 s6, 0
	v_sub_u32_e32 v16, v7, v16
	v_mad_u64_u32 v[6:7], s[8:9], v16, s10, v[6:7]
	v_mad_u64_u32 v[15:16], s[8:9], v16, s11, v[15:16]
	v_mov_b32_e32 v7, v17
	s_cbranch_scc1 .LBB75_110
.LBB75_111:
	s_cbranch_execnz .LBB75_114
.LBB75_112:
	s_load_dwordx4 s[4:7], s[34:35], 0x4
	s_load_dwordx2 s[2:3], s[34:35], 0xc4
	s_cmp_lt_u32 s33, 2
	s_waitcnt lgkmcnt(0)
	v_mul_hi_u32 v6, s5, v8
	v_add_u32_e32 v6, v8, v6
	v_lshrrev_b32_e32 v7, s6, v6
	v_mul_lo_u32 v6, v7, s4
	v_sub_u32_e32 v8, v8, v6
	v_mul_lo_u32 v6, v8, s2
	v_mul_lo_u32 v15, v8, s3
	s_cbranch_scc1 .LBB75_114
; %bb.113:
	s_load_dwordx4 s[4:7], s[34:35], 0x10
	s_load_dwordx2 s[2:3], s[34:35], 0xcc
	s_waitcnt lgkmcnt(0)
	v_mul_hi_u32 v8, s5, v7
	v_add_u32_e32 v8, v7, v8
	v_lshrrev_b32_e32 v8, s6, v8
	v_mul_lo_u32 v8, v8, s4
	v_sub_u32_e32 v8, v7, v8
	v_mad_u64_u32 v[6:7], s[4:5], v8, s2, v[6:7]
	v_mad_u64_u32 v[15:16], s[2:3], v8, s3, v[15:16]
.LBB75_114:
	s_and_b64 vcc, exec, s[0:1]
	s_cbranch_vccnz .LBB75_120
; %bb.115:
	s_cmp_lg_u32 s33, 0
	s_waitcnt lgkmcnt(0)
	s_mov_b32 s24, 0
	s_cbranch_scc0 .LBB75_121
; %bb.116:
	s_min_u32 s25, s54, 15
	s_add_i32 s25, s25, 1
	s_cmp_eq_u32 s54, 2
	s_cbranch_scc1 .LBB75_122
; %bb.117:
	s_and_b32 s24, s25, 28
	s_add_u32 s20, s34, 0xc4
	s_addc_u32 s21, s35, 0
	v_mov_b32_e32 v16, 0
	s_mov_b32 s26, 0
	s_mov_b64 s[22:23], s[34:35]
	v_mov_b32_e32 v7, 0
	v_mov_b32_e32 v8, v18
.LBB75_118:                             ; =>This Inner Loop Header: Depth=1
	s_load_dwordx8 s[8:15], s[22:23], 0x4
	s_load_dwordx4 s[16:19], s[22:23], 0x24
	s_load_dwordx8 s[0:7], s[20:21], 0x0
	s_add_u32 s22, s22, 48
	s_addc_u32 s23, s23, 0
	s_waitcnt lgkmcnt(0)
	v_mul_hi_u32 v17, s9, v8
	s_add_i32 s26, s26, 4
	s_add_u32 s20, s20, 32
	s_addc_u32 s21, s21, 0
	v_add_u32_e32 v17, v8, v17
	v_lshrrev_b32_e32 v17, s10, v17
	v_mul_lo_u32 v19, v17, s8
	v_mul_hi_u32 v20, s12, v17
	s_cmp_lg_u32 s24, s26
	v_sub_u32_e32 v8, v8, v19
	v_add_u32_e32 v19, v17, v20
	v_mul_lo_u32 v20, v8, s0
	v_mul_lo_u32 v21, v8, s1
	v_lshrrev_b32_e32 v8, s13, v19
	v_mul_lo_u32 v19, v8, s11
	v_mul_hi_u32 v22, s15, v8
	v_sub_u32_e32 v17, v17, v19
	v_add_u32_e32 v19, v8, v22
	v_lshrrev_b32_e32 v19, s16, v19
	v_mul_hi_u32 v23, s18, v19
	v_mul_lo_u32 v24, v19, s14
	v_mul_lo_u32 v22, v17, s2
	;; [unrolled: 1-line block ×3, first 2 shown]
	v_sub_u32_e32 v24, v8, v24
	v_add_u32_e32 v8, v19, v23
	v_lshrrev_b32_e32 v8, s19, v8
	v_mul_lo_u32 v23, v8, s17
	v_mul_lo_u32 v25, v24, s4
	;; [unrolled: 1-line block ×3, first 2 shown]
	v_add3_u32 v7, v20, v7, v22
	v_sub_u32_e32 v19, v19, v23
	v_mul_lo_u32 v23, v19, s6
	v_mul_lo_u32 v19, v19, s7
	v_add3_u32 v16, v21, v16, v17
	v_add3_u32 v7, v25, v7, v23
	v_add3_u32 v16, v24, v16, v19
	s_cbranch_scc1 .LBB75_118
; %bb.119:
	s_and_b32 s4, s25, 3
	s_cmp_eq_u32 s4, 0
	s_cbranch_scc0 .LBB75_123
	s_branch .LBB75_125
.LBB75_120:
                                        ; implicit-def: $vgpr7
                                        ; implicit-def: $vgpr16
	s_branch .LBB75_126
.LBB75_121:
	v_mov_b32_e32 v7, 0
	v_mov_b32_e32 v16, 0
	s_branch .LBB75_125
.LBB75_122:
	v_mov_b32_e32 v7, 0
	v_mov_b32_e32 v16, 0
	;; [unrolled: 1-line block ×3, first 2 shown]
	s_and_b32 s4, s25, 3
	s_cmp_eq_u32 s4, 0
	s_cbranch_scc1 .LBB75_125
.LBB75_123:
	s_lshl_b32 s0, s24, 3
	s_add_u32 s0, s34, s0
	s_addc_u32 s1, s35, 0
	s_add_u32 s0, s0, 0xc4
	s_addc_u32 s1, s1, 0
	s_mul_i32 s2, s24, 12
	s_add_u32 s2, s34, s2
	s_addc_u32 s3, s35, 0
.LBB75_124:                             ; =>This Inner Loop Header: Depth=1
	s_load_dwordx2 s[6:7], s[2:3], 0x4
	s_load_dword s5, s[2:3], 0xc
	s_load_dwordx2 s[8:9], s[0:1], 0x0
	s_add_u32 s2, s2, 12
	s_addc_u32 s3, s3, 0
	s_waitcnt lgkmcnt(0)
	v_mul_hi_u32 v17, s7, v8
	s_add_u32 s0, s0, 8
	s_addc_u32 s1, s1, 0
	s_add_i32 s4, s4, -1
	v_add_u32_e32 v17, v8, v17
	v_lshrrev_b32_e32 v19, s5, v17
	v_mul_lo_u32 v17, v19, s6
	s_cmp_lg_u32 s4, 0
	v_sub_u32_e32 v17, v8, v17
	v_mad_u64_u32 v[7:8], s[6:7], v17, s8, v[7:8]
	v_mad_u64_u32 v[16:17], s[6:7], v17, s9, v[16:17]
	v_mov_b32_e32 v8, v19
	s_cbranch_scc1 .LBB75_124
.LBB75_125:
	s_cbranch_execnz .LBB75_128
.LBB75_126:
	s_load_dwordx4 s[0:3], s[34:35], 0x4
	s_load_dwordx2 s[4:5], s[34:35], 0xc4
	s_cmp_lt_u32 s33, 2
	s_waitcnt lgkmcnt(0)
	v_mul_hi_u32 v7, s1, v18
	v_add_u32_e32 v7, v18, v7
	v_lshrrev_b32_e32 v8, s2, v7
	v_mul_lo_u32 v7, v8, s0
	v_sub_u32_e32 v16, v18, v7
	v_mul_lo_u32 v7, v16, s4
	v_mul_lo_u32 v16, v16, s5
	s_cbranch_scc1 .LBB75_128
; %bb.127:
	s_load_dwordx4 s[0:3], s[34:35], 0x10
	s_load_dwordx2 s[4:5], s[34:35], 0xcc
	s_waitcnt lgkmcnt(0)
	v_mul_hi_u32 v17, s1, v8
	v_add_u32_e32 v17, v8, v17
	v_lshrrev_b32_e32 v17, s2, v17
	v_mul_lo_u32 v17, v17, s0
	v_sub_u32_e32 v17, v8, v17
	v_mad_u64_u32 v[7:8], s[0:1], v17, s4, v[7:8]
	v_mad_u64_u32 v[16:17], s[0:1], v17, s5, v[16:17]
.LBB75_128:
	s_load_dwordx4 s[8:11], s[34:35], 0x148
	v_mov_b32_e32 v17, 0
	s_waitcnt lgkmcnt(0)
	global_load_ushort v8, v9, s[10:11]
	v_mov_b32_e32 v9, 1.0
	s_waitcnt vmcnt(0)
	v_lshlrev_b32_e32 v8, 16, v8
	v_cmp_gt_f32_e32 vcc, 0.5, v8
	s_and_saveexec_b64 s[6:7], vcc
	s_cbranch_execz .LBB75_134
; %bb.129:
	v_mul_f32_e32 v9, 0x40490fdb, v8
	s_brev_b32 s0, 18
	v_and_b32_e32 v17, 0x7fffffff, v9
	v_cmp_nlt_f32_e64 s[0:1], |v9|, s0
                                        ; implicit-def: $vgpr18
                                        ; implicit-def: $vgpr19
	s_and_saveexec_b64 s[2:3], s[0:1]
	s_xor_b64 s[12:13], exec, s[2:3]
	s_cbranch_execz .LBB75_131
; %bb.130:
	v_and_b32_e32 v18, 0x7fffff, v17
	v_or_b32_e32 v27, 0x800000, v18
	s_mov_b32 s0, 0xfe5163ab
	v_mad_u64_u32 v[18:19], s[0:1], v27, s0, 0
	v_mov_b32_e32 v20, 0
	s_mov_b32 s0, 0x3c439041
	v_mad_u64_u32 v[21:22], s[0:1], v27, s0, v[19:20]
	s_mov_b32 s0, 0xdb629599
	v_not_b32_e32 v26, 63
	v_mov_b32_e32 v19, v22
	v_mad_u64_u32 v[22:23], s[0:1], v27, s0, v[19:20]
	s_mov_b32 s0, 0xf534ddc0
	v_not_b32_e32 v29, 31
	v_mov_b32_e32 v19, v23
	v_mad_u64_u32 v[23:24], s[0:1], v27, s0, v[19:20]
	v_lshrrev_b32_e32 v19, 23, v17
	v_add_u32_e32 v28, 0xffffff88, v19
	v_mov_b32_e32 v19, v24
	s_mov_b32 s0, 0xfc2757d1
	v_mad_u64_u32 v[24:25], s[0:1], v27, s0, v[19:20]
	v_cmp_lt_u32_e32 vcc, 63, v28
	v_cndmask_b32_e32 v19, 0, v26, vcc
	v_add_u32_e32 v28, v19, v28
	v_mov_b32_e32 v19, v25
	s_mov_b32 s0, 0x4e441529
	v_mad_u64_u32 v[25:26], s[0:1], v27, s0, v[19:20]
	v_cmp_lt_u32_e64 s[0:1], 31, v28
	v_cndmask_b32_e64 v19, 0, v29, s[0:1]
	v_add_u32_e32 v28, v19, v28
	v_mov_b32_e32 v19, v26
	s_mov_b32 s2, 0xa2f9836e
	v_mad_u64_u32 v[19:20], s[2:3], v27, s2, v[19:20]
	v_cmp_lt_u32_e64 s[2:3], 31, v28
	v_cndmask_b32_e64 v26, 0, v29, s[2:3]
	v_cndmask_b32_e32 v27, v25, v23, vcc
	v_cndmask_b32_e32 v19, v19, v24, vcc
	;; [unrolled: 1-line block ×3, first 2 shown]
	v_add_u32_e32 v26, v26, v28
	v_cndmask_b32_e64 v28, v19, v27, s[0:1]
	v_cndmask_b32_e64 v19, v20, v19, s[0:1]
	v_cndmask_b32_e32 v20, v24, v22, vcc
	v_cndmask_b32_e64 v24, v27, v20, s[0:1]
	v_cndmask_b32_e64 v19, v19, v28, s[2:3]
	;; [unrolled: 1-line block ×3, first 2 shown]
	v_sub_u32_e32 v27, 32, v26
	v_alignbit_b32 v28, v19, v25, v27
	v_cmp_eq_u32_e64 s[4:5], 0, v26
	v_cndmask_b32_e64 v26, v28, v19, s[4:5]
	v_cndmask_b32_e32 v19, v23, v21, vcc
	v_cndmask_b32_e64 v20, v20, v19, s[0:1]
	v_cndmask_b32_e64 v21, v24, v20, s[2:3]
	v_alignbit_b32 v23, v25, v21, v27
	v_cndmask_b32_e32 v18, v22, v18, vcc
	v_cndmask_b32_e64 v23, v23, v25, s[4:5]
	v_bfe_u32 v28, v26, 29, 1
	v_cndmask_b32_e64 v18, v19, v18, s[0:1]
	v_alignbit_b32 v24, v26, v23, 30
	v_sub_u32_e32 v29, 0, v28
	v_cndmask_b32_e64 v18, v20, v18, s[2:3]
	v_xor_b32_e32 v24, v24, v29
	v_alignbit_b32 v19, v21, v18, v27
	v_cndmask_b32_e64 v19, v19, v21, s[4:5]
	v_ffbh_u32_e32 v21, v24
	v_alignbit_b32 v20, v23, v19, 30
	v_min_u32_e32 v21, 32, v21
	v_alignbit_b32 v18, v19, v18, 30
	v_xor_b32_e32 v20, v20, v29
	v_sub_u32_e32 v22, 31, v21
	v_xor_b32_e32 v18, v18, v29
	v_alignbit_b32 v23, v24, v20, v22
	v_alignbit_b32 v18, v20, v18, v22
	;; [unrolled: 1-line block ×3, first 2 shown]
	v_ffbh_u32_e32 v20, v19
	v_min_u32_e32 v20, 32, v20
	v_lshrrev_b32_e32 v25, 29, v26
	v_not_b32_e32 v22, v20
	v_alignbit_b32 v18, v19, v18, v22
	v_lshlrev_b32_e32 v19, 31, v25
	v_or_b32_e32 v22, 0x33000000, v19
	v_add_lshl_u32 v20, v20, v21, 23
	v_lshrrev_b32_e32 v18, 9, v18
	v_sub_u32_e32 v20, v22, v20
	v_or_b32_e32 v19, 0.5, v19
	v_lshlrev_b32_e32 v21, 23, v21
	v_or_b32_e32 v18, v20, v18
	v_lshrrev_b32_e32 v20, 9, v23
	v_sub_u32_e32 v19, v19, v21
	v_or_b32_e32 v19, v20, v19
	s_mov_b32 s0, 0x3fc90fda
	v_mul_f32_e32 v20, 0x3fc90fda, v19
	v_fma_f32 v21, v19, s0, -v20
	v_fmac_f32_e32 v21, 0x33a22168, v19
	v_fmac_f32_e32 v21, 0x3fc90fda, v18
	v_lshrrev_b32_e32 v18, 30, v26
	v_add_f32_e32 v19, v20, v21
	v_add_u32_e32 v18, v28, v18
.LBB75_131:
	s_andn2_saveexec_b64 s[0:1], s[12:13]
	s_cbranch_execz .LBB75_133
; %bb.132:
	s_mov_b32 s2, 0x3f22f983
	v_mul_f32_e64 v18, |v9|, s2
	v_rndne_f32_e32 v20, v18
	s_mov_b32 s2, 0xbfc90fda
	v_cvt_i32_f32_e32 v18, v20
	v_fma_f32 v19, v20, s2, |v9|
	v_fmac_f32_e32 v19, 0xb3a22168, v20
	v_fmac_f32_e32 v19, 0xa7c234c4, v20
.LBB75_133:
	s_or_b64 exec, exec, s[0:1]
	v_mul_f32_e32 v20, v19, v19
	v_mov_b32_e32 v21, 0x3c0881c4
	v_fmac_f32_e32 v21, 0xb94c1982, v20
	v_mov_b32_e32 v22, 0xbe2aaa9d
	v_fmac_f32_e32 v22, v20, v21
	v_mul_f32_e32 v21, v20, v22
	v_fmac_f32_e32 v19, v19, v21
	v_mov_b32_e32 v21, 0xbab64f3b
	v_fmac_f32_e32 v21, 0x37d75334, v20
	v_mov_b32_e32 v22, 0x3d2aabf7
	;; [unrolled: 2-line block ×3, first 2 shown]
	v_fmac_f32_e32 v21, v20, v22
	v_fma_f32 v20, v20, v21, 1.0
	v_and_b32_e32 v21, 1, v18
	v_lshlrev_b32_e32 v18, 30, v18
	v_cmp_eq_u32_e32 vcc, 0, v21
	v_and_b32_e32 v18, 0x80000000, v18
	v_xor_b32_e32 v17, v17, v9
	v_cndmask_b32_e32 v19, v20, v19, vcc
	v_xor_b32_e32 v17, v17, v18
	s_movk_i32 s0, 0x1f8
	v_xor_b32_e32 v17, v17, v19
	v_mov_b32_e32 v18, 0x7fc00000
	v_cmp_class_f32_e64 vcc, v9, s0
	v_cndmask_b32_e32 v9, v18, v17, vcc
	v_mul_f32_e32 v9, v9, v9
	s_mov_b32 s2, 0xc11de9e7
	v_div_scale_f32 v17, s[0:1], v9, v9, s2
	v_div_scale_f32 v18, vcc, s2, v9, s2
	v_sub_f32_e32 v8, 1.0, v8
	v_rcp_f32_e32 v19, v17
	v_fma_f32 v20, -v17, v19, 1.0
	v_fmac_f32_e32 v19, v20, v19
	v_mul_f32_e32 v20, v18, v19
	v_fma_f32 v21, -v17, v20, v18
	v_fmac_f32_e32 v20, v21, v19
	v_fma_f32 v17, -v17, v20, v18
	v_div_fmas_f32 v17, v17, v19, v20
	v_div_fixup_f32 v9, v17, v9, s2
	v_add_f32_e32 v17, 0, v9
	v_mov_b32_e32 v9, -1.0
.LBB75_134:
	s_or_b64 exec, exec, s[6:7]
	global_load_ushort v10, v10, s[10:11]
	v_mov_b32_e32 v19, 0
	v_mov_b32_e32 v18, 1.0
	s_waitcnt vmcnt(0)
	v_lshlrev_b32_e32 v10, 16, v10
	v_cmp_gt_f32_e32 vcc, 0.5, v10
	s_and_saveexec_b64 s[6:7], vcc
	s_cbranch_execz .LBB75_140
; %bb.135:
	v_mul_f32_e32 v18, 0x40490fdb, v10
	s_brev_b32 s0, 18
	v_and_b32_e32 v19, 0x7fffffff, v18
	v_cmp_nlt_f32_e64 s[0:1], |v18|, s0
                                        ; implicit-def: $vgpr20
                                        ; implicit-def: $vgpr21
	s_and_saveexec_b64 s[2:3], s[0:1]
	s_xor_b64 s[12:13], exec, s[2:3]
	s_cbranch_execz .LBB75_137
; %bb.136:
	v_and_b32_e32 v20, 0x7fffff, v19
	v_or_b32_e32 v29, 0x800000, v20
	s_mov_b32 s0, 0xfe5163ab
	v_mad_u64_u32 v[20:21], s[0:1], v29, s0, 0
	v_mov_b32_e32 v22, 0
	s_mov_b32 s0, 0x3c439041
	v_mad_u64_u32 v[23:24], s[0:1], v29, s0, v[21:22]
	s_mov_b32 s0, 0xdb629599
	v_not_b32_e32 v28, 63
	v_mov_b32_e32 v21, v24
	v_mad_u64_u32 v[24:25], s[0:1], v29, s0, v[21:22]
	s_mov_b32 s0, 0xf534ddc0
	v_not_b32_e32 v31, 31
	v_mov_b32_e32 v21, v25
	v_mad_u64_u32 v[25:26], s[0:1], v29, s0, v[21:22]
	v_lshrrev_b32_e32 v21, 23, v19
	v_add_u32_e32 v30, 0xffffff88, v21
	v_mov_b32_e32 v21, v26
	s_mov_b32 s0, 0xfc2757d1
	v_mad_u64_u32 v[26:27], s[0:1], v29, s0, v[21:22]
	v_cmp_lt_u32_e32 vcc, 63, v30
	v_cndmask_b32_e32 v21, 0, v28, vcc
	v_add_u32_e32 v30, v21, v30
	v_mov_b32_e32 v21, v27
	s_mov_b32 s0, 0x4e441529
	v_mad_u64_u32 v[27:28], s[0:1], v29, s0, v[21:22]
	v_cmp_lt_u32_e64 s[0:1], 31, v30
	v_cndmask_b32_e64 v21, 0, v31, s[0:1]
	v_add_u32_e32 v30, v21, v30
	v_mov_b32_e32 v21, v28
	s_mov_b32 s2, 0xa2f9836e
	v_mad_u64_u32 v[21:22], s[2:3], v29, s2, v[21:22]
	v_cmp_lt_u32_e64 s[2:3], 31, v30
	v_cndmask_b32_e64 v28, 0, v31, s[2:3]
	v_cndmask_b32_e32 v29, v27, v25, vcc
	v_cndmask_b32_e32 v21, v21, v26, vcc
	;; [unrolled: 1-line block ×3, first 2 shown]
	v_add_u32_e32 v28, v28, v30
	v_cndmask_b32_e64 v30, v21, v29, s[0:1]
	v_cndmask_b32_e64 v21, v22, v21, s[0:1]
	v_cndmask_b32_e32 v22, v26, v24, vcc
	v_cndmask_b32_e64 v26, v29, v22, s[0:1]
	v_cndmask_b32_e64 v21, v21, v30, s[2:3]
	v_cndmask_b32_e64 v27, v30, v26, s[2:3]
	v_sub_u32_e32 v29, 32, v28
	v_alignbit_b32 v30, v21, v27, v29
	v_cmp_eq_u32_e64 s[4:5], 0, v28
	v_cndmask_b32_e64 v28, v30, v21, s[4:5]
	v_cndmask_b32_e32 v21, v25, v23, vcc
	v_cndmask_b32_e64 v22, v22, v21, s[0:1]
	v_cndmask_b32_e64 v23, v26, v22, s[2:3]
	v_alignbit_b32 v25, v27, v23, v29
	v_cndmask_b32_e32 v20, v24, v20, vcc
	v_cndmask_b32_e64 v25, v25, v27, s[4:5]
	v_bfe_u32 v30, v28, 29, 1
	v_cndmask_b32_e64 v20, v21, v20, s[0:1]
	v_alignbit_b32 v26, v28, v25, 30
	v_sub_u32_e32 v31, 0, v30
	v_cndmask_b32_e64 v20, v22, v20, s[2:3]
	v_xor_b32_e32 v26, v26, v31
	v_alignbit_b32 v21, v23, v20, v29
	v_cndmask_b32_e64 v21, v21, v23, s[4:5]
	v_ffbh_u32_e32 v23, v26
	v_alignbit_b32 v22, v25, v21, 30
	v_min_u32_e32 v23, 32, v23
	v_alignbit_b32 v20, v21, v20, 30
	v_xor_b32_e32 v22, v22, v31
	v_sub_u32_e32 v24, 31, v23
	v_xor_b32_e32 v20, v20, v31
	v_alignbit_b32 v25, v26, v22, v24
	v_alignbit_b32 v20, v22, v20, v24
	;; [unrolled: 1-line block ×3, first 2 shown]
	v_ffbh_u32_e32 v22, v21
	v_min_u32_e32 v22, 32, v22
	v_lshrrev_b32_e32 v27, 29, v28
	v_not_b32_e32 v24, v22
	v_alignbit_b32 v20, v21, v20, v24
	v_lshlrev_b32_e32 v21, 31, v27
	v_or_b32_e32 v24, 0x33000000, v21
	v_add_lshl_u32 v22, v22, v23, 23
	v_lshrrev_b32_e32 v20, 9, v20
	v_sub_u32_e32 v22, v24, v22
	v_or_b32_e32 v21, 0.5, v21
	v_lshlrev_b32_e32 v23, 23, v23
	v_or_b32_e32 v20, v22, v20
	v_lshrrev_b32_e32 v22, 9, v25
	v_sub_u32_e32 v21, v21, v23
	v_or_b32_e32 v21, v22, v21
	s_mov_b32 s0, 0x3fc90fda
	v_mul_f32_e32 v22, 0x3fc90fda, v21
	v_fma_f32 v23, v21, s0, -v22
	v_fmac_f32_e32 v23, 0x33a22168, v21
	v_fmac_f32_e32 v23, 0x3fc90fda, v20
	v_lshrrev_b32_e32 v20, 30, v28
	v_add_f32_e32 v21, v22, v23
	v_add_u32_e32 v20, v30, v20
.LBB75_137:
	s_andn2_saveexec_b64 s[0:1], s[12:13]
	s_cbranch_execz .LBB75_139
; %bb.138:
	s_mov_b32 s2, 0x3f22f983
	v_mul_f32_e64 v20, |v18|, s2
	v_rndne_f32_e32 v22, v20
	s_mov_b32 s2, 0xbfc90fda
	v_cvt_i32_f32_e32 v20, v22
	v_fma_f32 v21, v22, s2, |v18|
	v_fmac_f32_e32 v21, 0xb3a22168, v22
	v_fmac_f32_e32 v21, 0xa7c234c4, v22
.LBB75_139:
	s_or_b64 exec, exec, s[0:1]
	v_mul_f32_e32 v22, v21, v21
	v_mov_b32_e32 v23, 0x3c0881c4
	v_fmac_f32_e32 v23, 0xb94c1982, v22
	v_mov_b32_e32 v24, 0xbe2aaa9d
	v_fmac_f32_e32 v24, v22, v23
	v_mul_f32_e32 v23, v22, v24
	v_fmac_f32_e32 v21, v21, v23
	v_mov_b32_e32 v23, 0xbab64f3b
	v_fmac_f32_e32 v23, 0x37d75334, v22
	v_mov_b32_e32 v24, 0x3d2aabf7
	;; [unrolled: 2-line block ×3, first 2 shown]
	v_fmac_f32_e32 v23, v22, v24
	v_fma_f32 v22, v22, v23, 1.0
	v_and_b32_e32 v23, 1, v20
	v_lshlrev_b32_e32 v20, 30, v20
	v_cmp_eq_u32_e32 vcc, 0, v23
	v_and_b32_e32 v20, 0x80000000, v20
	v_xor_b32_e32 v19, v19, v18
	v_cndmask_b32_e32 v21, v22, v21, vcc
	v_xor_b32_e32 v19, v19, v20
	s_movk_i32 s0, 0x1f8
	v_xor_b32_e32 v19, v19, v21
	v_mov_b32_e32 v20, 0x7fc00000
	v_cmp_class_f32_e64 vcc, v18, s0
	v_cndmask_b32_e32 v18, v20, v19, vcc
	v_mul_f32_e32 v18, v18, v18
	s_mov_b32 s2, 0xc11de9e7
	v_div_scale_f32 v19, s[0:1], v18, v18, s2
	v_div_scale_f32 v20, vcc, s2, v18, s2
	v_sub_f32_e32 v10, 1.0, v10
	v_rcp_f32_e32 v21, v19
	v_fma_f32 v22, -v19, v21, 1.0
	v_fmac_f32_e32 v21, v22, v21
	v_mul_f32_e32 v22, v20, v21
	v_fma_f32 v23, -v19, v22, v20
	v_fmac_f32_e32 v22, v23, v21
	v_fma_f32 v19, -v19, v22, v20
	v_div_fmas_f32 v19, v19, v21, v22
	v_div_fixup_f32 v18, v19, v18, s2
	v_add_f32_e32 v19, 0, v18
	v_mov_b32_e32 v18, -1.0
.LBB75_140:
	s_or_b64 exec, exec, s[6:7]
	global_load_ushort v11, v11, s[10:11]
	v_mov_b32_e32 v21, 0
	v_mov_b32_e32 v20, 1.0
	s_waitcnt vmcnt(0)
	v_lshlrev_b32_e32 v11, 16, v11
	v_cmp_gt_f32_e32 vcc, 0.5, v11
	s_and_saveexec_b64 s[6:7], vcc
	s_cbranch_execz .LBB75_146
; %bb.141:
	v_mul_f32_e32 v20, 0x40490fdb, v11
	s_brev_b32 s0, 18
	v_and_b32_e32 v21, 0x7fffffff, v20
	v_cmp_nlt_f32_e64 s[0:1], |v20|, s0
                                        ; implicit-def: $vgpr22
                                        ; implicit-def: $vgpr23
	s_and_saveexec_b64 s[2:3], s[0:1]
	s_xor_b64 s[12:13], exec, s[2:3]
	s_cbranch_execz .LBB75_143
; %bb.142:
	v_and_b32_e32 v22, 0x7fffff, v21
	v_or_b32_e32 v31, 0x800000, v22
	s_mov_b32 s0, 0xfe5163ab
	v_mad_u64_u32 v[22:23], s[0:1], v31, s0, 0
	v_mov_b32_e32 v24, 0
	s_mov_b32 s0, 0x3c439041
	v_mad_u64_u32 v[25:26], s[0:1], v31, s0, v[23:24]
	s_mov_b32 s0, 0xdb629599
	v_not_b32_e32 v30, 63
	v_mov_b32_e32 v23, v26
	v_mad_u64_u32 v[26:27], s[0:1], v31, s0, v[23:24]
	s_mov_b32 s0, 0xf534ddc0
	v_not_b32_e32 v33, 31
	v_mov_b32_e32 v23, v27
	v_mad_u64_u32 v[27:28], s[0:1], v31, s0, v[23:24]
	v_lshrrev_b32_e32 v23, 23, v21
	v_add_u32_e32 v32, 0xffffff88, v23
	v_mov_b32_e32 v23, v28
	s_mov_b32 s0, 0xfc2757d1
	v_mad_u64_u32 v[28:29], s[0:1], v31, s0, v[23:24]
	v_cmp_lt_u32_e32 vcc, 63, v32
	v_cndmask_b32_e32 v23, 0, v30, vcc
	v_add_u32_e32 v32, v23, v32
	v_mov_b32_e32 v23, v29
	s_mov_b32 s0, 0x4e441529
	v_mad_u64_u32 v[29:30], s[0:1], v31, s0, v[23:24]
	v_cmp_lt_u32_e64 s[0:1], 31, v32
	v_cndmask_b32_e64 v23, 0, v33, s[0:1]
	v_add_u32_e32 v32, v23, v32
	v_mov_b32_e32 v23, v30
	s_mov_b32 s2, 0xa2f9836e
	v_mad_u64_u32 v[23:24], s[2:3], v31, s2, v[23:24]
	v_cmp_lt_u32_e64 s[2:3], 31, v32
	v_cndmask_b32_e64 v30, 0, v33, s[2:3]
	v_cndmask_b32_e32 v31, v29, v27, vcc
	v_cndmask_b32_e32 v23, v23, v28, vcc
	;; [unrolled: 1-line block ×3, first 2 shown]
	v_add_u32_e32 v30, v30, v32
	v_cndmask_b32_e64 v32, v23, v31, s[0:1]
	v_cndmask_b32_e64 v23, v24, v23, s[0:1]
	v_cndmask_b32_e32 v24, v28, v26, vcc
	v_cndmask_b32_e64 v28, v31, v24, s[0:1]
	v_cndmask_b32_e64 v23, v23, v32, s[2:3]
	;; [unrolled: 1-line block ×3, first 2 shown]
	v_sub_u32_e32 v31, 32, v30
	v_alignbit_b32 v32, v23, v29, v31
	v_cmp_eq_u32_e64 s[4:5], 0, v30
	v_cndmask_b32_e64 v30, v32, v23, s[4:5]
	v_cndmask_b32_e32 v23, v27, v25, vcc
	v_cndmask_b32_e64 v24, v24, v23, s[0:1]
	v_cndmask_b32_e64 v25, v28, v24, s[2:3]
	v_alignbit_b32 v27, v29, v25, v31
	v_cndmask_b32_e32 v22, v26, v22, vcc
	v_cndmask_b32_e64 v27, v27, v29, s[4:5]
	v_bfe_u32 v32, v30, 29, 1
	v_cndmask_b32_e64 v22, v23, v22, s[0:1]
	v_alignbit_b32 v28, v30, v27, 30
	v_sub_u32_e32 v33, 0, v32
	v_cndmask_b32_e64 v22, v24, v22, s[2:3]
	v_xor_b32_e32 v28, v28, v33
	v_alignbit_b32 v23, v25, v22, v31
	v_cndmask_b32_e64 v23, v23, v25, s[4:5]
	v_ffbh_u32_e32 v25, v28
	v_alignbit_b32 v24, v27, v23, 30
	v_min_u32_e32 v25, 32, v25
	v_alignbit_b32 v22, v23, v22, 30
	v_xor_b32_e32 v24, v24, v33
	v_sub_u32_e32 v26, 31, v25
	v_xor_b32_e32 v22, v22, v33
	v_alignbit_b32 v27, v28, v24, v26
	v_alignbit_b32 v22, v24, v22, v26
	;; [unrolled: 1-line block ×3, first 2 shown]
	v_ffbh_u32_e32 v24, v23
	v_min_u32_e32 v24, 32, v24
	v_lshrrev_b32_e32 v29, 29, v30
	v_not_b32_e32 v26, v24
	v_alignbit_b32 v22, v23, v22, v26
	v_lshlrev_b32_e32 v23, 31, v29
	v_or_b32_e32 v26, 0x33000000, v23
	v_add_lshl_u32 v24, v24, v25, 23
	v_lshrrev_b32_e32 v22, 9, v22
	v_sub_u32_e32 v24, v26, v24
	v_or_b32_e32 v23, 0.5, v23
	v_lshlrev_b32_e32 v25, 23, v25
	v_or_b32_e32 v22, v24, v22
	v_lshrrev_b32_e32 v24, 9, v27
	v_sub_u32_e32 v23, v23, v25
	v_or_b32_e32 v23, v24, v23
	s_mov_b32 s0, 0x3fc90fda
	v_mul_f32_e32 v24, 0x3fc90fda, v23
	v_fma_f32 v25, v23, s0, -v24
	v_fmac_f32_e32 v25, 0x33a22168, v23
	v_fmac_f32_e32 v25, 0x3fc90fda, v22
	v_lshrrev_b32_e32 v22, 30, v30
	v_add_f32_e32 v23, v24, v25
	v_add_u32_e32 v22, v32, v22
.LBB75_143:
	s_andn2_saveexec_b64 s[0:1], s[12:13]
	s_cbranch_execz .LBB75_145
; %bb.144:
	s_mov_b32 s2, 0x3f22f983
	v_mul_f32_e64 v22, |v20|, s2
	v_rndne_f32_e32 v24, v22
	s_mov_b32 s2, 0xbfc90fda
	v_cvt_i32_f32_e32 v22, v24
	v_fma_f32 v23, v24, s2, |v20|
	v_fmac_f32_e32 v23, 0xb3a22168, v24
	v_fmac_f32_e32 v23, 0xa7c234c4, v24
.LBB75_145:
	s_or_b64 exec, exec, s[0:1]
	v_mul_f32_e32 v24, v23, v23
	v_mov_b32_e32 v25, 0x3c0881c4
	v_fmac_f32_e32 v25, 0xb94c1982, v24
	v_mov_b32_e32 v26, 0xbe2aaa9d
	v_fmac_f32_e32 v26, v24, v25
	v_mul_f32_e32 v25, v24, v26
	v_fmac_f32_e32 v23, v23, v25
	v_mov_b32_e32 v25, 0xbab64f3b
	v_fmac_f32_e32 v25, 0x37d75334, v24
	v_mov_b32_e32 v26, 0x3d2aabf7
	;; [unrolled: 2-line block ×3, first 2 shown]
	v_fmac_f32_e32 v25, v24, v26
	v_fma_f32 v24, v24, v25, 1.0
	v_and_b32_e32 v25, 1, v22
	v_lshlrev_b32_e32 v22, 30, v22
	v_cmp_eq_u32_e32 vcc, 0, v25
	v_and_b32_e32 v22, 0x80000000, v22
	v_xor_b32_e32 v21, v21, v20
	v_cndmask_b32_e32 v23, v24, v23, vcc
	v_xor_b32_e32 v21, v21, v22
	s_movk_i32 s0, 0x1f8
	v_xor_b32_e32 v21, v21, v23
	v_mov_b32_e32 v22, 0x7fc00000
	v_cmp_class_f32_e64 vcc, v20, s0
	v_cndmask_b32_e32 v20, v22, v21, vcc
	v_mul_f32_e32 v20, v20, v20
	s_mov_b32 s2, 0xc11de9e7
	v_div_scale_f32 v21, s[0:1], v20, v20, s2
	v_div_scale_f32 v22, vcc, s2, v20, s2
	v_sub_f32_e32 v11, 1.0, v11
	v_rcp_f32_e32 v23, v21
	v_fma_f32 v24, -v21, v23, 1.0
	v_fmac_f32_e32 v23, v24, v23
	v_mul_f32_e32 v24, v22, v23
	v_fma_f32 v25, -v21, v24, v22
	v_fmac_f32_e32 v24, v25, v23
	v_fma_f32 v21, -v21, v24, v22
	v_div_fmas_f32 v21, v21, v23, v24
	v_div_fixup_f32 v20, v21, v20, s2
	v_add_f32_e32 v21, 0, v20
	v_mov_b32_e32 v20, -1.0
.LBB75_146:
	s_or_b64 exec, exec, s[6:7]
	global_load_ushort v12, v12, s[10:11]
	v_mov_b32_e32 v24, 0
	v_mov_b32_e32 v23, 1.0
	s_waitcnt vmcnt(0)
	v_lshlrev_b32_e32 v22, 16, v12
	v_cmp_gt_f32_e32 vcc, 0.5, v22
	s_and_saveexec_b64 s[6:7], vcc
	s_cbranch_execz .LBB75_152
; %bb.147:
	v_mul_f32_e32 v12, 0x40490fdb, v22
	s_brev_b32 s0, 18
	v_and_b32_e32 v23, 0x7fffffff, v12
	v_cmp_nlt_f32_e64 s[0:1], |v12|, s0
                                        ; implicit-def: $vgpr24
                                        ; implicit-def: $vgpr25
	s_and_saveexec_b64 s[2:3], s[0:1]
	s_xor_b64 s[12:13], exec, s[2:3]
	s_cbranch_execz .LBB75_149
; %bb.148:
	v_and_b32_e32 v24, 0x7fffff, v23
	v_or_b32_e32 v33, 0x800000, v24
	s_mov_b32 s0, 0xfe5163ab
	v_mad_u64_u32 v[24:25], s[0:1], v33, s0, 0
	v_mov_b32_e32 v26, 0
	s_mov_b32 s0, 0x3c439041
	v_mad_u64_u32 v[27:28], s[0:1], v33, s0, v[25:26]
	s_mov_b32 s0, 0xdb629599
	v_not_b32_e32 v32, 63
	v_mov_b32_e32 v25, v28
	v_mad_u64_u32 v[28:29], s[0:1], v33, s0, v[25:26]
	s_mov_b32 s0, 0xf534ddc0
	v_not_b32_e32 v35, 31
	v_mov_b32_e32 v25, v29
	v_mad_u64_u32 v[29:30], s[0:1], v33, s0, v[25:26]
	v_lshrrev_b32_e32 v25, 23, v23
	v_add_u32_e32 v34, 0xffffff88, v25
	v_mov_b32_e32 v25, v30
	s_mov_b32 s0, 0xfc2757d1
	v_mad_u64_u32 v[30:31], s[0:1], v33, s0, v[25:26]
	v_cmp_lt_u32_e32 vcc, 63, v34
	v_cndmask_b32_e32 v25, 0, v32, vcc
	v_add_u32_e32 v34, v25, v34
	v_mov_b32_e32 v25, v31
	s_mov_b32 s0, 0x4e441529
	v_mad_u64_u32 v[31:32], s[0:1], v33, s0, v[25:26]
	v_cmp_lt_u32_e64 s[0:1], 31, v34
	v_cndmask_b32_e64 v25, 0, v35, s[0:1]
	v_add_u32_e32 v34, v25, v34
	v_mov_b32_e32 v25, v32
	s_mov_b32 s2, 0xa2f9836e
	v_mad_u64_u32 v[25:26], s[2:3], v33, s2, v[25:26]
	v_cmp_lt_u32_e64 s[2:3], 31, v34
	v_cndmask_b32_e64 v32, 0, v35, s[2:3]
	v_cndmask_b32_e32 v33, v31, v29, vcc
	v_cndmask_b32_e32 v25, v25, v30, vcc
	;; [unrolled: 1-line block ×3, first 2 shown]
	v_add_u32_e32 v32, v32, v34
	v_cndmask_b32_e64 v34, v25, v33, s[0:1]
	v_cndmask_b32_e64 v25, v26, v25, s[0:1]
	v_cndmask_b32_e32 v26, v30, v28, vcc
	v_cndmask_b32_e64 v30, v33, v26, s[0:1]
	v_cndmask_b32_e64 v25, v25, v34, s[2:3]
	;; [unrolled: 1-line block ×3, first 2 shown]
	v_sub_u32_e32 v33, 32, v32
	v_alignbit_b32 v34, v25, v31, v33
	v_cmp_eq_u32_e64 s[4:5], 0, v32
	v_cndmask_b32_e64 v32, v34, v25, s[4:5]
	v_cndmask_b32_e32 v25, v29, v27, vcc
	v_cndmask_b32_e64 v26, v26, v25, s[0:1]
	v_cndmask_b32_e64 v27, v30, v26, s[2:3]
	v_alignbit_b32 v29, v31, v27, v33
	v_cndmask_b32_e32 v24, v28, v24, vcc
	v_cndmask_b32_e64 v29, v29, v31, s[4:5]
	v_bfe_u32 v34, v32, 29, 1
	v_cndmask_b32_e64 v24, v25, v24, s[0:1]
	v_alignbit_b32 v30, v32, v29, 30
	v_sub_u32_e32 v35, 0, v34
	v_cndmask_b32_e64 v24, v26, v24, s[2:3]
	v_xor_b32_e32 v30, v30, v35
	v_alignbit_b32 v25, v27, v24, v33
	v_cndmask_b32_e64 v25, v25, v27, s[4:5]
	v_ffbh_u32_e32 v27, v30
	v_alignbit_b32 v26, v29, v25, 30
	v_min_u32_e32 v27, 32, v27
	v_alignbit_b32 v24, v25, v24, 30
	v_xor_b32_e32 v26, v26, v35
	v_sub_u32_e32 v28, 31, v27
	v_xor_b32_e32 v24, v24, v35
	v_alignbit_b32 v29, v30, v26, v28
	v_alignbit_b32 v24, v26, v24, v28
	;; [unrolled: 1-line block ×3, first 2 shown]
	v_ffbh_u32_e32 v26, v25
	v_min_u32_e32 v26, 32, v26
	v_lshrrev_b32_e32 v31, 29, v32
	v_not_b32_e32 v28, v26
	v_alignbit_b32 v24, v25, v24, v28
	v_lshlrev_b32_e32 v25, 31, v31
	v_or_b32_e32 v28, 0x33000000, v25
	v_add_lshl_u32 v26, v26, v27, 23
	v_lshrrev_b32_e32 v24, 9, v24
	v_sub_u32_e32 v26, v28, v26
	v_or_b32_e32 v25, 0.5, v25
	v_lshlrev_b32_e32 v27, 23, v27
	v_or_b32_e32 v24, v26, v24
	v_lshrrev_b32_e32 v26, 9, v29
	v_sub_u32_e32 v25, v25, v27
	v_or_b32_e32 v25, v26, v25
	s_mov_b32 s0, 0x3fc90fda
	v_mul_f32_e32 v26, 0x3fc90fda, v25
	v_fma_f32 v27, v25, s0, -v26
	v_fmac_f32_e32 v27, 0x33a22168, v25
	v_fmac_f32_e32 v27, 0x3fc90fda, v24
	v_lshrrev_b32_e32 v24, 30, v32
	v_add_f32_e32 v25, v26, v27
	v_add_u32_e32 v24, v34, v24
.LBB75_149:
	s_andn2_saveexec_b64 s[0:1], s[12:13]
	s_cbranch_execz .LBB75_151
; %bb.150:
	s_mov_b32 s2, 0x3f22f983
	v_mul_f32_e64 v24, |v12|, s2
	v_rndne_f32_e32 v26, v24
	s_mov_b32 s2, 0xbfc90fda
	v_cvt_i32_f32_e32 v24, v26
	v_fma_f32 v25, v26, s2, |v12|
	v_fmac_f32_e32 v25, 0xb3a22168, v26
	v_fmac_f32_e32 v25, 0xa7c234c4, v26
.LBB75_151:
	s_or_b64 exec, exec, s[0:1]
	v_mul_f32_e32 v26, v25, v25
	v_mov_b32_e32 v27, 0x3c0881c4
	v_fmac_f32_e32 v27, 0xb94c1982, v26
	v_mov_b32_e32 v28, 0xbe2aaa9d
	v_fmac_f32_e32 v28, v26, v27
	v_mul_f32_e32 v27, v26, v28
	v_fmac_f32_e32 v25, v25, v27
	v_mov_b32_e32 v27, 0xbab64f3b
	v_fmac_f32_e32 v27, 0x37d75334, v26
	v_mov_b32_e32 v28, 0x3d2aabf7
	;; [unrolled: 2-line block ×3, first 2 shown]
	v_fmac_f32_e32 v27, v26, v28
	v_fma_f32 v26, v26, v27, 1.0
	v_and_b32_e32 v27, 1, v24
	v_lshlrev_b32_e32 v24, 30, v24
	v_cmp_eq_u32_e32 vcc, 0, v27
	v_and_b32_e32 v24, 0x80000000, v24
	v_xor_b32_e32 v23, v23, v12
	v_cndmask_b32_e32 v25, v26, v25, vcc
	v_xor_b32_e32 v23, v23, v24
	s_movk_i32 s0, 0x1f8
	v_xor_b32_e32 v23, v23, v25
	v_mov_b32_e32 v24, 0x7fc00000
	v_cmp_class_f32_e64 vcc, v12, s0
	v_cndmask_b32_e32 v12, v24, v23, vcc
	v_mul_f32_e32 v12, v12, v12
	s_mov_b32 s2, 0xc11de9e7
	v_div_scale_f32 v23, s[0:1], v12, v12, s2
	v_div_scale_f32 v24, vcc, s2, v12, s2
	v_sub_f32_e32 v22, 1.0, v22
	v_rcp_f32_e32 v25, v23
	v_fma_f32 v26, -v23, v25, 1.0
	v_fmac_f32_e32 v25, v26, v25
	v_mul_f32_e32 v26, v24, v25
	v_fma_f32 v27, -v23, v26, v24
	v_fmac_f32_e32 v26, v27, v25
	v_fma_f32 v23, -v23, v26, v24
	v_div_fmas_f32 v23, v23, v25, v26
	v_div_fixup_f32 v12, v23, v12, s2
	v_add_f32_e32 v24, 0, v12
	v_mov_b32_e32 v23, -1.0
.LBB75_152:
	s_or_b64 exec, exec, s[6:7]
	global_load_ushort v12, v13, s[10:11]
	v_mov_b32_e32 v29, 0
	v_mov_b32_e32 v28, 1.0
	s_waitcnt vmcnt(0)
	v_lshlrev_b32_e32 v27, 16, v12
	v_cmp_gt_f32_e32 vcc, 0.5, v27
	s_and_saveexec_b64 s[6:7], vcc
	s_cbranch_execz .LBB75_158
; %bb.153:
	v_mul_f32_e32 v12, 0x40490fdb, v27
	s_brev_b32 s0, 18
	v_and_b32_e32 v13, 0x7fffffff, v12
	v_cmp_nlt_f32_e64 s[0:1], |v12|, s0
                                        ; implicit-def: $vgpr25
                                        ; implicit-def: $vgpr26
	s_and_saveexec_b64 s[2:3], s[0:1]
	s_xor_b64 s[12:13], exec, s[2:3]
	s_cbranch_execz .LBB75_155
; %bb.154:
	v_and_b32_e32 v25, 0x7fffff, v13
	v_or_b32_e32 v36, 0x800000, v25
	s_mov_b32 s0, 0xfe5163ab
	v_mad_u64_u32 v[25:26], s[0:1], v36, s0, 0
	v_mov_b32_e32 v29, 0
	s_mov_b32 s0, 0x3c439041
	v_mov_b32_e32 v28, v26
	v_mad_u64_u32 v[30:31], s[0:1], v36, s0, v[28:29]
	s_mov_b32 s0, 0xdb629599
	v_lshrrev_b32_e32 v26, 23, v13
	v_mov_b32_e32 v28, v31
	v_mad_u64_u32 v[31:32], s[0:1], v36, s0, v[28:29]
	s_mov_b32 s0, 0xf534ddc0
	v_add_u32_e32 v26, 0xffffff88, v26
	v_mov_b32_e32 v28, v32
	v_mad_u64_u32 v[32:33], s[0:1], v36, s0, v[28:29]
	s_mov_b32 s0, 0xfc2757d1
	v_not_b32_e32 v35, 63
	v_mov_b32_e32 v28, v33
	v_mad_u64_u32 v[33:34], s[0:1], v36, s0, v[28:29]
	v_cmp_lt_u32_e32 vcc, 63, v26
	v_cndmask_b32_e32 v28, 0, v35, vcc
	v_add_u32_e32 v26, v28, v26
	v_mov_b32_e32 v28, v34
	s_mov_b32 s0, 0x4e441529
	v_mad_u64_u32 v[34:35], s[0:1], v36, s0, v[28:29]
	v_not_b32_e32 v37, 31
	v_cmp_lt_u32_e64 s[0:1], 31, v26
	v_cndmask_b32_e64 v28, 0, v37, s[0:1]
	v_add_u32_e32 v26, v28, v26
	v_mov_b32_e32 v28, v35
	s_mov_b32 s2, 0xa2f9836e
	v_mad_u64_u32 v[28:29], s[2:3], v36, s2, v[28:29]
	v_cmp_lt_u32_e64 s[2:3], 31, v26
	v_cndmask_b32_e64 v35, 0, v37, s[2:3]
	v_add_u32_e32 v26, v35, v26
	v_cndmask_b32_e32 v35, v34, v32, vcc
	v_cndmask_b32_e32 v28, v28, v33, vcc
	;; [unrolled: 1-line block ×3, first 2 shown]
	v_cndmask_b32_e64 v36, v28, v35, s[0:1]
	v_cndmask_b32_e64 v28, v29, v28, s[0:1]
	v_cndmask_b32_e32 v29, v33, v31, vcc
	v_cndmask_b32_e64 v33, v35, v29, s[0:1]
	v_sub_u32_e32 v35, 32, v26
	v_cmp_eq_u32_e64 s[4:5], 0, v26
	v_cndmask_b32_e32 v26, v32, v30, vcc
	v_cndmask_b32_e64 v28, v28, v36, s[2:3]
	v_cndmask_b32_e64 v34, v36, v33, s[2:3]
	;; [unrolled: 1-line block ×3, first 2 shown]
	v_alignbit_b32 v36, v28, v34, v35
	v_cndmask_b32_e64 v30, v33, v29, s[2:3]
	v_cndmask_b32_e64 v28, v36, v28, s[4:5]
	v_alignbit_b32 v32, v34, v30, v35
	v_cndmask_b32_e32 v25, v31, v25, vcc
	v_cndmask_b32_e64 v32, v32, v34, s[4:5]
	v_bfe_u32 v36, v28, 29, 1
	v_cndmask_b32_e64 v25, v26, v25, s[0:1]
	v_alignbit_b32 v33, v28, v32, 30
	v_sub_u32_e32 v37, 0, v36
	v_cndmask_b32_e64 v25, v29, v25, s[2:3]
	v_xor_b32_e32 v33, v33, v37
	v_alignbit_b32 v26, v30, v25, v35
	v_cndmask_b32_e64 v26, v26, v30, s[4:5]
	v_ffbh_u32_e32 v30, v33
	v_alignbit_b32 v29, v32, v26, 30
	v_min_u32_e32 v30, 32, v30
	v_alignbit_b32 v25, v26, v25, 30
	v_xor_b32_e32 v29, v29, v37
	v_sub_u32_e32 v31, 31, v30
	v_xor_b32_e32 v25, v25, v37
	v_alignbit_b32 v32, v33, v29, v31
	v_alignbit_b32 v25, v29, v25, v31
	;; [unrolled: 1-line block ×3, first 2 shown]
	v_ffbh_u32_e32 v29, v26
	v_min_u32_e32 v29, 32, v29
	v_lshrrev_b32_e32 v34, 29, v28
	v_not_b32_e32 v31, v29
	v_alignbit_b32 v25, v26, v25, v31
	v_lshlrev_b32_e32 v26, 31, v34
	v_or_b32_e32 v31, 0x33000000, v26
	v_add_lshl_u32 v29, v29, v30, 23
	v_lshrrev_b32_e32 v25, 9, v25
	v_sub_u32_e32 v29, v31, v29
	v_or_b32_e32 v26, 0.5, v26
	v_lshlrev_b32_e32 v30, 23, v30
	v_or_b32_e32 v25, v29, v25
	v_lshrrev_b32_e32 v29, 9, v32
	v_sub_u32_e32 v26, v26, v30
	v_or_b32_e32 v26, v29, v26
	s_mov_b32 s0, 0x3fc90fda
	v_mul_f32_e32 v29, 0x3fc90fda, v26
	v_fma_f32 v30, v26, s0, -v29
	v_fmac_f32_e32 v30, 0x33a22168, v26
	v_fmac_f32_e32 v30, 0x3fc90fda, v25
	v_lshrrev_b32_e32 v25, 30, v28
	v_add_f32_e32 v26, v29, v30
	v_add_u32_e32 v25, v36, v25
.LBB75_155:
	s_andn2_saveexec_b64 s[0:1], s[12:13]
	s_cbranch_execz .LBB75_157
; %bb.156:
	s_mov_b32 s2, 0x3f22f983
	v_mul_f32_e64 v25, |v12|, s2
	v_rndne_f32_e32 v28, v25
	s_mov_b32 s2, 0xbfc90fda
	v_cvt_i32_f32_e32 v25, v28
	v_fma_f32 v26, v28, s2, |v12|
	v_fmac_f32_e32 v26, 0xb3a22168, v28
	v_fmac_f32_e32 v26, 0xa7c234c4, v28
.LBB75_157:
	s_or_b64 exec, exec, s[0:1]
	v_mul_f32_e32 v28, v26, v26
	v_mov_b32_e32 v29, 0x3c0881c4
	v_fmac_f32_e32 v29, 0xb94c1982, v28
	v_mov_b32_e32 v30, 0xbe2aaa9d
	v_fmac_f32_e32 v30, v28, v29
	v_mul_f32_e32 v29, v28, v30
	v_fmac_f32_e32 v26, v26, v29
	v_mov_b32_e32 v29, 0xbab64f3b
	v_fmac_f32_e32 v29, 0x37d75334, v28
	v_mov_b32_e32 v30, 0x3d2aabf7
	;; [unrolled: 2-line block ×3, first 2 shown]
	v_fmac_f32_e32 v29, v28, v30
	v_fma_f32 v28, v28, v29, 1.0
	v_and_b32_e32 v29, 1, v25
	v_lshlrev_b32_e32 v25, 30, v25
	v_cmp_eq_u32_e32 vcc, 0, v29
	v_and_b32_e32 v25, 0x80000000, v25
	v_xor_b32_e32 v13, v13, v12
	v_cndmask_b32_e32 v26, v28, v26, vcc
	v_xor_b32_e32 v13, v13, v25
	s_movk_i32 s0, 0x1f8
	v_xor_b32_e32 v13, v13, v26
	v_mov_b32_e32 v25, 0x7fc00000
	v_cmp_class_f32_e64 vcc, v12, s0
	v_cndmask_b32_e32 v12, v25, v13, vcc
	v_mul_f32_e32 v12, v12, v12
	s_mov_b32 s2, 0xc11de9e7
	v_div_scale_f32 v13, s[0:1], v12, v12, s2
	v_div_scale_f32 v25, vcc, s2, v12, s2
	v_sub_f32_e32 v27, 1.0, v27
	v_rcp_f32_e32 v26, v13
	v_fma_f32 v28, -v13, v26, 1.0
	v_fmac_f32_e32 v26, v28, v26
	v_mul_f32_e32 v28, v25, v26
	v_fma_f32 v29, -v13, v28, v25
	v_fmac_f32_e32 v28, v29, v26
	v_fma_f32 v13, -v13, v28, v25
	v_div_fmas_f32 v13, v13, v26, v28
	v_mov_b32_e32 v28, -1.0
	v_div_fixup_f32 v12, v13, v12, s2
	v_add_f32_e32 v29, 0, v12
.LBB75_158:
	s_or_b64 exec, exec, s[6:7]
	global_load_ushort v12, v14, s[10:11]
	v_mov_b32_e32 v32, 0
	v_mov_b32_e32 v31, 1.0
	s_waitcnt vmcnt(0)
	v_lshlrev_b32_e32 v30, 16, v12
	v_cmp_gt_f32_e32 vcc, 0.5, v30
	s_and_saveexec_b64 s[6:7], vcc
	s_cbranch_execz .LBB75_164
; %bb.159:
	v_mul_f32_e32 v12, 0x40490fdb, v30
	s_brev_b32 s0, 18
	v_and_b32_e32 v13, 0x7fffffff, v12
	v_cmp_nlt_f32_e64 s[0:1], |v12|, s0
                                        ; implicit-def: $vgpr14
                                        ; implicit-def: $vgpr25
	s_and_saveexec_b64 s[2:3], s[0:1]
	s_xor_b64 s[12:13], exec, s[2:3]
	s_cbranch_execz .LBB75_161
; %bb.160:
	v_and_b32_e32 v14, 0x7fffff, v13
	v_or_b32_e32 v14, 0x800000, v14
	s_mov_b32 s0, 0xfe5163ab
	v_mad_u64_u32 v[25:26], s[0:1], v14, s0, 0
	v_mov_b32_e32 v32, 0
	s_mov_b32 s0, 0x3c439041
	v_mov_b32_e32 v31, v26
	v_mad_u64_u32 v[33:34], s[0:1], v14, s0, v[31:32]
	s_mov_b32 s0, 0xdb629599
	v_lshrrev_b32_e32 v26, 23, v13
	v_mov_b32_e32 v31, v34
	v_mad_u64_u32 v[34:35], s[0:1], v14, s0, v[31:32]
	s_mov_b32 s0, 0xf534ddc0
	v_add_u32_e32 v26, 0xffffff88, v26
	v_mov_b32_e32 v31, v35
	v_mad_u64_u32 v[35:36], s[0:1], v14, s0, v[31:32]
	s_mov_b32 s0, 0xfc2757d1
	v_not_b32_e32 v38, 63
	v_mov_b32_e32 v31, v36
	v_mad_u64_u32 v[36:37], s[0:1], v14, s0, v[31:32]
	v_cmp_lt_u32_e32 vcc, 63, v26
	v_cndmask_b32_e32 v31, 0, v38, vcc
	v_add_u32_e32 v26, v31, v26
	v_mov_b32_e32 v31, v37
	s_mov_b32 s0, 0x4e441529
	v_mad_u64_u32 v[37:38], s[0:1], v14, s0, v[31:32]
	v_not_b32_e32 v39, 31
	v_cmp_lt_u32_e64 s[0:1], 31, v26
	v_cndmask_b32_e64 v31, 0, v39, s[0:1]
	v_add_u32_e32 v26, v31, v26
	v_mov_b32_e32 v31, v38
	s_mov_b32 s2, 0xa2f9836e
	v_mad_u64_u32 v[31:32], s[2:3], v14, s2, v[31:32]
	v_cmp_lt_u32_e64 s[2:3], 31, v26
	v_cndmask_b32_e64 v14, 0, v39, s[2:3]
	v_add_u32_e32 v14, v14, v26
	v_cndmask_b32_e32 v26, v37, v35, vcc
	v_cndmask_b32_e32 v31, v31, v36, vcc
	;; [unrolled: 1-line block ×3, first 2 shown]
	v_cndmask_b32_e64 v38, v31, v26, s[0:1]
	v_cndmask_b32_e64 v31, v32, v31, s[0:1]
	v_cndmask_b32_e32 v32, v36, v34, vcc
	v_cndmask_b32_e64 v26, v26, v32, s[0:1]
	v_cndmask_b32_e64 v31, v31, v38, s[2:3]
	v_cndmask_b32_e64 v36, v38, v26, s[2:3]
	v_sub_u32_e32 v37, 32, v14
	v_alignbit_b32 v38, v31, v36, v37
	v_cmp_eq_u32_e64 s[4:5], 0, v14
	v_cndmask_b32_e64 v14, v38, v31, s[4:5]
	v_cndmask_b32_e32 v31, v35, v33, vcc
	v_cndmask_b32_e64 v32, v32, v31, s[0:1]
	v_cndmask_b32_e64 v26, v26, v32, s[2:3]
	v_alignbit_b32 v33, v36, v26, v37
	v_cndmask_b32_e32 v25, v34, v25, vcc
	v_cndmask_b32_e64 v33, v33, v36, s[4:5]
	v_bfe_u32 v38, v14, 29, 1
	v_cndmask_b32_e64 v25, v31, v25, s[0:1]
	v_alignbit_b32 v35, v14, v33, 30
	v_sub_u32_e32 v39, 0, v38
	v_cndmask_b32_e64 v25, v32, v25, s[2:3]
	v_xor_b32_e32 v35, v35, v39
	v_alignbit_b32 v31, v26, v25, v37
	v_cndmask_b32_e64 v26, v31, v26, s[4:5]
	v_ffbh_u32_e32 v32, v35
	v_alignbit_b32 v31, v33, v26, 30
	v_min_u32_e32 v32, 32, v32
	v_alignbit_b32 v25, v26, v25, 30
	v_xor_b32_e32 v31, v31, v39
	v_sub_u32_e32 v33, 31, v32
	v_xor_b32_e32 v25, v25, v39
	v_alignbit_b32 v34, v35, v31, v33
	v_alignbit_b32 v25, v31, v25, v33
	v_alignbit_b32 v26, v34, v25, 9
	v_ffbh_u32_e32 v31, v26
	v_min_u32_e32 v31, 32, v31
	v_lshrrev_b32_e32 v36, 29, v14
	v_not_b32_e32 v33, v31
	v_alignbit_b32 v25, v26, v25, v33
	v_lshlrev_b32_e32 v26, 31, v36
	v_or_b32_e32 v33, 0x33000000, v26
	v_add_lshl_u32 v31, v31, v32, 23
	v_lshrrev_b32_e32 v25, 9, v25
	v_sub_u32_e32 v31, v33, v31
	v_or_b32_e32 v26, 0.5, v26
	v_lshlrev_b32_e32 v32, 23, v32
	v_or_b32_e32 v25, v31, v25
	v_lshrrev_b32_e32 v31, 9, v34
	v_sub_u32_e32 v26, v26, v32
	v_or_b32_e32 v26, v31, v26
	s_mov_b32 s0, 0x3fc90fda
	v_mul_f32_e32 v31, 0x3fc90fda, v26
	v_fma_f32 v32, v26, s0, -v31
	v_fmac_f32_e32 v32, 0x33a22168, v26
	v_fmac_f32_e32 v32, 0x3fc90fda, v25
	v_lshrrev_b32_e32 v14, 30, v14
	v_add_f32_e32 v25, v31, v32
	v_add_u32_e32 v14, v38, v14
.LBB75_161:
	s_andn2_saveexec_b64 s[0:1], s[12:13]
	s_cbranch_execz .LBB75_163
; %bb.162:
	s_mov_b32 s2, 0x3f22f983
	v_mul_f32_e64 v14, |v12|, s2
	v_rndne_f32_e32 v26, v14
	s_mov_b32 s2, 0xbfc90fda
	v_cvt_i32_f32_e32 v14, v26
	v_fma_f32 v25, v26, s2, |v12|
	v_fmac_f32_e32 v25, 0xb3a22168, v26
	v_fmac_f32_e32 v25, 0xa7c234c4, v26
.LBB75_163:
	s_or_b64 exec, exec, s[0:1]
	v_mul_f32_e32 v26, v25, v25
	v_mov_b32_e32 v31, 0x3c0881c4
	v_fmac_f32_e32 v31, 0xb94c1982, v26
	v_mov_b32_e32 v32, 0xbe2aaa9d
	v_fmac_f32_e32 v32, v26, v31
	v_mul_f32_e32 v31, v26, v32
	v_fmac_f32_e32 v25, v25, v31
	v_mov_b32_e32 v31, 0xbab64f3b
	v_fmac_f32_e32 v31, 0x37d75334, v26
	v_mov_b32_e32 v32, 0x3d2aabf7
	;; [unrolled: 2-line block ×3, first 2 shown]
	v_fmac_f32_e32 v31, v26, v32
	v_fma_f32 v26, v26, v31, 1.0
	v_and_b32_e32 v31, 1, v14
	v_lshlrev_b32_e32 v14, 30, v14
	v_cmp_eq_u32_e32 vcc, 0, v31
	v_and_b32_e32 v14, 0x80000000, v14
	v_xor_b32_e32 v13, v13, v12
	v_cndmask_b32_e32 v25, v26, v25, vcc
	v_xor_b32_e32 v13, v13, v14
	s_movk_i32 s0, 0x1f8
	v_xor_b32_e32 v13, v13, v25
	v_mov_b32_e32 v14, 0x7fc00000
	v_cmp_class_f32_e64 vcc, v12, s0
	v_cndmask_b32_e32 v12, v14, v13, vcc
	v_mul_f32_e32 v12, v12, v12
	s_mov_b32 s2, 0xc11de9e7
	v_div_scale_f32 v13, s[0:1], v12, v12, s2
	v_div_scale_f32 v14, vcc, s2, v12, s2
	v_sub_f32_e32 v30, 1.0, v30
	v_rcp_f32_e32 v25, v13
	v_fma_f32 v26, -v13, v25, 1.0
	v_fmac_f32_e32 v25, v26, v25
	v_mul_f32_e32 v26, v14, v25
	v_fma_f32 v31, -v13, v26, v14
	v_fmac_f32_e32 v26, v31, v25
	v_fma_f32 v13, -v13, v26, v14
	v_div_fmas_f32 v13, v13, v25, v26
	v_mov_b32_e32 v31, -1.0
	v_div_fixup_f32 v12, v13, v12, s2
	v_add_f32_e32 v32, 0, v12
.LBB75_164:
	s_or_b64 exec, exec, s[6:7]
	global_load_ushort v12, v15, s[10:11]
	v_mov_b32_e32 v26, 0
	v_mov_b32_e32 v14, 1.0
	s_waitcnt vmcnt(0)
	v_lshlrev_b32_e32 v13, 16, v12
	v_cmp_gt_f32_e32 vcc, 0.5, v13
	s_and_saveexec_b64 s[6:7], vcc
	s_cbranch_execz .LBB75_170
; %bb.165:
	v_mul_f32_e32 v12, 0x40490fdb, v13
	s_brev_b32 s0, 18
	v_and_b32_e32 v14, 0x7fffffff, v12
	v_cmp_nlt_f32_e64 s[0:1], |v12|, s0
                                        ; implicit-def: $vgpr15
                                        ; implicit-def: $vgpr25
	s_and_saveexec_b64 s[2:3], s[0:1]
	s_xor_b64 s[12:13], exec, s[2:3]
	s_cbranch_execz .LBB75_167
; %bb.166:
	v_and_b32_e32 v15, 0x7fffff, v14
	v_or_b32_e32 v15, 0x800000, v15
	s_mov_b32 s0, 0xfe5163ab
	v_mad_u64_u32 v[25:26], s[0:1], v15, s0, 0
	v_mov_b32_e32 v34, 0
	s_mov_b32 s0, 0x3c439041
	v_mov_b32_e32 v33, v26
	v_mad_u64_u32 v[35:36], s[0:1], v15, s0, v[33:34]
	s_mov_b32 s0, 0xdb629599
	v_lshrrev_b32_e32 v26, 23, v14
	v_mov_b32_e32 v33, v36
	v_mad_u64_u32 v[36:37], s[0:1], v15, s0, v[33:34]
	s_mov_b32 s0, 0xf534ddc0
	v_add_u32_e32 v26, 0xffffff88, v26
	v_mov_b32_e32 v33, v37
	v_mad_u64_u32 v[37:38], s[0:1], v15, s0, v[33:34]
	s_mov_b32 s0, 0xfc2757d1
	v_not_b32_e32 v40, 63
	v_mov_b32_e32 v33, v38
	v_mad_u64_u32 v[38:39], s[0:1], v15, s0, v[33:34]
	v_cmp_lt_u32_e32 vcc, 63, v26
	v_cndmask_b32_e32 v33, 0, v40, vcc
	v_add_u32_e32 v26, v33, v26
	v_mov_b32_e32 v33, v39
	s_mov_b32 s0, 0x4e441529
	v_mad_u64_u32 v[39:40], s[0:1], v15, s0, v[33:34]
	v_not_b32_e32 v41, 31
	v_cmp_lt_u32_e64 s[0:1], 31, v26
	v_cndmask_b32_e64 v33, 0, v41, s[0:1]
	v_add_u32_e32 v26, v33, v26
	v_mov_b32_e32 v33, v40
	s_mov_b32 s2, 0xa2f9836e
	v_mad_u64_u32 v[33:34], s[2:3], v15, s2, v[33:34]
	v_cmp_lt_u32_e64 s[2:3], 31, v26
	v_cndmask_b32_e64 v15, 0, v41, s[2:3]
	v_add_u32_e32 v15, v15, v26
	v_cndmask_b32_e32 v26, v39, v37, vcc
	v_cndmask_b32_e32 v33, v33, v38, vcc
	;; [unrolled: 1-line block ×3, first 2 shown]
	v_cndmask_b32_e64 v40, v33, v26, s[0:1]
	v_cndmask_b32_e64 v33, v34, v33, s[0:1]
	v_cndmask_b32_e32 v34, v38, v36, vcc
	v_cndmask_b32_e64 v26, v26, v34, s[0:1]
	v_cndmask_b32_e64 v33, v33, v40, s[2:3]
	;; [unrolled: 1-line block ×3, first 2 shown]
	v_sub_u32_e32 v39, 32, v15
	v_alignbit_b32 v40, v33, v38, v39
	v_cmp_eq_u32_e64 s[4:5], 0, v15
	v_cndmask_b32_e64 v15, v40, v33, s[4:5]
	v_cndmask_b32_e32 v33, v37, v35, vcc
	v_cndmask_b32_e64 v34, v34, v33, s[0:1]
	v_cndmask_b32_e64 v26, v26, v34, s[2:3]
	v_alignbit_b32 v35, v38, v26, v39
	v_cndmask_b32_e32 v25, v36, v25, vcc
	v_cndmask_b32_e64 v35, v35, v38, s[4:5]
	v_bfe_u32 v40, v15, 29, 1
	v_cndmask_b32_e64 v25, v33, v25, s[0:1]
	v_alignbit_b32 v37, v15, v35, 30
	v_sub_u32_e32 v41, 0, v40
	v_cndmask_b32_e64 v25, v34, v25, s[2:3]
	v_xor_b32_e32 v37, v37, v41
	v_alignbit_b32 v33, v26, v25, v39
	v_cndmask_b32_e64 v26, v33, v26, s[4:5]
	v_ffbh_u32_e32 v34, v37
	v_alignbit_b32 v33, v35, v26, 30
	v_min_u32_e32 v34, 32, v34
	v_alignbit_b32 v25, v26, v25, 30
	v_xor_b32_e32 v33, v33, v41
	v_sub_u32_e32 v35, 31, v34
	v_xor_b32_e32 v25, v25, v41
	v_alignbit_b32 v36, v37, v33, v35
	v_alignbit_b32 v25, v33, v25, v35
	;; [unrolled: 1-line block ×3, first 2 shown]
	v_ffbh_u32_e32 v33, v26
	v_min_u32_e32 v33, 32, v33
	v_lshrrev_b32_e32 v38, 29, v15
	v_not_b32_e32 v35, v33
	v_alignbit_b32 v25, v26, v25, v35
	v_lshlrev_b32_e32 v26, 31, v38
	v_or_b32_e32 v35, 0x33000000, v26
	v_add_lshl_u32 v33, v33, v34, 23
	v_lshrrev_b32_e32 v25, 9, v25
	v_sub_u32_e32 v33, v35, v33
	v_or_b32_e32 v26, 0.5, v26
	v_lshlrev_b32_e32 v34, 23, v34
	v_or_b32_e32 v25, v33, v25
	v_lshrrev_b32_e32 v33, 9, v36
	v_sub_u32_e32 v26, v26, v34
	v_or_b32_e32 v26, v33, v26
	s_mov_b32 s0, 0x3fc90fda
	v_mul_f32_e32 v33, 0x3fc90fda, v26
	v_fma_f32 v34, v26, s0, -v33
	v_fmac_f32_e32 v34, 0x33a22168, v26
	v_fmac_f32_e32 v34, 0x3fc90fda, v25
	v_lshrrev_b32_e32 v15, 30, v15
	v_add_f32_e32 v25, v33, v34
	v_add_u32_e32 v15, v40, v15
.LBB75_167:
	s_andn2_saveexec_b64 s[0:1], s[12:13]
	s_cbranch_execz .LBB75_169
; %bb.168:
	s_mov_b32 s2, 0x3f22f983
	v_mul_f32_e64 v15, |v12|, s2
	v_rndne_f32_e32 v26, v15
	s_mov_b32 s2, 0xbfc90fda
	v_cvt_i32_f32_e32 v15, v26
	v_fma_f32 v25, v26, s2, |v12|
	v_fmac_f32_e32 v25, 0xb3a22168, v26
	v_fmac_f32_e32 v25, 0xa7c234c4, v26
.LBB75_169:
	s_or_b64 exec, exec, s[0:1]
	v_mul_f32_e32 v26, v25, v25
	v_mov_b32_e32 v33, 0x3c0881c4
	v_fmac_f32_e32 v33, 0xb94c1982, v26
	v_mov_b32_e32 v34, 0xbe2aaa9d
	v_fmac_f32_e32 v34, v26, v33
	v_mul_f32_e32 v33, v26, v34
	v_fmac_f32_e32 v25, v25, v33
	v_mov_b32_e32 v33, 0xbab64f3b
	v_fmac_f32_e32 v33, 0x37d75334, v26
	v_mov_b32_e32 v34, 0x3d2aabf7
	;; [unrolled: 2-line block ×3, first 2 shown]
	v_fmac_f32_e32 v33, v26, v34
	v_fma_f32 v26, v26, v33, 1.0
	v_and_b32_e32 v33, 1, v15
	v_lshlrev_b32_e32 v15, 30, v15
	v_cmp_eq_u32_e32 vcc, 0, v33
	v_and_b32_e32 v15, 0x80000000, v15
	v_xor_b32_e32 v14, v14, v12
	v_cndmask_b32_e32 v25, v26, v25, vcc
	v_xor_b32_e32 v14, v14, v15
	s_movk_i32 s0, 0x1f8
	v_xor_b32_e32 v14, v14, v25
	v_mov_b32_e32 v15, 0x7fc00000
	v_cmp_class_f32_e64 vcc, v12, s0
	v_cndmask_b32_e32 v12, v15, v14, vcc
	v_mul_f32_e32 v12, v12, v12
	s_mov_b32 s2, 0xc11de9e7
	v_div_scale_f32 v14, s[0:1], v12, v12, s2
	v_div_scale_f32 v15, vcc, s2, v12, s2
	v_sub_f32_e32 v13, 1.0, v13
	v_rcp_f32_e32 v25, v14
	v_fma_f32 v26, -v14, v25, 1.0
	v_fmac_f32_e32 v25, v26, v25
	v_mul_f32_e32 v26, v15, v25
	v_fma_f32 v33, -v14, v26, v15
	v_fmac_f32_e32 v26, v33, v25
	v_fma_f32 v14, -v14, v26, v15
	v_div_fmas_f32 v14, v14, v25, v26
	v_div_fixup_f32 v12, v14, v12, s2
	v_add_f32_e32 v26, 0, v12
	v_mov_b32_e32 v14, -1.0
.LBB75_170:
	s_or_b64 exec, exec, s[6:7]
	global_load_ushort v12, v16, s[10:11]
	v_mov_b32_e32 v25, 0
	s_waitcnt vmcnt(0)
	v_lshlrev_b32_e32 v15, 16, v12
	v_cmp_gt_f32_e32 vcc, 0.5, v15
	v_mov_b32_e32 v12, 1.0
	s_and_saveexec_b64 s[6:7], vcc
	s_cbranch_execz .LBB75_176
; %bb.171:
	v_mul_f32_e32 v12, 0x40490fdb, v15
	s_brev_b32 s0, 18
	v_and_b32_e32 v16, 0x7fffffff, v12
	v_cmp_nlt_f32_e64 s[0:1], |v12|, s0
                                        ; implicit-def: $vgpr25
                                        ; implicit-def: $vgpr33
	s_and_saveexec_b64 s[2:3], s[0:1]
	s_xor_b64 s[10:11], exec, s[2:3]
	s_cbranch_execz .LBB75_173
; %bb.172:
	v_and_b32_e32 v25, 0x7fffff, v16
	v_or_b32_e32 v25, 0x800000, v25
	s_mov_b32 s0, 0xfe5163ab
	v_mad_u64_u32 v[33:34], s[0:1], v25, s0, 0
	v_mov_b32_e32 v35, 0
	s_mov_b32 s0, 0x3c439041
	v_mad_u64_u32 v[36:37], s[0:1], v25, s0, v[34:35]
	s_mov_b32 s0, 0xdb629599
	v_not_b32_e32 v41, 63
	v_mov_b32_e32 v34, v37
	v_mad_u64_u32 v[37:38], s[0:1], v25, s0, v[34:35]
	s_mov_b32 s0, 0xf534ddc0
	v_not_b32_e32 v43, 31
	v_mov_b32_e32 v34, v38
	v_mad_u64_u32 v[38:39], s[0:1], v25, s0, v[34:35]
	v_lshrrev_b32_e32 v34, 23, v16
	v_add_u32_e32 v42, 0xffffff88, v34
	v_mov_b32_e32 v34, v39
	s_mov_b32 s0, 0xfc2757d1
	v_mad_u64_u32 v[39:40], s[0:1], v25, s0, v[34:35]
	v_cmp_lt_u32_e32 vcc, 63, v42
	v_cndmask_b32_e32 v34, 0, v41, vcc
	v_add_u32_e32 v42, v34, v42
	v_mov_b32_e32 v34, v40
	s_mov_b32 s0, 0x4e441529
	v_mad_u64_u32 v[40:41], s[0:1], v25, s0, v[34:35]
	v_cmp_lt_u32_e64 s[0:1], 31, v42
	v_cndmask_b32_e64 v34, 0, v43, s[0:1]
	v_add_u32_e32 v42, v34, v42
	v_mov_b32_e32 v34, v41
	s_mov_b32 s2, 0xa2f9836e
	v_mad_u64_u32 v[34:35], s[2:3], v25, s2, v[34:35]
	v_cmp_lt_u32_e64 s[2:3], 31, v42
	v_cndmask_b32_e64 v25, 0, v43, s[2:3]
	v_cndmask_b32_e32 v41, v40, v38, vcc
	v_cndmask_b32_e32 v34, v34, v39, vcc
	;; [unrolled: 1-line block ×3, first 2 shown]
	v_add_u32_e32 v25, v25, v42
	v_cndmask_b32_e64 v42, v34, v41, s[0:1]
	v_cndmask_b32_e64 v34, v35, v34, s[0:1]
	v_cndmask_b32_e32 v35, v39, v37, vcc
	v_cndmask_b32_e64 v39, v41, v35, s[0:1]
	v_cndmask_b32_e64 v34, v34, v42, s[2:3]
	v_cndmask_b32_e64 v40, v42, v39, s[2:3]
	v_sub_u32_e32 v41, 32, v25
	v_alignbit_b32 v42, v34, v40, v41
	v_cmp_eq_u32_e64 s[4:5], 0, v25
	v_cndmask_b32_e64 v25, v42, v34, s[4:5]
	v_cndmask_b32_e32 v34, v38, v36, vcc
	v_cndmask_b32_e64 v35, v35, v34, s[0:1]
	v_cndmask_b32_e64 v36, v39, v35, s[2:3]
	v_alignbit_b32 v38, v40, v36, v41
	v_cndmask_b32_e32 v33, v37, v33, vcc
	v_cndmask_b32_e64 v38, v38, v40, s[4:5]
	v_bfe_u32 v42, v25, 29, 1
	v_cndmask_b32_e64 v33, v34, v33, s[0:1]
	v_alignbit_b32 v39, v25, v38, 30
	v_sub_u32_e32 v43, 0, v42
	v_cndmask_b32_e64 v33, v35, v33, s[2:3]
	v_xor_b32_e32 v39, v39, v43
	v_alignbit_b32 v34, v36, v33, v41
	v_cndmask_b32_e64 v34, v34, v36, s[4:5]
	v_ffbh_u32_e32 v36, v39
	v_alignbit_b32 v35, v38, v34, 30
	v_min_u32_e32 v36, 32, v36
	v_alignbit_b32 v33, v34, v33, 30
	v_xor_b32_e32 v35, v35, v43
	v_sub_u32_e32 v37, 31, v36
	v_xor_b32_e32 v33, v33, v43
	v_alignbit_b32 v38, v39, v35, v37
	v_alignbit_b32 v33, v35, v33, v37
	;; [unrolled: 1-line block ×3, first 2 shown]
	v_ffbh_u32_e32 v35, v34
	v_min_u32_e32 v35, 32, v35
	v_lshrrev_b32_e32 v40, 29, v25
	v_not_b32_e32 v37, v35
	v_alignbit_b32 v33, v34, v33, v37
	v_lshlrev_b32_e32 v34, 31, v40
	v_or_b32_e32 v37, 0x33000000, v34
	v_add_lshl_u32 v35, v35, v36, 23
	v_lshrrev_b32_e32 v33, 9, v33
	v_sub_u32_e32 v35, v37, v35
	v_or_b32_e32 v34, 0.5, v34
	v_lshlrev_b32_e32 v36, 23, v36
	v_or_b32_e32 v33, v35, v33
	v_lshrrev_b32_e32 v35, 9, v38
	v_sub_u32_e32 v34, v34, v36
	v_or_b32_e32 v34, v35, v34
	s_mov_b32 s0, 0x3fc90fda
	v_mul_f32_e32 v35, 0x3fc90fda, v34
	v_fma_f32 v36, v34, s0, -v35
	v_fmac_f32_e32 v36, 0x33a22168, v34
	v_fmac_f32_e32 v36, 0x3fc90fda, v33
	v_lshrrev_b32_e32 v25, 30, v25
	v_add_f32_e32 v33, v35, v36
	v_add_u32_e32 v25, v42, v25
.LBB75_173:
	s_andn2_saveexec_b64 s[0:1], s[10:11]
	s_cbranch_execz .LBB75_175
; %bb.174:
	s_mov_b32 s2, 0x3f22f983
	v_mul_f32_e64 v25, |v12|, s2
	v_rndne_f32_e32 v34, v25
	s_mov_b32 s2, 0xbfc90fda
	v_cvt_i32_f32_e32 v25, v34
	v_fma_f32 v33, v34, s2, |v12|
	v_fmac_f32_e32 v33, 0xb3a22168, v34
	v_fmac_f32_e32 v33, 0xa7c234c4, v34
.LBB75_175:
	s_or_b64 exec, exec, s[0:1]
	v_mul_f32_e32 v34, v33, v33
	v_mov_b32_e32 v35, 0x3c0881c4
	v_fmac_f32_e32 v35, 0xb94c1982, v34
	v_mov_b32_e32 v36, 0xbe2aaa9d
	v_fmac_f32_e32 v36, v34, v35
	v_mul_f32_e32 v35, v34, v36
	v_fmac_f32_e32 v33, v33, v35
	v_mov_b32_e32 v35, 0xbab64f3b
	v_fmac_f32_e32 v35, 0x37d75334, v34
	v_mov_b32_e32 v36, 0x3d2aabf7
	;; [unrolled: 2-line block ×3, first 2 shown]
	v_fmac_f32_e32 v35, v34, v36
	v_fma_f32 v34, v34, v35, 1.0
	v_and_b32_e32 v35, 1, v25
	v_lshlrev_b32_e32 v25, 30, v25
	v_cmp_eq_u32_e32 vcc, 0, v35
	v_and_b32_e32 v25, 0x80000000, v25
	v_xor_b32_e32 v16, v16, v12
	v_cndmask_b32_e32 v33, v34, v33, vcc
	v_xor_b32_e32 v16, v16, v25
	s_movk_i32 s0, 0x1f8
	v_xor_b32_e32 v16, v16, v33
	v_mov_b32_e32 v25, 0x7fc00000
	v_cmp_class_f32_e64 vcc, v12, s0
	v_cndmask_b32_e32 v12, v25, v16, vcc
	v_mul_f32_e32 v12, v12, v12
	s_mov_b32 s2, 0xc11de9e7
	v_div_scale_f32 v16, s[0:1], v12, v12, s2
	v_div_scale_f32 v25, vcc, s2, v12, s2
	v_sub_f32_e32 v15, 1.0, v15
	v_rcp_f32_e32 v33, v16
	v_fma_f32 v34, -v16, v33, 1.0
	v_fmac_f32_e32 v33, v34, v33
	v_mul_f32_e32 v34, v25, v33
	v_fma_f32 v35, -v16, v34, v25
	v_fmac_f32_e32 v34, v35, v33
	v_fma_f32 v16, -v16, v34, v25
	v_div_fmas_f32 v16, v16, v33, v34
	v_div_fixup_f32 v12, v16, v12, s2
	v_add_f32_e32 v25, 0, v12
	v_mov_b32_e32 v12, -1.0
.LBB75_176:
	s_or_b64 exec, exec, s[6:7]
	v_mul_f32_e32 v16, v13, v13
	v_div_scale_f32 v33, s[0:1], v16, v16, 1.0
	v_add_f32_e32 v13, 1.0, v13
	v_rcp_f32_e32 v34, v33
	v_fma_f32 v35, -v33, v34, 1.0
	v_fmac_f32_e32 v34, v35, v34
	v_div_scale_f32 v35, vcc, 1.0, v16, 1.0
	v_mul_f32_e32 v36, v35, v34
	v_fma_f32 v37, -v33, v36, v35
	v_fmac_f32_e32 v36, v37, v34
	v_fma_f32 v33, -v33, v36, v35
	v_div_fmas_f32 v33, v33, v34, v36
	v_div_fixup_f32 v16, v33, v16, 1.0
	v_add_f32_e32 v16, v26, v16
	v_mul_f32_e32 v26, v13, v13
	v_div_scale_f32 v33, s[0:1], v26, v26, 1.0
	v_add_f32_e32 v13, 1.0, v13
	v_rcp_f32_e32 v34, v33
	v_fma_f32 v35, -v33, v34, 1.0
	v_fmac_f32_e32 v34, v35, v34
	v_div_scale_f32 v35, vcc, 1.0, v26, 1.0
	v_mul_f32_e32 v36, v35, v34
	v_fma_f32 v37, -v33, v36, v35
	v_fmac_f32_e32 v36, v37, v34
	v_fma_f32 v33, -v33, v36, v35
	v_div_fmas_f32 v33, v33, v34, v36
	v_div_fixup_f32 v26, v33, v26, 1.0
	v_add_f32_e32 v16, v16, v26
	;; [unrolled: 14-line block ×6, first 2 shown]
	v_mul_f32_e32 v26, v13, v13
	v_div_scale_f32 v33, s[0:1], v26, v26, 1.0
	v_rcp_f32_e32 v34, v33
	v_fma_f32 v35, -v33, v34, 1.0
	v_fmac_f32_e32 v34, v35, v34
	v_div_scale_f32 v35, vcc, 1.0, v26, 1.0
	v_mul_f32_e32 v36, v35, v34
	v_fma_f32 v37, -v33, v36, v35
	v_fmac_f32_e32 v36, v37, v34
	v_fma_f32 v33, -v33, v36, v35
	v_div_fmas_f32 v33, v33, v34, v36
	v_div_fixup_f32 v33, v33, v26, 1.0
	v_add_f32_e32 v26, v13, v13
	v_div_scale_f32 v34, s[0:1], v26, v26, 1.0
	s_mov_b32 s1, 0x3e2aaaab
	s_movk_i32 s0, 0x7fff
	v_rcp_f32_e32 v35, v34
	v_fma_f32 v36, -v34, v35, 1.0
	v_fmac_f32_e32 v35, v36, v35
	v_div_scale_f32 v36, vcc, 1.0, v26, 1.0
	v_mul_f32_e32 v37, v36, v35
	v_fma_f32 v38, -v34, v37, v36
	v_fmac_f32_e32 v37, v38, v35
	v_fma_f32 v34, -v34, v37, v36
	v_div_fmas_f32 v34, v34, v35, v37
	v_mov_b32_e32 v35, 0x3d088889
	v_fmac_f32_e32 v35, 0xbcc30c31, v33
	v_fma_f32 v35, -v33, v35, s1
	v_div_fixup_f32 v26, v34, v26, 1.0
	v_add_f32_e32 v34, 1.0, v26
	v_fmac_f32_e32 v34, v33, v35
	v_div_scale_f32 v33, s[2:3], v13, v13, v34
	v_mov_b32_e32 v26, 0x3d088889
	v_rcp_f32_e32 v35, v33
	v_fma_f32 v36, -v33, v35, 1.0
	v_fmac_f32_e32 v35, v36, v35
	v_div_scale_f32 v36, vcc, v34, v13, v34
	v_mul_f32_e32 v37, v36, v35
	v_fma_f32 v38, -v33, v37, v36
	v_fmac_f32_e32 v37, v38, v35
	v_fma_f32 v33, -v33, v37, v36
	v_div_fmas_f32 v33, v33, v35, v37
	v_div_fixup_f32 v13, v33, v13, v34
	v_add_f32_e32 v13, v16, v13
	v_mul_f32_e32 v13, v14, v13
	v_bfe_u32 v14, v13, 16, 1
	v_add3_u32 v14, v13, v14, s0
	v_lshrrev_b32_e32 v16, 16, v14
	v_cmp_o_f32_e32 vcc, v13, v13
	v_mov_b32_e32 v14, 0x7fc0
	v_cndmask_b32_e32 v13, v14, v16, vcc
	v_mul_f32_e32 v16, v30, v30
	v_div_scale_f32 v33, s[2:3], v16, v16, 1.0
	v_add_f32_e32 v30, 1.0, v30
	v_rcp_f32_e32 v34, v33
	v_fma_f32 v35, -v33, v34, 1.0
	v_fmac_f32_e32 v34, v35, v34
	v_div_scale_f32 v35, vcc, 1.0, v16, 1.0
	v_mul_f32_e32 v36, v35, v34
	v_fma_f32 v37, -v33, v36, v35
	v_fmac_f32_e32 v36, v37, v34
	v_fma_f32 v33, -v33, v36, v35
	v_div_fmas_f32 v33, v33, v34, v36
	v_div_fixup_f32 v16, v33, v16, 1.0
	v_add_f32_e32 v16, v32, v16
	v_mul_f32_e32 v32, v30, v30
	v_div_scale_f32 v33, s[2:3], v32, v32, 1.0
	v_add_f32_e32 v30, 1.0, v30
	v_rcp_f32_e32 v34, v33
	v_fma_f32 v35, -v33, v34, 1.0
	v_fmac_f32_e32 v34, v35, v34
	v_div_scale_f32 v35, vcc, 1.0, v32, 1.0
	v_mul_f32_e32 v36, v35, v34
	v_fma_f32 v37, -v33, v36, v35
	v_fmac_f32_e32 v36, v37, v34
	v_fma_f32 v33, -v33, v36, v35
	v_div_fmas_f32 v33, v33, v34, v36
	v_div_fixup_f32 v32, v33, v32, 1.0
	v_add_f32_e32 v16, v16, v32
	;; [unrolled: 14-line block ×6, first 2 shown]
	v_mul_f32_e32 v32, v30, v30
	v_div_scale_f32 v33, s[2:3], v32, v32, 1.0
	v_rcp_f32_e32 v34, v33
	v_fma_f32 v35, -v33, v34, 1.0
	v_fmac_f32_e32 v34, v35, v34
	v_div_scale_f32 v35, vcc, 1.0, v32, 1.0
	v_mul_f32_e32 v36, v35, v34
	v_fma_f32 v37, -v33, v36, v35
	v_fmac_f32_e32 v36, v37, v34
	v_fma_f32 v33, -v33, v36, v35
	v_div_fmas_f32 v33, v33, v34, v36
	v_div_fixup_f32 v32, v33, v32, 1.0
	v_add_f32_e32 v33, v30, v30
	v_div_scale_f32 v34, s[2:3], v33, v33, 1.0
	v_rcp_f32_e32 v35, v34
	v_fma_f32 v36, -v34, v35, 1.0
	v_fmac_f32_e32 v35, v36, v35
	v_div_scale_f32 v36, vcc, 1.0, v33, 1.0
	v_mul_f32_e32 v37, v36, v35
	v_fma_f32 v38, -v34, v37, v36
	v_fmac_f32_e32 v37, v38, v35
	v_fma_f32 v34, -v34, v37, v36
	v_div_fmas_f32 v34, v34, v35, v37
	v_div_fixup_f32 v33, v34, v33, 1.0
	v_mov_b32_e32 v34, 0x3d088889
	v_fmac_f32_e32 v34, 0xbcc30c31, v32
	v_add_f32_e32 v33, 1.0, v33
	v_fma_f32 v34, -v32, v34, s1
	v_fmac_f32_e32 v33, v32, v34
	v_div_scale_f32 v32, s[2:3], v30, v30, v33
	v_rcp_f32_e32 v34, v32
	v_fma_f32 v35, -v32, v34, 1.0
	v_fmac_f32_e32 v34, v35, v34
	v_div_scale_f32 v35, vcc, v33, v30, v33
	v_mul_f32_e32 v36, v35, v34
	v_fma_f32 v37, -v32, v36, v35
	v_fmac_f32_e32 v36, v37, v34
	v_fma_f32 v32, -v32, v36, v35
	v_div_fmas_f32 v32, v32, v34, v36
	v_div_fixup_f32 v30, v32, v30, v33
	v_add_f32_e32 v16, v16, v30
	v_mul_f32_e32 v16, v31, v16
	v_bfe_u32 v30, v16, 16, 1
	v_add3_u32 v30, v16, v30, s0
	v_lshrrev_b32_e32 v30, 16, v30
	v_cmp_o_f32_e32 vcc, v16, v16
	v_cndmask_b32_e32 v16, v14, v30, vcc
	v_mul_f32_e32 v30, v27, v27
	v_div_scale_f32 v31, s[2:3], v30, v30, 1.0
	v_add_f32_e32 v27, 1.0, v27
	v_rcp_f32_e32 v32, v31
	v_fma_f32 v33, -v31, v32, 1.0
	v_fmac_f32_e32 v32, v33, v32
	v_div_scale_f32 v33, vcc, 1.0, v30, 1.0
	v_mul_f32_e32 v34, v33, v32
	v_fma_f32 v35, -v31, v34, v33
	v_fmac_f32_e32 v34, v35, v32
	v_fma_f32 v31, -v31, v34, v33
	v_div_fmas_f32 v31, v31, v32, v34
	v_div_fixup_f32 v30, v31, v30, 1.0
	v_add_f32_e32 v29, v29, v30
	v_mul_f32_e32 v30, v27, v27
	v_div_scale_f32 v31, s[2:3], v30, v30, 1.0
	v_add_f32_e32 v27, 1.0, v27
	v_rcp_f32_e32 v32, v31
	v_fma_f32 v33, -v31, v32, 1.0
	v_fmac_f32_e32 v32, v33, v32
	v_div_scale_f32 v33, vcc, 1.0, v30, 1.0
	v_mul_f32_e32 v34, v33, v32
	v_fma_f32 v35, -v31, v34, v33
	v_fmac_f32_e32 v34, v35, v32
	v_fma_f32 v31, -v31, v34, v33
	v_div_fmas_f32 v31, v31, v32, v34
	v_div_fixup_f32 v30, v31, v30, 1.0
	v_add_f32_e32 v29, v29, v30
	;; [unrolled: 14-line block ×6, first 2 shown]
	v_mul_f32_e32 v30, v27, v27
	v_div_scale_f32 v31, s[2:3], v30, v30, 1.0
	v_rcp_f32_e32 v32, v31
	v_fma_f32 v33, -v31, v32, 1.0
	v_fmac_f32_e32 v32, v33, v32
	v_div_scale_f32 v33, vcc, 1.0, v30, 1.0
	v_mul_f32_e32 v34, v33, v32
	v_fma_f32 v35, -v31, v34, v33
	v_fmac_f32_e32 v34, v35, v32
	v_fma_f32 v31, -v31, v34, v33
	v_div_fmas_f32 v31, v31, v32, v34
	v_div_fixup_f32 v30, v31, v30, 1.0
	v_add_f32_e32 v31, v27, v27
	v_div_scale_f32 v32, s[2:3], v31, v31, 1.0
	v_rcp_f32_e32 v33, v32
	v_fma_f32 v34, -v32, v33, 1.0
	v_fmac_f32_e32 v33, v34, v33
	v_div_scale_f32 v34, vcc, 1.0, v31, 1.0
	v_mul_f32_e32 v35, v34, v33
	v_fma_f32 v36, -v32, v35, v34
	v_fmac_f32_e32 v35, v36, v33
	v_fma_f32 v32, -v32, v35, v34
	v_div_fmas_f32 v32, v32, v33, v35
	v_div_fixup_f32 v31, v32, v31, 1.0
	v_mov_b32_e32 v32, 0x3d088889
	v_fmac_f32_e32 v32, 0xbcc30c31, v30
	v_add_f32_e32 v31, 1.0, v31
	v_fma_f32 v32, -v30, v32, s1
	v_fmac_f32_e32 v31, v30, v32
	v_div_scale_f32 v30, s[2:3], v27, v27, v31
	v_rcp_f32_e32 v32, v30
	v_fma_f32 v33, -v30, v32, 1.0
	v_fmac_f32_e32 v32, v33, v32
	v_div_scale_f32 v33, vcc, v31, v27, v31
	v_mul_f32_e32 v34, v33, v32
	v_fma_f32 v35, -v30, v34, v33
	v_fmac_f32_e32 v34, v35, v32
	v_fma_f32 v30, -v30, v34, v33
	v_div_fmas_f32 v30, v30, v32, v34
	v_div_fixup_f32 v27, v30, v27, v31
	v_add_f32_e32 v27, v29, v27
	v_mul_f32_e32 v27, v28, v27
	v_bfe_u32 v28, v27, 16, 1
	v_add3_u32 v28, v27, v28, s0
	v_lshrrev_b32_e32 v28, 16, v28
	v_cmp_o_f32_e32 vcc, v27, v27
	v_cndmask_b32_e32 v27, v14, v28, vcc
	v_mul_f32_e32 v28, v22, v22
	v_div_scale_f32 v29, s[2:3], v28, v28, 1.0
	v_add_f32_e32 v22, 1.0, v22
	v_rcp_f32_e32 v30, v29
	v_fma_f32 v31, -v29, v30, 1.0
	v_fmac_f32_e32 v30, v31, v30
	v_div_scale_f32 v31, vcc, 1.0, v28, 1.0
	v_mul_f32_e32 v32, v31, v30
	v_fma_f32 v33, -v29, v32, v31
	v_fmac_f32_e32 v32, v33, v30
	v_fma_f32 v29, -v29, v32, v31
	v_div_fmas_f32 v29, v29, v30, v32
	v_div_fixup_f32 v28, v29, v28, 1.0
	v_add_f32_e32 v24, v24, v28
	v_mul_f32_e32 v28, v22, v22
	v_div_scale_f32 v29, s[2:3], v28, v28, 1.0
	v_add_f32_e32 v22, 1.0, v22
	v_rcp_f32_e32 v30, v29
	v_fma_f32 v31, -v29, v30, 1.0
	v_fmac_f32_e32 v30, v31, v30
	v_div_scale_f32 v31, vcc, 1.0, v28, 1.0
	v_mul_f32_e32 v32, v31, v30
	v_fma_f32 v33, -v29, v32, v31
	v_fmac_f32_e32 v32, v33, v30
	v_fma_f32 v29, -v29, v32, v31
	v_div_fmas_f32 v29, v29, v30, v32
	v_div_fixup_f32 v28, v29, v28, 1.0
	v_add_f32_e32 v24, v24, v28
	;; [unrolled: 14-line block ×6, first 2 shown]
	v_mul_f32_e32 v28, v22, v22
	v_div_scale_f32 v29, s[2:3], v28, v28, 1.0
	v_rcp_f32_e32 v30, v29
	v_fma_f32 v31, -v29, v30, 1.0
	v_fmac_f32_e32 v30, v31, v30
	v_div_scale_f32 v31, vcc, 1.0, v28, 1.0
	v_mul_f32_e32 v32, v31, v30
	v_fma_f32 v33, -v29, v32, v31
	v_fmac_f32_e32 v32, v33, v30
	v_fma_f32 v29, -v29, v32, v31
	v_div_fmas_f32 v29, v29, v30, v32
	v_div_fixup_f32 v28, v29, v28, 1.0
	v_add_f32_e32 v29, v22, v22
	v_div_scale_f32 v30, s[2:3], v29, v29, 1.0
	v_rcp_f32_e32 v31, v30
	v_fma_f32 v32, -v30, v31, 1.0
	v_fmac_f32_e32 v31, v32, v31
	v_div_scale_f32 v32, vcc, 1.0, v29, 1.0
	v_mul_f32_e32 v33, v32, v31
	v_fma_f32 v34, -v30, v33, v32
	v_fmac_f32_e32 v33, v34, v31
	v_fma_f32 v30, -v30, v33, v32
	v_div_fmas_f32 v30, v30, v31, v33
	v_div_fixup_f32 v29, v30, v29, 1.0
	v_mov_b32_e32 v30, 0x3d088889
	v_fmac_f32_e32 v30, 0xbcc30c31, v28
	v_add_f32_e32 v29, 1.0, v29
	v_fma_f32 v30, -v28, v30, s1
	v_fmac_f32_e32 v29, v28, v30
	v_div_scale_f32 v28, s[2:3], v22, v22, v29
	v_rcp_f32_e32 v30, v28
	v_fma_f32 v31, -v28, v30, 1.0
	v_fmac_f32_e32 v30, v31, v30
	v_div_scale_f32 v31, vcc, v29, v22, v29
	v_mul_f32_e32 v32, v31, v30
	v_fma_f32 v33, -v28, v32, v31
	v_fmac_f32_e32 v32, v33, v30
	v_fma_f32 v28, -v28, v32, v31
	v_div_fmas_f32 v28, v28, v30, v32
	v_div_fixup_f32 v22, v28, v22, v29
	v_add_f32_e32 v22, v24, v22
	v_mul_f32_e32 v22, v23, v22
	v_bfe_u32 v23, v22, 16, 1
	v_add3_u32 v23, v22, v23, s0
	v_lshrrev_b32_e32 v23, 16, v23
	v_cmp_o_f32_e32 vcc, v22, v22
	v_cndmask_b32_e32 v22, v14, v23, vcc
	v_mul_f32_e32 v23, v11, v11
	v_div_scale_f32 v24, s[2:3], v23, v23, 1.0
	v_add_f32_e32 v11, 1.0, v11
	v_rcp_f32_e32 v28, v24
	v_fma_f32 v29, -v24, v28, 1.0
	v_fmac_f32_e32 v28, v29, v28
	v_div_scale_f32 v29, vcc, 1.0, v23, 1.0
	v_mul_f32_e32 v30, v29, v28
	v_fma_f32 v31, -v24, v30, v29
	v_fmac_f32_e32 v30, v31, v28
	v_fma_f32 v24, -v24, v30, v29
	v_div_fmas_f32 v24, v24, v28, v30
	v_div_fixup_f32 v23, v24, v23, 1.0
	v_add_f32_e32 v21, v21, v23
	v_mul_f32_e32 v23, v11, v11
	v_div_scale_f32 v24, s[2:3], v23, v23, 1.0
	v_add_f32_e32 v11, 1.0, v11
	v_rcp_f32_e32 v28, v24
	v_fma_f32 v29, -v24, v28, 1.0
	v_fmac_f32_e32 v28, v29, v28
	v_div_scale_f32 v29, vcc, 1.0, v23, 1.0
	v_mul_f32_e32 v30, v29, v28
	v_fma_f32 v31, -v24, v30, v29
	v_fmac_f32_e32 v30, v31, v28
	v_fma_f32 v24, -v24, v30, v29
	v_div_fmas_f32 v24, v24, v28, v30
	v_div_fixup_f32 v23, v24, v23, 1.0
	v_add_f32_e32 v21, v21, v23
	;; [unrolled: 14-line block ×6, first 2 shown]
	v_mul_f32_e32 v23, v11, v11
	v_div_scale_f32 v24, s[2:3], v23, v23, 1.0
	v_rcp_f32_e32 v28, v24
	v_fma_f32 v29, -v24, v28, 1.0
	v_fmac_f32_e32 v28, v29, v28
	v_div_scale_f32 v29, vcc, 1.0, v23, 1.0
	v_mul_f32_e32 v30, v29, v28
	v_fma_f32 v31, -v24, v30, v29
	v_fmac_f32_e32 v30, v31, v28
	v_fma_f32 v24, -v24, v30, v29
	v_div_fmas_f32 v24, v24, v28, v30
	v_div_fixup_f32 v23, v24, v23, 1.0
	v_add_f32_e32 v24, v11, v11
	v_div_scale_f32 v28, s[2:3], v24, v24, 1.0
	v_rcp_f32_e32 v29, v28
	v_fma_f32 v30, -v28, v29, 1.0
	v_fmac_f32_e32 v29, v30, v29
	v_div_scale_f32 v30, vcc, 1.0, v24, 1.0
	v_mul_f32_e32 v31, v30, v29
	v_fma_f32 v32, -v28, v31, v30
	v_fmac_f32_e32 v31, v32, v29
	v_fma_f32 v28, -v28, v31, v30
	v_div_fmas_f32 v28, v28, v29, v31
	v_div_fixup_f32 v24, v28, v24, 1.0
	v_mov_b32_e32 v28, 0x3d088889
	v_fmac_f32_e32 v28, 0xbcc30c31, v23
	v_add_f32_e32 v24, 1.0, v24
	v_fma_f32 v28, -v23, v28, s1
	v_fmac_f32_e32 v24, v23, v28
	v_div_scale_f32 v23, s[2:3], v11, v11, v24
	v_rcp_f32_e32 v28, v23
	v_fma_f32 v29, -v23, v28, 1.0
	v_fmac_f32_e32 v28, v29, v28
	v_div_scale_f32 v29, vcc, v24, v11, v24
	v_mul_f32_e32 v30, v29, v28
	v_fma_f32 v31, -v23, v30, v29
	v_fmac_f32_e32 v30, v31, v28
	v_fma_f32 v23, -v23, v30, v29
	v_div_fmas_f32 v23, v23, v28, v30
	v_div_fixup_f32 v11, v23, v11, v24
	v_add_f32_e32 v11, v21, v11
	v_mul_f32_e32 v11, v20, v11
	v_bfe_u32 v20, v11, 16, 1
	v_add3_u32 v20, v11, v20, s0
	v_lshrrev_b32_e32 v20, 16, v20
	v_cmp_o_f32_e32 vcc, v11, v11
	v_cndmask_b32_e32 v11, v14, v20, vcc
	v_mul_f32_e32 v20, v10, v10
	v_div_scale_f32 v21, s[2:3], v20, v20, 1.0
	v_add_f32_e32 v10, 1.0, v10
	v_rcp_f32_e32 v23, v21
	v_fma_f32 v24, -v21, v23, 1.0
	v_fmac_f32_e32 v23, v24, v23
	v_div_scale_f32 v24, vcc, 1.0, v20, 1.0
	v_mul_f32_e32 v28, v24, v23
	v_fma_f32 v29, -v21, v28, v24
	v_fmac_f32_e32 v28, v29, v23
	v_fma_f32 v21, -v21, v28, v24
	v_div_fmas_f32 v21, v21, v23, v28
	v_div_fixup_f32 v20, v21, v20, 1.0
	v_add_f32_e32 v19, v19, v20
	v_mul_f32_e32 v20, v10, v10
	v_div_scale_f32 v21, s[2:3], v20, v20, 1.0
	v_add_f32_e32 v10, 1.0, v10
	v_rcp_f32_e32 v23, v21
	v_fma_f32 v24, -v21, v23, 1.0
	v_fmac_f32_e32 v23, v24, v23
	v_div_scale_f32 v24, vcc, 1.0, v20, 1.0
	v_mul_f32_e32 v28, v24, v23
	v_fma_f32 v29, -v21, v28, v24
	v_fmac_f32_e32 v28, v29, v23
	v_fma_f32 v21, -v21, v28, v24
	v_div_fmas_f32 v21, v21, v23, v28
	v_div_fixup_f32 v20, v21, v20, 1.0
	v_add_f32_e32 v19, v19, v20
	;; [unrolled: 14-line block ×6, first 2 shown]
	v_mul_f32_e32 v20, v10, v10
	v_div_scale_f32 v21, s[2:3], v20, v20, 1.0
	v_rcp_f32_e32 v23, v21
	v_fma_f32 v24, -v21, v23, 1.0
	v_fmac_f32_e32 v23, v24, v23
	v_div_scale_f32 v24, vcc, 1.0, v20, 1.0
	v_mul_f32_e32 v28, v24, v23
	v_fma_f32 v29, -v21, v28, v24
	v_fmac_f32_e32 v28, v29, v23
	v_fma_f32 v21, -v21, v28, v24
	v_div_fmas_f32 v21, v21, v23, v28
	v_div_fixup_f32 v20, v21, v20, 1.0
	v_add_f32_e32 v21, v10, v10
	v_div_scale_f32 v23, s[2:3], v21, v21, 1.0
	v_rcp_f32_e32 v24, v23
	v_fma_f32 v28, -v23, v24, 1.0
	v_fmac_f32_e32 v24, v28, v24
	v_div_scale_f32 v28, vcc, 1.0, v21, 1.0
	v_mul_f32_e32 v29, v28, v24
	v_fma_f32 v30, -v23, v29, v28
	v_fmac_f32_e32 v29, v30, v24
	v_fma_f32 v23, -v23, v29, v28
	v_div_fmas_f32 v23, v23, v24, v29
	v_div_fixup_f32 v21, v23, v21, 1.0
	v_mov_b32_e32 v23, 0x3d088889
	v_fmac_f32_e32 v23, 0xbcc30c31, v20
	v_add_f32_e32 v21, 1.0, v21
	v_fma_f32 v23, -v20, v23, s1
	v_fmac_f32_e32 v21, v20, v23
	v_div_scale_f32 v20, s[2:3], v10, v10, v21
	v_rcp_f32_e32 v23, v20
	v_fma_f32 v24, -v20, v23, 1.0
	v_fmac_f32_e32 v23, v24, v23
	v_div_scale_f32 v24, vcc, v21, v10, v21
	v_mul_f32_e32 v28, v24, v23
	v_fma_f32 v29, -v20, v28, v24
	v_fmac_f32_e32 v28, v29, v23
	v_fma_f32 v20, -v20, v28, v24
	v_div_fmas_f32 v20, v20, v23, v28
	v_div_fixup_f32 v10, v20, v10, v21
	v_add_f32_e32 v10, v19, v10
	v_mul_f32_e32 v10, v18, v10
	v_bfe_u32 v18, v10, 16, 1
	v_add3_u32 v18, v10, v18, s0
	v_lshrrev_b32_e32 v18, 16, v18
	v_cmp_o_f32_e32 vcc, v10, v10
	v_cndmask_b32_e32 v10, v14, v18, vcc
	v_mul_f32_e32 v18, v8, v8
	v_div_scale_f32 v19, s[2:3], v18, v18, 1.0
	v_add_f32_e32 v8, 1.0, v8
	v_rcp_f32_e32 v20, v19
	v_fma_f32 v21, -v19, v20, 1.0
	v_fmac_f32_e32 v20, v21, v20
	v_div_scale_f32 v21, vcc, 1.0, v18, 1.0
	v_mul_f32_e32 v23, v21, v20
	v_fma_f32 v24, -v19, v23, v21
	v_fmac_f32_e32 v23, v24, v20
	v_fma_f32 v19, -v19, v23, v21
	v_div_fmas_f32 v19, v19, v20, v23
	v_div_fixup_f32 v18, v19, v18, 1.0
	v_add_f32_e32 v17, v17, v18
	v_mul_f32_e32 v18, v8, v8
	v_div_scale_f32 v19, s[2:3], v18, v18, 1.0
	v_add_f32_e32 v8, 1.0, v8
	v_rcp_f32_e32 v20, v19
	v_fma_f32 v21, -v19, v20, 1.0
	v_fmac_f32_e32 v20, v21, v20
	v_div_scale_f32 v21, vcc, 1.0, v18, 1.0
	v_mul_f32_e32 v23, v21, v20
	v_fma_f32 v24, -v19, v23, v21
	v_fmac_f32_e32 v23, v24, v20
	v_fma_f32 v19, -v19, v23, v21
	v_div_fmas_f32 v19, v19, v20, v23
	v_div_fixup_f32 v18, v19, v18, 1.0
	v_add_f32_e32 v17, v17, v18
	;; [unrolled: 14-line block ×6, first 2 shown]
	v_mul_f32_e32 v18, v8, v8
	v_div_scale_f32 v19, s[2:3], v18, v18, 1.0
	v_rcp_f32_e32 v20, v19
	v_fma_f32 v21, -v19, v20, 1.0
	v_fmac_f32_e32 v20, v21, v20
	v_div_scale_f32 v21, vcc, 1.0, v18, 1.0
	v_mul_f32_e32 v23, v21, v20
	v_fma_f32 v24, -v19, v23, v21
	v_fmac_f32_e32 v23, v24, v20
	v_fma_f32 v19, -v19, v23, v21
	v_div_fmas_f32 v19, v19, v20, v23
	v_div_fixup_f32 v18, v19, v18, 1.0
	v_add_f32_e32 v19, v8, v8
	v_div_scale_f32 v20, s[2:3], v19, v19, 1.0
	v_rcp_f32_e32 v21, v20
	v_fma_f32 v23, -v20, v21, 1.0
	v_fmac_f32_e32 v21, v23, v21
	v_div_scale_f32 v23, vcc, 1.0, v19, 1.0
	v_mul_f32_e32 v24, v23, v21
	v_fma_f32 v28, -v20, v24, v23
	v_fmac_f32_e32 v24, v28, v21
	v_fma_f32 v20, -v20, v24, v23
	v_div_fmas_f32 v20, v20, v21, v24
	v_div_fixup_f32 v19, v20, v19, 1.0
	v_mov_b32_e32 v20, 0x3d088889
	v_fmac_f32_e32 v20, 0xbcc30c31, v18
	v_add_f32_e32 v19, 1.0, v19
	v_fma_f32 v20, -v18, v20, s1
	v_fmac_f32_e32 v19, v18, v20
	v_div_scale_f32 v18, s[2:3], v8, v8, v19
	v_rcp_f32_e32 v20, v18
	v_fma_f32 v21, -v18, v20, 1.0
	v_fmac_f32_e32 v20, v21, v20
	v_div_scale_f32 v21, vcc, v19, v8, v19
	v_mul_f32_e32 v23, v21, v20
	v_fma_f32 v24, -v18, v23, v21
	v_fmac_f32_e32 v23, v24, v20
	v_fma_f32 v18, -v18, v23, v21
	v_div_fmas_f32 v18, v18, v20, v23
	v_div_fixup_f32 v8, v18, v8, v19
	v_add_f32_e32 v8, v17, v8
	v_mul_f32_e32 v8, v9, v8
	v_bfe_u32 v9, v8, 16, 1
	v_add3_u32 v9, v8, v9, s0
	v_lshrrev_b32_e32 v9, 16, v9
	v_cmp_o_f32_e32 vcc, v8, v8
	v_cndmask_b32_e32 v8, v14, v9, vcc
	v_mul_f32_e32 v9, v15, v15
	v_div_scale_f32 v17, s[2:3], v9, v9, 1.0
	v_add_f32_e32 v15, 1.0, v15
	v_rcp_f32_e32 v18, v17
	v_fma_f32 v19, -v17, v18, 1.0
	v_fmac_f32_e32 v18, v19, v18
	v_div_scale_f32 v19, vcc, 1.0, v9, 1.0
	v_mul_f32_e32 v20, v19, v18
	v_fma_f32 v21, -v17, v20, v19
	v_fmac_f32_e32 v20, v21, v18
	v_fma_f32 v17, -v17, v20, v19
	v_div_fmas_f32 v17, v17, v18, v20
	v_div_fixup_f32 v9, v17, v9, 1.0
	v_mul_f32_e32 v17, v15, v15
	v_div_scale_f32 v18, s[2:3], v17, v17, 1.0
	v_add_f32_e32 v9, v25, v9
	v_add_f32_e32 v15, 1.0, v15
	v_rcp_f32_e32 v19, v18
	v_fma_f32 v20, -v18, v19, 1.0
	v_fmac_f32_e32 v19, v20, v19
	v_div_scale_f32 v20, vcc, 1.0, v17, 1.0
	v_mul_f32_e32 v21, v20, v19
	v_fma_f32 v23, -v18, v21, v20
	v_fmac_f32_e32 v21, v23, v19
	v_fma_f32 v18, -v18, v21, v20
	v_div_fmas_f32 v18, v18, v19, v21
	v_div_fixup_f32 v17, v18, v17, 1.0
	v_add_f32_e32 v9, v9, v17
	v_mul_f32_e32 v17, v15, v15
	v_div_scale_f32 v18, s[2:3], v17, v17, 1.0
	v_add_f32_e32 v15, 1.0, v15
	v_rcp_f32_e32 v19, v18
	v_fma_f32 v20, -v18, v19, 1.0
	v_fmac_f32_e32 v19, v20, v19
	v_div_scale_f32 v20, vcc, 1.0, v17, 1.0
	v_mul_f32_e32 v21, v20, v19
	v_fma_f32 v23, -v18, v21, v20
	v_fmac_f32_e32 v21, v23, v19
	v_fma_f32 v18, -v18, v21, v20
	v_div_fmas_f32 v18, v18, v19, v21
	v_div_fixup_f32 v17, v18, v17, 1.0
	v_add_f32_e32 v9, v9, v17
	v_mul_f32_e32 v17, v15, v15
	v_div_scale_f32 v18, s[2:3], v17, v17, 1.0
	;; [unrolled: 14-line block ×5, first 2 shown]
	v_rcp_f32_e32 v19, v18
	v_fma_f32 v20, -v18, v19, 1.0
	v_fmac_f32_e32 v19, v20, v19
	v_div_scale_f32 v20, vcc, 1.0, v17, 1.0
	v_mul_f32_e32 v21, v20, v19
	v_fma_f32 v23, -v18, v21, v20
	v_fmac_f32_e32 v21, v23, v19
	v_fma_f32 v18, -v18, v21, v20
	v_div_fmas_f32 v18, v18, v19, v21
	v_div_fixup_f32 v18, v18, v17, 1.0
	v_add_f32_e32 v17, v15, v15
	v_div_scale_f32 v19, s[2:3], v17, v17, 1.0
	v_fmac_f32_e32 v26, 0xbcc30c31, v18
	v_rcp_f32_e32 v20, v19
	v_fma_f32 v21, -v19, v20, 1.0
	v_fmac_f32_e32 v20, v21, v20
	v_div_scale_f32 v21, vcc, 1.0, v17, 1.0
	v_mul_f32_e32 v23, v21, v20
	v_fma_f32 v24, -v19, v23, v21
	v_fmac_f32_e32 v23, v24, v20
	v_fma_f32 v19, -v19, v23, v21
	v_div_fmas_f32 v19, v19, v20, v23
	v_div_fixup_f32 v17, v19, v17, 1.0
	v_add_f32_e32 v17, 1.0, v17
	v_fma_f32 v19, -v18, v26, s1
	v_fmac_f32_e32 v17, v18, v19
	v_div_scale_f32 v18, s[2:3], v15, v15, v17
	v_rcp_f32_e32 v19, v18
	v_fma_f32 v20, -v18, v19, 1.0
	v_fmac_f32_e32 v19, v20, v19
	v_div_scale_f32 v20, vcc, v17, v15, v17
	v_mul_f32_e32 v21, v20, v19
	v_fma_f32 v23, -v18, v21, v20
	v_fmac_f32_e32 v21, v23, v19
	v_fma_f32 v18, -v18, v21, v20
	v_div_fmas_f32 v18, v18, v19, v21
	v_div_fixup_f32 v15, v18, v15, v17
	v_add_f32_e32 v9, v9, v15
	v_mul_f32_e32 v9, v12, v9
	v_bfe_u32 v12, v9, 16, 1
	v_add3_u32 v12, v9, v12, s0
	v_cmp_o_f32_e32 vcc, v9, v9
	v_cndmask_b32_sdwa v9, v14, v12, vcc dst_sel:DWORD dst_unused:UNUSED_PAD src0_sel:DWORD src1_sel:WORD_1
	global_store_short v0, v8, s[8:9]
	global_store_short v1, v10, s[8:9]
	;; [unrolled: 1-line block ×8, first 2 shown]
	s_endpgm
.LBB75_177:
	v_mov_b32_e32 v0, 0
	v_mov_b32_e32 v2, 0
	s_branch .LBB75_183
.LBB75_178:
	v_mov_b32_e32 v0, 0
	v_mov_b32_e32 v2, 0
	s_branch .LBB75_205
.LBB75_179:
	s_mov_b32 s57, 0
	v_mov_b32_e32 v0, 0
	v_mov_b32_e32 v2, 0
	;; [unrolled: 1-line block ×3, first 2 shown]
.LBB75_180:
	s_and_b32 s4, s58, 3
	s_cmp_eq_u32 s4, 0
	s_cbranch_scc1 .LBB75_183
; %bb.181:
	s_lshl_b32 s0, s57, 3
	s_add_u32 s0, s34, s0
	s_addc_u32 s1, s35, 0
	s_add_u32 s0, s0, 0xc4
	s_addc_u32 s1, s1, 0
	s_mul_i32 s2, s57, 12
	s_add_u32 s2, s34, s2
	s_addc_u32 s3, s35, 0
.LBB75_182:                             ; =>This Inner Loop Header: Depth=1
	s_load_dwordx2 s[6:7], s[2:3], 0x4
	s_load_dword s5, s[2:3], 0xc
	s_load_dwordx2 s[8:9], s[0:1], 0x0
	s_add_u32 s2, s2, 12
	s_addc_u32 s3, s3, 0
	s_waitcnt lgkmcnt(0)
	v_mul_hi_u32 v3, s7, v1
	s_add_u32 s0, s0, 8
	s_addc_u32 s1, s1, 0
	s_add_i32 s4, s4, -1
	v_add_u32_e32 v3, v1, v3
	v_lshrrev_b32_e32 v4, s5, v3
	v_mul_lo_u32 v3, v4, s6
	s_cmp_lg_u32 s4, 0
	v_sub_u32_e32 v3, v1, v3
	v_mad_u64_u32 v[0:1], s[6:7], v3, s8, v[0:1]
	v_mad_u64_u32 v[2:3], s[6:7], v3, s9, v[2:3]
	v_mov_b32_e32 v1, v4
	s_cbranch_scc1 .LBB75_182
.LBB75_183:
	s_cbranch_execnz .LBB75_186
.LBB75_184:
	s_waitcnt lgkmcnt(0)
	v_mul_hi_u32 v0, s25, v7
	s_andn2_b64 vcc, exec, s[42:43]
	v_add_u32_e32 v0, v7, v0
	v_lshrrev_b32_e32 v1, s26, v0
	v_mul_lo_u32 v0, v1, s24
	v_sub_u32_e32 v2, v7, v0
	v_mul_lo_u32 v0, v2, s20
	v_mul_lo_u32 v2, v2, s21
	s_cbranch_vccnz .LBB75_186
; %bb.185:
	v_mul_hi_u32 v3, s40, v1
	v_add_u32_e32 v3, v1, v3
	v_lshrrev_b32_e32 v3, s41, v3
	v_mul_lo_u32 v3, v3, s27
	v_sub_u32_e32 v3, v1, v3
	v_mad_u64_u32 v[0:1], s[0:1], v3, s22, v[0:1]
	v_mad_u64_u32 v[2:3], s[0:1], v3, s23, v[2:3]
.LBB75_186:
	s_waitcnt lgkmcnt(0)
	global_load_ushort v1, v2, s[18:19]
	v_mov_b32_e32 v3, 0
	v_mov_b32_e32 v2, 1.0
	s_waitcnt vmcnt(0)
	v_lshlrev_b32_e32 v1, 16, v1
	v_cmp_gt_f32_e32 vcc, 0.5, v1
	s_and_saveexec_b64 s[6:7], vcc
	s_cbranch_execz .LBB75_192
; %bb.187:
	v_mul_f32_e32 v2, 0x40490fdb, v1
	s_brev_b32 s0, 18
	v_and_b32_e32 v3, 0x7fffffff, v2
	v_cmp_nlt_f32_e64 s[0:1], |v2|, s0
                                        ; implicit-def: $vgpr4
                                        ; implicit-def: $vgpr5
	s_and_saveexec_b64 s[2:3], s[0:1]
	s_xor_b64 s[8:9], exec, s[2:3]
	s_cbranch_execz .LBB75_189
; %bb.188:
	v_and_b32_e32 v4, 0x7fffff, v3
	v_or_b32_e32 v14, 0x800000, v4
	s_mov_b32 s0, 0xfe5163ab
	v_mad_u64_u32 v[4:5], s[0:1], v14, s0, 0
	v_mov_b32_e32 v6, 0
	s_mov_b32 s0, 0x3c439041
	v_mad_u64_u32 v[8:9], s[0:1], v14, s0, v[5:6]
	s_mov_b32 s0, 0xdb629599
	v_not_b32_e32 v13, 63
	v_mov_b32_e32 v5, v9
	v_mad_u64_u32 v[9:10], s[0:1], v14, s0, v[5:6]
	s_mov_b32 s0, 0xf534ddc0
	v_not_b32_e32 v16, 31
	v_mov_b32_e32 v5, v10
	v_mad_u64_u32 v[10:11], s[0:1], v14, s0, v[5:6]
	v_lshrrev_b32_e32 v5, 23, v3
	v_add_u32_e32 v15, 0xffffff88, v5
	v_mov_b32_e32 v5, v11
	s_mov_b32 s0, 0xfc2757d1
	v_mad_u64_u32 v[11:12], s[0:1], v14, s0, v[5:6]
	v_cmp_lt_u32_e32 vcc, 63, v15
	v_cndmask_b32_e32 v5, 0, v13, vcc
	v_add_u32_e32 v15, v5, v15
	v_mov_b32_e32 v5, v12
	s_mov_b32 s0, 0x4e441529
	v_mad_u64_u32 v[12:13], s[0:1], v14, s0, v[5:6]
	v_cmp_lt_u32_e64 s[0:1], 31, v15
	v_cndmask_b32_e64 v5, 0, v16, s[0:1]
	v_add_u32_e32 v15, v5, v15
	v_mov_b32_e32 v5, v13
	s_mov_b32 s2, 0xa2f9836e
	v_mad_u64_u32 v[5:6], s[2:3], v14, s2, v[5:6]
	v_cmp_lt_u32_e64 s[2:3], 31, v15
	v_cndmask_b32_e64 v13, 0, v16, s[2:3]
	v_cndmask_b32_e32 v14, v12, v10, vcc
	v_cndmask_b32_e32 v5, v5, v11, vcc
	;; [unrolled: 1-line block ×3, first 2 shown]
	v_add_u32_e32 v13, v13, v15
	v_cndmask_b32_e64 v15, v5, v14, s[0:1]
	v_cndmask_b32_e64 v5, v6, v5, s[0:1]
	v_cndmask_b32_e32 v6, v11, v9, vcc
	v_cndmask_b32_e64 v11, v14, v6, s[0:1]
	v_cndmask_b32_e64 v5, v5, v15, s[2:3]
	;; [unrolled: 1-line block ×3, first 2 shown]
	v_sub_u32_e32 v14, 32, v13
	v_alignbit_b32 v15, v5, v12, v14
	v_cmp_eq_u32_e64 s[4:5], 0, v13
	v_cndmask_b32_e64 v13, v15, v5, s[4:5]
	v_cndmask_b32_e32 v5, v10, v8, vcc
	v_cndmask_b32_e64 v6, v6, v5, s[0:1]
	v_cndmask_b32_e64 v8, v11, v6, s[2:3]
	v_alignbit_b32 v10, v12, v8, v14
	v_cndmask_b32_e32 v4, v9, v4, vcc
	v_cndmask_b32_e64 v10, v10, v12, s[4:5]
	v_bfe_u32 v15, v13, 29, 1
	v_cndmask_b32_e64 v4, v5, v4, s[0:1]
	v_alignbit_b32 v11, v13, v10, 30
	v_sub_u32_e32 v16, 0, v15
	v_cndmask_b32_e64 v4, v6, v4, s[2:3]
	v_xor_b32_e32 v11, v11, v16
	v_alignbit_b32 v5, v8, v4, v14
	v_cndmask_b32_e64 v5, v5, v8, s[4:5]
	v_ffbh_u32_e32 v8, v11
	v_alignbit_b32 v6, v10, v5, 30
	v_min_u32_e32 v8, 32, v8
	v_alignbit_b32 v4, v5, v4, 30
	v_xor_b32_e32 v6, v6, v16
	v_sub_u32_e32 v9, 31, v8
	v_xor_b32_e32 v4, v4, v16
	v_alignbit_b32 v10, v11, v6, v9
	v_alignbit_b32 v4, v6, v4, v9
	;; [unrolled: 1-line block ×3, first 2 shown]
	v_ffbh_u32_e32 v6, v5
	v_min_u32_e32 v6, 32, v6
	v_lshrrev_b32_e32 v12, 29, v13
	v_not_b32_e32 v9, v6
	v_alignbit_b32 v4, v5, v4, v9
	v_lshlrev_b32_e32 v5, 31, v12
	v_or_b32_e32 v9, 0x33000000, v5
	v_add_lshl_u32 v6, v6, v8, 23
	v_lshrrev_b32_e32 v4, 9, v4
	v_sub_u32_e32 v6, v9, v6
	v_or_b32_e32 v5, 0.5, v5
	v_lshlrev_b32_e32 v8, 23, v8
	v_or_b32_e32 v4, v6, v4
	v_lshrrev_b32_e32 v6, 9, v10
	v_sub_u32_e32 v5, v5, v8
	v_or_b32_e32 v5, v6, v5
	s_mov_b32 s0, 0x3fc90fda
	v_mul_f32_e32 v6, 0x3fc90fda, v5
	v_fma_f32 v8, v5, s0, -v6
	v_fmac_f32_e32 v8, 0x33a22168, v5
	v_fmac_f32_e32 v8, 0x3fc90fda, v4
	v_lshrrev_b32_e32 v4, 30, v13
	v_add_f32_e32 v5, v6, v8
	v_add_u32_e32 v4, v15, v4
.LBB75_189:
	s_andn2_saveexec_b64 s[0:1], s[8:9]
	s_cbranch_execz .LBB75_191
; %bb.190:
	s_mov_b32 s2, 0x3f22f983
	v_mul_f32_e64 v4, |v2|, s2
	v_rndne_f32_e32 v6, v4
	s_mov_b32 s2, 0xbfc90fda
	v_cvt_i32_f32_e32 v4, v6
	v_fma_f32 v5, v6, s2, |v2|
	v_fmac_f32_e32 v5, 0xb3a22168, v6
	v_fmac_f32_e32 v5, 0xa7c234c4, v6
.LBB75_191:
	s_or_b64 exec, exec, s[0:1]
	v_mul_f32_e32 v6, v5, v5
	v_mov_b32_e32 v8, 0x3c0881c4
	v_fmac_f32_e32 v8, 0xb94c1982, v6
	v_mov_b32_e32 v9, 0xbe2aaa9d
	v_fmac_f32_e32 v9, v6, v8
	v_mul_f32_e32 v8, v6, v9
	v_fmac_f32_e32 v5, v5, v8
	v_mov_b32_e32 v8, 0xbab64f3b
	v_fmac_f32_e32 v8, 0x37d75334, v6
	v_mov_b32_e32 v9, 0x3d2aabf7
	v_fmac_f32_e32 v9, v6, v8
	v_mov_b32_e32 v8, 0xbf000004
	v_fmac_f32_e32 v8, v6, v9
	v_fma_f32 v6, v6, v8, 1.0
	v_and_b32_e32 v8, 1, v4
	v_lshlrev_b32_e32 v4, 30, v4
	v_cmp_eq_u32_e32 vcc, 0, v8
	v_and_b32_e32 v4, 0x80000000, v4
	v_xor_b32_e32 v3, v3, v2
	v_cndmask_b32_e32 v5, v6, v5, vcc
	v_xor_b32_e32 v3, v3, v4
	s_movk_i32 s0, 0x1f8
	v_xor_b32_e32 v3, v3, v5
	v_mov_b32_e32 v4, 0x7fc00000
	v_cmp_class_f32_e64 vcc, v2, s0
	v_cndmask_b32_e32 v2, v4, v3, vcc
	v_mul_f32_e32 v2, v2, v2
	s_mov_b32 s2, 0xc11de9e7
	v_div_scale_f32 v3, s[0:1], v2, v2, s2
	v_div_scale_f32 v4, vcc, s2, v2, s2
	v_sub_f32_e32 v1, 1.0, v1
	v_rcp_f32_e32 v5, v3
	v_fma_f32 v6, -v3, v5, 1.0
	v_fmac_f32_e32 v5, v6, v5
	v_mul_f32_e32 v6, v4, v5
	v_fma_f32 v8, -v3, v6, v4
	v_fmac_f32_e32 v6, v8, v5
	v_fma_f32 v3, -v3, v6, v4
	v_div_fmas_f32 v3, v3, v5, v6
	v_div_fixup_f32 v2, v3, v2, s2
	v_add_f32_e32 v3, 0, v2
	v_mov_b32_e32 v2, -1.0
.LBB75_192:
	s_or_b64 exec, exec, s[6:7]
	v_mul_f32_e32 v4, v1, v1
	v_div_scale_f32 v6, s[0:1], v4, v4, 1.0
	v_add_f32_e32 v5, 1.0, v1
	v_mul_f32_e32 v1, v5, v5
	v_div_scale_f32 v9, s[0:1], v1, v1, 1.0
	v_div_scale_f32 v8, vcc, 1.0, v4, 1.0
	v_add_f32_e32 v10, 1.0, v5
	v_div_scale_f32 v11, s[0:1], 1.0, v1, 1.0
	v_mul_f32_e32 v5, v10, v10
	v_div_scale_f32 v12, s[2:3], v5, v5, 1.0
	v_div_scale_f32 v15, s[2:3], 1.0, v5, 1.0
	v_rcp_f32_e32 v13, v6
	v_add_f32_e32 v10, 1.0, v10
	v_add_u32_e32 v7, 0x80, v7
	v_rcp_f32_e32 v14, v9
	v_fma_f32 v16, -v6, v13, 1.0
	v_fmac_f32_e32 v13, v16, v13
	v_mul_f32_e32 v17, v8, v13
	v_fma_f32 v18, -v6, v17, v8
	v_fma_f32 v16, -v9, v14, 1.0
	v_fmac_f32_e32 v17, v18, v13
	v_fma_f32 v6, -v6, v17, v8
	v_fmac_f32_e32 v14, v16, v14
	v_div_fmas_f32 v6, v6, v13, v17
	v_mul_f32_e32 v13, v11, v14
	v_fma_f32 v8, -v9, v13, v11
	v_rcp_f32_e32 v16, v12
	v_fmac_f32_e32 v13, v8, v14
	v_mul_f32_e32 v8, v10, v10
	v_div_scale_f32 v17, s[4:5], v8, v8, 1.0
	v_fma_f32 v9, -v9, v13, v11
	v_fma_f32 v11, -v12, v16, 1.0
	v_fmac_f32_e32 v16, v11, v16
	s_mov_b64 vcc, s[0:1]
	v_mul_f32_e32 v11, v15, v16
	v_div_fmas_f32 v9, v9, v14, v13
	v_fma_f32 v13, -v12, v11, v15
	v_fmac_f32_e32 v11, v13, v16
	v_div_scale_f32 v13, s[0:1], 1.0, v8, 1.0
	v_add_f32_e32 v14, 1.0, v10
	v_mul_f32_e32 v10, v14, v14
	v_div_scale_f32 v18, s[4:5], v10, v10, 1.0
	v_fma_f32 v12, -v12, v11, v15
	s_mov_b64 vcc, s[2:3]
	v_div_fmas_f32 v11, v12, v16, v11
	v_div_scale_f32 v12, s[2:3], 1.0, v10, 1.0
	v_rcp_f32_e32 v15, v17
	v_add_f32_e32 v14, 1.0, v14
	v_mul_f32_e32 v19, v14, v14
	v_div_scale_f32 v20, s[4:5], v19, v19, 1.0
	v_fma_f32 v16, -v17, v15, 1.0
	v_fmac_f32_e32 v15, v16, v15
	v_mul_f32_e32 v16, v13, v15
	v_fma_f32 v21, -v17, v16, v13
	v_fmac_f32_e32 v16, v21, v15
	v_rcp_f32_e32 v21, v18
	v_fma_f32 v13, -v17, v16, v13
	s_mov_b64 vcc, s[0:1]
	v_div_fmas_f32 v13, v13, v15, v16
	v_fma_f32 v15, -v18, v21, 1.0
	v_fmac_f32_e32 v21, v15, v21
	v_mul_f32_e32 v15, v12, v21
	v_fma_f32 v16, -v18, v15, v12
	v_fmac_f32_e32 v15, v16, v21
	v_div_scale_f32 v16, s[0:1], 1.0, v19, 1.0
	v_add_f32_e32 v14, 1.0, v14
	v_mul_f32_e32 v22, v14, v14
	v_div_scale_f32 v23, s[4:5], v22, v22, 1.0
	v_rcp_f32_e32 v17, v20
	v_fma_f32 v12, -v18, v15, v12
	s_mov_b64 vcc, s[2:3]
	v_div_scale_f32 v18, s[2:3], 1.0, v22, 1.0
	v_div_fmas_f32 v12, v12, v21, v15
	v_add_f32_e32 v21, v14, v14
	v_div_scale_f32 v24, s[4:5], v21, v21, 1.0
	v_fma_f32 v15, -v20, v17, 1.0
	v_fmac_f32_e32 v17, v15, v17
	v_mul_f32_e32 v15, v16, v17
	v_fma_f32 v25, -v20, v15, v16
	v_fmac_f32_e32 v15, v25, v17
	v_div_scale_f32 v25, s[4:5], 1.0, v21, 1.0
	v_rcp_f32_e32 v26, v23
	v_fma_f32 v16, -v20, v15, v16
	s_mov_b64 vcc, s[0:1]
	v_div_fmas_f32 v15, v16, v17, v15
	v_fma_f32 v16, -v23, v26, 1.0
	v_fmac_f32_e32 v26, v16, v26
	v_mul_f32_e32 v16, v18, v26
	v_fma_f32 v17, -v23, v16, v18
	v_fmac_f32_e32 v16, v17, v26
	v_rcp_f32_e32 v17, v24
	v_fma_f32 v18, -v23, v16, v18
	s_mov_b64 vcc, s[2:3]
	v_div_fmas_f32 v16, v18, v26, v16
	v_fma_f32 v18, -v24, v17, 1.0
	v_fmac_f32_e32 v17, v18, v17
	v_mul_f32_e32 v18, v25, v17
	v_fma_f32 v20, -v24, v18, v25
	v_fmac_f32_e32 v18, v20, v17
	v_fma_f32 v20, -v24, v18, v25
	s_mov_b64 vcc, s[4:5]
	v_div_fmas_f32 v17, v20, v17, v18
	v_mov_b32_e32 v18, 0x3d088889
	s_mov_b32 s0, 0x3e2aaaab
	v_div_fixup_f32 v4, v6, v4, 1.0
	v_add_f32_e32 v3, v3, v4
	v_div_fixup_f32 v1, v9, v1, 1.0
	v_add_f32_e32 v1, v3, v1
	v_div_fixup_f32 v3, v11, v5, 1.0
	v_div_fixup_f32 v16, v16, v22, 1.0
	v_fmac_f32_e32 v18, 0xbcc30c31, v16
	v_fma_f32 v18, -v16, v18, s0
	v_add_f32_e32 v1, v1, v3
	v_div_fixup_f32 v3, v13, v8, 1.0
	v_add_f32_e32 v1, v1, v3
	v_div_fixup_f32 v3, v12, v10, 1.0
	;; [unrolled: 2-line block ×3, first 2 shown]
	v_add_f32_e32 v17, 1.0, v17
	v_fmac_f32_e32 v17, v16, v18
	v_div_scale_f32 v16, s[0:1], v14, v14, v17
	v_div_scale_f32 v18, vcc, v17, v14, v17
	v_div_fixup_f32 v3, v15, v19, 1.0
	v_add_f32_e32 v1, v1, v3
	s_movk_i32 s0, 0x7fff
	v_rcp_f32_e32 v20, v16
	v_fma_f32 v21, -v16, v20, 1.0
	v_fmac_f32_e32 v20, v21, v20
	v_mul_f32_e32 v21, v18, v20
	v_fma_f32 v22, -v16, v21, v18
	v_fmac_f32_e32 v21, v22, v20
	v_fma_f32 v16, -v16, v21, v18
	v_div_fmas_f32 v16, v16, v20, v21
	v_div_fixup_f32 v3, v16, v14, v17
	v_add_f32_e32 v1, v1, v3
	v_mul_f32_e32 v1, v2, v1
	v_bfe_u32 v2, v1, 16, 1
	v_add3_u32 v2, v1, v2, s0
	v_cmp_o_f32_e32 vcc, v1, v1
	v_mov_b32_e32 v1, 0x7fc0
	v_cndmask_b32_sdwa v1, v1, v2, vcc dst_sel:DWORD dst_unused:UNUSED_PAD src0_sel:DWORD src1_sel:WORD_1
	global_store_short v0, v1, s[16:17]
	s_or_b64 exec, exec, s[48:49]
	v_cmp_gt_i32_e32 vcc, s55, v7
	s_and_saveexec_b64 s[48:49], vcc
	s_cbranch_execnz .LBB75_15
.LBB75_193:
	s_or_b64 exec, exec, s[48:49]
	v_cmp_gt_i32_e32 vcc, s55, v7
	s_and_saveexec_b64 s[48:49], vcc
	s_cbranch_execz .LBB75_215
.LBB75_194:
	s_andn2_b64 vcc, exec, s[36:37]
	s_cbranch_vccnz .LBB75_199
; %bb.195:
	s_andn2_b64 vcc, exec, s[46:47]
	s_cbranch_vccnz .LBB75_200
; %bb.196:
	s_add_i32 s58, s56, 1
	s_cmp_eq_u32 s54, 2
	s_cbranch_scc1 .LBB75_223
; %bb.197:
	s_and_b32 s57, s58, 28
	v_mov_b32_e32 v2, 0
	s_mov_b32 s59, 0
	s_mov_b64 s[50:51], s[34:35]
	s_mov_b64 s[52:53], s[44:45]
	v_mov_b32_e32 v0, 0
	v_mov_b32_e32 v1, v7
.LBB75_198:                             ; =>This Inner Loop Header: Depth=1
	s_load_dwordx8 s[8:15], s[50:51], 0x4
	s_load_dwordx4 s[28:31], s[50:51], 0x24
	s_load_dwordx8 s[0:7], s[52:53], 0x0
	s_add_u32 s50, s50, 48
	s_addc_u32 s51, s51, 0
	s_waitcnt lgkmcnt(0)
	v_mul_hi_u32 v3, s9, v1
	s_add_i32 s59, s59, 4
	s_add_u32 s52, s52, 32
	s_addc_u32 s53, s53, 0
	v_add_u32_e32 v3, v1, v3
	v_lshrrev_b32_e32 v3, s10, v3
	v_mul_lo_u32 v4, v3, s8
	v_mul_hi_u32 v5, s12, v3
	s_cmp_eq_u32 s57, s59
	v_sub_u32_e32 v1, v1, v4
	v_add_u32_e32 v4, v3, v5
	v_mul_lo_u32 v5, v1, s0
	v_mul_lo_u32 v6, v1, s1
	v_lshrrev_b32_e32 v1, s13, v4
	v_mul_lo_u32 v4, v1, s11
	v_mul_hi_u32 v8, s15, v1
	v_sub_u32_e32 v3, v3, v4
	v_add_u32_e32 v4, v1, v8
	v_lshrrev_b32_e32 v4, s28, v4
	v_mul_hi_u32 v9, s30, v4
	v_mul_lo_u32 v10, v4, s14
	v_mul_lo_u32 v8, v3, s2
	;; [unrolled: 1-line block ×3, first 2 shown]
	v_sub_u32_e32 v10, v1, v10
	v_add_u32_e32 v1, v4, v9
	v_lshrrev_b32_e32 v1, s31, v1
	v_mul_lo_u32 v9, v1, s29
	v_mul_lo_u32 v11, v10, s4
	;; [unrolled: 1-line block ×3, first 2 shown]
	v_add3_u32 v0, v5, v0, v8
	v_sub_u32_e32 v4, v4, v9
	v_mul_lo_u32 v9, v4, s6
	v_mul_lo_u32 v4, v4, s7
	v_add3_u32 v2, v6, v2, v3
	v_add3_u32 v0, v11, v0, v9
	;; [unrolled: 1-line block ×3, first 2 shown]
	s_cbranch_scc0 .LBB75_198
	s_branch .LBB75_224
.LBB75_199:
                                        ; implicit-def: $vgpr0
                                        ; implicit-def: $vgpr2
	s_branch .LBB75_228
.LBB75_200:
	v_mov_b32_e32 v0, 0
	v_mov_b32_e32 v2, 0
	s_branch .LBB75_227
.LBB75_201:
	s_mov_b32 s57, 0
	v_mov_b32_e32 v0, 0
	v_mov_b32_e32 v2, 0
	;; [unrolled: 1-line block ×3, first 2 shown]
.LBB75_202:
	s_and_b32 s4, s58, 3
	s_cmp_eq_u32 s4, 0
	s_cbranch_scc1 .LBB75_205
; %bb.203:
	s_lshl_b32 s0, s57, 3
	s_add_u32 s0, s34, s0
	s_addc_u32 s1, s35, 0
	s_add_u32 s0, s0, 0xc4
	s_addc_u32 s1, s1, 0
	s_mul_i32 s2, s57, 12
	s_add_u32 s2, s34, s2
	s_addc_u32 s3, s35, 0
.LBB75_204:                             ; =>This Inner Loop Header: Depth=1
	s_load_dwordx2 s[6:7], s[2:3], 0x4
	s_load_dword s5, s[2:3], 0xc
	s_load_dwordx2 s[8:9], s[0:1], 0x0
	s_add_u32 s2, s2, 12
	s_addc_u32 s3, s3, 0
	s_waitcnt lgkmcnt(0)
	v_mul_hi_u32 v3, s7, v1
	s_add_u32 s0, s0, 8
	s_addc_u32 s1, s1, 0
	s_add_i32 s4, s4, -1
	v_add_u32_e32 v3, v1, v3
	v_lshrrev_b32_e32 v4, s5, v3
	v_mul_lo_u32 v3, v4, s6
	s_cmp_lg_u32 s4, 0
	v_sub_u32_e32 v3, v1, v3
	v_mad_u64_u32 v[0:1], s[6:7], v3, s8, v[0:1]
	v_mad_u64_u32 v[2:3], s[6:7], v3, s9, v[2:3]
	v_mov_b32_e32 v1, v4
	s_cbranch_scc1 .LBB75_204
.LBB75_205:
	s_cbranch_execnz .LBB75_208
.LBB75_206:
	s_waitcnt lgkmcnt(0)
	v_mul_hi_u32 v0, s25, v7
	s_andn2_b64 vcc, exec, s[42:43]
	v_add_u32_e32 v0, v7, v0
	v_lshrrev_b32_e32 v1, s26, v0
	v_mul_lo_u32 v0, v1, s24
	v_sub_u32_e32 v2, v7, v0
	v_mul_lo_u32 v0, v2, s20
	v_mul_lo_u32 v2, v2, s21
	s_cbranch_vccnz .LBB75_208
; %bb.207:
	v_mul_hi_u32 v3, s40, v1
	v_add_u32_e32 v3, v1, v3
	v_lshrrev_b32_e32 v3, s41, v3
	v_mul_lo_u32 v3, v3, s27
	v_sub_u32_e32 v3, v1, v3
	v_mad_u64_u32 v[0:1], s[0:1], v3, s22, v[0:1]
	v_mad_u64_u32 v[2:3], s[0:1], v3, s23, v[2:3]
.LBB75_208:
	s_waitcnt lgkmcnt(0)
	global_load_ushort v1, v2, s[18:19]
	v_mov_b32_e32 v3, 0
	v_mov_b32_e32 v2, 1.0
	s_waitcnt vmcnt(0)
	v_lshlrev_b32_e32 v1, 16, v1
	v_cmp_gt_f32_e32 vcc, 0.5, v1
	s_and_saveexec_b64 s[6:7], vcc
	s_cbranch_execz .LBB75_214
; %bb.209:
	v_mul_f32_e32 v2, 0x40490fdb, v1
	s_brev_b32 s0, 18
	v_and_b32_e32 v3, 0x7fffffff, v2
	v_cmp_nlt_f32_e64 s[0:1], |v2|, s0
                                        ; implicit-def: $vgpr4
                                        ; implicit-def: $vgpr5
	s_and_saveexec_b64 s[2:3], s[0:1]
	s_xor_b64 s[8:9], exec, s[2:3]
	s_cbranch_execz .LBB75_211
; %bb.210:
	v_and_b32_e32 v4, 0x7fffff, v3
	v_or_b32_e32 v14, 0x800000, v4
	s_mov_b32 s0, 0xfe5163ab
	v_mad_u64_u32 v[4:5], s[0:1], v14, s0, 0
	v_mov_b32_e32 v6, 0
	s_mov_b32 s0, 0x3c439041
	v_mad_u64_u32 v[8:9], s[0:1], v14, s0, v[5:6]
	s_mov_b32 s0, 0xdb629599
	v_not_b32_e32 v13, 63
	v_mov_b32_e32 v5, v9
	v_mad_u64_u32 v[9:10], s[0:1], v14, s0, v[5:6]
	s_mov_b32 s0, 0xf534ddc0
	v_not_b32_e32 v16, 31
	v_mov_b32_e32 v5, v10
	v_mad_u64_u32 v[10:11], s[0:1], v14, s0, v[5:6]
	v_lshrrev_b32_e32 v5, 23, v3
	v_add_u32_e32 v15, 0xffffff88, v5
	v_mov_b32_e32 v5, v11
	s_mov_b32 s0, 0xfc2757d1
	v_mad_u64_u32 v[11:12], s[0:1], v14, s0, v[5:6]
	v_cmp_lt_u32_e32 vcc, 63, v15
	v_cndmask_b32_e32 v5, 0, v13, vcc
	v_add_u32_e32 v15, v5, v15
	v_mov_b32_e32 v5, v12
	s_mov_b32 s0, 0x4e441529
	v_mad_u64_u32 v[12:13], s[0:1], v14, s0, v[5:6]
	v_cmp_lt_u32_e64 s[0:1], 31, v15
	v_cndmask_b32_e64 v5, 0, v16, s[0:1]
	v_add_u32_e32 v15, v5, v15
	v_mov_b32_e32 v5, v13
	s_mov_b32 s2, 0xa2f9836e
	v_mad_u64_u32 v[5:6], s[2:3], v14, s2, v[5:6]
	v_cmp_lt_u32_e64 s[2:3], 31, v15
	v_cndmask_b32_e64 v13, 0, v16, s[2:3]
	v_cndmask_b32_e32 v14, v12, v10, vcc
	v_cndmask_b32_e32 v5, v5, v11, vcc
	v_cndmask_b32_e32 v6, v6, v12, vcc
	v_add_u32_e32 v13, v13, v15
	v_cndmask_b32_e64 v15, v5, v14, s[0:1]
	v_cndmask_b32_e64 v5, v6, v5, s[0:1]
	v_cndmask_b32_e32 v6, v11, v9, vcc
	v_cndmask_b32_e64 v11, v14, v6, s[0:1]
	v_cndmask_b32_e64 v5, v5, v15, s[2:3]
	;; [unrolled: 1-line block ×3, first 2 shown]
	v_sub_u32_e32 v14, 32, v13
	v_alignbit_b32 v15, v5, v12, v14
	v_cmp_eq_u32_e64 s[4:5], 0, v13
	v_cndmask_b32_e64 v13, v15, v5, s[4:5]
	v_cndmask_b32_e32 v5, v10, v8, vcc
	v_cndmask_b32_e64 v6, v6, v5, s[0:1]
	v_cndmask_b32_e64 v8, v11, v6, s[2:3]
	v_alignbit_b32 v10, v12, v8, v14
	v_cndmask_b32_e32 v4, v9, v4, vcc
	v_cndmask_b32_e64 v10, v10, v12, s[4:5]
	v_bfe_u32 v15, v13, 29, 1
	v_cndmask_b32_e64 v4, v5, v4, s[0:1]
	v_alignbit_b32 v11, v13, v10, 30
	v_sub_u32_e32 v16, 0, v15
	v_cndmask_b32_e64 v4, v6, v4, s[2:3]
	v_xor_b32_e32 v11, v11, v16
	v_alignbit_b32 v5, v8, v4, v14
	v_cndmask_b32_e64 v5, v5, v8, s[4:5]
	v_ffbh_u32_e32 v8, v11
	v_alignbit_b32 v6, v10, v5, 30
	v_min_u32_e32 v8, 32, v8
	v_alignbit_b32 v4, v5, v4, 30
	v_xor_b32_e32 v6, v6, v16
	v_sub_u32_e32 v9, 31, v8
	v_xor_b32_e32 v4, v4, v16
	v_alignbit_b32 v10, v11, v6, v9
	v_alignbit_b32 v4, v6, v4, v9
	v_alignbit_b32 v5, v10, v4, 9
	v_ffbh_u32_e32 v6, v5
	v_min_u32_e32 v6, 32, v6
	v_lshrrev_b32_e32 v12, 29, v13
	v_not_b32_e32 v9, v6
	v_alignbit_b32 v4, v5, v4, v9
	v_lshlrev_b32_e32 v5, 31, v12
	v_or_b32_e32 v9, 0x33000000, v5
	v_add_lshl_u32 v6, v6, v8, 23
	v_lshrrev_b32_e32 v4, 9, v4
	v_sub_u32_e32 v6, v9, v6
	v_or_b32_e32 v5, 0.5, v5
	v_lshlrev_b32_e32 v8, 23, v8
	v_or_b32_e32 v4, v6, v4
	v_lshrrev_b32_e32 v6, 9, v10
	v_sub_u32_e32 v5, v5, v8
	v_or_b32_e32 v5, v6, v5
	s_mov_b32 s0, 0x3fc90fda
	v_mul_f32_e32 v6, 0x3fc90fda, v5
	v_fma_f32 v8, v5, s0, -v6
	v_fmac_f32_e32 v8, 0x33a22168, v5
	v_fmac_f32_e32 v8, 0x3fc90fda, v4
	v_lshrrev_b32_e32 v4, 30, v13
	v_add_f32_e32 v5, v6, v8
	v_add_u32_e32 v4, v15, v4
.LBB75_211:
	s_andn2_saveexec_b64 s[0:1], s[8:9]
	s_cbranch_execz .LBB75_213
; %bb.212:
	s_mov_b32 s2, 0x3f22f983
	v_mul_f32_e64 v4, |v2|, s2
	v_rndne_f32_e32 v6, v4
	s_mov_b32 s2, 0xbfc90fda
	v_cvt_i32_f32_e32 v4, v6
	v_fma_f32 v5, v6, s2, |v2|
	v_fmac_f32_e32 v5, 0xb3a22168, v6
	v_fmac_f32_e32 v5, 0xa7c234c4, v6
.LBB75_213:
	s_or_b64 exec, exec, s[0:1]
	v_mul_f32_e32 v6, v5, v5
	v_mov_b32_e32 v8, 0x3c0881c4
	v_fmac_f32_e32 v8, 0xb94c1982, v6
	v_mov_b32_e32 v9, 0xbe2aaa9d
	v_fmac_f32_e32 v9, v6, v8
	v_mul_f32_e32 v8, v6, v9
	v_fmac_f32_e32 v5, v5, v8
	v_mov_b32_e32 v8, 0xbab64f3b
	v_fmac_f32_e32 v8, 0x37d75334, v6
	v_mov_b32_e32 v9, 0x3d2aabf7
	;; [unrolled: 2-line block ×3, first 2 shown]
	v_fmac_f32_e32 v8, v6, v9
	v_fma_f32 v6, v6, v8, 1.0
	v_and_b32_e32 v8, 1, v4
	v_lshlrev_b32_e32 v4, 30, v4
	v_cmp_eq_u32_e32 vcc, 0, v8
	v_and_b32_e32 v4, 0x80000000, v4
	v_xor_b32_e32 v3, v3, v2
	v_cndmask_b32_e32 v5, v6, v5, vcc
	v_xor_b32_e32 v3, v3, v4
	s_movk_i32 s0, 0x1f8
	v_xor_b32_e32 v3, v3, v5
	v_mov_b32_e32 v4, 0x7fc00000
	v_cmp_class_f32_e64 vcc, v2, s0
	v_cndmask_b32_e32 v2, v4, v3, vcc
	v_mul_f32_e32 v2, v2, v2
	s_mov_b32 s2, 0xc11de9e7
	v_div_scale_f32 v3, s[0:1], v2, v2, s2
	v_div_scale_f32 v4, vcc, s2, v2, s2
	v_sub_f32_e32 v1, 1.0, v1
	v_rcp_f32_e32 v5, v3
	v_fma_f32 v6, -v3, v5, 1.0
	v_fmac_f32_e32 v5, v6, v5
	v_mul_f32_e32 v6, v4, v5
	v_fma_f32 v8, -v3, v6, v4
	v_fmac_f32_e32 v6, v8, v5
	v_fma_f32 v3, -v3, v6, v4
	v_div_fmas_f32 v3, v3, v5, v6
	v_div_fixup_f32 v2, v3, v2, s2
	v_add_f32_e32 v3, 0, v2
	v_mov_b32_e32 v2, -1.0
.LBB75_214:
	s_or_b64 exec, exec, s[6:7]
	v_mul_f32_e32 v4, v1, v1
	v_div_scale_f32 v6, s[0:1], v4, v4, 1.0
	v_add_f32_e32 v5, 1.0, v1
	v_mul_f32_e32 v1, v5, v5
	v_div_scale_f32 v9, s[0:1], v1, v1, 1.0
	v_div_scale_f32 v8, vcc, 1.0, v4, 1.0
	v_add_f32_e32 v10, 1.0, v5
	v_div_scale_f32 v11, s[0:1], 1.0, v1, 1.0
	v_mul_f32_e32 v5, v10, v10
	v_div_scale_f32 v12, s[2:3], v5, v5, 1.0
	v_div_scale_f32 v15, s[2:3], 1.0, v5, 1.0
	v_rcp_f32_e32 v13, v6
	v_add_f32_e32 v10, 1.0, v10
	v_add_u32_e32 v7, 0x80, v7
	v_rcp_f32_e32 v14, v9
	v_fma_f32 v16, -v6, v13, 1.0
	v_fmac_f32_e32 v13, v16, v13
	v_mul_f32_e32 v17, v8, v13
	v_fma_f32 v18, -v6, v17, v8
	v_fma_f32 v16, -v9, v14, 1.0
	v_fmac_f32_e32 v17, v18, v13
	v_fma_f32 v6, -v6, v17, v8
	v_fmac_f32_e32 v14, v16, v14
	v_div_fmas_f32 v6, v6, v13, v17
	v_mul_f32_e32 v13, v11, v14
	v_fma_f32 v8, -v9, v13, v11
	v_rcp_f32_e32 v16, v12
	v_fmac_f32_e32 v13, v8, v14
	v_mul_f32_e32 v8, v10, v10
	v_div_scale_f32 v17, s[4:5], v8, v8, 1.0
	v_fma_f32 v9, -v9, v13, v11
	v_fma_f32 v11, -v12, v16, 1.0
	v_fmac_f32_e32 v16, v11, v16
	s_mov_b64 vcc, s[0:1]
	v_mul_f32_e32 v11, v15, v16
	v_div_fmas_f32 v9, v9, v14, v13
	v_fma_f32 v13, -v12, v11, v15
	v_fmac_f32_e32 v11, v13, v16
	v_div_scale_f32 v13, s[0:1], 1.0, v8, 1.0
	v_add_f32_e32 v14, 1.0, v10
	v_mul_f32_e32 v10, v14, v14
	v_div_scale_f32 v18, s[4:5], v10, v10, 1.0
	v_fma_f32 v12, -v12, v11, v15
	s_mov_b64 vcc, s[2:3]
	v_div_fmas_f32 v11, v12, v16, v11
	v_div_scale_f32 v12, s[2:3], 1.0, v10, 1.0
	v_rcp_f32_e32 v15, v17
	v_add_f32_e32 v14, 1.0, v14
	v_mul_f32_e32 v19, v14, v14
	v_div_scale_f32 v20, s[4:5], v19, v19, 1.0
	v_fma_f32 v16, -v17, v15, 1.0
	v_fmac_f32_e32 v15, v16, v15
	v_mul_f32_e32 v16, v13, v15
	v_fma_f32 v21, -v17, v16, v13
	v_fmac_f32_e32 v16, v21, v15
	v_rcp_f32_e32 v21, v18
	v_fma_f32 v13, -v17, v16, v13
	s_mov_b64 vcc, s[0:1]
	v_div_fmas_f32 v13, v13, v15, v16
	v_fma_f32 v15, -v18, v21, 1.0
	v_fmac_f32_e32 v21, v15, v21
	v_mul_f32_e32 v15, v12, v21
	v_fma_f32 v16, -v18, v15, v12
	v_fmac_f32_e32 v15, v16, v21
	v_div_scale_f32 v16, s[0:1], 1.0, v19, 1.0
	v_add_f32_e32 v14, 1.0, v14
	v_mul_f32_e32 v22, v14, v14
	v_div_scale_f32 v23, s[4:5], v22, v22, 1.0
	v_rcp_f32_e32 v17, v20
	v_fma_f32 v12, -v18, v15, v12
	s_mov_b64 vcc, s[2:3]
	v_div_scale_f32 v18, s[2:3], 1.0, v22, 1.0
	v_div_fmas_f32 v12, v12, v21, v15
	v_add_f32_e32 v21, v14, v14
	v_div_scale_f32 v24, s[4:5], v21, v21, 1.0
	v_fma_f32 v15, -v20, v17, 1.0
	v_fmac_f32_e32 v17, v15, v17
	v_mul_f32_e32 v15, v16, v17
	v_fma_f32 v25, -v20, v15, v16
	v_fmac_f32_e32 v15, v25, v17
	v_div_scale_f32 v25, s[4:5], 1.0, v21, 1.0
	v_rcp_f32_e32 v26, v23
	v_fma_f32 v16, -v20, v15, v16
	s_mov_b64 vcc, s[0:1]
	v_div_fmas_f32 v15, v16, v17, v15
	v_fma_f32 v16, -v23, v26, 1.0
	v_fmac_f32_e32 v26, v16, v26
	v_mul_f32_e32 v16, v18, v26
	v_fma_f32 v17, -v23, v16, v18
	v_fmac_f32_e32 v16, v17, v26
	v_rcp_f32_e32 v17, v24
	v_fma_f32 v18, -v23, v16, v18
	s_mov_b64 vcc, s[2:3]
	v_div_fmas_f32 v16, v18, v26, v16
	v_fma_f32 v18, -v24, v17, 1.0
	v_fmac_f32_e32 v17, v18, v17
	v_mul_f32_e32 v18, v25, v17
	v_fma_f32 v20, -v24, v18, v25
	v_fmac_f32_e32 v18, v20, v17
	v_fma_f32 v20, -v24, v18, v25
	s_mov_b64 vcc, s[4:5]
	v_div_fmas_f32 v17, v20, v17, v18
	v_mov_b32_e32 v18, 0x3d088889
	s_mov_b32 s0, 0x3e2aaaab
	v_div_fixup_f32 v4, v6, v4, 1.0
	v_add_f32_e32 v3, v3, v4
	v_div_fixup_f32 v1, v9, v1, 1.0
	v_add_f32_e32 v1, v3, v1
	v_div_fixup_f32 v3, v11, v5, 1.0
	v_div_fixup_f32 v16, v16, v22, 1.0
	v_fmac_f32_e32 v18, 0xbcc30c31, v16
	v_fma_f32 v18, -v16, v18, s0
	v_add_f32_e32 v1, v1, v3
	v_div_fixup_f32 v3, v13, v8, 1.0
	v_add_f32_e32 v1, v1, v3
	v_div_fixup_f32 v3, v12, v10, 1.0
	;; [unrolled: 2-line block ×3, first 2 shown]
	v_add_f32_e32 v17, 1.0, v17
	v_fmac_f32_e32 v17, v16, v18
	v_div_scale_f32 v16, s[0:1], v14, v14, v17
	v_div_scale_f32 v18, vcc, v17, v14, v17
	v_div_fixup_f32 v3, v15, v19, 1.0
	v_add_f32_e32 v1, v1, v3
	s_movk_i32 s0, 0x7fff
	v_rcp_f32_e32 v20, v16
	v_fma_f32 v21, -v16, v20, 1.0
	v_fmac_f32_e32 v20, v21, v20
	v_mul_f32_e32 v21, v18, v20
	v_fma_f32 v22, -v16, v21, v18
	v_fmac_f32_e32 v21, v22, v20
	v_fma_f32 v16, -v16, v21, v18
	v_div_fmas_f32 v16, v16, v20, v21
	v_div_fixup_f32 v3, v16, v14, v17
	v_add_f32_e32 v1, v1, v3
	v_mul_f32_e32 v1, v2, v1
	v_bfe_u32 v2, v1, 16, 1
	v_add3_u32 v2, v1, v2, s0
	v_cmp_o_f32_e32 vcc, v1, v1
	v_mov_b32_e32 v1, 0x7fc0
	v_cndmask_b32_sdwa v1, v1, v2, vcc dst_sel:DWORD dst_unused:UNUSED_PAD src0_sel:DWORD src1_sel:WORD_1
	global_store_short v0, v1, s[16:17]
	s_or_b64 exec, exec, s[48:49]
	v_cmp_gt_i32_e32 vcc, s55, v7
	s_and_saveexec_b64 s[48:49], vcc
	s_cbranch_execnz .LBB75_194
.LBB75_215:
	s_or_b64 exec, exec, s[48:49]
	v_cmp_gt_i32_e32 vcc, s55, v7
	s_and_saveexec_b64 s[48:49], vcc
	s_cbranch_execz .LBB75_237
.LBB75_216:
	s_andn2_b64 vcc, exec, s[36:37]
	s_cbranch_vccnz .LBB75_221
; %bb.217:
	s_andn2_b64 vcc, exec, s[46:47]
	s_cbranch_vccnz .LBB75_222
; %bb.218:
	s_add_i32 s58, s56, 1
	s_cmp_eq_u32 s54, 2
	s_cbranch_scc1 .LBB75_245
; %bb.219:
	s_and_b32 s57, s58, 28
	v_mov_b32_e32 v2, 0
	s_mov_b32 s59, 0
	s_mov_b64 s[50:51], s[34:35]
	s_mov_b64 s[52:53], s[44:45]
	v_mov_b32_e32 v0, 0
	v_mov_b32_e32 v1, v7
.LBB75_220:                             ; =>This Inner Loop Header: Depth=1
	s_load_dwordx8 s[8:15], s[50:51], 0x4
	s_load_dwordx4 s[28:31], s[50:51], 0x24
	s_load_dwordx8 s[0:7], s[52:53], 0x0
	s_add_u32 s50, s50, 48
	s_addc_u32 s51, s51, 0
	s_waitcnt lgkmcnt(0)
	v_mul_hi_u32 v3, s9, v1
	s_add_i32 s59, s59, 4
	s_add_u32 s52, s52, 32
	s_addc_u32 s53, s53, 0
	v_add_u32_e32 v3, v1, v3
	v_lshrrev_b32_e32 v3, s10, v3
	v_mul_lo_u32 v4, v3, s8
	v_mul_hi_u32 v5, s12, v3
	s_cmp_eq_u32 s57, s59
	v_sub_u32_e32 v1, v1, v4
	v_add_u32_e32 v4, v3, v5
	v_mul_lo_u32 v5, v1, s0
	v_mul_lo_u32 v6, v1, s1
	v_lshrrev_b32_e32 v1, s13, v4
	v_mul_lo_u32 v4, v1, s11
	v_mul_hi_u32 v8, s15, v1
	v_sub_u32_e32 v3, v3, v4
	v_add_u32_e32 v4, v1, v8
	v_lshrrev_b32_e32 v4, s28, v4
	v_mul_hi_u32 v9, s30, v4
	v_mul_lo_u32 v10, v4, s14
	v_mul_lo_u32 v8, v3, s2
	;; [unrolled: 1-line block ×3, first 2 shown]
	v_sub_u32_e32 v10, v1, v10
	v_add_u32_e32 v1, v4, v9
	v_lshrrev_b32_e32 v1, s31, v1
	v_mul_lo_u32 v9, v1, s29
	v_mul_lo_u32 v11, v10, s4
	;; [unrolled: 1-line block ×3, first 2 shown]
	v_add3_u32 v0, v5, v0, v8
	v_sub_u32_e32 v4, v4, v9
	v_mul_lo_u32 v9, v4, s6
	v_mul_lo_u32 v4, v4, s7
	v_add3_u32 v2, v6, v2, v3
	v_add3_u32 v0, v11, v0, v9
	;; [unrolled: 1-line block ×3, first 2 shown]
	s_cbranch_scc0 .LBB75_220
	s_branch .LBB75_246
.LBB75_221:
                                        ; implicit-def: $vgpr0
                                        ; implicit-def: $vgpr2
	s_branch .LBB75_250
.LBB75_222:
	v_mov_b32_e32 v0, 0
	v_mov_b32_e32 v2, 0
	s_branch .LBB75_249
.LBB75_223:
	s_mov_b32 s57, 0
	v_mov_b32_e32 v0, 0
	v_mov_b32_e32 v2, 0
	;; [unrolled: 1-line block ×3, first 2 shown]
.LBB75_224:
	s_and_b32 s4, s58, 3
	s_cmp_eq_u32 s4, 0
	s_cbranch_scc1 .LBB75_227
; %bb.225:
	s_lshl_b32 s0, s57, 3
	s_add_u32 s0, s34, s0
	s_addc_u32 s1, s35, 0
	s_add_u32 s0, s0, 0xc4
	s_addc_u32 s1, s1, 0
	s_mul_i32 s2, s57, 12
	s_add_u32 s2, s34, s2
	s_addc_u32 s3, s35, 0
.LBB75_226:                             ; =>This Inner Loop Header: Depth=1
	s_load_dwordx2 s[6:7], s[2:3], 0x4
	s_load_dword s5, s[2:3], 0xc
	s_load_dwordx2 s[8:9], s[0:1], 0x0
	s_add_u32 s2, s2, 12
	s_addc_u32 s3, s3, 0
	s_waitcnt lgkmcnt(0)
	v_mul_hi_u32 v3, s7, v1
	s_add_u32 s0, s0, 8
	s_addc_u32 s1, s1, 0
	s_add_i32 s4, s4, -1
	v_add_u32_e32 v3, v1, v3
	v_lshrrev_b32_e32 v4, s5, v3
	v_mul_lo_u32 v3, v4, s6
	s_cmp_lg_u32 s4, 0
	v_sub_u32_e32 v3, v1, v3
	v_mad_u64_u32 v[0:1], s[6:7], v3, s8, v[0:1]
	v_mad_u64_u32 v[2:3], s[6:7], v3, s9, v[2:3]
	v_mov_b32_e32 v1, v4
	s_cbranch_scc1 .LBB75_226
.LBB75_227:
	s_cbranch_execnz .LBB75_230
.LBB75_228:
	s_waitcnt lgkmcnt(0)
	v_mul_hi_u32 v0, s25, v7
	s_andn2_b64 vcc, exec, s[42:43]
	v_add_u32_e32 v0, v7, v0
	v_lshrrev_b32_e32 v1, s26, v0
	v_mul_lo_u32 v0, v1, s24
	v_sub_u32_e32 v2, v7, v0
	v_mul_lo_u32 v0, v2, s20
	v_mul_lo_u32 v2, v2, s21
	s_cbranch_vccnz .LBB75_230
; %bb.229:
	v_mul_hi_u32 v3, s40, v1
	v_add_u32_e32 v3, v1, v3
	v_lshrrev_b32_e32 v3, s41, v3
	v_mul_lo_u32 v3, v3, s27
	v_sub_u32_e32 v3, v1, v3
	v_mad_u64_u32 v[0:1], s[0:1], v3, s22, v[0:1]
	v_mad_u64_u32 v[2:3], s[0:1], v3, s23, v[2:3]
.LBB75_230:
	s_waitcnt lgkmcnt(0)
	global_load_ushort v1, v2, s[18:19]
	v_mov_b32_e32 v3, 0
	v_mov_b32_e32 v2, 1.0
	s_waitcnt vmcnt(0)
	v_lshlrev_b32_e32 v1, 16, v1
	v_cmp_gt_f32_e32 vcc, 0.5, v1
	s_and_saveexec_b64 s[6:7], vcc
	s_cbranch_execz .LBB75_236
; %bb.231:
	v_mul_f32_e32 v2, 0x40490fdb, v1
	s_brev_b32 s0, 18
	v_and_b32_e32 v3, 0x7fffffff, v2
	v_cmp_nlt_f32_e64 s[0:1], |v2|, s0
                                        ; implicit-def: $vgpr4
                                        ; implicit-def: $vgpr5
	s_and_saveexec_b64 s[2:3], s[0:1]
	s_xor_b64 s[8:9], exec, s[2:3]
	s_cbranch_execz .LBB75_233
; %bb.232:
	v_and_b32_e32 v4, 0x7fffff, v3
	v_or_b32_e32 v14, 0x800000, v4
	s_mov_b32 s0, 0xfe5163ab
	v_mad_u64_u32 v[4:5], s[0:1], v14, s0, 0
	v_mov_b32_e32 v6, 0
	s_mov_b32 s0, 0x3c439041
	v_mad_u64_u32 v[8:9], s[0:1], v14, s0, v[5:6]
	s_mov_b32 s0, 0xdb629599
	v_not_b32_e32 v13, 63
	v_mov_b32_e32 v5, v9
	v_mad_u64_u32 v[9:10], s[0:1], v14, s0, v[5:6]
	s_mov_b32 s0, 0xf534ddc0
	v_not_b32_e32 v16, 31
	v_mov_b32_e32 v5, v10
	v_mad_u64_u32 v[10:11], s[0:1], v14, s0, v[5:6]
	v_lshrrev_b32_e32 v5, 23, v3
	v_add_u32_e32 v15, 0xffffff88, v5
	v_mov_b32_e32 v5, v11
	s_mov_b32 s0, 0xfc2757d1
	v_mad_u64_u32 v[11:12], s[0:1], v14, s0, v[5:6]
	v_cmp_lt_u32_e32 vcc, 63, v15
	v_cndmask_b32_e32 v5, 0, v13, vcc
	v_add_u32_e32 v15, v5, v15
	v_mov_b32_e32 v5, v12
	s_mov_b32 s0, 0x4e441529
	v_mad_u64_u32 v[12:13], s[0:1], v14, s0, v[5:6]
	v_cmp_lt_u32_e64 s[0:1], 31, v15
	v_cndmask_b32_e64 v5, 0, v16, s[0:1]
	v_add_u32_e32 v15, v5, v15
	v_mov_b32_e32 v5, v13
	s_mov_b32 s2, 0xa2f9836e
	v_mad_u64_u32 v[5:6], s[2:3], v14, s2, v[5:6]
	v_cmp_lt_u32_e64 s[2:3], 31, v15
	v_cndmask_b32_e64 v13, 0, v16, s[2:3]
	v_cndmask_b32_e32 v14, v12, v10, vcc
	v_cndmask_b32_e32 v5, v5, v11, vcc
	;; [unrolled: 1-line block ×3, first 2 shown]
	v_add_u32_e32 v13, v13, v15
	v_cndmask_b32_e64 v15, v5, v14, s[0:1]
	v_cndmask_b32_e64 v5, v6, v5, s[0:1]
	v_cndmask_b32_e32 v6, v11, v9, vcc
	v_cndmask_b32_e64 v11, v14, v6, s[0:1]
	v_cndmask_b32_e64 v5, v5, v15, s[2:3]
	v_cndmask_b32_e64 v12, v15, v11, s[2:3]
	v_sub_u32_e32 v14, 32, v13
	v_alignbit_b32 v15, v5, v12, v14
	v_cmp_eq_u32_e64 s[4:5], 0, v13
	v_cndmask_b32_e64 v13, v15, v5, s[4:5]
	v_cndmask_b32_e32 v5, v10, v8, vcc
	v_cndmask_b32_e64 v6, v6, v5, s[0:1]
	v_cndmask_b32_e64 v8, v11, v6, s[2:3]
	v_alignbit_b32 v10, v12, v8, v14
	v_cndmask_b32_e32 v4, v9, v4, vcc
	v_cndmask_b32_e64 v10, v10, v12, s[4:5]
	v_bfe_u32 v15, v13, 29, 1
	v_cndmask_b32_e64 v4, v5, v4, s[0:1]
	v_alignbit_b32 v11, v13, v10, 30
	v_sub_u32_e32 v16, 0, v15
	v_cndmask_b32_e64 v4, v6, v4, s[2:3]
	v_xor_b32_e32 v11, v11, v16
	v_alignbit_b32 v5, v8, v4, v14
	v_cndmask_b32_e64 v5, v5, v8, s[4:5]
	v_ffbh_u32_e32 v8, v11
	v_alignbit_b32 v6, v10, v5, 30
	v_min_u32_e32 v8, 32, v8
	v_alignbit_b32 v4, v5, v4, 30
	v_xor_b32_e32 v6, v6, v16
	v_sub_u32_e32 v9, 31, v8
	v_xor_b32_e32 v4, v4, v16
	v_alignbit_b32 v10, v11, v6, v9
	v_alignbit_b32 v4, v6, v4, v9
	;; [unrolled: 1-line block ×3, first 2 shown]
	v_ffbh_u32_e32 v6, v5
	v_min_u32_e32 v6, 32, v6
	v_lshrrev_b32_e32 v12, 29, v13
	v_not_b32_e32 v9, v6
	v_alignbit_b32 v4, v5, v4, v9
	v_lshlrev_b32_e32 v5, 31, v12
	v_or_b32_e32 v9, 0x33000000, v5
	v_add_lshl_u32 v6, v6, v8, 23
	v_lshrrev_b32_e32 v4, 9, v4
	v_sub_u32_e32 v6, v9, v6
	v_or_b32_e32 v5, 0.5, v5
	v_lshlrev_b32_e32 v8, 23, v8
	v_or_b32_e32 v4, v6, v4
	v_lshrrev_b32_e32 v6, 9, v10
	v_sub_u32_e32 v5, v5, v8
	v_or_b32_e32 v5, v6, v5
	s_mov_b32 s0, 0x3fc90fda
	v_mul_f32_e32 v6, 0x3fc90fda, v5
	v_fma_f32 v8, v5, s0, -v6
	v_fmac_f32_e32 v8, 0x33a22168, v5
	v_fmac_f32_e32 v8, 0x3fc90fda, v4
	v_lshrrev_b32_e32 v4, 30, v13
	v_add_f32_e32 v5, v6, v8
	v_add_u32_e32 v4, v15, v4
.LBB75_233:
	s_andn2_saveexec_b64 s[0:1], s[8:9]
	s_cbranch_execz .LBB75_235
; %bb.234:
	s_mov_b32 s2, 0x3f22f983
	v_mul_f32_e64 v4, |v2|, s2
	v_rndne_f32_e32 v6, v4
	s_mov_b32 s2, 0xbfc90fda
	v_cvt_i32_f32_e32 v4, v6
	v_fma_f32 v5, v6, s2, |v2|
	v_fmac_f32_e32 v5, 0xb3a22168, v6
	v_fmac_f32_e32 v5, 0xa7c234c4, v6
.LBB75_235:
	s_or_b64 exec, exec, s[0:1]
	v_mul_f32_e32 v6, v5, v5
	v_mov_b32_e32 v8, 0x3c0881c4
	v_fmac_f32_e32 v8, 0xb94c1982, v6
	v_mov_b32_e32 v9, 0xbe2aaa9d
	v_fmac_f32_e32 v9, v6, v8
	v_mul_f32_e32 v8, v6, v9
	v_fmac_f32_e32 v5, v5, v8
	v_mov_b32_e32 v8, 0xbab64f3b
	v_fmac_f32_e32 v8, 0x37d75334, v6
	v_mov_b32_e32 v9, 0x3d2aabf7
	;; [unrolled: 2-line block ×3, first 2 shown]
	v_fmac_f32_e32 v8, v6, v9
	v_fma_f32 v6, v6, v8, 1.0
	v_and_b32_e32 v8, 1, v4
	v_lshlrev_b32_e32 v4, 30, v4
	v_cmp_eq_u32_e32 vcc, 0, v8
	v_and_b32_e32 v4, 0x80000000, v4
	v_xor_b32_e32 v3, v3, v2
	v_cndmask_b32_e32 v5, v6, v5, vcc
	v_xor_b32_e32 v3, v3, v4
	s_movk_i32 s0, 0x1f8
	v_xor_b32_e32 v3, v3, v5
	v_mov_b32_e32 v4, 0x7fc00000
	v_cmp_class_f32_e64 vcc, v2, s0
	v_cndmask_b32_e32 v2, v4, v3, vcc
	v_mul_f32_e32 v2, v2, v2
	s_mov_b32 s2, 0xc11de9e7
	v_div_scale_f32 v3, s[0:1], v2, v2, s2
	v_div_scale_f32 v4, vcc, s2, v2, s2
	v_sub_f32_e32 v1, 1.0, v1
	v_rcp_f32_e32 v5, v3
	v_fma_f32 v6, -v3, v5, 1.0
	v_fmac_f32_e32 v5, v6, v5
	v_mul_f32_e32 v6, v4, v5
	v_fma_f32 v8, -v3, v6, v4
	v_fmac_f32_e32 v6, v8, v5
	v_fma_f32 v3, -v3, v6, v4
	v_div_fmas_f32 v3, v3, v5, v6
	v_div_fixup_f32 v2, v3, v2, s2
	v_add_f32_e32 v3, 0, v2
	v_mov_b32_e32 v2, -1.0
.LBB75_236:
	s_or_b64 exec, exec, s[6:7]
	v_mul_f32_e32 v4, v1, v1
	v_div_scale_f32 v6, s[0:1], v4, v4, 1.0
	v_add_f32_e32 v5, 1.0, v1
	v_mul_f32_e32 v1, v5, v5
	v_div_scale_f32 v9, s[0:1], v1, v1, 1.0
	v_div_scale_f32 v8, vcc, 1.0, v4, 1.0
	v_add_f32_e32 v10, 1.0, v5
	v_div_scale_f32 v11, s[0:1], 1.0, v1, 1.0
	v_mul_f32_e32 v5, v10, v10
	v_div_scale_f32 v12, s[2:3], v5, v5, 1.0
	v_div_scale_f32 v15, s[2:3], 1.0, v5, 1.0
	v_rcp_f32_e32 v13, v6
	v_add_f32_e32 v10, 1.0, v10
	v_add_u32_e32 v7, 0x80, v7
	v_rcp_f32_e32 v14, v9
	v_fma_f32 v16, -v6, v13, 1.0
	v_fmac_f32_e32 v13, v16, v13
	v_mul_f32_e32 v17, v8, v13
	v_fma_f32 v18, -v6, v17, v8
	v_fma_f32 v16, -v9, v14, 1.0
	v_fmac_f32_e32 v17, v18, v13
	v_fma_f32 v6, -v6, v17, v8
	v_fmac_f32_e32 v14, v16, v14
	v_div_fmas_f32 v6, v6, v13, v17
	v_mul_f32_e32 v13, v11, v14
	v_fma_f32 v8, -v9, v13, v11
	v_rcp_f32_e32 v16, v12
	v_fmac_f32_e32 v13, v8, v14
	v_mul_f32_e32 v8, v10, v10
	v_div_scale_f32 v17, s[4:5], v8, v8, 1.0
	v_fma_f32 v9, -v9, v13, v11
	v_fma_f32 v11, -v12, v16, 1.0
	v_fmac_f32_e32 v16, v11, v16
	s_mov_b64 vcc, s[0:1]
	v_mul_f32_e32 v11, v15, v16
	v_div_fmas_f32 v9, v9, v14, v13
	v_fma_f32 v13, -v12, v11, v15
	v_fmac_f32_e32 v11, v13, v16
	v_div_scale_f32 v13, s[0:1], 1.0, v8, 1.0
	v_add_f32_e32 v14, 1.0, v10
	v_mul_f32_e32 v10, v14, v14
	v_div_scale_f32 v18, s[4:5], v10, v10, 1.0
	v_fma_f32 v12, -v12, v11, v15
	s_mov_b64 vcc, s[2:3]
	v_div_fmas_f32 v11, v12, v16, v11
	v_div_scale_f32 v12, s[2:3], 1.0, v10, 1.0
	v_rcp_f32_e32 v15, v17
	v_add_f32_e32 v14, 1.0, v14
	v_mul_f32_e32 v19, v14, v14
	v_div_scale_f32 v20, s[4:5], v19, v19, 1.0
	v_fma_f32 v16, -v17, v15, 1.0
	v_fmac_f32_e32 v15, v16, v15
	v_mul_f32_e32 v16, v13, v15
	v_fma_f32 v21, -v17, v16, v13
	v_fmac_f32_e32 v16, v21, v15
	v_rcp_f32_e32 v21, v18
	v_fma_f32 v13, -v17, v16, v13
	s_mov_b64 vcc, s[0:1]
	v_div_fmas_f32 v13, v13, v15, v16
	v_fma_f32 v15, -v18, v21, 1.0
	v_fmac_f32_e32 v21, v15, v21
	v_mul_f32_e32 v15, v12, v21
	v_fma_f32 v16, -v18, v15, v12
	v_fmac_f32_e32 v15, v16, v21
	v_div_scale_f32 v16, s[0:1], 1.0, v19, 1.0
	v_add_f32_e32 v14, 1.0, v14
	v_mul_f32_e32 v22, v14, v14
	v_div_scale_f32 v23, s[4:5], v22, v22, 1.0
	v_rcp_f32_e32 v17, v20
	v_fma_f32 v12, -v18, v15, v12
	s_mov_b64 vcc, s[2:3]
	v_div_scale_f32 v18, s[2:3], 1.0, v22, 1.0
	v_div_fmas_f32 v12, v12, v21, v15
	v_add_f32_e32 v21, v14, v14
	v_div_scale_f32 v24, s[4:5], v21, v21, 1.0
	v_fma_f32 v15, -v20, v17, 1.0
	v_fmac_f32_e32 v17, v15, v17
	v_mul_f32_e32 v15, v16, v17
	v_fma_f32 v25, -v20, v15, v16
	v_fmac_f32_e32 v15, v25, v17
	v_div_scale_f32 v25, s[4:5], 1.0, v21, 1.0
	v_rcp_f32_e32 v26, v23
	v_fma_f32 v16, -v20, v15, v16
	s_mov_b64 vcc, s[0:1]
	v_div_fmas_f32 v15, v16, v17, v15
	v_fma_f32 v16, -v23, v26, 1.0
	v_fmac_f32_e32 v26, v16, v26
	v_mul_f32_e32 v16, v18, v26
	v_fma_f32 v17, -v23, v16, v18
	v_fmac_f32_e32 v16, v17, v26
	v_rcp_f32_e32 v17, v24
	v_fma_f32 v18, -v23, v16, v18
	s_mov_b64 vcc, s[2:3]
	v_div_fmas_f32 v16, v18, v26, v16
	v_fma_f32 v18, -v24, v17, 1.0
	v_fmac_f32_e32 v17, v18, v17
	v_mul_f32_e32 v18, v25, v17
	v_fma_f32 v20, -v24, v18, v25
	v_fmac_f32_e32 v18, v20, v17
	v_fma_f32 v20, -v24, v18, v25
	s_mov_b64 vcc, s[4:5]
	v_div_fmas_f32 v17, v20, v17, v18
	v_mov_b32_e32 v18, 0x3d088889
	s_mov_b32 s0, 0x3e2aaaab
	v_div_fixup_f32 v4, v6, v4, 1.0
	v_add_f32_e32 v3, v3, v4
	v_div_fixup_f32 v1, v9, v1, 1.0
	v_add_f32_e32 v1, v3, v1
	v_div_fixup_f32 v3, v11, v5, 1.0
	v_div_fixup_f32 v16, v16, v22, 1.0
	v_fmac_f32_e32 v18, 0xbcc30c31, v16
	v_fma_f32 v18, -v16, v18, s0
	v_add_f32_e32 v1, v1, v3
	v_div_fixup_f32 v3, v13, v8, 1.0
	v_add_f32_e32 v1, v1, v3
	v_div_fixup_f32 v3, v12, v10, 1.0
	;; [unrolled: 2-line block ×3, first 2 shown]
	v_add_f32_e32 v17, 1.0, v17
	v_fmac_f32_e32 v17, v16, v18
	v_div_scale_f32 v16, s[0:1], v14, v14, v17
	v_div_scale_f32 v18, vcc, v17, v14, v17
	v_div_fixup_f32 v3, v15, v19, 1.0
	v_add_f32_e32 v1, v1, v3
	s_movk_i32 s0, 0x7fff
	v_rcp_f32_e32 v20, v16
	v_fma_f32 v21, -v16, v20, 1.0
	v_fmac_f32_e32 v20, v21, v20
	v_mul_f32_e32 v21, v18, v20
	v_fma_f32 v22, -v16, v21, v18
	v_fmac_f32_e32 v21, v22, v20
	v_fma_f32 v16, -v16, v21, v18
	v_div_fmas_f32 v16, v16, v20, v21
	v_div_fixup_f32 v3, v16, v14, v17
	v_add_f32_e32 v1, v1, v3
	v_mul_f32_e32 v1, v2, v1
	v_bfe_u32 v2, v1, 16, 1
	v_add3_u32 v2, v1, v2, s0
	v_cmp_o_f32_e32 vcc, v1, v1
	v_mov_b32_e32 v1, 0x7fc0
	v_cndmask_b32_sdwa v1, v1, v2, vcc dst_sel:DWORD dst_unused:UNUSED_PAD src0_sel:DWORD src1_sel:WORD_1
	global_store_short v0, v1, s[16:17]
	s_or_b64 exec, exec, s[48:49]
	v_cmp_gt_i32_e32 vcc, s55, v7
	s_and_saveexec_b64 s[48:49], vcc
	s_cbranch_execnz .LBB75_216
.LBB75_237:
	s_or_b64 exec, exec, s[48:49]
	v_cmp_gt_i32_e32 vcc, s55, v7
	s_and_saveexec_b64 s[48:49], vcc
	s_cbranch_execz .LBB75_259
.LBB75_238:
	s_andn2_b64 vcc, exec, s[36:37]
	s_cbranch_vccnz .LBB75_243
; %bb.239:
	s_andn2_b64 vcc, exec, s[46:47]
	s_cbranch_vccnz .LBB75_244
; %bb.240:
	s_add_i32 s58, s56, 1
	s_cmp_eq_u32 s54, 2
	s_cbranch_scc1 .LBB75_267
; %bb.241:
	s_and_b32 s57, s58, 28
	v_mov_b32_e32 v2, 0
	s_mov_b32 s59, 0
	s_mov_b64 s[50:51], s[34:35]
	s_mov_b64 s[52:53], s[44:45]
	v_mov_b32_e32 v0, 0
	v_mov_b32_e32 v1, v7
.LBB75_242:                             ; =>This Inner Loop Header: Depth=1
	s_load_dwordx8 s[8:15], s[50:51], 0x4
	s_load_dwordx4 s[28:31], s[50:51], 0x24
	s_load_dwordx8 s[0:7], s[52:53], 0x0
	s_add_u32 s50, s50, 48
	s_addc_u32 s51, s51, 0
	s_waitcnt lgkmcnt(0)
	v_mul_hi_u32 v3, s9, v1
	s_add_i32 s59, s59, 4
	s_add_u32 s52, s52, 32
	s_addc_u32 s53, s53, 0
	v_add_u32_e32 v3, v1, v3
	v_lshrrev_b32_e32 v3, s10, v3
	v_mul_lo_u32 v4, v3, s8
	v_mul_hi_u32 v5, s12, v3
	s_cmp_eq_u32 s57, s59
	v_sub_u32_e32 v1, v1, v4
	v_add_u32_e32 v4, v3, v5
	v_mul_lo_u32 v5, v1, s0
	v_mul_lo_u32 v6, v1, s1
	v_lshrrev_b32_e32 v1, s13, v4
	v_mul_lo_u32 v4, v1, s11
	v_mul_hi_u32 v8, s15, v1
	v_sub_u32_e32 v3, v3, v4
	v_add_u32_e32 v4, v1, v8
	v_lshrrev_b32_e32 v4, s28, v4
	v_mul_hi_u32 v9, s30, v4
	v_mul_lo_u32 v10, v4, s14
	v_mul_lo_u32 v8, v3, s2
	;; [unrolled: 1-line block ×3, first 2 shown]
	v_sub_u32_e32 v10, v1, v10
	v_add_u32_e32 v1, v4, v9
	v_lshrrev_b32_e32 v1, s31, v1
	v_mul_lo_u32 v9, v1, s29
	v_mul_lo_u32 v11, v10, s4
	;; [unrolled: 1-line block ×3, first 2 shown]
	v_add3_u32 v0, v5, v0, v8
	v_sub_u32_e32 v4, v4, v9
	v_mul_lo_u32 v9, v4, s6
	v_mul_lo_u32 v4, v4, s7
	v_add3_u32 v2, v6, v2, v3
	v_add3_u32 v0, v11, v0, v9
	;; [unrolled: 1-line block ×3, first 2 shown]
	s_cbranch_scc0 .LBB75_242
	s_branch .LBB75_268
.LBB75_243:
                                        ; implicit-def: $vgpr0
                                        ; implicit-def: $vgpr2
	s_branch .LBB75_272
.LBB75_244:
	v_mov_b32_e32 v0, 0
	v_mov_b32_e32 v2, 0
	s_branch .LBB75_271
.LBB75_245:
	s_mov_b32 s57, 0
	v_mov_b32_e32 v0, 0
	v_mov_b32_e32 v2, 0
	v_mov_b32_e32 v1, v7
.LBB75_246:
	s_and_b32 s4, s58, 3
	s_cmp_eq_u32 s4, 0
	s_cbranch_scc1 .LBB75_249
; %bb.247:
	s_lshl_b32 s0, s57, 3
	s_add_u32 s0, s34, s0
	s_addc_u32 s1, s35, 0
	s_add_u32 s0, s0, 0xc4
	s_addc_u32 s1, s1, 0
	s_mul_i32 s2, s57, 12
	s_add_u32 s2, s34, s2
	s_addc_u32 s3, s35, 0
.LBB75_248:                             ; =>This Inner Loop Header: Depth=1
	s_load_dwordx2 s[6:7], s[2:3], 0x4
	s_load_dword s5, s[2:3], 0xc
	s_load_dwordx2 s[8:9], s[0:1], 0x0
	s_add_u32 s2, s2, 12
	s_addc_u32 s3, s3, 0
	s_waitcnt lgkmcnt(0)
	v_mul_hi_u32 v3, s7, v1
	s_add_u32 s0, s0, 8
	s_addc_u32 s1, s1, 0
	s_add_i32 s4, s4, -1
	v_add_u32_e32 v3, v1, v3
	v_lshrrev_b32_e32 v4, s5, v3
	v_mul_lo_u32 v3, v4, s6
	s_cmp_lg_u32 s4, 0
	v_sub_u32_e32 v3, v1, v3
	v_mad_u64_u32 v[0:1], s[6:7], v3, s8, v[0:1]
	v_mad_u64_u32 v[2:3], s[6:7], v3, s9, v[2:3]
	v_mov_b32_e32 v1, v4
	s_cbranch_scc1 .LBB75_248
.LBB75_249:
	s_cbranch_execnz .LBB75_252
.LBB75_250:
	s_waitcnt lgkmcnt(0)
	v_mul_hi_u32 v0, s25, v7
	s_andn2_b64 vcc, exec, s[42:43]
	v_add_u32_e32 v0, v7, v0
	v_lshrrev_b32_e32 v1, s26, v0
	v_mul_lo_u32 v0, v1, s24
	v_sub_u32_e32 v2, v7, v0
	v_mul_lo_u32 v0, v2, s20
	v_mul_lo_u32 v2, v2, s21
	s_cbranch_vccnz .LBB75_252
; %bb.251:
	v_mul_hi_u32 v3, s40, v1
	v_add_u32_e32 v3, v1, v3
	v_lshrrev_b32_e32 v3, s41, v3
	v_mul_lo_u32 v3, v3, s27
	v_sub_u32_e32 v3, v1, v3
	v_mad_u64_u32 v[0:1], s[0:1], v3, s22, v[0:1]
	v_mad_u64_u32 v[2:3], s[0:1], v3, s23, v[2:3]
.LBB75_252:
	s_waitcnt lgkmcnt(0)
	global_load_ushort v1, v2, s[18:19]
	v_mov_b32_e32 v3, 0
	v_mov_b32_e32 v2, 1.0
	s_waitcnt vmcnt(0)
	v_lshlrev_b32_e32 v1, 16, v1
	v_cmp_gt_f32_e32 vcc, 0.5, v1
	s_and_saveexec_b64 s[6:7], vcc
	s_cbranch_execz .LBB75_258
; %bb.253:
	v_mul_f32_e32 v2, 0x40490fdb, v1
	s_brev_b32 s0, 18
	v_and_b32_e32 v3, 0x7fffffff, v2
	v_cmp_nlt_f32_e64 s[0:1], |v2|, s0
                                        ; implicit-def: $vgpr4
                                        ; implicit-def: $vgpr5
	s_and_saveexec_b64 s[2:3], s[0:1]
	s_xor_b64 s[8:9], exec, s[2:3]
	s_cbranch_execz .LBB75_255
; %bb.254:
	v_and_b32_e32 v4, 0x7fffff, v3
	v_or_b32_e32 v14, 0x800000, v4
	s_mov_b32 s0, 0xfe5163ab
	v_mad_u64_u32 v[4:5], s[0:1], v14, s0, 0
	v_mov_b32_e32 v6, 0
	s_mov_b32 s0, 0x3c439041
	v_mad_u64_u32 v[8:9], s[0:1], v14, s0, v[5:6]
	s_mov_b32 s0, 0xdb629599
	v_not_b32_e32 v13, 63
	v_mov_b32_e32 v5, v9
	v_mad_u64_u32 v[9:10], s[0:1], v14, s0, v[5:6]
	s_mov_b32 s0, 0xf534ddc0
	v_not_b32_e32 v16, 31
	v_mov_b32_e32 v5, v10
	v_mad_u64_u32 v[10:11], s[0:1], v14, s0, v[5:6]
	v_lshrrev_b32_e32 v5, 23, v3
	v_add_u32_e32 v15, 0xffffff88, v5
	v_mov_b32_e32 v5, v11
	s_mov_b32 s0, 0xfc2757d1
	v_mad_u64_u32 v[11:12], s[0:1], v14, s0, v[5:6]
	v_cmp_lt_u32_e32 vcc, 63, v15
	v_cndmask_b32_e32 v5, 0, v13, vcc
	v_add_u32_e32 v15, v5, v15
	v_mov_b32_e32 v5, v12
	s_mov_b32 s0, 0x4e441529
	v_mad_u64_u32 v[12:13], s[0:1], v14, s0, v[5:6]
	v_cmp_lt_u32_e64 s[0:1], 31, v15
	v_cndmask_b32_e64 v5, 0, v16, s[0:1]
	v_add_u32_e32 v15, v5, v15
	v_mov_b32_e32 v5, v13
	s_mov_b32 s2, 0xa2f9836e
	v_mad_u64_u32 v[5:6], s[2:3], v14, s2, v[5:6]
	v_cmp_lt_u32_e64 s[2:3], 31, v15
	v_cndmask_b32_e64 v13, 0, v16, s[2:3]
	v_cndmask_b32_e32 v14, v12, v10, vcc
	v_cndmask_b32_e32 v5, v5, v11, vcc
	;; [unrolled: 1-line block ×3, first 2 shown]
	v_add_u32_e32 v13, v13, v15
	v_cndmask_b32_e64 v15, v5, v14, s[0:1]
	v_cndmask_b32_e64 v5, v6, v5, s[0:1]
	v_cndmask_b32_e32 v6, v11, v9, vcc
	v_cndmask_b32_e64 v11, v14, v6, s[0:1]
	v_cndmask_b32_e64 v5, v5, v15, s[2:3]
	;; [unrolled: 1-line block ×3, first 2 shown]
	v_sub_u32_e32 v14, 32, v13
	v_alignbit_b32 v15, v5, v12, v14
	v_cmp_eq_u32_e64 s[4:5], 0, v13
	v_cndmask_b32_e64 v13, v15, v5, s[4:5]
	v_cndmask_b32_e32 v5, v10, v8, vcc
	v_cndmask_b32_e64 v6, v6, v5, s[0:1]
	v_cndmask_b32_e64 v8, v11, v6, s[2:3]
	v_alignbit_b32 v10, v12, v8, v14
	v_cndmask_b32_e32 v4, v9, v4, vcc
	v_cndmask_b32_e64 v10, v10, v12, s[4:5]
	v_bfe_u32 v15, v13, 29, 1
	v_cndmask_b32_e64 v4, v5, v4, s[0:1]
	v_alignbit_b32 v11, v13, v10, 30
	v_sub_u32_e32 v16, 0, v15
	v_cndmask_b32_e64 v4, v6, v4, s[2:3]
	v_xor_b32_e32 v11, v11, v16
	v_alignbit_b32 v5, v8, v4, v14
	v_cndmask_b32_e64 v5, v5, v8, s[4:5]
	v_ffbh_u32_e32 v8, v11
	v_alignbit_b32 v6, v10, v5, 30
	v_min_u32_e32 v8, 32, v8
	v_alignbit_b32 v4, v5, v4, 30
	v_xor_b32_e32 v6, v6, v16
	v_sub_u32_e32 v9, 31, v8
	v_xor_b32_e32 v4, v4, v16
	v_alignbit_b32 v10, v11, v6, v9
	v_alignbit_b32 v4, v6, v4, v9
	;; [unrolled: 1-line block ×3, first 2 shown]
	v_ffbh_u32_e32 v6, v5
	v_min_u32_e32 v6, 32, v6
	v_lshrrev_b32_e32 v12, 29, v13
	v_not_b32_e32 v9, v6
	v_alignbit_b32 v4, v5, v4, v9
	v_lshlrev_b32_e32 v5, 31, v12
	v_or_b32_e32 v9, 0x33000000, v5
	v_add_lshl_u32 v6, v6, v8, 23
	v_lshrrev_b32_e32 v4, 9, v4
	v_sub_u32_e32 v6, v9, v6
	v_or_b32_e32 v5, 0.5, v5
	v_lshlrev_b32_e32 v8, 23, v8
	v_or_b32_e32 v4, v6, v4
	v_lshrrev_b32_e32 v6, 9, v10
	v_sub_u32_e32 v5, v5, v8
	v_or_b32_e32 v5, v6, v5
	s_mov_b32 s0, 0x3fc90fda
	v_mul_f32_e32 v6, 0x3fc90fda, v5
	v_fma_f32 v8, v5, s0, -v6
	v_fmac_f32_e32 v8, 0x33a22168, v5
	v_fmac_f32_e32 v8, 0x3fc90fda, v4
	v_lshrrev_b32_e32 v4, 30, v13
	v_add_f32_e32 v5, v6, v8
	v_add_u32_e32 v4, v15, v4
.LBB75_255:
	s_andn2_saveexec_b64 s[0:1], s[8:9]
	s_cbranch_execz .LBB75_257
; %bb.256:
	s_mov_b32 s2, 0x3f22f983
	v_mul_f32_e64 v4, |v2|, s2
	v_rndne_f32_e32 v6, v4
	s_mov_b32 s2, 0xbfc90fda
	v_cvt_i32_f32_e32 v4, v6
	v_fma_f32 v5, v6, s2, |v2|
	v_fmac_f32_e32 v5, 0xb3a22168, v6
	v_fmac_f32_e32 v5, 0xa7c234c4, v6
.LBB75_257:
	s_or_b64 exec, exec, s[0:1]
	v_mul_f32_e32 v6, v5, v5
	v_mov_b32_e32 v8, 0x3c0881c4
	v_fmac_f32_e32 v8, 0xb94c1982, v6
	v_mov_b32_e32 v9, 0xbe2aaa9d
	v_fmac_f32_e32 v9, v6, v8
	v_mul_f32_e32 v8, v6, v9
	v_fmac_f32_e32 v5, v5, v8
	v_mov_b32_e32 v8, 0xbab64f3b
	v_fmac_f32_e32 v8, 0x37d75334, v6
	v_mov_b32_e32 v9, 0x3d2aabf7
	;; [unrolled: 2-line block ×3, first 2 shown]
	v_fmac_f32_e32 v8, v6, v9
	v_fma_f32 v6, v6, v8, 1.0
	v_and_b32_e32 v8, 1, v4
	v_lshlrev_b32_e32 v4, 30, v4
	v_cmp_eq_u32_e32 vcc, 0, v8
	v_and_b32_e32 v4, 0x80000000, v4
	v_xor_b32_e32 v3, v3, v2
	v_cndmask_b32_e32 v5, v6, v5, vcc
	v_xor_b32_e32 v3, v3, v4
	s_movk_i32 s0, 0x1f8
	v_xor_b32_e32 v3, v3, v5
	v_mov_b32_e32 v4, 0x7fc00000
	v_cmp_class_f32_e64 vcc, v2, s0
	v_cndmask_b32_e32 v2, v4, v3, vcc
	v_mul_f32_e32 v2, v2, v2
	s_mov_b32 s2, 0xc11de9e7
	v_div_scale_f32 v3, s[0:1], v2, v2, s2
	v_div_scale_f32 v4, vcc, s2, v2, s2
	v_sub_f32_e32 v1, 1.0, v1
	v_rcp_f32_e32 v5, v3
	v_fma_f32 v6, -v3, v5, 1.0
	v_fmac_f32_e32 v5, v6, v5
	v_mul_f32_e32 v6, v4, v5
	v_fma_f32 v8, -v3, v6, v4
	v_fmac_f32_e32 v6, v8, v5
	v_fma_f32 v3, -v3, v6, v4
	v_div_fmas_f32 v3, v3, v5, v6
	v_div_fixup_f32 v2, v3, v2, s2
	v_add_f32_e32 v3, 0, v2
	v_mov_b32_e32 v2, -1.0
.LBB75_258:
	s_or_b64 exec, exec, s[6:7]
	v_mul_f32_e32 v4, v1, v1
	v_div_scale_f32 v6, s[0:1], v4, v4, 1.0
	v_add_f32_e32 v5, 1.0, v1
	v_mul_f32_e32 v1, v5, v5
	v_div_scale_f32 v9, s[0:1], v1, v1, 1.0
	v_div_scale_f32 v8, vcc, 1.0, v4, 1.0
	v_add_f32_e32 v10, 1.0, v5
	v_div_scale_f32 v11, s[0:1], 1.0, v1, 1.0
	v_mul_f32_e32 v5, v10, v10
	v_div_scale_f32 v12, s[2:3], v5, v5, 1.0
	v_div_scale_f32 v15, s[2:3], 1.0, v5, 1.0
	v_rcp_f32_e32 v13, v6
	v_add_f32_e32 v10, 1.0, v10
	v_add_u32_e32 v7, 0x80, v7
	v_rcp_f32_e32 v14, v9
	v_fma_f32 v16, -v6, v13, 1.0
	v_fmac_f32_e32 v13, v16, v13
	v_mul_f32_e32 v17, v8, v13
	v_fma_f32 v18, -v6, v17, v8
	v_fma_f32 v16, -v9, v14, 1.0
	v_fmac_f32_e32 v17, v18, v13
	v_fma_f32 v6, -v6, v17, v8
	v_fmac_f32_e32 v14, v16, v14
	v_div_fmas_f32 v6, v6, v13, v17
	v_mul_f32_e32 v13, v11, v14
	v_fma_f32 v8, -v9, v13, v11
	v_rcp_f32_e32 v16, v12
	v_fmac_f32_e32 v13, v8, v14
	v_mul_f32_e32 v8, v10, v10
	v_div_scale_f32 v17, s[4:5], v8, v8, 1.0
	v_fma_f32 v9, -v9, v13, v11
	v_fma_f32 v11, -v12, v16, 1.0
	v_fmac_f32_e32 v16, v11, v16
	s_mov_b64 vcc, s[0:1]
	v_mul_f32_e32 v11, v15, v16
	v_div_fmas_f32 v9, v9, v14, v13
	v_fma_f32 v13, -v12, v11, v15
	v_fmac_f32_e32 v11, v13, v16
	v_div_scale_f32 v13, s[0:1], 1.0, v8, 1.0
	v_add_f32_e32 v14, 1.0, v10
	v_mul_f32_e32 v10, v14, v14
	v_div_scale_f32 v18, s[4:5], v10, v10, 1.0
	v_fma_f32 v12, -v12, v11, v15
	s_mov_b64 vcc, s[2:3]
	v_div_fmas_f32 v11, v12, v16, v11
	v_div_scale_f32 v12, s[2:3], 1.0, v10, 1.0
	v_rcp_f32_e32 v15, v17
	v_add_f32_e32 v14, 1.0, v14
	v_mul_f32_e32 v19, v14, v14
	v_div_scale_f32 v20, s[4:5], v19, v19, 1.0
	v_fma_f32 v16, -v17, v15, 1.0
	v_fmac_f32_e32 v15, v16, v15
	v_mul_f32_e32 v16, v13, v15
	v_fma_f32 v21, -v17, v16, v13
	v_fmac_f32_e32 v16, v21, v15
	v_rcp_f32_e32 v21, v18
	v_fma_f32 v13, -v17, v16, v13
	s_mov_b64 vcc, s[0:1]
	v_div_fmas_f32 v13, v13, v15, v16
	v_fma_f32 v15, -v18, v21, 1.0
	v_fmac_f32_e32 v21, v15, v21
	v_mul_f32_e32 v15, v12, v21
	v_fma_f32 v16, -v18, v15, v12
	v_fmac_f32_e32 v15, v16, v21
	v_div_scale_f32 v16, s[0:1], 1.0, v19, 1.0
	v_add_f32_e32 v14, 1.0, v14
	v_mul_f32_e32 v22, v14, v14
	v_div_scale_f32 v23, s[4:5], v22, v22, 1.0
	v_rcp_f32_e32 v17, v20
	v_fma_f32 v12, -v18, v15, v12
	s_mov_b64 vcc, s[2:3]
	v_div_scale_f32 v18, s[2:3], 1.0, v22, 1.0
	v_div_fmas_f32 v12, v12, v21, v15
	v_add_f32_e32 v21, v14, v14
	v_div_scale_f32 v24, s[4:5], v21, v21, 1.0
	v_fma_f32 v15, -v20, v17, 1.0
	v_fmac_f32_e32 v17, v15, v17
	v_mul_f32_e32 v15, v16, v17
	v_fma_f32 v25, -v20, v15, v16
	v_fmac_f32_e32 v15, v25, v17
	v_div_scale_f32 v25, s[4:5], 1.0, v21, 1.0
	v_rcp_f32_e32 v26, v23
	v_fma_f32 v16, -v20, v15, v16
	s_mov_b64 vcc, s[0:1]
	v_div_fmas_f32 v15, v16, v17, v15
	v_fma_f32 v16, -v23, v26, 1.0
	v_fmac_f32_e32 v26, v16, v26
	v_mul_f32_e32 v16, v18, v26
	v_fma_f32 v17, -v23, v16, v18
	v_fmac_f32_e32 v16, v17, v26
	v_rcp_f32_e32 v17, v24
	v_fma_f32 v18, -v23, v16, v18
	s_mov_b64 vcc, s[2:3]
	v_div_fmas_f32 v16, v18, v26, v16
	v_fma_f32 v18, -v24, v17, 1.0
	v_fmac_f32_e32 v17, v18, v17
	v_mul_f32_e32 v18, v25, v17
	v_fma_f32 v20, -v24, v18, v25
	v_fmac_f32_e32 v18, v20, v17
	v_fma_f32 v20, -v24, v18, v25
	s_mov_b64 vcc, s[4:5]
	v_div_fmas_f32 v17, v20, v17, v18
	v_mov_b32_e32 v18, 0x3d088889
	s_mov_b32 s0, 0x3e2aaaab
	v_div_fixup_f32 v4, v6, v4, 1.0
	v_add_f32_e32 v3, v3, v4
	v_div_fixup_f32 v1, v9, v1, 1.0
	v_add_f32_e32 v1, v3, v1
	v_div_fixup_f32 v3, v11, v5, 1.0
	v_div_fixup_f32 v16, v16, v22, 1.0
	v_fmac_f32_e32 v18, 0xbcc30c31, v16
	v_fma_f32 v18, -v16, v18, s0
	v_add_f32_e32 v1, v1, v3
	v_div_fixup_f32 v3, v13, v8, 1.0
	v_add_f32_e32 v1, v1, v3
	v_div_fixup_f32 v3, v12, v10, 1.0
	;; [unrolled: 2-line block ×3, first 2 shown]
	v_add_f32_e32 v17, 1.0, v17
	v_fmac_f32_e32 v17, v16, v18
	v_div_scale_f32 v16, s[0:1], v14, v14, v17
	v_div_scale_f32 v18, vcc, v17, v14, v17
	v_div_fixup_f32 v3, v15, v19, 1.0
	v_add_f32_e32 v1, v1, v3
	s_movk_i32 s0, 0x7fff
	v_rcp_f32_e32 v20, v16
	v_fma_f32 v21, -v16, v20, 1.0
	v_fmac_f32_e32 v20, v21, v20
	v_mul_f32_e32 v21, v18, v20
	v_fma_f32 v22, -v16, v21, v18
	v_fmac_f32_e32 v21, v22, v20
	v_fma_f32 v16, -v16, v21, v18
	v_div_fmas_f32 v16, v16, v20, v21
	v_div_fixup_f32 v3, v16, v14, v17
	v_add_f32_e32 v1, v1, v3
	v_mul_f32_e32 v1, v2, v1
	v_bfe_u32 v2, v1, 16, 1
	v_add3_u32 v2, v1, v2, s0
	v_cmp_o_f32_e32 vcc, v1, v1
	v_mov_b32_e32 v1, 0x7fc0
	v_cndmask_b32_sdwa v1, v1, v2, vcc dst_sel:DWORD dst_unused:UNUSED_PAD src0_sel:DWORD src1_sel:WORD_1
	global_store_short v0, v1, s[16:17]
	s_or_b64 exec, exec, s[48:49]
	v_cmp_gt_i32_e32 vcc, s55, v7
	s_and_saveexec_b64 s[48:49], vcc
	s_cbranch_execnz .LBB75_238
.LBB75_259:
	s_or_b64 exec, exec, s[48:49]
	v_cmp_gt_i32_e32 vcc, s55, v7
	s_and_saveexec_b64 s[48:49], vcc
	s_cbranch_execz .LBB75_281
.LBB75_260:
	s_andn2_b64 vcc, exec, s[36:37]
	s_cbranch_vccnz .LBB75_265
; %bb.261:
	s_andn2_b64 vcc, exec, s[46:47]
	s_cbranch_vccnz .LBB75_266
; %bb.262:
	s_add_i32 s58, s56, 1
	s_cmp_eq_u32 s54, 2
	s_cbranch_scc1 .LBB75_289
; %bb.263:
	s_and_b32 s57, s58, 28
	v_mov_b32_e32 v2, 0
	s_mov_b32 s59, 0
	s_mov_b64 s[50:51], s[34:35]
	s_mov_b64 s[52:53], s[44:45]
	v_mov_b32_e32 v0, 0
	v_mov_b32_e32 v1, v7
.LBB75_264:                             ; =>This Inner Loop Header: Depth=1
	s_load_dwordx8 s[8:15], s[50:51], 0x4
	s_load_dwordx4 s[28:31], s[50:51], 0x24
	s_load_dwordx8 s[0:7], s[52:53], 0x0
	s_add_u32 s50, s50, 48
	s_addc_u32 s51, s51, 0
	s_waitcnt lgkmcnt(0)
	v_mul_hi_u32 v3, s9, v1
	s_add_i32 s59, s59, 4
	s_add_u32 s52, s52, 32
	s_addc_u32 s53, s53, 0
	v_add_u32_e32 v3, v1, v3
	v_lshrrev_b32_e32 v3, s10, v3
	v_mul_lo_u32 v4, v3, s8
	v_mul_hi_u32 v5, s12, v3
	s_cmp_eq_u32 s57, s59
	v_sub_u32_e32 v1, v1, v4
	v_add_u32_e32 v4, v3, v5
	v_mul_lo_u32 v5, v1, s0
	v_mul_lo_u32 v6, v1, s1
	v_lshrrev_b32_e32 v1, s13, v4
	v_mul_lo_u32 v4, v1, s11
	v_mul_hi_u32 v8, s15, v1
	v_sub_u32_e32 v3, v3, v4
	v_add_u32_e32 v4, v1, v8
	v_lshrrev_b32_e32 v4, s28, v4
	v_mul_hi_u32 v9, s30, v4
	v_mul_lo_u32 v10, v4, s14
	v_mul_lo_u32 v8, v3, s2
	;; [unrolled: 1-line block ×3, first 2 shown]
	v_sub_u32_e32 v10, v1, v10
	v_add_u32_e32 v1, v4, v9
	v_lshrrev_b32_e32 v1, s31, v1
	v_mul_lo_u32 v9, v1, s29
	v_mul_lo_u32 v11, v10, s4
	;; [unrolled: 1-line block ×3, first 2 shown]
	v_add3_u32 v0, v5, v0, v8
	v_sub_u32_e32 v4, v4, v9
	v_mul_lo_u32 v9, v4, s6
	v_mul_lo_u32 v4, v4, s7
	v_add3_u32 v2, v6, v2, v3
	v_add3_u32 v0, v11, v0, v9
	;; [unrolled: 1-line block ×3, first 2 shown]
	s_cbranch_scc0 .LBB75_264
	s_branch .LBB75_290
.LBB75_265:
                                        ; implicit-def: $vgpr0
                                        ; implicit-def: $vgpr2
	s_branch .LBB75_294
.LBB75_266:
	v_mov_b32_e32 v0, 0
	v_mov_b32_e32 v2, 0
	s_branch .LBB75_293
.LBB75_267:
	s_mov_b32 s57, 0
	v_mov_b32_e32 v0, 0
	v_mov_b32_e32 v2, 0
	;; [unrolled: 1-line block ×3, first 2 shown]
.LBB75_268:
	s_and_b32 s4, s58, 3
	s_cmp_eq_u32 s4, 0
	s_cbranch_scc1 .LBB75_271
; %bb.269:
	s_lshl_b32 s0, s57, 3
	s_add_u32 s0, s34, s0
	s_addc_u32 s1, s35, 0
	s_add_u32 s0, s0, 0xc4
	s_addc_u32 s1, s1, 0
	s_mul_i32 s2, s57, 12
	s_add_u32 s2, s34, s2
	s_addc_u32 s3, s35, 0
.LBB75_270:                             ; =>This Inner Loop Header: Depth=1
	s_load_dwordx2 s[6:7], s[2:3], 0x4
	s_load_dword s5, s[2:3], 0xc
	s_load_dwordx2 s[8:9], s[0:1], 0x0
	s_add_u32 s2, s2, 12
	s_addc_u32 s3, s3, 0
	s_waitcnt lgkmcnt(0)
	v_mul_hi_u32 v3, s7, v1
	s_add_u32 s0, s0, 8
	s_addc_u32 s1, s1, 0
	s_add_i32 s4, s4, -1
	v_add_u32_e32 v3, v1, v3
	v_lshrrev_b32_e32 v4, s5, v3
	v_mul_lo_u32 v3, v4, s6
	s_cmp_lg_u32 s4, 0
	v_sub_u32_e32 v3, v1, v3
	v_mad_u64_u32 v[0:1], s[6:7], v3, s8, v[0:1]
	v_mad_u64_u32 v[2:3], s[6:7], v3, s9, v[2:3]
	v_mov_b32_e32 v1, v4
	s_cbranch_scc1 .LBB75_270
.LBB75_271:
	s_cbranch_execnz .LBB75_274
.LBB75_272:
	s_waitcnt lgkmcnt(0)
	v_mul_hi_u32 v0, s25, v7
	s_andn2_b64 vcc, exec, s[42:43]
	v_add_u32_e32 v0, v7, v0
	v_lshrrev_b32_e32 v1, s26, v0
	v_mul_lo_u32 v0, v1, s24
	v_sub_u32_e32 v2, v7, v0
	v_mul_lo_u32 v0, v2, s20
	v_mul_lo_u32 v2, v2, s21
	s_cbranch_vccnz .LBB75_274
; %bb.273:
	v_mul_hi_u32 v3, s40, v1
	v_add_u32_e32 v3, v1, v3
	v_lshrrev_b32_e32 v3, s41, v3
	v_mul_lo_u32 v3, v3, s27
	v_sub_u32_e32 v3, v1, v3
	v_mad_u64_u32 v[0:1], s[0:1], v3, s22, v[0:1]
	v_mad_u64_u32 v[2:3], s[0:1], v3, s23, v[2:3]
.LBB75_274:
	s_waitcnt lgkmcnt(0)
	global_load_ushort v1, v2, s[18:19]
	v_mov_b32_e32 v3, 0
	v_mov_b32_e32 v2, 1.0
	s_waitcnt vmcnt(0)
	v_lshlrev_b32_e32 v1, 16, v1
	v_cmp_gt_f32_e32 vcc, 0.5, v1
	s_and_saveexec_b64 s[6:7], vcc
	s_cbranch_execz .LBB75_280
; %bb.275:
	v_mul_f32_e32 v2, 0x40490fdb, v1
	s_brev_b32 s0, 18
	v_and_b32_e32 v3, 0x7fffffff, v2
	v_cmp_nlt_f32_e64 s[0:1], |v2|, s0
                                        ; implicit-def: $vgpr4
                                        ; implicit-def: $vgpr5
	s_and_saveexec_b64 s[2:3], s[0:1]
	s_xor_b64 s[8:9], exec, s[2:3]
	s_cbranch_execz .LBB75_277
; %bb.276:
	v_and_b32_e32 v4, 0x7fffff, v3
	v_or_b32_e32 v14, 0x800000, v4
	s_mov_b32 s0, 0xfe5163ab
	v_mad_u64_u32 v[4:5], s[0:1], v14, s0, 0
	v_mov_b32_e32 v6, 0
	s_mov_b32 s0, 0x3c439041
	v_mad_u64_u32 v[8:9], s[0:1], v14, s0, v[5:6]
	s_mov_b32 s0, 0xdb629599
	v_not_b32_e32 v13, 63
	v_mov_b32_e32 v5, v9
	v_mad_u64_u32 v[9:10], s[0:1], v14, s0, v[5:6]
	s_mov_b32 s0, 0xf534ddc0
	v_not_b32_e32 v16, 31
	v_mov_b32_e32 v5, v10
	v_mad_u64_u32 v[10:11], s[0:1], v14, s0, v[5:6]
	v_lshrrev_b32_e32 v5, 23, v3
	v_add_u32_e32 v15, 0xffffff88, v5
	v_mov_b32_e32 v5, v11
	s_mov_b32 s0, 0xfc2757d1
	v_mad_u64_u32 v[11:12], s[0:1], v14, s0, v[5:6]
	v_cmp_lt_u32_e32 vcc, 63, v15
	v_cndmask_b32_e32 v5, 0, v13, vcc
	v_add_u32_e32 v15, v5, v15
	v_mov_b32_e32 v5, v12
	s_mov_b32 s0, 0x4e441529
	v_mad_u64_u32 v[12:13], s[0:1], v14, s0, v[5:6]
	v_cmp_lt_u32_e64 s[0:1], 31, v15
	v_cndmask_b32_e64 v5, 0, v16, s[0:1]
	v_add_u32_e32 v15, v5, v15
	v_mov_b32_e32 v5, v13
	s_mov_b32 s2, 0xa2f9836e
	v_mad_u64_u32 v[5:6], s[2:3], v14, s2, v[5:6]
	v_cmp_lt_u32_e64 s[2:3], 31, v15
	v_cndmask_b32_e64 v13, 0, v16, s[2:3]
	v_cndmask_b32_e32 v14, v12, v10, vcc
	v_cndmask_b32_e32 v5, v5, v11, vcc
	;; [unrolled: 1-line block ×3, first 2 shown]
	v_add_u32_e32 v13, v13, v15
	v_cndmask_b32_e64 v15, v5, v14, s[0:1]
	v_cndmask_b32_e64 v5, v6, v5, s[0:1]
	v_cndmask_b32_e32 v6, v11, v9, vcc
	v_cndmask_b32_e64 v11, v14, v6, s[0:1]
	v_cndmask_b32_e64 v5, v5, v15, s[2:3]
	;; [unrolled: 1-line block ×3, first 2 shown]
	v_sub_u32_e32 v14, 32, v13
	v_alignbit_b32 v15, v5, v12, v14
	v_cmp_eq_u32_e64 s[4:5], 0, v13
	v_cndmask_b32_e64 v13, v15, v5, s[4:5]
	v_cndmask_b32_e32 v5, v10, v8, vcc
	v_cndmask_b32_e64 v6, v6, v5, s[0:1]
	v_cndmask_b32_e64 v8, v11, v6, s[2:3]
	v_alignbit_b32 v10, v12, v8, v14
	v_cndmask_b32_e32 v4, v9, v4, vcc
	v_cndmask_b32_e64 v10, v10, v12, s[4:5]
	v_bfe_u32 v15, v13, 29, 1
	v_cndmask_b32_e64 v4, v5, v4, s[0:1]
	v_alignbit_b32 v11, v13, v10, 30
	v_sub_u32_e32 v16, 0, v15
	v_cndmask_b32_e64 v4, v6, v4, s[2:3]
	v_xor_b32_e32 v11, v11, v16
	v_alignbit_b32 v5, v8, v4, v14
	v_cndmask_b32_e64 v5, v5, v8, s[4:5]
	v_ffbh_u32_e32 v8, v11
	v_alignbit_b32 v6, v10, v5, 30
	v_min_u32_e32 v8, 32, v8
	v_alignbit_b32 v4, v5, v4, 30
	v_xor_b32_e32 v6, v6, v16
	v_sub_u32_e32 v9, 31, v8
	v_xor_b32_e32 v4, v4, v16
	v_alignbit_b32 v10, v11, v6, v9
	v_alignbit_b32 v4, v6, v4, v9
	v_alignbit_b32 v5, v10, v4, 9
	v_ffbh_u32_e32 v6, v5
	v_min_u32_e32 v6, 32, v6
	v_lshrrev_b32_e32 v12, 29, v13
	v_not_b32_e32 v9, v6
	v_alignbit_b32 v4, v5, v4, v9
	v_lshlrev_b32_e32 v5, 31, v12
	v_or_b32_e32 v9, 0x33000000, v5
	v_add_lshl_u32 v6, v6, v8, 23
	v_lshrrev_b32_e32 v4, 9, v4
	v_sub_u32_e32 v6, v9, v6
	v_or_b32_e32 v5, 0.5, v5
	v_lshlrev_b32_e32 v8, 23, v8
	v_or_b32_e32 v4, v6, v4
	v_lshrrev_b32_e32 v6, 9, v10
	v_sub_u32_e32 v5, v5, v8
	v_or_b32_e32 v5, v6, v5
	s_mov_b32 s0, 0x3fc90fda
	v_mul_f32_e32 v6, 0x3fc90fda, v5
	v_fma_f32 v8, v5, s0, -v6
	v_fmac_f32_e32 v8, 0x33a22168, v5
	v_fmac_f32_e32 v8, 0x3fc90fda, v4
	v_lshrrev_b32_e32 v4, 30, v13
	v_add_f32_e32 v5, v6, v8
	v_add_u32_e32 v4, v15, v4
.LBB75_277:
	s_andn2_saveexec_b64 s[0:1], s[8:9]
	s_cbranch_execz .LBB75_279
; %bb.278:
	s_mov_b32 s2, 0x3f22f983
	v_mul_f32_e64 v4, |v2|, s2
	v_rndne_f32_e32 v6, v4
	s_mov_b32 s2, 0xbfc90fda
	v_cvt_i32_f32_e32 v4, v6
	v_fma_f32 v5, v6, s2, |v2|
	v_fmac_f32_e32 v5, 0xb3a22168, v6
	v_fmac_f32_e32 v5, 0xa7c234c4, v6
.LBB75_279:
	s_or_b64 exec, exec, s[0:1]
	v_mul_f32_e32 v6, v5, v5
	v_mov_b32_e32 v8, 0x3c0881c4
	v_fmac_f32_e32 v8, 0xb94c1982, v6
	v_mov_b32_e32 v9, 0xbe2aaa9d
	v_fmac_f32_e32 v9, v6, v8
	v_mul_f32_e32 v8, v6, v9
	v_fmac_f32_e32 v5, v5, v8
	v_mov_b32_e32 v8, 0xbab64f3b
	v_fmac_f32_e32 v8, 0x37d75334, v6
	v_mov_b32_e32 v9, 0x3d2aabf7
	;; [unrolled: 2-line block ×3, first 2 shown]
	v_fmac_f32_e32 v8, v6, v9
	v_fma_f32 v6, v6, v8, 1.0
	v_and_b32_e32 v8, 1, v4
	v_lshlrev_b32_e32 v4, 30, v4
	v_cmp_eq_u32_e32 vcc, 0, v8
	v_and_b32_e32 v4, 0x80000000, v4
	v_xor_b32_e32 v3, v3, v2
	v_cndmask_b32_e32 v5, v6, v5, vcc
	v_xor_b32_e32 v3, v3, v4
	s_movk_i32 s0, 0x1f8
	v_xor_b32_e32 v3, v3, v5
	v_mov_b32_e32 v4, 0x7fc00000
	v_cmp_class_f32_e64 vcc, v2, s0
	v_cndmask_b32_e32 v2, v4, v3, vcc
	v_mul_f32_e32 v2, v2, v2
	s_mov_b32 s2, 0xc11de9e7
	v_div_scale_f32 v3, s[0:1], v2, v2, s2
	v_div_scale_f32 v4, vcc, s2, v2, s2
	v_sub_f32_e32 v1, 1.0, v1
	v_rcp_f32_e32 v5, v3
	v_fma_f32 v6, -v3, v5, 1.0
	v_fmac_f32_e32 v5, v6, v5
	v_mul_f32_e32 v6, v4, v5
	v_fma_f32 v8, -v3, v6, v4
	v_fmac_f32_e32 v6, v8, v5
	v_fma_f32 v3, -v3, v6, v4
	v_div_fmas_f32 v3, v3, v5, v6
	v_div_fixup_f32 v2, v3, v2, s2
	v_add_f32_e32 v3, 0, v2
	v_mov_b32_e32 v2, -1.0
.LBB75_280:
	s_or_b64 exec, exec, s[6:7]
	v_mul_f32_e32 v4, v1, v1
	v_div_scale_f32 v6, s[0:1], v4, v4, 1.0
	v_add_f32_e32 v5, 1.0, v1
	v_mul_f32_e32 v1, v5, v5
	v_div_scale_f32 v9, s[0:1], v1, v1, 1.0
	v_div_scale_f32 v8, vcc, 1.0, v4, 1.0
	v_add_f32_e32 v10, 1.0, v5
	v_div_scale_f32 v11, s[0:1], 1.0, v1, 1.0
	v_mul_f32_e32 v5, v10, v10
	v_div_scale_f32 v12, s[2:3], v5, v5, 1.0
	v_div_scale_f32 v15, s[2:3], 1.0, v5, 1.0
	v_rcp_f32_e32 v13, v6
	v_add_f32_e32 v10, 1.0, v10
	v_add_u32_e32 v7, 0x80, v7
	v_rcp_f32_e32 v14, v9
	v_fma_f32 v16, -v6, v13, 1.0
	v_fmac_f32_e32 v13, v16, v13
	v_mul_f32_e32 v17, v8, v13
	v_fma_f32 v18, -v6, v17, v8
	v_fma_f32 v16, -v9, v14, 1.0
	v_fmac_f32_e32 v17, v18, v13
	v_fma_f32 v6, -v6, v17, v8
	v_fmac_f32_e32 v14, v16, v14
	v_div_fmas_f32 v6, v6, v13, v17
	v_mul_f32_e32 v13, v11, v14
	v_fma_f32 v8, -v9, v13, v11
	v_rcp_f32_e32 v16, v12
	v_fmac_f32_e32 v13, v8, v14
	v_mul_f32_e32 v8, v10, v10
	v_div_scale_f32 v17, s[4:5], v8, v8, 1.0
	v_fma_f32 v9, -v9, v13, v11
	v_fma_f32 v11, -v12, v16, 1.0
	v_fmac_f32_e32 v16, v11, v16
	s_mov_b64 vcc, s[0:1]
	v_mul_f32_e32 v11, v15, v16
	v_div_fmas_f32 v9, v9, v14, v13
	v_fma_f32 v13, -v12, v11, v15
	v_fmac_f32_e32 v11, v13, v16
	v_div_scale_f32 v13, s[0:1], 1.0, v8, 1.0
	v_add_f32_e32 v14, 1.0, v10
	v_mul_f32_e32 v10, v14, v14
	v_div_scale_f32 v18, s[4:5], v10, v10, 1.0
	v_fma_f32 v12, -v12, v11, v15
	s_mov_b64 vcc, s[2:3]
	v_div_fmas_f32 v11, v12, v16, v11
	v_div_scale_f32 v12, s[2:3], 1.0, v10, 1.0
	v_rcp_f32_e32 v15, v17
	v_add_f32_e32 v14, 1.0, v14
	v_mul_f32_e32 v19, v14, v14
	v_div_scale_f32 v20, s[4:5], v19, v19, 1.0
	v_fma_f32 v16, -v17, v15, 1.0
	v_fmac_f32_e32 v15, v16, v15
	v_mul_f32_e32 v16, v13, v15
	v_fma_f32 v21, -v17, v16, v13
	v_fmac_f32_e32 v16, v21, v15
	v_rcp_f32_e32 v21, v18
	v_fma_f32 v13, -v17, v16, v13
	s_mov_b64 vcc, s[0:1]
	v_div_fmas_f32 v13, v13, v15, v16
	v_fma_f32 v15, -v18, v21, 1.0
	v_fmac_f32_e32 v21, v15, v21
	v_mul_f32_e32 v15, v12, v21
	v_fma_f32 v16, -v18, v15, v12
	v_fmac_f32_e32 v15, v16, v21
	v_div_scale_f32 v16, s[0:1], 1.0, v19, 1.0
	v_add_f32_e32 v14, 1.0, v14
	v_mul_f32_e32 v22, v14, v14
	v_div_scale_f32 v23, s[4:5], v22, v22, 1.0
	v_rcp_f32_e32 v17, v20
	v_fma_f32 v12, -v18, v15, v12
	s_mov_b64 vcc, s[2:3]
	v_div_scale_f32 v18, s[2:3], 1.0, v22, 1.0
	v_div_fmas_f32 v12, v12, v21, v15
	v_add_f32_e32 v21, v14, v14
	v_div_scale_f32 v24, s[4:5], v21, v21, 1.0
	v_fma_f32 v15, -v20, v17, 1.0
	v_fmac_f32_e32 v17, v15, v17
	v_mul_f32_e32 v15, v16, v17
	v_fma_f32 v25, -v20, v15, v16
	v_fmac_f32_e32 v15, v25, v17
	v_div_scale_f32 v25, s[4:5], 1.0, v21, 1.0
	v_rcp_f32_e32 v26, v23
	v_fma_f32 v16, -v20, v15, v16
	s_mov_b64 vcc, s[0:1]
	v_div_fmas_f32 v15, v16, v17, v15
	v_fma_f32 v16, -v23, v26, 1.0
	v_fmac_f32_e32 v26, v16, v26
	v_mul_f32_e32 v16, v18, v26
	v_fma_f32 v17, -v23, v16, v18
	v_fmac_f32_e32 v16, v17, v26
	v_rcp_f32_e32 v17, v24
	v_fma_f32 v18, -v23, v16, v18
	s_mov_b64 vcc, s[2:3]
	v_div_fmas_f32 v16, v18, v26, v16
	v_fma_f32 v18, -v24, v17, 1.0
	v_fmac_f32_e32 v17, v18, v17
	v_mul_f32_e32 v18, v25, v17
	v_fma_f32 v20, -v24, v18, v25
	v_fmac_f32_e32 v18, v20, v17
	v_fma_f32 v20, -v24, v18, v25
	s_mov_b64 vcc, s[4:5]
	v_div_fmas_f32 v17, v20, v17, v18
	v_mov_b32_e32 v18, 0x3d088889
	s_mov_b32 s0, 0x3e2aaaab
	v_div_fixup_f32 v4, v6, v4, 1.0
	v_add_f32_e32 v3, v3, v4
	v_div_fixup_f32 v1, v9, v1, 1.0
	v_add_f32_e32 v1, v3, v1
	v_div_fixup_f32 v3, v11, v5, 1.0
	v_div_fixup_f32 v16, v16, v22, 1.0
	v_fmac_f32_e32 v18, 0xbcc30c31, v16
	v_fma_f32 v18, -v16, v18, s0
	v_add_f32_e32 v1, v1, v3
	v_div_fixup_f32 v3, v13, v8, 1.0
	v_add_f32_e32 v1, v1, v3
	v_div_fixup_f32 v3, v12, v10, 1.0
	;; [unrolled: 2-line block ×3, first 2 shown]
	v_add_f32_e32 v17, 1.0, v17
	v_fmac_f32_e32 v17, v16, v18
	v_div_scale_f32 v16, s[0:1], v14, v14, v17
	v_div_scale_f32 v18, vcc, v17, v14, v17
	v_div_fixup_f32 v3, v15, v19, 1.0
	v_add_f32_e32 v1, v1, v3
	s_movk_i32 s0, 0x7fff
	v_rcp_f32_e32 v20, v16
	v_fma_f32 v21, -v16, v20, 1.0
	v_fmac_f32_e32 v20, v21, v20
	v_mul_f32_e32 v21, v18, v20
	v_fma_f32 v22, -v16, v21, v18
	v_fmac_f32_e32 v21, v22, v20
	v_fma_f32 v16, -v16, v21, v18
	v_div_fmas_f32 v16, v16, v20, v21
	v_div_fixup_f32 v3, v16, v14, v17
	v_add_f32_e32 v1, v1, v3
	v_mul_f32_e32 v1, v2, v1
	v_bfe_u32 v2, v1, 16, 1
	v_add3_u32 v2, v1, v2, s0
	v_cmp_o_f32_e32 vcc, v1, v1
	v_mov_b32_e32 v1, 0x7fc0
	v_cndmask_b32_sdwa v1, v1, v2, vcc dst_sel:DWORD dst_unused:UNUSED_PAD src0_sel:DWORD src1_sel:WORD_1
	global_store_short v0, v1, s[16:17]
	s_or_b64 exec, exec, s[48:49]
	v_cmp_gt_i32_e32 vcc, s55, v7
	s_and_saveexec_b64 s[48:49], vcc
	s_cbranch_execnz .LBB75_260
.LBB75_281:
	s_or_b64 exec, exec, s[48:49]
	v_cmp_gt_i32_e32 vcc, s55, v7
	s_and_saveexec_b64 s[48:49], vcc
	s_cbranch_execz .LBB75_303
.LBB75_282:
	s_andn2_b64 vcc, exec, s[36:37]
	s_cbranch_vccnz .LBB75_287
; %bb.283:
	s_andn2_b64 vcc, exec, s[46:47]
	s_cbranch_vccnz .LBB75_288
; %bb.284:
	s_add_i32 s58, s56, 1
	s_cmp_eq_u32 s54, 2
	s_cbranch_scc1 .LBB75_306
; %bb.285:
	s_and_b32 s57, s58, 28
	v_mov_b32_e32 v2, 0
	s_mov_b32 s59, 0
	s_mov_b64 s[50:51], s[34:35]
	s_mov_b64 s[52:53], s[44:45]
	v_mov_b32_e32 v0, 0
	v_mov_b32_e32 v1, v7
.LBB75_286:                             ; =>This Inner Loop Header: Depth=1
	s_load_dwordx8 s[8:15], s[50:51], 0x4
	s_load_dwordx4 s[28:31], s[50:51], 0x24
	s_load_dwordx8 s[0:7], s[52:53], 0x0
	s_add_u32 s50, s50, 48
	s_addc_u32 s51, s51, 0
	s_waitcnt lgkmcnt(0)
	v_mul_hi_u32 v3, s9, v1
	s_add_i32 s59, s59, 4
	s_add_u32 s52, s52, 32
	s_addc_u32 s53, s53, 0
	v_add_u32_e32 v3, v1, v3
	v_lshrrev_b32_e32 v3, s10, v3
	v_mul_lo_u32 v4, v3, s8
	v_mul_hi_u32 v5, s12, v3
	s_cmp_eq_u32 s57, s59
	v_sub_u32_e32 v1, v1, v4
	v_add_u32_e32 v4, v3, v5
	v_mul_lo_u32 v5, v1, s0
	v_mul_lo_u32 v6, v1, s1
	v_lshrrev_b32_e32 v1, s13, v4
	v_mul_lo_u32 v4, v1, s11
	v_mul_hi_u32 v8, s15, v1
	v_sub_u32_e32 v3, v3, v4
	v_add_u32_e32 v4, v1, v8
	v_lshrrev_b32_e32 v4, s28, v4
	v_mul_hi_u32 v9, s30, v4
	v_mul_lo_u32 v10, v4, s14
	v_mul_lo_u32 v8, v3, s2
	;; [unrolled: 1-line block ×3, first 2 shown]
	v_sub_u32_e32 v10, v1, v10
	v_add_u32_e32 v1, v4, v9
	v_lshrrev_b32_e32 v1, s31, v1
	v_mul_lo_u32 v9, v1, s29
	v_mul_lo_u32 v11, v10, s4
	;; [unrolled: 1-line block ×3, first 2 shown]
	v_add3_u32 v0, v5, v0, v8
	v_sub_u32_e32 v4, v4, v9
	v_mul_lo_u32 v9, v4, s6
	v_mul_lo_u32 v4, v4, s7
	v_add3_u32 v2, v6, v2, v3
	v_add3_u32 v0, v11, v0, v9
	;; [unrolled: 1-line block ×3, first 2 shown]
	s_cbranch_scc0 .LBB75_286
	s_branch .LBB75_307
.LBB75_287:
                                        ; implicit-def: $vgpr0
                                        ; implicit-def: $vgpr2
	s_branch .LBB75_311
.LBB75_288:
	v_mov_b32_e32 v0, 0
	v_mov_b32_e32 v2, 0
	s_branch .LBB75_310
.LBB75_289:
	s_mov_b32 s57, 0
	v_mov_b32_e32 v0, 0
	v_mov_b32_e32 v2, 0
	;; [unrolled: 1-line block ×3, first 2 shown]
.LBB75_290:
	s_and_b32 s4, s58, 3
	s_cmp_eq_u32 s4, 0
	s_cbranch_scc1 .LBB75_293
; %bb.291:
	s_lshl_b32 s0, s57, 3
	s_add_u32 s0, s34, s0
	s_addc_u32 s1, s35, 0
	s_add_u32 s0, s0, 0xc4
	s_addc_u32 s1, s1, 0
	s_mul_i32 s2, s57, 12
	s_add_u32 s2, s34, s2
	s_addc_u32 s3, s35, 0
.LBB75_292:                             ; =>This Inner Loop Header: Depth=1
	s_load_dwordx2 s[6:7], s[2:3], 0x4
	s_load_dword s5, s[2:3], 0xc
	s_load_dwordx2 s[8:9], s[0:1], 0x0
	s_add_u32 s2, s2, 12
	s_addc_u32 s3, s3, 0
	s_waitcnt lgkmcnt(0)
	v_mul_hi_u32 v3, s7, v1
	s_add_u32 s0, s0, 8
	s_addc_u32 s1, s1, 0
	s_add_i32 s4, s4, -1
	v_add_u32_e32 v3, v1, v3
	v_lshrrev_b32_e32 v4, s5, v3
	v_mul_lo_u32 v3, v4, s6
	s_cmp_lg_u32 s4, 0
	v_sub_u32_e32 v3, v1, v3
	v_mad_u64_u32 v[0:1], s[6:7], v3, s8, v[0:1]
	v_mad_u64_u32 v[2:3], s[6:7], v3, s9, v[2:3]
	v_mov_b32_e32 v1, v4
	s_cbranch_scc1 .LBB75_292
.LBB75_293:
	s_cbranch_execnz .LBB75_296
.LBB75_294:
	s_waitcnt lgkmcnt(0)
	v_mul_hi_u32 v0, s25, v7
	s_andn2_b64 vcc, exec, s[42:43]
	v_add_u32_e32 v0, v7, v0
	v_lshrrev_b32_e32 v1, s26, v0
	v_mul_lo_u32 v0, v1, s24
	v_sub_u32_e32 v2, v7, v0
	v_mul_lo_u32 v0, v2, s20
	v_mul_lo_u32 v2, v2, s21
	s_cbranch_vccnz .LBB75_296
; %bb.295:
	v_mul_hi_u32 v3, s40, v1
	v_add_u32_e32 v3, v1, v3
	v_lshrrev_b32_e32 v3, s41, v3
	v_mul_lo_u32 v3, v3, s27
	v_sub_u32_e32 v3, v1, v3
	v_mad_u64_u32 v[0:1], s[0:1], v3, s22, v[0:1]
	v_mad_u64_u32 v[2:3], s[0:1], v3, s23, v[2:3]
.LBB75_296:
	s_waitcnt lgkmcnt(0)
	global_load_ushort v1, v2, s[18:19]
	v_mov_b32_e32 v3, 0
	v_mov_b32_e32 v2, 1.0
	s_waitcnt vmcnt(0)
	v_lshlrev_b32_e32 v1, 16, v1
	v_cmp_gt_f32_e32 vcc, 0.5, v1
	s_and_saveexec_b64 s[6:7], vcc
	s_cbranch_execz .LBB75_302
; %bb.297:
	v_mul_f32_e32 v2, 0x40490fdb, v1
	s_brev_b32 s0, 18
	v_and_b32_e32 v3, 0x7fffffff, v2
	v_cmp_nlt_f32_e64 s[0:1], |v2|, s0
                                        ; implicit-def: $vgpr4
                                        ; implicit-def: $vgpr5
	s_and_saveexec_b64 s[2:3], s[0:1]
	s_xor_b64 s[8:9], exec, s[2:3]
	s_cbranch_execz .LBB75_299
; %bb.298:
	v_and_b32_e32 v4, 0x7fffff, v3
	v_or_b32_e32 v14, 0x800000, v4
	s_mov_b32 s0, 0xfe5163ab
	v_mad_u64_u32 v[4:5], s[0:1], v14, s0, 0
	v_mov_b32_e32 v6, 0
	s_mov_b32 s0, 0x3c439041
	v_mad_u64_u32 v[8:9], s[0:1], v14, s0, v[5:6]
	s_mov_b32 s0, 0xdb629599
	v_not_b32_e32 v13, 63
	v_mov_b32_e32 v5, v9
	v_mad_u64_u32 v[9:10], s[0:1], v14, s0, v[5:6]
	s_mov_b32 s0, 0xf534ddc0
	v_not_b32_e32 v16, 31
	v_mov_b32_e32 v5, v10
	v_mad_u64_u32 v[10:11], s[0:1], v14, s0, v[5:6]
	v_lshrrev_b32_e32 v5, 23, v3
	v_add_u32_e32 v15, 0xffffff88, v5
	v_mov_b32_e32 v5, v11
	s_mov_b32 s0, 0xfc2757d1
	v_mad_u64_u32 v[11:12], s[0:1], v14, s0, v[5:6]
	v_cmp_lt_u32_e32 vcc, 63, v15
	v_cndmask_b32_e32 v5, 0, v13, vcc
	v_add_u32_e32 v15, v5, v15
	v_mov_b32_e32 v5, v12
	s_mov_b32 s0, 0x4e441529
	v_mad_u64_u32 v[12:13], s[0:1], v14, s0, v[5:6]
	v_cmp_lt_u32_e64 s[0:1], 31, v15
	v_cndmask_b32_e64 v5, 0, v16, s[0:1]
	v_add_u32_e32 v15, v5, v15
	v_mov_b32_e32 v5, v13
	s_mov_b32 s2, 0xa2f9836e
	v_mad_u64_u32 v[5:6], s[2:3], v14, s2, v[5:6]
	v_cmp_lt_u32_e64 s[2:3], 31, v15
	v_cndmask_b32_e64 v13, 0, v16, s[2:3]
	v_cndmask_b32_e32 v14, v12, v10, vcc
	v_cndmask_b32_e32 v5, v5, v11, vcc
	;; [unrolled: 1-line block ×3, first 2 shown]
	v_add_u32_e32 v13, v13, v15
	v_cndmask_b32_e64 v15, v5, v14, s[0:1]
	v_cndmask_b32_e64 v5, v6, v5, s[0:1]
	v_cndmask_b32_e32 v6, v11, v9, vcc
	v_cndmask_b32_e64 v11, v14, v6, s[0:1]
	v_cndmask_b32_e64 v5, v5, v15, s[2:3]
	;; [unrolled: 1-line block ×3, first 2 shown]
	v_sub_u32_e32 v14, 32, v13
	v_alignbit_b32 v15, v5, v12, v14
	v_cmp_eq_u32_e64 s[4:5], 0, v13
	v_cndmask_b32_e64 v13, v15, v5, s[4:5]
	v_cndmask_b32_e32 v5, v10, v8, vcc
	v_cndmask_b32_e64 v6, v6, v5, s[0:1]
	v_cndmask_b32_e64 v8, v11, v6, s[2:3]
	v_alignbit_b32 v10, v12, v8, v14
	v_cndmask_b32_e32 v4, v9, v4, vcc
	v_cndmask_b32_e64 v10, v10, v12, s[4:5]
	v_bfe_u32 v15, v13, 29, 1
	v_cndmask_b32_e64 v4, v5, v4, s[0:1]
	v_alignbit_b32 v11, v13, v10, 30
	v_sub_u32_e32 v16, 0, v15
	v_cndmask_b32_e64 v4, v6, v4, s[2:3]
	v_xor_b32_e32 v11, v11, v16
	v_alignbit_b32 v5, v8, v4, v14
	v_cndmask_b32_e64 v5, v5, v8, s[4:5]
	v_ffbh_u32_e32 v8, v11
	v_alignbit_b32 v6, v10, v5, 30
	v_min_u32_e32 v8, 32, v8
	v_alignbit_b32 v4, v5, v4, 30
	v_xor_b32_e32 v6, v6, v16
	v_sub_u32_e32 v9, 31, v8
	v_xor_b32_e32 v4, v4, v16
	v_alignbit_b32 v10, v11, v6, v9
	v_alignbit_b32 v4, v6, v4, v9
	;; [unrolled: 1-line block ×3, first 2 shown]
	v_ffbh_u32_e32 v6, v5
	v_min_u32_e32 v6, 32, v6
	v_lshrrev_b32_e32 v12, 29, v13
	v_not_b32_e32 v9, v6
	v_alignbit_b32 v4, v5, v4, v9
	v_lshlrev_b32_e32 v5, 31, v12
	v_or_b32_e32 v9, 0x33000000, v5
	v_add_lshl_u32 v6, v6, v8, 23
	v_lshrrev_b32_e32 v4, 9, v4
	v_sub_u32_e32 v6, v9, v6
	v_or_b32_e32 v5, 0.5, v5
	v_lshlrev_b32_e32 v8, 23, v8
	v_or_b32_e32 v4, v6, v4
	v_lshrrev_b32_e32 v6, 9, v10
	v_sub_u32_e32 v5, v5, v8
	v_or_b32_e32 v5, v6, v5
	s_mov_b32 s0, 0x3fc90fda
	v_mul_f32_e32 v6, 0x3fc90fda, v5
	v_fma_f32 v8, v5, s0, -v6
	v_fmac_f32_e32 v8, 0x33a22168, v5
	v_fmac_f32_e32 v8, 0x3fc90fda, v4
	v_lshrrev_b32_e32 v4, 30, v13
	v_add_f32_e32 v5, v6, v8
	v_add_u32_e32 v4, v15, v4
.LBB75_299:
	s_andn2_saveexec_b64 s[0:1], s[8:9]
	s_cbranch_execz .LBB75_301
; %bb.300:
	s_mov_b32 s2, 0x3f22f983
	v_mul_f32_e64 v4, |v2|, s2
	v_rndne_f32_e32 v6, v4
	s_mov_b32 s2, 0xbfc90fda
	v_cvt_i32_f32_e32 v4, v6
	v_fma_f32 v5, v6, s2, |v2|
	v_fmac_f32_e32 v5, 0xb3a22168, v6
	v_fmac_f32_e32 v5, 0xa7c234c4, v6
.LBB75_301:
	s_or_b64 exec, exec, s[0:1]
	v_mul_f32_e32 v6, v5, v5
	v_mov_b32_e32 v8, 0x3c0881c4
	v_fmac_f32_e32 v8, 0xb94c1982, v6
	v_mov_b32_e32 v9, 0xbe2aaa9d
	v_fmac_f32_e32 v9, v6, v8
	v_mul_f32_e32 v8, v6, v9
	v_fmac_f32_e32 v5, v5, v8
	v_mov_b32_e32 v8, 0xbab64f3b
	v_fmac_f32_e32 v8, 0x37d75334, v6
	v_mov_b32_e32 v9, 0x3d2aabf7
	;; [unrolled: 2-line block ×3, first 2 shown]
	v_fmac_f32_e32 v8, v6, v9
	v_fma_f32 v6, v6, v8, 1.0
	v_and_b32_e32 v8, 1, v4
	v_lshlrev_b32_e32 v4, 30, v4
	v_cmp_eq_u32_e32 vcc, 0, v8
	v_and_b32_e32 v4, 0x80000000, v4
	v_xor_b32_e32 v3, v3, v2
	v_cndmask_b32_e32 v5, v6, v5, vcc
	v_xor_b32_e32 v3, v3, v4
	s_movk_i32 s0, 0x1f8
	v_xor_b32_e32 v3, v3, v5
	v_mov_b32_e32 v4, 0x7fc00000
	v_cmp_class_f32_e64 vcc, v2, s0
	v_cndmask_b32_e32 v2, v4, v3, vcc
	v_mul_f32_e32 v2, v2, v2
	s_mov_b32 s2, 0xc11de9e7
	v_div_scale_f32 v3, s[0:1], v2, v2, s2
	v_div_scale_f32 v4, vcc, s2, v2, s2
	v_sub_f32_e32 v1, 1.0, v1
	v_rcp_f32_e32 v5, v3
	v_fma_f32 v6, -v3, v5, 1.0
	v_fmac_f32_e32 v5, v6, v5
	v_mul_f32_e32 v6, v4, v5
	v_fma_f32 v8, -v3, v6, v4
	v_fmac_f32_e32 v6, v8, v5
	v_fma_f32 v3, -v3, v6, v4
	v_div_fmas_f32 v3, v3, v5, v6
	v_div_fixup_f32 v2, v3, v2, s2
	v_add_f32_e32 v3, 0, v2
	v_mov_b32_e32 v2, -1.0
.LBB75_302:
	s_or_b64 exec, exec, s[6:7]
	v_mul_f32_e32 v4, v1, v1
	v_div_scale_f32 v6, s[0:1], v4, v4, 1.0
	v_add_f32_e32 v5, 1.0, v1
	v_mul_f32_e32 v1, v5, v5
	v_div_scale_f32 v9, s[0:1], v1, v1, 1.0
	v_div_scale_f32 v8, vcc, 1.0, v4, 1.0
	v_add_f32_e32 v10, 1.0, v5
	v_div_scale_f32 v11, s[0:1], 1.0, v1, 1.0
	v_mul_f32_e32 v5, v10, v10
	v_div_scale_f32 v12, s[2:3], v5, v5, 1.0
	v_div_scale_f32 v15, s[2:3], 1.0, v5, 1.0
	v_rcp_f32_e32 v13, v6
	v_add_f32_e32 v10, 1.0, v10
	v_add_u32_e32 v7, 0x80, v7
	v_rcp_f32_e32 v14, v9
	v_fma_f32 v16, -v6, v13, 1.0
	v_fmac_f32_e32 v13, v16, v13
	v_mul_f32_e32 v17, v8, v13
	v_fma_f32 v18, -v6, v17, v8
	v_fma_f32 v16, -v9, v14, 1.0
	v_fmac_f32_e32 v17, v18, v13
	v_fma_f32 v6, -v6, v17, v8
	v_fmac_f32_e32 v14, v16, v14
	v_div_fmas_f32 v6, v6, v13, v17
	v_mul_f32_e32 v13, v11, v14
	v_fma_f32 v8, -v9, v13, v11
	v_rcp_f32_e32 v16, v12
	v_fmac_f32_e32 v13, v8, v14
	v_mul_f32_e32 v8, v10, v10
	v_div_scale_f32 v17, s[4:5], v8, v8, 1.0
	v_fma_f32 v9, -v9, v13, v11
	v_fma_f32 v11, -v12, v16, 1.0
	v_fmac_f32_e32 v16, v11, v16
	s_mov_b64 vcc, s[0:1]
	v_mul_f32_e32 v11, v15, v16
	v_div_fmas_f32 v9, v9, v14, v13
	v_fma_f32 v13, -v12, v11, v15
	v_fmac_f32_e32 v11, v13, v16
	v_div_scale_f32 v13, s[0:1], 1.0, v8, 1.0
	v_add_f32_e32 v14, 1.0, v10
	v_mul_f32_e32 v10, v14, v14
	v_div_scale_f32 v18, s[4:5], v10, v10, 1.0
	v_fma_f32 v12, -v12, v11, v15
	s_mov_b64 vcc, s[2:3]
	v_div_fmas_f32 v11, v12, v16, v11
	v_div_scale_f32 v12, s[2:3], 1.0, v10, 1.0
	v_rcp_f32_e32 v15, v17
	v_add_f32_e32 v14, 1.0, v14
	v_mul_f32_e32 v19, v14, v14
	v_div_scale_f32 v20, s[4:5], v19, v19, 1.0
	v_fma_f32 v16, -v17, v15, 1.0
	v_fmac_f32_e32 v15, v16, v15
	v_mul_f32_e32 v16, v13, v15
	v_fma_f32 v21, -v17, v16, v13
	v_fmac_f32_e32 v16, v21, v15
	v_rcp_f32_e32 v21, v18
	v_fma_f32 v13, -v17, v16, v13
	s_mov_b64 vcc, s[0:1]
	v_div_fmas_f32 v13, v13, v15, v16
	v_fma_f32 v15, -v18, v21, 1.0
	v_fmac_f32_e32 v21, v15, v21
	v_mul_f32_e32 v15, v12, v21
	v_fma_f32 v16, -v18, v15, v12
	v_fmac_f32_e32 v15, v16, v21
	v_div_scale_f32 v16, s[0:1], 1.0, v19, 1.0
	v_add_f32_e32 v14, 1.0, v14
	v_mul_f32_e32 v22, v14, v14
	v_div_scale_f32 v23, s[4:5], v22, v22, 1.0
	v_rcp_f32_e32 v17, v20
	v_fma_f32 v12, -v18, v15, v12
	s_mov_b64 vcc, s[2:3]
	v_div_scale_f32 v18, s[2:3], 1.0, v22, 1.0
	v_div_fmas_f32 v12, v12, v21, v15
	v_add_f32_e32 v21, v14, v14
	v_div_scale_f32 v24, s[4:5], v21, v21, 1.0
	v_fma_f32 v15, -v20, v17, 1.0
	v_fmac_f32_e32 v17, v15, v17
	v_mul_f32_e32 v15, v16, v17
	v_fma_f32 v25, -v20, v15, v16
	v_fmac_f32_e32 v15, v25, v17
	v_div_scale_f32 v25, s[4:5], 1.0, v21, 1.0
	v_rcp_f32_e32 v26, v23
	v_fma_f32 v16, -v20, v15, v16
	s_mov_b64 vcc, s[0:1]
	v_div_fmas_f32 v15, v16, v17, v15
	v_fma_f32 v16, -v23, v26, 1.0
	v_fmac_f32_e32 v26, v16, v26
	v_mul_f32_e32 v16, v18, v26
	v_fma_f32 v17, -v23, v16, v18
	v_fmac_f32_e32 v16, v17, v26
	v_rcp_f32_e32 v17, v24
	v_fma_f32 v18, -v23, v16, v18
	s_mov_b64 vcc, s[2:3]
	v_div_fmas_f32 v16, v18, v26, v16
	v_fma_f32 v18, -v24, v17, 1.0
	v_fmac_f32_e32 v17, v18, v17
	v_mul_f32_e32 v18, v25, v17
	v_fma_f32 v20, -v24, v18, v25
	v_fmac_f32_e32 v18, v20, v17
	v_fma_f32 v20, -v24, v18, v25
	s_mov_b64 vcc, s[4:5]
	v_div_fmas_f32 v17, v20, v17, v18
	v_mov_b32_e32 v18, 0x3d088889
	s_mov_b32 s0, 0x3e2aaaab
	v_div_fixup_f32 v4, v6, v4, 1.0
	v_add_f32_e32 v3, v3, v4
	v_div_fixup_f32 v1, v9, v1, 1.0
	v_add_f32_e32 v1, v3, v1
	v_div_fixup_f32 v3, v11, v5, 1.0
	v_div_fixup_f32 v16, v16, v22, 1.0
	v_fmac_f32_e32 v18, 0xbcc30c31, v16
	v_fma_f32 v18, -v16, v18, s0
	v_add_f32_e32 v1, v1, v3
	v_div_fixup_f32 v3, v13, v8, 1.0
	v_add_f32_e32 v1, v1, v3
	v_div_fixup_f32 v3, v12, v10, 1.0
	;; [unrolled: 2-line block ×3, first 2 shown]
	v_add_f32_e32 v17, 1.0, v17
	v_fmac_f32_e32 v17, v16, v18
	v_div_scale_f32 v16, s[0:1], v14, v14, v17
	v_div_scale_f32 v18, vcc, v17, v14, v17
	v_div_fixup_f32 v3, v15, v19, 1.0
	v_add_f32_e32 v1, v1, v3
	s_movk_i32 s0, 0x7fff
	v_rcp_f32_e32 v20, v16
	v_fma_f32 v21, -v16, v20, 1.0
	v_fmac_f32_e32 v20, v21, v20
	v_mul_f32_e32 v21, v18, v20
	v_fma_f32 v22, -v16, v21, v18
	v_fmac_f32_e32 v21, v22, v20
	v_fma_f32 v16, -v16, v21, v18
	v_div_fmas_f32 v16, v16, v20, v21
	v_div_fixup_f32 v3, v16, v14, v17
	v_add_f32_e32 v1, v1, v3
	v_mul_f32_e32 v1, v2, v1
	v_bfe_u32 v2, v1, 16, 1
	v_add3_u32 v2, v1, v2, s0
	v_cmp_o_f32_e32 vcc, v1, v1
	v_mov_b32_e32 v1, 0x7fc0
	v_cndmask_b32_sdwa v1, v1, v2, vcc dst_sel:DWORD dst_unused:UNUSED_PAD src0_sel:DWORD src1_sel:WORD_1
	global_store_short v0, v1, s[16:17]
	s_or_b64 exec, exec, s[48:49]
	v_cmp_gt_i32_e32 vcc, s55, v7
	s_and_saveexec_b64 s[48:49], vcc
	s_cbranch_execnz .LBB75_282
.LBB75_303:
	s_or_b64 exec, exec, s[48:49]
	v_cmp_gt_i32_e32 vcc, s55, v7
	s_and_saveexec_b64 s[48:49], vcc
	s_cbranch_execnz .LBB75_320
.LBB75_304:
	s_or_b64 exec, exec, s[48:49]
                                        ; implicit-def: $vgpr18
                                        ; implicit-def: $vgpr7
	s_andn2_saveexec_b64 s[0:1], s[38:39]
	s_cbranch_execnz .LBB75_8
.LBB75_305:
	s_endpgm
.LBB75_306:
	s_mov_b32 s57, 0
	v_mov_b32_e32 v0, 0
	v_mov_b32_e32 v2, 0
	;; [unrolled: 1-line block ×3, first 2 shown]
.LBB75_307:
	s_and_b32 s4, s58, 3
	s_cmp_eq_u32 s4, 0
	s_cbranch_scc1 .LBB75_310
; %bb.308:
	s_lshl_b32 s0, s57, 3
	s_add_u32 s0, s34, s0
	s_addc_u32 s1, s35, 0
	s_add_u32 s0, s0, 0xc4
	s_addc_u32 s1, s1, 0
	s_mul_i32 s2, s57, 12
	s_add_u32 s2, s34, s2
	s_addc_u32 s3, s35, 0
.LBB75_309:                             ; =>This Inner Loop Header: Depth=1
	s_load_dwordx2 s[6:7], s[2:3], 0x4
	s_load_dword s5, s[2:3], 0xc
	s_load_dwordx2 s[8:9], s[0:1], 0x0
	s_add_u32 s2, s2, 12
	s_addc_u32 s3, s3, 0
	s_waitcnt lgkmcnt(0)
	v_mul_hi_u32 v3, s7, v1
	s_add_u32 s0, s0, 8
	s_addc_u32 s1, s1, 0
	s_add_i32 s4, s4, -1
	v_add_u32_e32 v3, v1, v3
	v_lshrrev_b32_e32 v4, s5, v3
	v_mul_lo_u32 v3, v4, s6
	s_cmp_lg_u32 s4, 0
	v_sub_u32_e32 v3, v1, v3
	v_mad_u64_u32 v[0:1], s[6:7], v3, s8, v[0:1]
	v_mad_u64_u32 v[2:3], s[6:7], v3, s9, v[2:3]
	v_mov_b32_e32 v1, v4
	s_cbranch_scc1 .LBB75_309
.LBB75_310:
	s_cbranch_execnz .LBB75_313
.LBB75_311:
	s_waitcnt lgkmcnt(0)
	v_mul_hi_u32 v0, s25, v7
	s_andn2_b64 vcc, exec, s[42:43]
	v_add_u32_e32 v0, v7, v0
	v_lshrrev_b32_e32 v1, s26, v0
	v_mul_lo_u32 v0, v1, s24
	v_sub_u32_e32 v2, v7, v0
	v_mul_lo_u32 v0, v2, s20
	v_mul_lo_u32 v2, v2, s21
	s_cbranch_vccnz .LBB75_313
; %bb.312:
	v_mul_hi_u32 v3, s40, v1
	v_add_u32_e32 v3, v1, v3
	v_lshrrev_b32_e32 v3, s41, v3
	v_mul_lo_u32 v3, v3, s27
	v_sub_u32_e32 v3, v1, v3
	v_mad_u64_u32 v[0:1], s[0:1], v3, s22, v[0:1]
	v_mad_u64_u32 v[2:3], s[0:1], v3, s23, v[2:3]
.LBB75_313:
	s_waitcnt lgkmcnt(0)
	global_load_ushort v1, v2, s[18:19]
	v_mov_b32_e32 v3, 0
	v_mov_b32_e32 v2, 1.0
	s_waitcnt vmcnt(0)
	v_lshlrev_b32_e32 v1, 16, v1
	v_cmp_gt_f32_e32 vcc, 0.5, v1
	s_and_saveexec_b64 s[6:7], vcc
	s_cbranch_execz .LBB75_319
; %bb.314:
	v_mul_f32_e32 v2, 0x40490fdb, v1
	s_brev_b32 s0, 18
	v_and_b32_e32 v3, 0x7fffffff, v2
	v_cmp_nlt_f32_e64 s[0:1], |v2|, s0
                                        ; implicit-def: $vgpr4
                                        ; implicit-def: $vgpr5
	s_and_saveexec_b64 s[2:3], s[0:1]
	s_xor_b64 s[8:9], exec, s[2:3]
	s_cbranch_execz .LBB75_316
; %bb.315:
	v_and_b32_e32 v4, 0x7fffff, v3
	v_or_b32_e32 v14, 0x800000, v4
	s_mov_b32 s0, 0xfe5163ab
	v_mad_u64_u32 v[4:5], s[0:1], v14, s0, 0
	v_mov_b32_e32 v6, 0
	s_mov_b32 s0, 0x3c439041
	v_mad_u64_u32 v[8:9], s[0:1], v14, s0, v[5:6]
	s_mov_b32 s0, 0xdb629599
	v_not_b32_e32 v13, 63
	v_mov_b32_e32 v5, v9
	v_mad_u64_u32 v[9:10], s[0:1], v14, s0, v[5:6]
	s_mov_b32 s0, 0xf534ddc0
	v_not_b32_e32 v16, 31
	v_mov_b32_e32 v5, v10
	v_mad_u64_u32 v[10:11], s[0:1], v14, s0, v[5:6]
	v_lshrrev_b32_e32 v5, 23, v3
	v_add_u32_e32 v15, 0xffffff88, v5
	v_mov_b32_e32 v5, v11
	s_mov_b32 s0, 0xfc2757d1
	v_mad_u64_u32 v[11:12], s[0:1], v14, s0, v[5:6]
	v_cmp_lt_u32_e32 vcc, 63, v15
	v_cndmask_b32_e32 v5, 0, v13, vcc
	v_add_u32_e32 v15, v5, v15
	v_mov_b32_e32 v5, v12
	s_mov_b32 s0, 0x4e441529
	v_mad_u64_u32 v[12:13], s[0:1], v14, s0, v[5:6]
	v_cmp_lt_u32_e64 s[0:1], 31, v15
	v_cndmask_b32_e64 v5, 0, v16, s[0:1]
	v_add_u32_e32 v15, v5, v15
	v_mov_b32_e32 v5, v13
	s_mov_b32 s2, 0xa2f9836e
	v_mad_u64_u32 v[5:6], s[2:3], v14, s2, v[5:6]
	v_cmp_lt_u32_e64 s[2:3], 31, v15
	v_cndmask_b32_e64 v13, 0, v16, s[2:3]
	v_cndmask_b32_e32 v14, v12, v10, vcc
	v_cndmask_b32_e32 v5, v5, v11, vcc
	;; [unrolled: 1-line block ×3, first 2 shown]
	v_add_u32_e32 v13, v13, v15
	v_cndmask_b32_e64 v15, v5, v14, s[0:1]
	v_cndmask_b32_e64 v5, v6, v5, s[0:1]
	v_cndmask_b32_e32 v6, v11, v9, vcc
	v_cndmask_b32_e64 v11, v14, v6, s[0:1]
	v_cndmask_b32_e64 v5, v5, v15, s[2:3]
	;; [unrolled: 1-line block ×3, first 2 shown]
	v_sub_u32_e32 v14, 32, v13
	v_alignbit_b32 v15, v5, v12, v14
	v_cmp_eq_u32_e64 s[4:5], 0, v13
	v_cndmask_b32_e64 v13, v15, v5, s[4:5]
	v_cndmask_b32_e32 v5, v10, v8, vcc
	v_cndmask_b32_e64 v6, v6, v5, s[0:1]
	v_cndmask_b32_e64 v8, v11, v6, s[2:3]
	v_alignbit_b32 v10, v12, v8, v14
	v_cndmask_b32_e32 v4, v9, v4, vcc
	v_cndmask_b32_e64 v10, v10, v12, s[4:5]
	v_bfe_u32 v15, v13, 29, 1
	v_cndmask_b32_e64 v4, v5, v4, s[0:1]
	v_alignbit_b32 v11, v13, v10, 30
	v_sub_u32_e32 v16, 0, v15
	v_cndmask_b32_e64 v4, v6, v4, s[2:3]
	v_xor_b32_e32 v11, v11, v16
	v_alignbit_b32 v5, v8, v4, v14
	v_cndmask_b32_e64 v5, v5, v8, s[4:5]
	v_ffbh_u32_e32 v8, v11
	v_alignbit_b32 v6, v10, v5, 30
	v_min_u32_e32 v8, 32, v8
	v_alignbit_b32 v4, v5, v4, 30
	v_xor_b32_e32 v6, v6, v16
	v_sub_u32_e32 v9, 31, v8
	v_xor_b32_e32 v4, v4, v16
	v_alignbit_b32 v10, v11, v6, v9
	v_alignbit_b32 v4, v6, v4, v9
	;; [unrolled: 1-line block ×3, first 2 shown]
	v_ffbh_u32_e32 v6, v5
	v_min_u32_e32 v6, 32, v6
	v_lshrrev_b32_e32 v12, 29, v13
	v_not_b32_e32 v9, v6
	v_alignbit_b32 v4, v5, v4, v9
	v_lshlrev_b32_e32 v5, 31, v12
	v_or_b32_e32 v9, 0x33000000, v5
	v_add_lshl_u32 v6, v6, v8, 23
	v_lshrrev_b32_e32 v4, 9, v4
	v_sub_u32_e32 v6, v9, v6
	v_or_b32_e32 v5, 0.5, v5
	v_lshlrev_b32_e32 v8, 23, v8
	v_or_b32_e32 v4, v6, v4
	v_lshrrev_b32_e32 v6, 9, v10
	v_sub_u32_e32 v5, v5, v8
	v_or_b32_e32 v5, v6, v5
	s_mov_b32 s0, 0x3fc90fda
	v_mul_f32_e32 v6, 0x3fc90fda, v5
	v_fma_f32 v8, v5, s0, -v6
	v_fmac_f32_e32 v8, 0x33a22168, v5
	v_fmac_f32_e32 v8, 0x3fc90fda, v4
	v_lshrrev_b32_e32 v4, 30, v13
	v_add_f32_e32 v5, v6, v8
	v_add_u32_e32 v4, v15, v4
.LBB75_316:
	s_andn2_saveexec_b64 s[0:1], s[8:9]
	s_cbranch_execz .LBB75_318
; %bb.317:
	s_mov_b32 s2, 0x3f22f983
	v_mul_f32_e64 v4, |v2|, s2
	v_rndne_f32_e32 v6, v4
	s_mov_b32 s2, 0xbfc90fda
	v_cvt_i32_f32_e32 v4, v6
	v_fma_f32 v5, v6, s2, |v2|
	v_fmac_f32_e32 v5, 0xb3a22168, v6
	v_fmac_f32_e32 v5, 0xa7c234c4, v6
.LBB75_318:
	s_or_b64 exec, exec, s[0:1]
	v_mul_f32_e32 v6, v5, v5
	v_mov_b32_e32 v8, 0x3c0881c4
	v_fmac_f32_e32 v8, 0xb94c1982, v6
	v_mov_b32_e32 v9, 0xbe2aaa9d
	v_fmac_f32_e32 v9, v6, v8
	v_mul_f32_e32 v8, v6, v9
	v_fmac_f32_e32 v5, v5, v8
	v_mov_b32_e32 v8, 0xbab64f3b
	v_fmac_f32_e32 v8, 0x37d75334, v6
	v_mov_b32_e32 v9, 0x3d2aabf7
	;; [unrolled: 2-line block ×3, first 2 shown]
	v_fmac_f32_e32 v8, v6, v9
	v_fma_f32 v6, v6, v8, 1.0
	v_and_b32_e32 v8, 1, v4
	v_lshlrev_b32_e32 v4, 30, v4
	v_cmp_eq_u32_e32 vcc, 0, v8
	v_and_b32_e32 v4, 0x80000000, v4
	v_xor_b32_e32 v3, v3, v2
	v_cndmask_b32_e32 v5, v6, v5, vcc
	v_xor_b32_e32 v3, v3, v4
	s_movk_i32 s0, 0x1f8
	v_xor_b32_e32 v3, v3, v5
	v_mov_b32_e32 v4, 0x7fc00000
	v_cmp_class_f32_e64 vcc, v2, s0
	v_cndmask_b32_e32 v2, v4, v3, vcc
	v_mul_f32_e32 v2, v2, v2
	s_mov_b32 s2, 0xc11de9e7
	v_div_scale_f32 v3, s[0:1], v2, v2, s2
	v_div_scale_f32 v4, vcc, s2, v2, s2
	v_sub_f32_e32 v1, 1.0, v1
	v_rcp_f32_e32 v5, v3
	v_fma_f32 v6, -v3, v5, 1.0
	v_fmac_f32_e32 v5, v6, v5
	v_mul_f32_e32 v6, v4, v5
	v_fma_f32 v8, -v3, v6, v4
	v_fmac_f32_e32 v6, v8, v5
	v_fma_f32 v3, -v3, v6, v4
	v_div_fmas_f32 v3, v3, v5, v6
	v_div_fixup_f32 v2, v3, v2, s2
	v_add_f32_e32 v3, 0, v2
	v_mov_b32_e32 v2, -1.0
.LBB75_319:
	s_or_b64 exec, exec, s[6:7]
	v_mul_f32_e32 v4, v1, v1
	v_div_scale_f32 v6, s[0:1], v4, v4, 1.0
	v_add_f32_e32 v5, 1.0, v1
	v_mul_f32_e32 v1, v5, v5
	v_div_scale_f32 v9, s[0:1], v1, v1, 1.0
	v_div_scale_f32 v8, vcc, 1.0, v4, 1.0
	v_add_f32_e32 v10, 1.0, v5
	v_div_scale_f32 v11, s[0:1], 1.0, v1, 1.0
	v_mul_f32_e32 v5, v10, v10
	v_div_scale_f32 v12, s[2:3], v5, v5, 1.0
	v_div_scale_f32 v15, s[2:3], 1.0, v5, 1.0
	v_rcp_f32_e32 v13, v6
	v_add_f32_e32 v10, 1.0, v10
	v_add_u32_e32 v7, 0x80, v7
	v_rcp_f32_e32 v14, v9
	v_fma_f32 v16, -v6, v13, 1.0
	v_fmac_f32_e32 v13, v16, v13
	v_mul_f32_e32 v17, v8, v13
	v_fma_f32 v18, -v6, v17, v8
	v_fma_f32 v16, -v9, v14, 1.0
	v_fmac_f32_e32 v17, v18, v13
	v_fma_f32 v6, -v6, v17, v8
	v_fmac_f32_e32 v14, v16, v14
	v_div_fmas_f32 v6, v6, v13, v17
	v_mul_f32_e32 v13, v11, v14
	v_fma_f32 v8, -v9, v13, v11
	v_rcp_f32_e32 v16, v12
	v_fmac_f32_e32 v13, v8, v14
	v_mul_f32_e32 v8, v10, v10
	v_div_scale_f32 v17, s[4:5], v8, v8, 1.0
	v_fma_f32 v9, -v9, v13, v11
	v_fma_f32 v11, -v12, v16, 1.0
	v_fmac_f32_e32 v16, v11, v16
	s_mov_b64 vcc, s[0:1]
	v_mul_f32_e32 v11, v15, v16
	v_div_fmas_f32 v9, v9, v14, v13
	v_fma_f32 v13, -v12, v11, v15
	v_fmac_f32_e32 v11, v13, v16
	v_div_scale_f32 v13, s[0:1], 1.0, v8, 1.0
	v_add_f32_e32 v14, 1.0, v10
	v_mul_f32_e32 v10, v14, v14
	v_div_scale_f32 v18, s[4:5], v10, v10, 1.0
	v_fma_f32 v12, -v12, v11, v15
	s_mov_b64 vcc, s[2:3]
	v_div_fmas_f32 v11, v12, v16, v11
	v_div_scale_f32 v12, s[2:3], 1.0, v10, 1.0
	v_rcp_f32_e32 v15, v17
	v_add_f32_e32 v14, 1.0, v14
	v_mul_f32_e32 v19, v14, v14
	v_div_scale_f32 v20, s[4:5], v19, v19, 1.0
	v_fma_f32 v16, -v17, v15, 1.0
	v_fmac_f32_e32 v15, v16, v15
	v_mul_f32_e32 v16, v13, v15
	v_fma_f32 v21, -v17, v16, v13
	v_fmac_f32_e32 v16, v21, v15
	v_rcp_f32_e32 v21, v18
	v_fma_f32 v13, -v17, v16, v13
	s_mov_b64 vcc, s[0:1]
	v_div_fmas_f32 v13, v13, v15, v16
	v_fma_f32 v15, -v18, v21, 1.0
	v_fmac_f32_e32 v21, v15, v21
	v_mul_f32_e32 v15, v12, v21
	v_fma_f32 v16, -v18, v15, v12
	v_fmac_f32_e32 v15, v16, v21
	v_div_scale_f32 v16, s[0:1], 1.0, v19, 1.0
	v_add_f32_e32 v14, 1.0, v14
	v_mul_f32_e32 v22, v14, v14
	v_div_scale_f32 v23, s[4:5], v22, v22, 1.0
	v_rcp_f32_e32 v17, v20
	v_fma_f32 v12, -v18, v15, v12
	s_mov_b64 vcc, s[2:3]
	v_div_scale_f32 v18, s[2:3], 1.0, v22, 1.0
	v_div_fmas_f32 v12, v12, v21, v15
	v_add_f32_e32 v21, v14, v14
	v_div_scale_f32 v24, s[4:5], v21, v21, 1.0
	v_fma_f32 v15, -v20, v17, 1.0
	v_fmac_f32_e32 v17, v15, v17
	v_mul_f32_e32 v15, v16, v17
	v_fma_f32 v25, -v20, v15, v16
	v_fmac_f32_e32 v15, v25, v17
	v_div_scale_f32 v25, s[4:5], 1.0, v21, 1.0
	v_rcp_f32_e32 v26, v23
	v_fma_f32 v16, -v20, v15, v16
	s_mov_b64 vcc, s[0:1]
	v_div_fmas_f32 v15, v16, v17, v15
	v_fma_f32 v16, -v23, v26, 1.0
	v_fmac_f32_e32 v26, v16, v26
	v_mul_f32_e32 v16, v18, v26
	v_fma_f32 v17, -v23, v16, v18
	v_fmac_f32_e32 v16, v17, v26
	v_rcp_f32_e32 v17, v24
	v_fma_f32 v18, -v23, v16, v18
	s_mov_b64 vcc, s[2:3]
	v_div_fmas_f32 v16, v18, v26, v16
	v_fma_f32 v18, -v24, v17, 1.0
	v_fmac_f32_e32 v17, v18, v17
	v_mul_f32_e32 v18, v25, v17
	v_fma_f32 v20, -v24, v18, v25
	v_fmac_f32_e32 v18, v20, v17
	v_fma_f32 v20, -v24, v18, v25
	s_mov_b64 vcc, s[4:5]
	v_div_fmas_f32 v17, v20, v17, v18
	v_mov_b32_e32 v18, 0x3d088889
	s_mov_b32 s0, 0x3e2aaaab
	v_div_fixup_f32 v4, v6, v4, 1.0
	v_add_f32_e32 v3, v3, v4
	v_div_fixup_f32 v1, v9, v1, 1.0
	v_add_f32_e32 v1, v3, v1
	v_div_fixup_f32 v3, v11, v5, 1.0
	v_div_fixup_f32 v16, v16, v22, 1.0
	v_fmac_f32_e32 v18, 0xbcc30c31, v16
	v_fma_f32 v18, -v16, v18, s0
	v_add_f32_e32 v1, v1, v3
	v_div_fixup_f32 v3, v13, v8, 1.0
	v_add_f32_e32 v1, v1, v3
	v_div_fixup_f32 v3, v12, v10, 1.0
	v_add_f32_e32 v1, v1, v3
	v_div_fixup_f32 v17, v17, v21, 1.0
	v_add_f32_e32 v17, 1.0, v17
	v_fmac_f32_e32 v17, v16, v18
	v_div_scale_f32 v16, s[0:1], v14, v14, v17
	v_div_scale_f32 v18, vcc, v17, v14, v17
	v_div_fixup_f32 v3, v15, v19, 1.0
	v_add_f32_e32 v1, v1, v3
	s_movk_i32 s0, 0x7fff
	v_rcp_f32_e32 v20, v16
	v_fma_f32 v21, -v16, v20, 1.0
	v_fmac_f32_e32 v20, v21, v20
	v_mul_f32_e32 v21, v18, v20
	v_fma_f32 v22, -v16, v21, v18
	v_fmac_f32_e32 v21, v22, v20
	v_fma_f32 v16, -v16, v21, v18
	v_div_fmas_f32 v16, v16, v20, v21
	v_div_fixup_f32 v3, v16, v14, v17
	v_add_f32_e32 v1, v1, v3
	v_mul_f32_e32 v1, v2, v1
	v_bfe_u32 v2, v1, 16, 1
	v_add3_u32 v2, v1, v2, s0
	v_cmp_o_f32_e32 vcc, v1, v1
	v_mov_b32_e32 v1, 0x7fc0
	v_cndmask_b32_sdwa v1, v1, v2, vcc dst_sel:DWORD dst_unused:UNUSED_PAD src0_sel:DWORD src1_sel:WORD_1
	global_store_short v0, v1, s[16:17]
	s_or_b64 exec, exec, s[48:49]
	v_cmp_gt_i32_e32 vcc, s55, v7
	s_and_saveexec_b64 s[48:49], vcc
	s_cbranch_execz .LBB75_304
.LBB75_320:
	s_andn2_b64 vcc, exec, s[36:37]
	s_cbranch_vccnz .LBB75_325
; %bb.321:
	s_andn2_b64 vcc, exec, s[46:47]
	s_cbranch_vccnz .LBB75_326
; %bb.322:
	s_add_i32 s56, s56, 1
	s_cmp_eq_u32 s54, 2
	s_cbranch_scc1 .LBB75_327
; %bb.323:
	s_and_b32 s50, s56, 28
	v_mov_b32_e32 v2, 0
	s_mov_b32 s51, 0
	s_mov_b64 s[46:47], s[34:35]
	v_mov_b32_e32 v0, 0
	v_mov_b32_e32 v1, v7
.LBB75_324:                             ; =>This Inner Loop Header: Depth=1
	s_load_dwordx8 s[8:15], s[46:47], 0x4
	s_load_dwordx4 s[28:31], s[46:47], 0x24
	s_load_dwordx8 s[0:7], s[44:45], 0x0
	s_add_u32 s46, s46, 48
	s_addc_u32 s47, s47, 0
	s_waitcnt lgkmcnt(0)
	v_mul_hi_u32 v3, s9, v1
	s_add_i32 s51, s51, 4
	s_add_u32 s44, s44, 32
	s_addc_u32 s45, s45, 0
	v_add_u32_e32 v3, v1, v3
	v_lshrrev_b32_e32 v3, s10, v3
	v_mul_lo_u32 v4, v3, s8
	v_mul_hi_u32 v5, s12, v3
	s_cmp_eq_u32 s50, s51
	v_sub_u32_e32 v1, v1, v4
	v_add_u32_e32 v4, v3, v5
	v_mul_lo_u32 v5, v1, s0
	v_mul_lo_u32 v6, v1, s1
	v_lshrrev_b32_e32 v1, s13, v4
	v_mul_lo_u32 v4, v1, s11
	v_mul_hi_u32 v8, s15, v1
	v_sub_u32_e32 v3, v3, v4
	v_add_u32_e32 v4, v1, v8
	v_lshrrev_b32_e32 v4, s28, v4
	v_mul_hi_u32 v9, s30, v4
	v_mul_lo_u32 v10, v4, s14
	v_mul_lo_u32 v8, v3, s2
	;; [unrolled: 1-line block ×3, first 2 shown]
	v_sub_u32_e32 v10, v1, v10
	v_add_u32_e32 v1, v4, v9
	v_lshrrev_b32_e32 v1, s31, v1
	v_mul_lo_u32 v9, v1, s29
	v_mul_lo_u32 v11, v10, s4
	;; [unrolled: 1-line block ×3, first 2 shown]
	v_add3_u32 v0, v5, v0, v8
	v_sub_u32_e32 v4, v4, v9
	v_mul_lo_u32 v9, v4, s6
	v_mul_lo_u32 v4, v4, s7
	v_add3_u32 v2, v6, v2, v3
	v_add3_u32 v0, v11, v0, v9
	;; [unrolled: 1-line block ×3, first 2 shown]
	s_cbranch_scc0 .LBB75_324
	s_branch .LBB75_328
.LBB75_325:
                                        ; implicit-def: $vgpr0
                                        ; implicit-def: $vgpr2
	s_branch .LBB75_332
.LBB75_326:
	v_mov_b32_e32 v0, 0
	v_mov_b32_e32 v2, 0
	s_branch .LBB75_331
.LBB75_327:
	s_mov_b32 s50, 0
	v_mov_b32_e32 v0, 0
	v_mov_b32_e32 v2, 0
	;; [unrolled: 1-line block ×3, first 2 shown]
.LBB75_328:
	s_and_b32 s4, s56, 3
	s_cmp_eq_u32 s4, 0
	s_cbranch_scc1 .LBB75_331
; %bb.329:
	s_lshl_b32 s0, s50, 3
	s_add_u32 s0, s34, s0
	s_addc_u32 s1, s35, 0
	s_add_u32 s0, s0, 0xc4
	s_addc_u32 s1, s1, 0
	s_mul_i32 s2, s50, 12
	s_add_u32 s2, s34, s2
	s_addc_u32 s3, s35, 0
.LBB75_330:                             ; =>This Inner Loop Header: Depth=1
	s_load_dwordx2 s[6:7], s[2:3], 0x4
	s_load_dword s5, s[2:3], 0xc
	s_load_dwordx2 s[8:9], s[0:1], 0x0
	s_add_u32 s2, s2, 12
	s_addc_u32 s3, s3, 0
	s_waitcnt lgkmcnt(0)
	v_mul_hi_u32 v3, s7, v1
	s_add_u32 s0, s0, 8
	s_addc_u32 s1, s1, 0
	s_add_i32 s4, s4, -1
	v_add_u32_e32 v3, v1, v3
	v_lshrrev_b32_e32 v4, s5, v3
	v_mul_lo_u32 v3, v4, s6
	s_cmp_lg_u32 s4, 0
	v_sub_u32_e32 v3, v1, v3
	v_mad_u64_u32 v[0:1], s[6:7], v3, s8, v[0:1]
	v_mad_u64_u32 v[2:3], s[6:7], v3, s9, v[2:3]
	v_mov_b32_e32 v1, v4
	s_cbranch_scc1 .LBB75_330
.LBB75_331:
	s_cbranch_execnz .LBB75_334
.LBB75_332:
	s_waitcnt lgkmcnt(0)
	v_mul_hi_u32 v0, s25, v7
	s_andn2_b64 vcc, exec, s[42:43]
	v_add_u32_e32 v0, v7, v0
	v_lshrrev_b32_e32 v1, s26, v0
	v_mul_lo_u32 v0, v1, s24
	v_sub_u32_e32 v2, v7, v0
	v_mul_lo_u32 v0, v2, s20
	v_mul_lo_u32 v2, v2, s21
	s_cbranch_vccnz .LBB75_334
; %bb.333:
	v_mul_hi_u32 v3, s40, v1
	v_add_u32_e32 v3, v1, v3
	v_lshrrev_b32_e32 v3, s41, v3
	v_mul_lo_u32 v3, v3, s27
	v_sub_u32_e32 v3, v1, v3
	v_mad_u64_u32 v[0:1], s[0:1], v3, s22, v[0:1]
	v_mad_u64_u32 v[2:3], s[0:1], v3, s23, v[2:3]
.LBB75_334:
	s_waitcnt lgkmcnt(0)
	global_load_ushort v1, v2, s[18:19]
	v_mov_b32_e32 v3, 0
	v_mov_b32_e32 v2, 1.0
	s_waitcnt vmcnt(0)
	v_lshlrev_b32_e32 v1, 16, v1
	v_cmp_gt_f32_e32 vcc, 0.5, v1
	s_and_saveexec_b64 s[6:7], vcc
	s_cbranch_execz .LBB75_340
; %bb.335:
	v_mul_f32_e32 v2, 0x40490fdb, v1
	s_brev_b32 s0, 18
	v_and_b32_e32 v3, 0x7fffffff, v2
	v_cmp_nlt_f32_e64 s[0:1], |v2|, s0
                                        ; implicit-def: $vgpr4
                                        ; implicit-def: $vgpr5
	s_and_saveexec_b64 s[2:3], s[0:1]
	s_xor_b64 s[8:9], exec, s[2:3]
	s_cbranch_execz .LBB75_337
; %bb.336:
	v_and_b32_e32 v4, 0x7fffff, v3
	v_or_b32_e32 v13, 0x800000, v4
	s_mov_b32 s0, 0xfe5163ab
	v_mad_u64_u32 v[4:5], s[0:1], v13, s0, 0
	v_mov_b32_e32 v6, 0
	s_mov_b32 s0, 0x3c439041
	v_mad_u64_u32 v[7:8], s[0:1], v13, s0, v[5:6]
	s_mov_b32 s0, 0xdb629599
	v_not_b32_e32 v12, 63
	v_mov_b32_e32 v5, v8
	v_mad_u64_u32 v[8:9], s[0:1], v13, s0, v[5:6]
	s_mov_b32 s0, 0xf534ddc0
	v_not_b32_e32 v15, 31
	v_mov_b32_e32 v5, v9
	v_mad_u64_u32 v[9:10], s[0:1], v13, s0, v[5:6]
	v_lshrrev_b32_e32 v5, 23, v3
	v_add_u32_e32 v14, 0xffffff88, v5
	v_mov_b32_e32 v5, v10
	s_mov_b32 s0, 0xfc2757d1
	v_mad_u64_u32 v[10:11], s[0:1], v13, s0, v[5:6]
	v_cmp_lt_u32_e32 vcc, 63, v14
	v_cndmask_b32_e32 v5, 0, v12, vcc
	v_add_u32_e32 v14, v5, v14
	v_mov_b32_e32 v5, v11
	s_mov_b32 s0, 0x4e441529
	v_mad_u64_u32 v[11:12], s[0:1], v13, s0, v[5:6]
	v_cmp_lt_u32_e64 s[0:1], 31, v14
	v_cndmask_b32_e64 v5, 0, v15, s[0:1]
	v_add_u32_e32 v14, v5, v14
	v_mov_b32_e32 v5, v12
	s_mov_b32 s2, 0xa2f9836e
	v_mad_u64_u32 v[5:6], s[2:3], v13, s2, v[5:6]
	v_cmp_lt_u32_e64 s[2:3], 31, v14
	v_cndmask_b32_e64 v12, 0, v15, s[2:3]
	v_cndmask_b32_e32 v13, v11, v9, vcc
	v_cndmask_b32_e32 v5, v5, v10, vcc
	;; [unrolled: 1-line block ×3, first 2 shown]
	v_add_u32_e32 v12, v12, v14
	v_cndmask_b32_e64 v14, v5, v13, s[0:1]
	v_cndmask_b32_e64 v5, v6, v5, s[0:1]
	v_cndmask_b32_e32 v6, v10, v8, vcc
	v_cndmask_b32_e64 v10, v13, v6, s[0:1]
	v_cndmask_b32_e64 v5, v5, v14, s[2:3]
	;; [unrolled: 1-line block ×3, first 2 shown]
	v_sub_u32_e32 v13, 32, v12
	v_alignbit_b32 v14, v5, v11, v13
	v_cmp_eq_u32_e64 s[4:5], 0, v12
	v_cndmask_b32_e64 v12, v14, v5, s[4:5]
	v_cndmask_b32_e32 v5, v9, v7, vcc
	v_cndmask_b32_e64 v6, v6, v5, s[0:1]
	v_cndmask_b32_e64 v7, v10, v6, s[2:3]
	v_alignbit_b32 v9, v11, v7, v13
	v_cndmask_b32_e32 v4, v8, v4, vcc
	v_cndmask_b32_e64 v9, v9, v11, s[4:5]
	v_bfe_u32 v14, v12, 29, 1
	v_cndmask_b32_e64 v4, v5, v4, s[0:1]
	v_alignbit_b32 v10, v12, v9, 30
	v_sub_u32_e32 v15, 0, v14
	v_cndmask_b32_e64 v4, v6, v4, s[2:3]
	v_xor_b32_e32 v10, v10, v15
	v_alignbit_b32 v5, v7, v4, v13
	v_cndmask_b32_e64 v5, v5, v7, s[4:5]
	v_ffbh_u32_e32 v7, v10
	v_alignbit_b32 v6, v9, v5, 30
	v_min_u32_e32 v7, 32, v7
	v_alignbit_b32 v4, v5, v4, 30
	v_xor_b32_e32 v6, v6, v15
	v_sub_u32_e32 v8, 31, v7
	v_xor_b32_e32 v4, v4, v15
	v_alignbit_b32 v9, v10, v6, v8
	v_alignbit_b32 v4, v6, v4, v8
	;; [unrolled: 1-line block ×3, first 2 shown]
	v_ffbh_u32_e32 v6, v5
	v_min_u32_e32 v6, 32, v6
	v_lshrrev_b32_e32 v11, 29, v12
	v_not_b32_e32 v8, v6
	v_alignbit_b32 v4, v5, v4, v8
	v_lshlrev_b32_e32 v5, 31, v11
	v_or_b32_e32 v8, 0x33000000, v5
	v_add_lshl_u32 v6, v6, v7, 23
	v_lshrrev_b32_e32 v4, 9, v4
	v_sub_u32_e32 v6, v8, v6
	v_or_b32_e32 v5, 0.5, v5
	v_lshlrev_b32_e32 v7, 23, v7
	v_or_b32_e32 v4, v6, v4
	v_lshrrev_b32_e32 v6, 9, v9
	v_sub_u32_e32 v5, v5, v7
	v_or_b32_e32 v5, v6, v5
	s_mov_b32 s0, 0x3fc90fda
	v_mul_f32_e32 v6, 0x3fc90fda, v5
	v_fma_f32 v7, v5, s0, -v6
	v_fmac_f32_e32 v7, 0x33a22168, v5
	v_fmac_f32_e32 v7, 0x3fc90fda, v4
	v_lshrrev_b32_e32 v4, 30, v12
	v_add_f32_e32 v5, v6, v7
	v_add_u32_e32 v4, v14, v4
.LBB75_337:
	s_andn2_saveexec_b64 s[0:1], s[8:9]
	s_cbranch_execz .LBB75_339
; %bb.338:
	s_mov_b32 s2, 0x3f22f983
	v_mul_f32_e64 v4, |v2|, s2
	v_rndne_f32_e32 v6, v4
	s_mov_b32 s2, 0xbfc90fda
	v_cvt_i32_f32_e32 v4, v6
	v_fma_f32 v5, v6, s2, |v2|
	v_fmac_f32_e32 v5, 0xb3a22168, v6
	v_fmac_f32_e32 v5, 0xa7c234c4, v6
.LBB75_339:
	s_or_b64 exec, exec, s[0:1]
	v_mul_f32_e32 v6, v5, v5
	v_mov_b32_e32 v7, 0x3c0881c4
	v_fmac_f32_e32 v7, 0xb94c1982, v6
	v_mov_b32_e32 v8, 0xbe2aaa9d
	v_fmac_f32_e32 v8, v6, v7
	v_mul_f32_e32 v7, v6, v8
	v_fmac_f32_e32 v5, v5, v7
	v_mov_b32_e32 v7, 0xbab64f3b
	v_fmac_f32_e32 v7, 0x37d75334, v6
	v_mov_b32_e32 v8, 0x3d2aabf7
	;; [unrolled: 2-line block ×3, first 2 shown]
	v_fmac_f32_e32 v7, v6, v8
	v_fma_f32 v6, v6, v7, 1.0
	v_and_b32_e32 v7, 1, v4
	v_lshlrev_b32_e32 v4, 30, v4
	v_cmp_eq_u32_e32 vcc, 0, v7
	v_and_b32_e32 v4, 0x80000000, v4
	v_xor_b32_e32 v3, v3, v2
	v_cndmask_b32_e32 v5, v6, v5, vcc
	v_xor_b32_e32 v3, v3, v4
	s_movk_i32 s0, 0x1f8
	v_xor_b32_e32 v3, v3, v5
	v_mov_b32_e32 v4, 0x7fc00000
	v_cmp_class_f32_e64 vcc, v2, s0
	v_cndmask_b32_e32 v2, v4, v3, vcc
	v_mul_f32_e32 v2, v2, v2
	s_mov_b32 s2, 0xc11de9e7
	v_div_scale_f32 v3, s[0:1], v2, v2, s2
	v_div_scale_f32 v4, vcc, s2, v2, s2
	v_sub_f32_e32 v1, 1.0, v1
	v_rcp_f32_e32 v5, v3
	v_fma_f32 v6, -v3, v5, 1.0
	v_fmac_f32_e32 v5, v6, v5
	v_mul_f32_e32 v6, v4, v5
	v_fma_f32 v7, -v3, v6, v4
	v_fmac_f32_e32 v6, v7, v5
	v_fma_f32 v3, -v3, v6, v4
	v_div_fmas_f32 v3, v3, v5, v6
	v_div_fixup_f32 v2, v3, v2, s2
	v_add_f32_e32 v3, 0, v2
	v_mov_b32_e32 v2, -1.0
.LBB75_340:
	s_or_b64 exec, exec, s[6:7]
	v_mul_f32_e32 v4, v1, v1
	v_div_scale_f32 v6, s[0:1], v4, v4, 1.0
	v_add_f32_e32 v5, 1.0, v1
	v_mul_f32_e32 v1, v5, v5
	v_div_scale_f32 v8, s[0:1], v1, v1, 1.0
	v_div_scale_f32 v7, vcc, 1.0, v4, 1.0
	v_add_f32_e32 v9, 1.0, v5
	v_div_scale_f32 v10, s[0:1], 1.0, v1, 1.0
	v_mul_f32_e32 v5, v9, v9
	v_div_scale_f32 v11, s[2:3], v5, v5, 1.0
	v_div_scale_f32 v14, s[2:3], 1.0, v5, 1.0
	v_rcp_f32_e32 v12, v6
	v_add_f32_e32 v9, 1.0, v9
	v_rcp_f32_e32 v13, v8
	v_fma_f32 v15, -v6, v12, 1.0
	v_fmac_f32_e32 v12, v15, v12
	v_mul_f32_e32 v16, v7, v12
	v_fma_f32 v17, -v6, v16, v7
	v_fma_f32 v15, -v8, v13, 1.0
	v_fmac_f32_e32 v16, v17, v12
	v_fma_f32 v6, -v6, v16, v7
	v_fmac_f32_e32 v13, v15, v13
	v_div_fmas_f32 v6, v6, v12, v16
	v_mul_f32_e32 v12, v10, v13
	v_fma_f32 v7, -v8, v12, v10
	v_rcp_f32_e32 v15, v11
	v_fmac_f32_e32 v12, v7, v13
	v_mul_f32_e32 v7, v9, v9
	v_div_scale_f32 v16, s[4:5], v7, v7, 1.0
	v_fma_f32 v8, -v8, v12, v10
	v_fma_f32 v10, -v11, v15, 1.0
	v_fmac_f32_e32 v15, v10, v15
	s_mov_b64 vcc, s[0:1]
	v_mul_f32_e32 v10, v14, v15
	v_div_fmas_f32 v8, v8, v13, v12
	v_fma_f32 v12, -v11, v10, v14
	v_fmac_f32_e32 v10, v12, v15
	v_div_scale_f32 v12, s[0:1], 1.0, v7, 1.0
	v_add_f32_e32 v13, 1.0, v9
	v_mul_f32_e32 v9, v13, v13
	v_div_scale_f32 v17, s[4:5], v9, v9, 1.0
	v_fma_f32 v11, -v11, v10, v14
	s_mov_b64 vcc, s[2:3]
	v_div_fmas_f32 v10, v11, v15, v10
	v_div_scale_f32 v11, s[2:3], 1.0, v9, 1.0
	v_rcp_f32_e32 v14, v16
	v_add_f32_e32 v13, 1.0, v13
	v_mul_f32_e32 v18, v13, v13
	v_div_scale_f32 v19, s[4:5], v18, v18, 1.0
	v_fma_f32 v15, -v16, v14, 1.0
	v_fmac_f32_e32 v14, v15, v14
	v_mul_f32_e32 v15, v12, v14
	v_fma_f32 v20, -v16, v15, v12
	v_fmac_f32_e32 v15, v20, v14
	v_rcp_f32_e32 v20, v17
	v_fma_f32 v12, -v16, v15, v12
	s_mov_b64 vcc, s[0:1]
	v_div_fmas_f32 v12, v12, v14, v15
	v_fma_f32 v14, -v17, v20, 1.0
	v_fmac_f32_e32 v20, v14, v20
	v_mul_f32_e32 v14, v11, v20
	v_fma_f32 v15, -v17, v14, v11
	v_fmac_f32_e32 v14, v15, v20
	v_div_scale_f32 v15, s[0:1], 1.0, v18, 1.0
	v_add_f32_e32 v13, 1.0, v13
	v_mul_f32_e32 v21, v13, v13
	v_div_scale_f32 v22, s[4:5], v21, v21, 1.0
	v_rcp_f32_e32 v16, v19
	v_fma_f32 v11, -v17, v14, v11
	s_mov_b64 vcc, s[2:3]
	v_div_scale_f32 v17, s[2:3], 1.0, v21, 1.0
	v_div_fmas_f32 v11, v11, v20, v14
	v_add_f32_e32 v20, v13, v13
	v_div_scale_f32 v23, s[4:5], v20, v20, 1.0
	v_fma_f32 v14, -v19, v16, 1.0
	v_fmac_f32_e32 v16, v14, v16
	v_mul_f32_e32 v14, v15, v16
	v_fma_f32 v24, -v19, v14, v15
	v_fmac_f32_e32 v14, v24, v16
	v_div_scale_f32 v24, s[4:5], 1.0, v20, 1.0
	v_rcp_f32_e32 v25, v22
	v_fma_f32 v15, -v19, v14, v15
	s_mov_b64 vcc, s[0:1]
	v_div_fmas_f32 v14, v15, v16, v14
	v_fma_f32 v15, -v22, v25, 1.0
	v_fmac_f32_e32 v25, v15, v25
	v_mul_f32_e32 v15, v17, v25
	v_fma_f32 v16, -v22, v15, v17
	v_fmac_f32_e32 v15, v16, v25
	v_rcp_f32_e32 v16, v23
	v_fma_f32 v17, -v22, v15, v17
	s_mov_b64 vcc, s[2:3]
	v_div_fmas_f32 v15, v17, v25, v15
	v_fma_f32 v17, -v23, v16, 1.0
	v_fmac_f32_e32 v16, v17, v16
	v_mul_f32_e32 v17, v24, v16
	v_fma_f32 v19, -v23, v17, v24
	v_fmac_f32_e32 v17, v19, v16
	v_fma_f32 v19, -v23, v17, v24
	s_mov_b64 vcc, s[4:5]
	v_div_fmas_f32 v16, v19, v16, v17
	v_mov_b32_e32 v17, 0x3d088889
	s_mov_b32 s0, 0x3e2aaaab
	v_div_fixup_f32 v4, v6, v4, 1.0
	v_add_f32_e32 v3, v3, v4
	v_div_fixup_f32 v1, v8, v1, 1.0
	v_add_f32_e32 v1, v3, v1
	v_div_fixup_f32 v3, v10, v5, 1.0
	v_div_fixup_f32 v15, v15, v21, 1.0
	v_fmac_f32_e32 v17, 0xbcc30c31, v15
	v_fma_f32 v17, -v15, v17, s0
	v_add_f32_e32 v1, v1, v3
	v_div_fixup_f32 v3, v12, v7, 1.0
	v_add_f32_e32 v1, v1, v3
	v_div_fixup_f32 v3, v11, v9, 1.0
	;; [unrolled: 2-line block ×3, first 2 shown]
	v_add_f32_e32 v16, 1.0, v16
	v_fmac_f32_e32 v16, v15, v17
	v_div_scale_f32 v15, s[0:1], v13, v13, v16
	v_div_scale_f32 v17, vcc, v16, v13, v16
	v_div_fixup_f32 v3, v14, v18, 1.0
	v_add_f32_e32 v1, v1, v3
	s_movk_i32 s0, 0x7fff
	v_rcp_f32_e32 v19, v15
	v_fma_f32 v20, -v15, v19, 1.0
	v_fmac_f32_e32 v19, v20, v19
	v_mul_f32_e32 v20, v17, v19
	v_fma_f32 v21, -v15, v20, v17
	v_fmac_f32_e32 v20, v21, v19
	v_fma_f32 v15, -v15, v20, v17
	v_div_fmas_f32 v15, v15, v19, v20
	v_div_fixup_f32 v3, v15, v13, v16
	v_add_f32_e32 v1, v1, v3
	v_mul_f32_e32 v1, v2, v1
	v_bfe_u32 v2, v1, 16, 1
	v_add3_u32 v2, v1, v2, s0
	v_cmp_o_f32_e32 vcc, v1, v1
	v_mov_b32_e32 v1, 0x7fc0
	v_cndmask_b32_sdwa v1, v1, v2, vcc dst_sel:DWORD dst_unused:UNUSED_PAD src0_sel:DWORD src1_sel:WORD_1
	global_store_short v0, v1, s[16:17]
	s_or_b64 exec, exec, s[48:49]
                                        ; implicit-def: $vgpr18
                                        ; implicit-def: $vgpr7
	s_andn2_saveexec_b64 s[0:1], s[38:39]
	s_cbranch_execz .LBB75_305
	s_branch .LBB75_8
	.section	.rodata,"a",@progbits
	.p2align	6, 0x0
	.amdhsa_kernel _ZN2at6native32elementwise_kernel_manual_unrollILi128ELi8EZNS0_22gpu_kernel_impl_nocastIZZZNS0_20trigamma_kernel_cudaERNS_18TensorIteratorBaseEENKUlvE_clEvENKUlvE2_clEvEUlN3c108BFloat16EE_EEvS4_RKT_EUlibE_EEviT1_
		.amdhsa_group_segment_fixed_size 0
		.amdhsa_private_segment_fixed_size 0
		.amdhsa_kernarg_size 360
		.amdhsa_user_sgpr_count 6
		.amdhsa_user_sgpr_private_segment_buffer 1
		.amdhsa_user_sgpr_dispatch_ptr 0
		.amdhsa_user_sgpr_queue_ptr 0
		.amdhsa_user_sgpr_kernarg_segment_ptr 1
		.amdhsa_user_sgpr_dispatch_id 0
		.amdhsa_user_sgpr_flat_scratch_init 0
		.amdhsa_user_sgpr_private_segment_size 0
		.amdhsa_uses_dynamic_stack 0
		.amdhsa_system_sgpr_private_segment_wavefront_offset 0
		.amdhsa_system_sgpr_workgroup_id_x 1
		.amdhsa_system_sgpr_workgroup_id_y 0
		.amdhsa_system_sgpr_workgroup_id_z 0
		.amdhsa_system_sgpr_workgroup_info 0
		.amdhsa_system_vgpr_workitem_id 0
		.amdhsa_next_free_vgpr 44
		.amdhsa_next_free_sgpr 60
		.amdhsa_reserve_vcc 1
		.amdhsa_reserve_flat_scratch 0
		.amdhsa_float_round_mode_32 0
		.amdhsa_float_round_mode_16_64 0
		.amdhsa_float_denorm_mode_32 3
		.amdhsa_float_denorm_mode_16_64 3
		.amdhsa_dx10_clamp 1
		.amdhsa_ieee_mode 1
		.amdhsa_fp16_overflow 0
		.amdhsa_exception_fp_ieee_invalid_op 0
		.amdhsa_exception_fp_denorm_src 0
		.amdhsa_exception_fp_ieee_div_zero 0
		.amdhsa_exception_fp_ieee_overflow 0
		.amdhsa_exception_fp_ieee_underflow 0
		.amdhsa_exception_fp_ieee_inexact 0
		.amdhsa_exception_int_div_zero 0
	.end_amdhsa_kernel
	.section	.text._ZN2at6native32elementwise_kernel_manual_unrollILi128ELi8EZNS0_22gpu_kernel_impl_nocastIZZZNS0_20trigamma_kernel_cudaERNS_18TensorIteratorBaseEENKUlvE_clEvENKUlvE2_clEvEUlN3c108BFloat16EE_EEvS4_RKT_EUlibE_EEviT1_,"axG",@progbits,_ZN2at6native32elementwise_kernel_manual_unrollILi128ELi8EZNS0_22gpu_kernel_impl_nocastIZZZNS0_20trigamma_kernel_cudaERNS_18TensorIteratorBaseEENKUlvE_clEvENKUlvE2_clEvEUlN3c108BFloat16EE_EEvS4_RKT_EUlibE_EEviT1_,comdat
.Lfunc_end75:
	.size	_ZN2at6native32elementwise_kernel_manual_unrollILi128ELi8EZNS0_22gpu_kernel_impl_nocastIZZZNS0_20trigamma_kernel_cudaERNS_18TensorIteratorBaseEENKUlvE_clEvENKUlvE2_clEvEUlN3c108BFloat16EE_EEvS4_RKT_EUlibE_EEviT1_, .Lfunc_end75-_ZN2at6native32elementwise_kernel_manual_unrollILi128ELi8EZNS0_22gpu_kernel_impl_nocastIZZZNS0_20trigamma_kernel_cudaERNS_18TensorIteratorBaseEENKUlvE_clEvENKUlvE2_clEvEUlN3c108BFloat16EE_EEvS4_RKT_EUlibE_EEviT1_
                                        ; -- End function
	.set _ZN2at6native32elementwise_kernel_manual_unrollILi128ELi8EZNS0_22gpu_kernel_impl_nocastIZZZNS0_20trigamma_kernel_cudaERNS_18TensorIteratorBaseEENKUlvE_clEvENKUlvE2_clEvEUlN3c108BFloat16EE_EEvS4_RKT_EUlibE_EEviT1_.num_vgpr, 44
	.set _ZN2at6native32elementwise_kernel_manual_unrollILi128ELi8EZNS0_22gpu_kernel_impl_nocastIZZZNS0_20trigamma_kernel_cudaERNS_18TensorIteratorBaseEENKUlvE_clEvENKUlvE2_clEvEUlN3c108BFloat16EE_EEvS4_RKT_EUlibE_EEviT1_.num_agpr, 0
	.set _ZN2at6native32elementwise_kernel_manual_unrollILi128ELi8EZNS0_22gpu_kernel_impl_nocastIZZZNS0_20trigamma_kernel_cudaERNS_18TensorIteratorBaseEENKUlvE_clEvENKUlvE2_clEvEUlN3c108BFloat16EE_EEvS4_RKT_EUlibE_EEviT1_.numbered_sgpr, 60
	.set _ZN2at6native32elementwise_kernel_manual_unrollILi128ELi8EZNS0_22gpu_kernel_impl_nocastIZZZNS0_20trigamma_kernel_cudaERNS_18TensorIteratorBaseEENKUlvE_clEvENKUlvE2_clEvEUlN3c108BFloat16EE_EEvS4_RKT_EUlibE_EEviT1_.num_named_barrier, 0
	.set _ZN2at6native32elementwise_kernel_manual_unrollILi128ELi8EZNS0_22gpu_kernel_impl_nocastIZZZNS0_20trigamma_kernel_cudaERNS_18TensorIteratorBaseEENKUlvE_clEvENKUlvE2_clEvEUlN3c108BFloat16EE_EEvS4_RKT_EUlibE_EEviT1_.private_seg_size, 0
	.set _ZN2at6native32elementwise_kernel_manual_unrollILi128ELi8EZNS0_22gpu_kernel_impl_nocastIZZZNS0_20trigamma_kernel_cudaERNS_18TensorIteratorBaseEENKUlvE_clEvENKUlvE2_clEvEUlN3c108BFloat16EE_EEvS4_RKT_EUlibE_EEviT1_.uses_vcc, 1
	.set _ZN2at6native32elementwise_kernel_manual_unrollILi128ELi8EZNS0_22gpu_kernel_impl_nocastIZZZNS0_20trigamma_kernel_cudaERNS_18TensorIteratorBaseEENKUlvE_clEvENKUlvE2_clEvEUlN3c108BFloat16EE_EEvS4_RKT_EUlibE_EEviT1_.uses_flat_scratch, 0
	.set _ZN2at6native32elementwise_kernel_manual_unrollILi128ELi8EZNS0_22gpu_kernel_impl_nocastIZZZNS0_20trigamma_kernel_cudaERNS_18TensorIteratorBaseEENKUlvE_clEvENKUlvE2_clEvEUlN3c108BFloat16EE_EEvS4_RKT_EUlibE_EEviT1_.has_dyn_sized_stack, 0
	.set _ZN2at6native32elementwise_kernel_manual_unrollILi128ELi8EZNS0_22gpu_kernel_impl_nocastIZZZNS0_20trigamma_kernel_cudaERNS_18TensorIteratorBaseEENKUlvE_clEvENKUlvE2_clEvEUlN3c108BFloat16EE_EEvS4_RKT_EUlibE_EEviT1_.has_recursion, 0
	.set _ZN2at6native32elementwise_kernel_manual_unrollILi128ELi8EZNS0_22gpu_kernel_impl_nocastIZZZNS0_20trigamma_kernel_cudaERNS_18TensorIteratorBaseEENKUlvE_clEvENKUlvE2_clEvEUlN3c108BFloat16EE_EEvS4_RKT_EUlibE_EEviT1_.has_indirect_call, 0
	.section	.AMDGPU.csdata,"",@progbits
; Kernel info:
; codeLenInByte = 39904
; TotalNumSgprs: 64
; NumVgprs: 44
; ScratchSize: 0
; MemoryBound: 0
; FloatMode: 240
; IeeeMode: 1
; LDSByteSize: 0 bytes/workgroup (compile time only)
; SGPRBlocks: 7
; VGPRBlocks: 10
; NumSGPRsForWavesPerEU: 64
; NumVGPRsForWavesPerEU: 44
; Occupancy: 5
; WaveLimiterHint : 1
; COMPUTE_PGM_RSRC2:SCRATCH_EN: 0
; COMPUTE_PGM_RSRC2:USER_SGPR: 6
; COMPUTE_PGM_RSRC2:TRAP_HANDLER: 0
; COMPUTE_PGM_RSRC2:TGID_X_EN: 1
; COMPUTE_PGM_RSRC2:TGID_Y_EN: 0
; COMPUTE_PGM_RSRC2:TGID_Z_EN: 0
; COMPUTE_PGM_RSRC2:TIDIG_COMP_CNT: 0
	.section	.text._ZN2at6native32elementwise_kernel_manual_unrollILi128ELi4EZNS0_15gpu_kernel_implIZZZNS0_20trigamma_kernel_cudaERNS_18TensorIteratorBaseEENKUlvE_clEvENKUlvE2_clEvEUlN3c108BFloat16EE_EEvS4_RKT_EUlibE_EEviT1_,"axG",@progbits,_ZN2at6native32elementwise_kernel_manual_unrollILi128ELi4EZNS0_15gpu_kernel_implIZZZNS0_20trigamma_kernel_cudaERNS_18TensorIteratorBaseEENKUlvE_clEvENKUlvE2_clEvEUlN3c108BFloat16EE_EEvS4_RKT_EUlibE_EEviT1_,comdat
	.globl	_ZN2at6native32elementwise_kernel_manual_unrollILi128ELi4EZNS0_15gpu_kernel_implIZZZNS0_20trigamma_kernel_cudaERNS_18TensorIteratorBaseEENKUlvE_clEvENKUlvE2_clEvEUlN3c108BFloat16EE_EEvS4_RKT_EUlibE_EEviT1_ ; -- Begin function _ZN2at6native32elementwise_kernel_manual_unrollILi128ELi4EZNS0_15gpu_kernel_implIZZZNS0_20trigamma_kernel_cudaERNS_18TensorIteratorBaseEENKUlvE_clEvENKUlvE2_clEvEUlN3c108BFloat16EE_EEvS4_RKT_EUlibE_EEviT1_
	.p2align	8
	.type	_ZN2at6native32elementwise_kernel_manual_unrollILi128ELi4EZNS0_15gpu_kernel_implIZZZNS0_20trigamma_kernel_cudaERNS_18TensorIteratorBaseEENKUlvE_clEvENKUlvE2_clEvEUlN3c108BFloat16EE_EEvS4_RKT_EUlibE_EEviT1_,@function
_ZN2at6native32elementwise_kernel_manual_unrollILi128ELi4EZNS0_15gpu_kernel_implIZZZNS0_20trigamma_kernel_cudaERNS_18TensorIteratorBaseEENKUlvE_clEvENKUlvE2_clEvEUlN3c108BFloat16EE_EEvS4_RKT_EUlibE_EEviT1_: ; @_ZN2at6native32elementwise_kernel_manual_unrollILi128ELi4EZNS0_15gpu_kernel_implIZZZNS0_20trigamma_kernel_cudaERNS_18TensorIteratorBaseEENKUlvE_clEvENKUlvE2_clEvEUlN3c108BFloat16EE_EEvS4_RKT_EUlibE_EEviT1_
; %bb.0:
	v_mov_b32_e32 v1, 0
	global_load_ushort v1, v1, s[4:5] offset:33
	s_load_dwordx4 s[8:11], s[4:5], 0x8
	s_load_dwordx2 s[12:13], s[4:5], 0x18
	s_load_dword s38, s[4:5], 0x0
	v_lshl_or_b32 v2, s6, 9, v0
	v_or_b32_e32 v0, 0x180, v2
	s_mov_b64 s[16:17], 0
	s_mov_b64 s[6:7], 0
	s_waitcnt lgkmcnt(0)
	v_cmp_le_i32_e32 vcc, s38, v0
	s_waitcnt vmcnt(0)
	v_readfirstlane_b32 s33, v1
	s_and_b32 s0, 0xffff, s33
	s_lshr_b32 s42, s0, 8
	s_and_saveexec_b64 s[0:1], vcc
	s_xor_b64 s[14:15], exec, s[0:1]
	s_cbranch_execz .LBB76_1050
; %bb.1:
	v_cmp_gt_i32_e32 vcc, s38, v2
	s_mov_b64 s[2:3], -1
	s_mov_b64 s[24:25], 0
	s_mov_b64 s[18:19], 0
	s_and_saveexec_b64 s[20:21], vcc
	s_cbranch_execz .LBB76_257
; %bb.2:
	v_mul_lo_u32 v0, v2, s13
	v_mov_b32_e32 v1, s11
	s_and_b32 s6, 0xffff, s42
	s_cmp_lt_i32 s6, 11
	v_ashrrev_i32_e32 v3, 31, v0
	v_add_co_u32_e32 v0, vcc, s10, v0
	v_addc_co_u32_e32 v1, vcc, v1, v3, vcc
	s_cbranch_scc1 .LBB76_9
; %bb.3:
	s_cmp_gt_i32 s6, 25
	s_cbranch_scc0 .LBB76_24
; %bb.4:
	s_cmp_gt_i32 s6, 28
	s_cbranch_scc0 .LBB76_28
	;; [unrolled: 3-line block ×4, first 2 shown]
; %bb.7:
	s_cmp_eq_u32 s6, 46
	s_mov_b64 s[2:3], 0
	s_cbranch_scc0 .LBB76_33
; %bb.8:
	global_load_dword v3, v[0:1], off
	s_mov_b64 s[0:1], -1
	s_branch .LBB76_35
.LBB76_9:
                                        ; implicit-def: $vgpr3
	s_mov_b64 s[0:1], 0
	s_and_b64 vcc, exec, s[2:3]
	s_cbranch_vccnz .LBB76_208
.LBB76_10:
	s_andn2_b64 vcc, exec, s[0:1]
	s_cbranch_vccnz .LBB76_255
.LBB76_11:
	s_waitcnt vmcnt(0)
	v_lshlrev_b32_e32 v0, 16, v3
	v_cmp_gt_f32_e32 vcc, 0.5, v0
	v_mov_b32_e32 v3, 0
	v_mov_b32_e32 v1, 1.0
	s_and_saveexec_b64 s[6:7], vcc
	s_cbranch_execz .LBB76_17
; %bb.12:
	v_mul_f32_e32 v1, 0x40490fdb, v0
	s_brev_b32 s0, 18
	v_and_b32_e32 v3, 0x7fffffff, v1
	v_cmp_nlt_f32_e64 s[0:1], |v1|, s0
                                        ; implicit-def: $vgpr4
                                        ; implicit-def: $vgpr5
	s_and_saveexec_b64 s[2:3], s[0:1]
	s_xor_b64 s[22:23], exec, s[2:3]
	s_cbranch_execz .LBB76_14
; %bb.13:
	v_and_b32_e32 v4, 0x7fffff, v3
	v_or_b32_e32 v13, 0x800000, v4
	s_mov_b32 s0, 0xfe5163ab
	v_mad_u64_u32 v[4:5], s[0:1], v13, s0, 0
	v_mov_b32_e32 v6, 0
	s_mov_b32 s0, 0x3c439041
	v_mad_u64_u32 v[7:8], s[0:1], v13, s0, v[5:6]
	s_mov_b32 s0, 0xdb629599
	v_not_b32_e32 v12, 63
	v_mov_b32_e32 v5, v8
	v_mad_u64_u32 v[8:9], s[0:1], v13, s0, v[5:6]
	s_mov_b32 s0, 0xf534ddc0
	v_not_b32_e32 v15, 31
	v_mov_b32_e32 v5, v9
	v_mad_u64_u32 v[9:10], s[0:1], v13, s0, v[5:6]
	v_lshrrev_b32_e32 v5, 23, v3
	v_add_u32_e32 v14, 0xffffff88, v5
	v_mov_b32_e32 v5, v10
	s_mov_b32 s0, 0xfc2757d1
	v_mad_u64_u32 v[10:11], s[0:1], v13, s0, v[5:6]
	v_cmp_lt_u32_e32 vcc, 63, v14
	v_cndmask_b32_e32 v5, 0, v12, vcc
	v_add_u32_e32 v14, v5, v14
	v_mov_b32_e32 v5, v11
	s_mov_b32 s0, 0x4e441529
	v_mad_u64_u32 v[11:12], s[0:1], v13, s0, v[5:6]
	v_cmp_lt_u32_e64 s[0:1], 31, v14
	v_cndmask_b32_e64 v5, 0, v15, s[0:1]
	v_add_u32_e32 v14, v5, v14
	v_mov_b32_e32 v5, v12
	s_mov_b32 s2, 0xa2f9836e
	v_mad_u64_u32 v[5:6], s[2:3], v13, s2, v[5:6]
	v_cmp_lt_u32_e64 s[2:3], 31, v14
	v_cndmask_b32_e64 v12, 0, v15, s[2:3]
	v_cndmask_b32_e32 v13, v11, v9, vcc
	v_cndmask_b32_e32 v5, v5, v10, vcc
	;; [unrolled: 1-line block ×3, first 2 shown]
	v_add_u32_e32 v12, v12, v14
	v_cndmask_b32_e64 v14, v5, v13, s[0:1]
	v_cndmask_b32_e64 v5, v6, v5, s[0:1]
	v_cndmask_b32_e32 v6, v10, v8, vcc
	v_cndmask_b32_e64 v10, v13, v6, s[0:1]
	v_cndmask_b32_e64 v5, v5, v14, s[2:3]
	;; [unrolled: 1-line block ×3, first 2 shown]
	v_sub_u32_e32 v13, 32, v12
	v_alignbit_b32 v14, v5, v11, v13
	v_cmp_eq_u32_e64 s[4:5], 0, v12
	v_cndmask_b32_e64 v12, v14, v5, s[4:5]
	v_cndmask_b32_e32 v5, v9, v7, vcc
	v_cndmask_b32_e64 v6, v6, v5, s[0:1]
	v_cndmask_b32_e64 v7, v10, v6, s[2:3]
	v_alignbit_b32 v9, v11, v7, v13
	v_cndmask_b32_e32 v4, v8, v4, vcc
	v_cndmask_b32_e64 v9, v9, v11, s[4:5]
	v_bfe_u32 v14, v12, 29, 1
	v_cndmask_b32_e64 v4, v5, v4, s[0:1]
	v_alignbit_b32 v10, v12, v9, 30
	v_sub_u32_e32 v15, 0, v14
	v_cndmask_b32_e64 v4, v6, v4, s[2:3]
	v_xor_b32_e32 v10, v10, v15
	v_alignbit_b32 v5, v7, v4, v13
	v_cndmask_b32_e64 v5, v5, v7, s[4:5]
	v_ffbh_u32_e32 v7, v10
	v_alignbit_b32 v6, v9, v5, 30
	v_min_u32_e32 v7, 32, v7
	v_alignbit_b32 v4, v5, v4, 30
	v_xor_b32_e32 v6, v6, v15
	v_sub_u32_e32 v8, 31, v7
	v_xor_b32_e32 v4, v4, v15
	v_alignbit_b32 v9, v10, v6, v8
	v_alignbit_b32 v4, v6, v4, v8
	;; [unrolled: 1-line block ×3, first 2 shown]
	v_ffbh_u32_e32 v6, v5
	v_min_u32_e32 v6, 32, v6
	v_lshrrev_b32_e32 v11, 29, v12
	v_not_b32_e32 v8, v6
	v_alignbit_b32 v4, v5, v4, v8
	v_lshlrev_b32_e32 v5, 31, v11
	v_or_b32_e32 v8, 0x33000000, v5
	v_add_lshl_u32 v6, v6, v7, 23
	v_lshrrev_b32_e32 v4, 9, v4
	v_sub_u32_e32 v6, v8, v6
	v_or_b32_e32 v5, 0.5, v5
	v_lshlrev_b32_e32 v7, 23, v7
	v_or_b32_e32 v4, v6, v4
	v_lshrrev_b32_e32 v6, 9, v9
	v_sub_u32_e32 v5, v5, v7
	v_or_b32_e32 v5, v6, v5
	s_mov_b32 s0, 0x3fc90fda
	v_mul_f32_e32 v6, 0x3fc90fda, v5
	v_fma_f32 v7, v5, s0, -v6
	v_fmac_f32_e32 v7, 0x33a22168, v5
	v_fmac_f32_e32 v7, 0x3fc90fda, v4
	v_lshrrev_b32_e32 v4, 30, v12
	v_add_f32_e32 v5, v6, v7
	v_add_u32_e32 v4, v14, v4
.LBB76_14:
	s_andn2_saveexec_b64 s[0:1], s[22:23]
	s_cbranch_execz .LBB76_16
; %bb.15:
	s_mov_b32 s2, 0x3f22f983
	v_mul_f32_e64 v4, |v1|, s2
	v_rndne_f32_e32 v6, v4
	s_mov_b32 s2, 0xbfc90fda
	v_cvt_i32_f32_e32 v4, v6
	v_fma_f32 v5, v6, s2, |v1|
	v_fmac_f32_e32 v5, 0xb3a22168, v6
	v_fmac_f32_e32 v5, 0xa7c234c4, v6
.LBB76_16:
	s_or_b64 exec, exec, s[0:1]
	v_mul_f32_e32 v6, v5, v5
	v_mov_b32_e32 v7, 0x3c0881c4
	v_fmac_f32_e32 v7, 0xb94c1982, v6
	v_mov_b32_e32 v8, 0xbe2aaa9d
	v_fmac_f32_e32 v8, v6, v7
	v_mul_f32_e32 v7, v6, v8
	v_fmac_f32_e32 v5, v5, v7
	v_mov_b32_e32 v7, 0xbab64f3b
	v_fmac_f32_e32 v7, 0x37d75334, v6
	v_mov_b32_e32 v8, 0x3d2aabf7
	;; [unrolled: 2-line block ×3, first 2 shown]
	v_fmac_f32_e32 v7, v6, v8
	v_fma_f32 v6, v6, v7, 1.0
	v_and_b32_e32 v7, 1, v4
	v_lshlrev_b32_e32 v4, 30, v4
	v_cmp_eq_u32_e32 vcc, 0, v7
	v_and_b32_e32 v4, 0x80000000, v4
	v_xor_b32_e32 v3, v3, v1
	v_cndmask_b32_e32 v5, v6, v5, vcc
	v_xor_b32_e32 v3, v3, v4
	s_movk_i32 s0, 0x1f8
	v_xor_b32_e32 v3, v3, v5
	v_mov_b32_e32 v4, 0x7fc00000
	v_cmp_class_f32_e64 vcc, v1, s0
	v_cndmask_b32_e32 v1, v4, v3, vcc
	v_mul_f32_e32 v1, v1, v1
	s_mov_b32 s2, 0xc11de9e7
	v_div_scale_f32 v3, s[0:1], v1, v1, s2
	v_div_scale_f32 v4, vcc, s2, v1, s2
	v_sub_f32_e32 v0, 1.0, v0
	v_rcp_f32_e32 v5, v3
	v_fma_f32 v6, -v3, v5, 1.0
	v_fmac_f32_e32 v5, v6, v5
	v_mul_f32_e32 v6, v4, v5
	v_fma_f32 v7, -v3, v6, v4
	v_fmac_f32_e32 v6, v7, v5
	v_fma_f32 v3, -v3, v6, v4
	v_div_fmas_f32 v3, v3, v5, v6
	v_div_fixup_f32 v1, v3, v1, s2
	v_add_f32_e32 v3, 0, v1
	v_mov_b32_e32 v1, -1.0
.LBB76_17:
	s_or_b64 exec, exec, s[6:7]
	v_mul_f32_e32 v4, v0, v0
	v_div_scale_f32 v6, s[0:1], v4, v4, 1.0
	v_add_f32_e32 v5, 1.0, v0
	v_mul_f32_e32 v0, v5, v5
	v_div_scale_f32 v8, s[0:1], v0, v0, 1.0
	v_div_scale_f32 v7, vcc, 1.0, v4, 1.0
	v_div_scale_f32 v9, s[0:1], 1.0, v0, 1.0
	v_add_f32_e32 v10, 1.0, v5
	v_mul_f32_e32 v5, v10, v10
	v_div_scale_f32 v13, s[2:3], v5, v5, 1.0
	v_add_f32_e32 v10, 1.0, v10
	v_add_f32_e32 v18, 1.0, v10
	v_rcp_f32_e32 v11, v6
	s_and_b32 s22, s33, 0xff
	s_cmp_lt_i32 s22, 11
	v_rcp_f32_e32 v12, v8
	v_fma_f32 v14, -v6, v11, 1.0
	v_fmac_f32_e32 v11, v14, v11
	v_mul_f32_e32 v15, v7, v11
	v_fma_f32 v14, -v8, v12, 1.0
	v_fmac_f32_e32 v12, v14, v12
	v_fma_f32 v14, -v6, v15, v7
	v_fmac_f32_e32 v15, v14, v11
	v_fma_f32 v6, -v6, v15, v7
	v_mul_f32_e32 v16, v9, v12
	v_div_fmas_f32 v6, v6, v11, v15
	v_div_scale_f32 v11, s[2:3], 1.0, v5, 1.0
	v_fma_f32 v7, -v8, v16, v9
	v_fmac_f32_e32 v16, v7, v12
	v_mul_f32_e32 v7, v10, v10
	v_div_scale_f32 v14, s[4:5], v7, v7, 1.0
	v_div_scale_f32 v17, s[4:5], 1.0, v7, 1.0
	v_rcp_f32_e32 v15, v13
	v_fma_f32 v9, -v8, v16, v9
	v_mul_f32_e32 v8, v18, v18
	v_div_scale_f32 v19, s[6:7], v8, v8, 1.0
	v_fma_f32 v10, -v13, v15, 1.0
	v_fmac_f32_e32 v15, v10, v15
	s_mov_b64 vcc, s[0:1]
	v_mul_f32_e32 v10, v11, v15
	v_div_fmas_f32 v9, v9, v12, v16
	v_fma_f32 v12, -v13, v10, v11
	v_fmac_f32_e32 v10, v12, v15
	v_rcp_f32_e32 v12, v14
	v_fma_f32 v11, -v13, v10, v11
	s_mov_b64 vcc, s[2:3]
	v_div_fmas_f32 v10, v11, v15, v10
	v_div_scale_f32 v15, s[0:1], 1.0, v8, 1.0
	v_add_f32_e32 v16, 1.0, v18
	v_mul_f32_e32 v18, v16, v16
	v_fma_f32 v11, -v14, v12, 1.0
	v_div_scale_f32 v20, s[2:3], v18, v18, 1.0
	v_fmac_f32_e32 v12, v11, v12
	v_mul_f32_e32 v11, v17, v12
	v_fma_f32 v13, -v14, v11, v17
	v_fmac_f32_e32 v11, v13, v12
	v_fma_f32 v14, -v14, v11, v17
	s_mov_b64 vcc, s[4:5]
	v_div_fmas_f32 v11, v14, v12, v11
	v_div_scale_f32 v14, s[2:3], 1.0, v18, 1.0
	v_rcp_f32_e32 v13, v19
	v_add_f32_e32 v16, 1.0, v16
	v_mul_f32_e32 v17, v16, v16
	v_div_scale_f32 v21, s[4:5], v17, v17, 1.0
	v_fma_f32 v12, -v19, v13, 1.0
	v_fmac_f32_e32 v13, v12, v13
	v_mul_f32_e32 v12, v15, v13
	v_fma_f32 v22, -v19, v12, v15
	v_fmac_f32_e32 v12, v22, v13
	v_div_scale_f32 v22, s[4:5], 1.0, v17, 1.0
	v_fma_f32 v15, -v19, v12, v15
	v_rcp_f32_e32 v19, v20
	s_mov_b64 vcc, s[0:1]
	v_div_fmas_f32 v12, v15, v13, v12
	s_mov_b64 vcc, s[2:3]
	v_fma_f32 v13, -v20, v19, 1.0
	v_fmac_f32_e32 v19, v13, v19
	v_mul_f32_e32 v13, v14, v19
	v_fma_f32 v15, -v20, v13, v14
	v_fmac_f32_e32 v13, v15, v19
	v_rcp_f32_e32 v15, v21
	v_fma_f32 v14, -v20, v13, v14
	v_div_fmas_f32 v13, v14, v19, v13
	v_add_f32_e32 v19, v16, v16
	v_div_scale_f32 v20, s[0:1], v19, v19, 1.0
	v_fma_f32 v14, -v21, v15, 1.0
	v_fmac_f32_e32 v15, v14, v15
	v_mul_f32_e32 v14, v22, v15
	v_fma_f32 v23, -v21, v14, v22
	v_fmac_f32_e32 v14, v23, v15
	v_div_scale_f32 v23, s[0:1], 1.0, v19, 1.0
	v_fma_f32 v21, -v21, v14, v22
	s_mov_b64 vcc, s[4:5]
	v_div_fmas_f32 v14, v21, v15, v14
	s_mov_b64 vcc, s[0:1]
	s_mov_b32 s0, 0x3e2aaaab
	v_div_fixup_f32 v4, v6, v4, 1.0
	v_add_f32_e32 v3, v3, v4
	v_rcp_f32_e32 v22, v20
	v_div_fixup_f32 v0, v9, v0, 1.0
	v_add_f32_e32 v0, v3, v0
	v_div_fixup_f32 v3, v10, v5, 1.0
	v_fma_f32 v15, -v20, v22, 1.0
	v_fmac_f32_e32 v22, v15, v22
	v_add_f32_e32 v0, v0, v3
	v_mul_f32_e32 v15, v23, v22
	v_fma_f32 v21, -v20, v15, v23
	v_fmac_f32_e32 v15, v21, v22
	v_fma_f32 v20, -v20, v15, v23
	v_div_fmas_f32 v15, v20, v22, v15
	v_div_fixup_f32 v14, v14, v17, 1.0
	v_mov_b32_e32 v17, 0x3d088889
	v_fmac_f32_e32 v17, 0xbcc30c31, v14
	v_fma_f32 v17, -v14, v17, s0
	v_div_fixup_f32 v3, v11, v7, 1.0
	v_add_f32_e32 v0, v0, v3
	v_div_fixup_f32 v3, v12, v8, 1.0
	v_add_f32_e32 v0, v0, v3
	v_div_fixup_f32 v3, v13, v18, 1.0
	v_add_f32_e32 v0, v0, v3
	v_mov_b32_e32 v4, s9
	v_div_fixup_f32 v15, v15, v19, 1.0
	v_add_f32_e32 v15, 1.0, v15
	v_fmac_f32_e32 v15, v14, v17
	v_div_scale_f32 v14, s[0:1], v16, v16, v15
	v_div_scale_f32 v17, vcc, v15, v16, v15
	s_movk_i32 s0, 0x7fff
	v_rcp_f32_e32 v19, v14
	v_fma_f32 v20, -v14, v19, 1.0
	v_fmac_f32_e32 v19, v20, v19
	v_mul_f32_e32 v20, v17, v19
	v_fma_f32 v21, -v14, v20, v17
	v_fmac_f32_e32 v20, v21, v19
	v_fma_f32 v14, -v14, v20, v17
	v_div_fmas_f32 v14, v14, v19, v20
	v_div_fixup_f32 v3, v14, v16, v15
	v_add_f32_e32 v0, v0, v3
	v_mul_f32_e32 v0, v1, v0
	v_bfe_u32 v1, v0, 16, 1
	v_add3_u32 v1, v0, v1, s0
	v_cmp_o_f32_e32 vcc, v0, v0
	v_mul_lo_u32 v0, v2, s12
	v_mov_b32_e32 v3, 0x7fc0
	v_cndmask_b32_sdwa v3, v3, v1, vcc dst_sel:DWORD dst_unused:UNUSED_PAD src0_sel:DWORD src1_sel:WORD_1
	v_ashrrev_i32_e32 v1, 31, v0
	v_add_co_u32_e32 v0, vcc, s8, v0
	v_addc_co_u32_e32 v1, vcc, v4, v1, vcc
	s_cbranch_scc1 .LBB76_25
; %bb.18:
	s_and_b32 s23, 0xffff, s22
	s_cmp_gt_i32 s23, 25
	s_cbranch_scc0 .LBB76_29
; %bb.19:
	s_cmp_gt_i32 s23, 28
	s_cbranch_scc0 .LBB76_31
; %bb.20:
	;; [unrolled: 3-line block ×4, first 2 shown]
	s_mov_b64 s[4:5], 0
	s_mov_b64 s[0:1], -1
	s_cmp_eq_u32 s23, 46
	s_mov_b64 s[2:3], 0
	s_cbranch_scc0 .LBB76_39
; %bb.23:
	v_and_b32_e32 v4, 0xffff, v3
	global_store_dword v[0:1], v4, off
	s_mov_b64 s[2:3], -1
	s_mov_b64 s[0:1], 0
	s_branch .LBB76_39
.LBB76_24:
	s_mov_b64 s[0:1], 0
                                        ; implicit-def: $vgpr3
	s_and_b64 vcc, exec, s[2:3]
	s_cbranch_vccnz .LBB76_173
	s_branch .LBB76_207
.LBB76_25:
	s_mov_b64 s[0:1], 0
	s_mov_b64 s[2:3], 0
	s_cbranch_execnz .LBB76_108
.LBB76_26:
	s_andn2_b64 vcc, exec, s[2:3]
	s_cbranch_vccnz .LBB76_146
.LBB76_27:
	v_add_u32_e32 v2, 0x80, v2
	s_mov_b64 s[2:3], -1
	s_branch .LBB76_256
.LBB76_28:
	s_mov_b64 s[0:1], 0
                                        ; implicit-def: $vgpr3
	s_branch .LBB76_154
.LBB76_29:
	s_mov_b64 s[4:5], -1
	s_mov_b64 s[0:1], 0
	s_mov_b64 s[2:3], 0
	s_branch .LBB76_66
.LBB76_30:
	s_mov_b64 s[0:1], 0
                                        ; implicit-def: $vgpr3
	s_branch .LBB76_149
.LBB76_31:
	s_mov_b64 s[4:5], -1
	s_mov_b64 s[0:1], 0
	s_mov_b64 s[2:3], 0
	s_branch .LBB76_49
.LBB76_32:
	s_mov_b64 s[4:5], -1
	s_mov_b64 s[0:1], 0
	s_mov_b64 s[2:3], 0
	s_branch .LBB76_45
.LBB76_33:
	s_mov_b64 s[18:19], -1
.LBB76_34:
	s_mov_b64 s[0:1], 0
                                        ; implicit-def: $vgpr3
.LBB76_35:
	s_and_b64 vcc, exec, s[2:3]
	s_cbranch_vccz .LBB76_148
; %bb.36:
	s_cmp_eq_u32 s6, 44
	s_cbranch_scc0 .LBB76_147
; %bb.37:
	global_load_ubyte v3, v[0:1], off
	s_movk_i32 s2, 0xff
	v_mov_b32_e32 v4, 0x7f800001
	v_mov_b32_e32 v5, 0x400000
	;; [unrolled: 1-line block ×3, first 2 shown]
	s_mov_b64 s[0:1], -1
	s_mov_b64 s[18:19], 0
	s_waitcnt vmcnt(0)
	v_lshlrev_b32_e32 v7, 23, v3
	v_cmp_ne_u32_e32 vcc, s2, v3
	v_cndmask_b32_e32 v4, v4, v7, vcc
	v_cmp_ne_u32_e32 vcc, 0, v3
	v_cndmask_b32_e32 v3, v5, v4, vcc
	v_add_u32_e32 v4, 0x7fff, v3
	v_cmp_o_f32_e32 vcc, v3, v3
	v_cndmask_b32_sdwa v3, v6, v4, vcc dst_sel:DWORD dst_unused:UNUSED_PAD src0_sel:DWORD src1_sel:WORD_1
	s_branch .LBB76_148
.LBB76_38:
	s_mov_b64 s[4:5], -1
	s_mov_b64 s[0:1], 0
	s_mov_b64 s[2:3], 0
.LBB76_39:
	s_and_b64 vcc, exec, s[4:5]
	s_cbranch_vccz .LBB76_44
; %bb.40:
	s_cmp_eq_u32 s23, 44
	s_mov_b64 s[0:1], -1
	s_cbranch_scc0 .LBB76_44
; %bb.41:
	v_and_b32_e32 v5, 0xffff, v3
	v_bfe_u32 v4, v5, 7, 8
	s_movk_i32 s0, 0xff
	v_cmp_ne_u32_e32 vcc, s0, v4
	v_mov_b32_e32 v6, 0xff
	s_and_saveexec_b64 s[2:3], vcc
	s_cbranch_execz .LBB76_43
; %bb.42:
	v_lshlrev_b32_e32 v7, 16, v5
	s_mov_b32 s0, 0x3f0000
	v_lshrrev_b32_e32 v6, 7, v5
	v_and_b32_e32 v5, 64, v5
	v_and_or_b32 v4, v7, s0, v4
	v_cmp_ne_u32_e32 vcc, 0, v5
	v_cmp_ne_u32_e64 s[0:1], 0, v4
	s_and_b64 s[0:1], vcc, s[0:1]
	v_cndmask_b32_e64 v4, 0, 1, s[0:1]
	v_add_u32_e32 v6, v6, v4
.LBB76_43:
	s_or_b64 exec, exec, s[2:3]
	s_mov_b64 s[2:3], -1
	s_mov_b64 s[0:1], 0
	global_store_byte v[0:1], v6, off
.LBB76_44:
	s_mov_b64 s[4:5], 0
.LBB76_45:
	s_and_b64 vcc, exec, s[4:5]
	s_cbranch_vccz .LBB76_48
; %bb.46:
	s_cmp_eq_u32 s23, 29
	s_mov_b64 s[0:1], -1
	s_cbranch_scc0 .LBB76_48
; %bb.47:
	v_lshlrev_b32_e32 v4, 16, v3
	v_trunc_f32_e32 v4, v4
	v_mul_f32_e32 v5, 0x2f800000, v4
	v_floor_f32_e32 v6, v5
	v_fmac_f32_e32 v4, 0xcf800000, v6
	v_cvt_u32_f32_e32 v5, v6
	v_cvt_u32_f32_e32 v4, v4
	s_mov_b64 s[2:3], -1
	s_mov_b64 s[0:1], 0
	s_mov_b64 s[4:5], 0
	global_store_dwordx2 v[0:1], v[4:5], off
	s_branch .LBB76_49
.LBB76_48:
	s_mov_b64 s[4:5], 0
.LBB76_49:
	s_and_b64 vcc, exec, s[4:5]
	s_cbranch_vccz .LBB76_65
; %bb.50:
	s_cmp_lt_i32 s23, 27
	s_mov_b64 s[2:3], -1
	s_cbranch_scc1 .LBB76_56
; %bb.51:
	s_cmp_gt_i32 s23, 27
	s_cbranch_scc0 .LBB76_53
; %bb.52:
	v_lshlrev_b32_e32 v4, 16, v3
	v_cvt_u32_f32_e32 v4, v4
	s_mov_b64 s[2:3], 0
	global_store_dword v[0:1], v4, off
.LBB76_53:
	s_andn2_b64 vcc, exec, s[2:3]
	s_cbranch_vccnz .LBB76_55
; %bb.54:
	v_lshlrev_b32_e32 v4, 16, v3
	v_cvt_u32_f32_e32 v4, v4
	global_store_short v[0:1], v4, off
.LBB76_55:
	s_mov_b64 s[2:3], 0
.LBB76_56:
	s_andn2_b64 vcc, exec, s[2:3]
	s_cbranch_vccnz .LBB76_64
; %bb.57:
	v_lshlrev_b32_e32 v6, 16, v3
	v_and_b32_e32 v5, 0x7fffffff, v6
	s_mov_b32 s2, 0x43800000
	v_cmp_gt_u32_e32 vcc, s2, v5
	v_mov_b32_e32 v7, 0x80
	s_and_saveexec_b64 s[2:3], vcc
	s_cbranch_execz .LBB76_63
; %bb.58:
	s_mov_b32 s4, 0x3bffffff
	v_and_b32_e32 v4, 0xffff, v3
	v_cmp_lt_u32_e32 vcc, s4, v5
	s_mov_b64 s[4:5], 0
                                        ; implicit-def: $vgpr5
	s_and_saveexec_b64 s[6:7], vcc
	s_xor_b64 s[6:7], exec, s[6:7]
	s_cbranch_execz .LBB76_290
; %bb.59:
	v_bfe_u32 v5, v4, 4, 1
	s_mov_b32 s26, 0x487ffff
	v_add3_u32 v5, v6, v5, s26
	s_mov_b64 s[4:5], exec
	v_lshrrev_b32_e32 v5, 20, v5
                                        ; implicit-def: $vgpr6
	s_andn2_saveexec_b64 s[6:7], s[6:7]
	s_cbranch_execnz .LBB76_291
.LBB76_60:
	s_or_b64 exec, exec, s[6:7]
	v_mov_b32_e32 v7, 0
	s_and_saveexec_b64 s[6:7], s[4:5]
.LBB76_61:
	v_lshrrev_b32_e32 v4, 8, v4
	s_movk_i32 s4, 0x80
	v_and_or_b32 v7, v4, s4, v5
.LBB76_62:
	s_or_b64 exec, exec, s[6:7]
.LBB76_63:
	s_or_b64 exec, exec, s[2:3]
	global_store_byte v[0:1], v7, off
.LBB76_64:
	s_mov_b64 s[2:3], -1
.LBB76_65:
	s_mov_b64 s[4:5], 0
.LBB76_66:
	s_and_b64 vcc, exec, s[4:5]
	s_cbranch_vccz .LBB76_107
; %bb.67:
	s_cmp_gt_i32 s23, 22
	s_mov_b64 s[4:5], -1
	s_cbranch_scc0 .LBB76_99
; %bb.68:
	s_cmp_lt_i32 s23, 24
	s_mov_b64 s[2:3], -1
	s_cbranch_scc1 .LBB76_88
; %bb.69:
	s_cmp_gt_i32 s23, 24
	s_cbranch_scc0 .LBB76_77
; %bb.70:
	v_lshlrev_b32_e32 v6, 16, v3
	v_and_b32_e32 v5, 0x7fffffff, v6
	s_mov_b32 s2, 0x47800000
	v_cmp_gt_u32_e32 vcc, s2, v5
	v_mov_b32_e32 v7, 0x80
	s_and_saveexec_b64 s[2:3], vcc
	s_cbranch_execz .LBB76_76
; %bb.71:
	s_mov_b32 s4, 0x37ffffff
	v_and_b32_e32 v4, 0xffff, v3
	v_cmp_lt_u32_e32 vcc, s4, v5
	s_mov_b64 s[4:5], 0
                                        ; implicit-def: $vgpr5
	s_and_saveexec_b64 s[6:7], vcc
	s_xor_b64 s[6:7], exec, s[6:7]
	s_cbranch_execz .LBB76_294
; %bb.72:
	v_bfe_u32 v5, v4, 5, 1
	s_mov_b32 s26, 0x88fffff
	v_add3_u32 v5, v6, v5, s26
	s_mov_b64 s[4:5], exec
	v_lshrrev_b32_e32 v5, 21, v5
                                        ; implicit-def: $vgpr6
	s_andn2_saveexec_b64 s[6:7], s[6:7]
	s_cbranch_execnz .LBB76_295
.LBB76_73:
	s_or_b64 exec, exec, s[6:7]
	v_mov_b32_e32 v7, 0
	s_and_saveexec_b64 s[6:7], s[4:5]
.LBB76_74:
	v_lshrrev_b32_e32 v4, 8, v4
	s_movk_i32 s4, 0x80
	v_and_or_b32 v7, v4, s4, v5
.LBB76_75:
	s_or_b64 exec, exec, s[6:7]
.LBB76_76:
	s_or_b64 exec, exec, s[2:3]
	s_mov_b64 s[2:3], 0
	global_store_byte v[0:1], v7, off
.LBB76_77:
	s_and_b64 vcc, exec, s[2:3]
	s_cbranch_vccz .LBB76_87
; %bb.78:
	v_lshlrev_b32_e32 v6, 16, v3
	v_and_b32_e32 v7, 0x7fffffff, v6
	s_mov_b32 s2, 0x43f00000
	v_and_b32_e32 v4, 0xffff, v3
	v_cmp_gt_u32_e32 vcc, s2, v7
                                        ; implicit-def: $vgpr5
	s_and_saveexec_b64 s[2:3], vcc
	s_xor_b64 s[2:3], exec, s[2:3]
	s_cbranch_execz .LBB76_84
; %bb.79:
	s_mov_b32 s4, 0x3c7fffff
	v_cmp_lt_u32_e32 vcc, s4, v7
                                        ; implicit-def: $vgpr5
	s_and_saveexec_b64 s[4:5], vcc
	s_xor_b64 s[4:5], exec, s[4:5]
; %bb.80:
	v_bfe_u32 v5, v4, 4, 1
	s_mov_b32 s6, 0x407ffff
	v_add3_u32 v5, v6, v5, s6
	v_lshrrev_b32_e32 v6, 20, v5
	v_and_b32_e32 v5, 0xff00000, v5
	s_mov_b32 s6, 0x7f00000
	v_mov_b32_e32 v7, 0x7e
	v_cmp_ne_u32_e32 vcc, s6, v5
	v_cndmask_b32_e32 v5, v7, v6, vcc
                                        ; implicit-def: $vgpr6
; %bb.81:
	s_andn2_saveexec_b64 s[4:5], s[4:5]
; %bb.82:
	s_mov_b32 s6, 0x46800000
	v_add_f32_e64 v5, |v6|, s6
; %bb.83:
	s_or_b64 exec, exec, s[4:5]
                                        ; implicit-def: $vgpr7
.LBB76_84:
	s_andn2_saveexec_b64 s[2:3], s[2:3]
; %bb.85:
	s_mov_b32 s4, 0x7f800000
	v_mov_b32_e32 v5, 0x7e
	v_mov_b32_e32 v6, 0x7f
	v_cmp_lt_u32_e32 vcc, s4, v7
	v_cndmask_b32_e32 v5, v5, v6, vcc
; %bb.86:
	s_or_b64 exec, exec, s[2:3]
	v_lshrrev_b32_e32 v4, 8, v4
	s_movk_i32 s2, 0x80
	v_and_or_b32 v4, v4, s2, v5
	global_store_byte v[0:1], v4, off
.LBB76_87:
	s_mov_b64 s[2:3], 0
.LBB76_88:
	s_andn2_b64 vcc, exec, s[2:3]
	s_cbranch_vccnz .LBB76_98
; %bb.89:
	v_lshlrev_b32_e32 v6, 16, v3
	v_and_b32_e32 v7, 0x7fffffff, v6
	s_mov_b32 s2, 0x47800000
	v_and_b32_e32 v4, 0xffff, v3
	v_cmp_gt_u32_e32 vcc, s2, v7
                                        ; implicit-def: $vgpr5
	s_and_saveexec_b64 s[2:3], vcc
	s_xor_b64 s[2:3], exec, s[2:3]
	s_cbranch_execz .LBB76_95
; %bb.90:
	s_mov_b32 s4, 0x387fffff
	v_cmp_lt_u32_e32 vcc, s4, v7
                                        ; implicit-def: $vgpr5
	s_and_saveexec_b64 s[4:5], vcc
	s_xor_b64 s[4:5], exec, s[4:5]
; %bb.91:
	v_bfe_u32 v5, v4, 5, 1
	s_mov_b32 s6, 0x80fffff
	v_add3_u32 v5, v6, v5, s6
	v_lshrrev_b32_e32 v5, 21, v5
                                        ; implicit-def: $vgpr6
; %bb.92:
	s_andn2_saveexec_b64 s[4:5], s[4:5]
; %bb.93:
	s_mov_b32 s6, 0x43000000
	v_add_f32_e64 v5, |v6|, s6
; %bb.94:
	s_or_b64 exec, exec, s[4:5]
                                        ; implicit-def: $vgpr7
.LBB76_95:
	s_andn2_saveexec_b64 s[2:3], s[2:3]
; %bb.96:
	s_mov_b32 s4, 0x7f800000
	v_mov_b32_e32 v5, 0x7c
	v_mov_b32_e32 v6, 0x7f
	v_cmp_lt_u32_e32 vcc, s4, v7
	v_cndmask_b32_e32 v5, v5, v6, vcc
; %bb.97:
	s_or_b64 exec, exec, s[2:3]
	v_lshrrev_b32_e32 v4, 8, v4
	s_movk_i32 s2, 0x80
	v_and_or_b32 v4, v4, s2, v5
	global_store_byte v[0:1], v4, off
.LBB76_98:
	s_mov_b64 s[4:5], 0
	s_mov_b64 s[2:3], -1
.LBB76_99:
	s_andn2_b64 vcc, exec, s[4:5]
	s_cbranch_vccnz .LBB76_107
; %bb.100:
	s_cmp_gt_i32 s23, 14
	s_mov_b64 s[4:5], -1
	s_cbranch_scc0 .LBB76_104
; %bb.101:
	s_cmp_eq_u32 s23, 15
	s_mov_b64 s[0:1], -1
	s_cbranch_scc0 .LBB76_103
; %bb.102:
	global_store_short v[0:1], v3, off
	s_mov_b64 s[2:3], -1
	s_mov_b64 s[0:1], 0
.LBB76_103:
	s_mov_b64 s[4:5], 0
.LBB76_104:
	s_and_b64 vcc, exec, s[4:5]
	s_cbranch_vccz .LBB76_107
; %bb.105:
	s_cmp_eq_u32 s23, 11
	s_mov_b64 s[0:1], -1
	s_cbranch_scc0 .LBB76_107
; %bb.106:
	v_and_b32_e32 v4, 0x7fff, v3
	v_cmp_ne_u16_e32 vcc, 0, v4
	v_cndmask_b32_e64 v4, 0, 1, vcc
	s_mov_b64 s[2:3], -1
	s_mov_b64 s[0:1], 0
	global_store_byte v[0:1], v4, off
.LBB76_107:
	s_branch .LBB76_26
.LBB76_108:
	s_and_b32 s4, 0xffff, s22
	s_cmp_lt_i32 s4, 5
	s_mov_b64 s[2:3], -1
	s_cbranch_scc1 .LBB76_129
; %bb.109:
	s_cmp_lt_i32 s4, 8
	s_cbranch_scc1 .LBB76_119
; %bb.110:
	s_cmp_lt_i32 s4, 9
	s_cbranch_scc1 .LBB76_116
; %bb.111:
	s_cmp_gt_i32 s4, 9
	s_cbranch_scc0 .LBB76_113
; %bb.112:
	v_lshlrev_b32_e32 v4, 16, v3
	v_cvt_f64_f32_e32 v[4:5], v4
	v_mov_b32_e32 v6, 0
	v_mov_b32_e32 v7, v6
	s_mov_b64 s[2:3], 0
	global_store_dwordx4 v[0:1], v[4:7], off
.LBB76_113:
	s_andn2_b64 vcc, exec, s[2:3]
	s_cbranch_vccnz .LBB76_115
; %bb.114:
	v_lshlrev_b32_e32 v4, 16, v3
	v_mov_b32_e32 v5, 0
	global_store_dwordx2 v[0:1], v[4:5], off
.LBB76_115:
	s_mov_b64 s[2:3], 0
.LBB76_116:
	s_andn2_b64 vcc, exec, s[2:3]
	s_cbranch_vccnz .LBB76_118
; %bb.117:
	v_lshlrev_b32_e32 v4, 16, v3
	v_cvt_f16_f32_e32 v4, v4
	global_store_dword v[0:1], v4, off
.LBB76_118:
	s_mov_b64 s[2:3], 0
.LBB76_119:
	s_andn2_b64 vcc, exec, s[2:3]
	s_cbranch_vccnz .LBB76_128
; %bb.120:
	s_cmp_lt_i32 s4, 6
	s_mov_b64 s[2:3], -1
	s_cbranch_scc1 .LBB76_126
; %bb.121:
	s_cmp_gt_i32 s4, 6
	s_cbranch_scc0 .LBB76_123
; %bb.122:
	v_lshlrev_b32_e32 v4, 16, v3
	v_cvt_f64_f32_e32 v[4:5], v4
	s_mov_b64 s[2:3], 0
	global_store_dwordx2 v[0:1], v[4:5], off
.LBB76_123:
	s_andn2_b64 vcc, exec, s[2:3]
	s_cbranch_vccnz .LBB76_125
; %bb.124:
	v_lshlrev_b32_e32 v4, 16, v3
	global_store_dword v[0:1], v4, off
.LBB76_125:
	s_mov_b64 s[2:3], 0
.LBB76_126:
	s_andn2_b64 vcc, exec, s[2:3]
	s_cbranch_vccnz .LBB76_128
; %bb.127:
	v_lshlrev_b32_e32 v4, 16, v3
	v_cvt_f16_f32_e32 v4, v4
	global_store_short v[0:1], v4, off
.LBB76_128:
	s_mov_b64 s[2:3], 0
.LBB76_129:
	s_andn2_b64 vcc, exec, s[2:3]
	s_cbranch_vccnz .LBB76_145
; %bb.130:
	s_cmp_lt_i32 s4, 2
	s_mov_b64 s[2:3], -1
	s_cbranch_scc1 .LBB76_140
; %bb.131:
	s_cmp_lt_i32 s4, 3
	s_cbranch_scc1 .LBB76_137
; %bb.132:
	s_cmp_gt_i32 s4, 3
	s_cbranch_scc0 .LBB76_134
; %bb.133:
	v_lshlrev_b32_e32 v4, 16, v3
	v_trunc_f32_e32 v4, v4
	s_mov_b32 s2, 0x2f800000
	v_mul_f32_e64 v5, |v4|, s2
	v_floor_f32_e32 v5, v5
	s_mov_b32 s2, 0xcf800000
	v_cvt_u32_f32_e32 v6, v5
	v_fma_f32 v5, v5, s2, |v4|
	v_cvt_u32_f32_e32 v5, v5
	v_ashrrev_i32_e32 v7, 31, v4
	v_xor_b32_e32 v6, v6, v7
	s_mov_b64 s[2:3], 0
	v_xor_b32_e32 v4, v5, v7
	v_sub_co_u32_e32 v4, vcc, v4, v7
	v_subb_co_u32_e32 v5, vcc, v6, v7, vcc
	global_store_dwordx2 v[0:1], v[4:5], off
.LBB76_134:
	s_andn2_b64 vcc, exec, s[2:3]
	s_cbranch_vccnz .LBB76_136
; %bb.135:
	v_lshlrev_b32_e32 v4, 16, v3
	v_cvt_i32_f32_e32 v4, v4
	global_store_dword v[0:1], v4, off
.LBB76_136:
	s_mov_b64 s[2:3], 0
.LBB76_137:
	s_andn2_b64 vcc, exec, s[2:3]
	s_cbranch_vccnz .LBB76_139
; %bb.138:
	v_lshlrev_b32_e32 v4, 16, v3
	v_cvt_i32_f32_e32 v4, v4
	global_store_short v[0:1], v4, off
.LBB76_139:
	s_mov_b64 s[2:3], 0
.LBB76_140:
	s_andn2_b64 vcc, exec, s[2:3]
	s_cbranch_vccnz .LBB76_145
; %bb.141:
	s_mov_b64 s[2:3], -1
	s_cmp_gt_i32 s4, 0
	v_lshlrev_b32_e32 v3, 16, v3
	s_cbranch_scc0 .LBB76_143
; %bb.142:
	v_cvt_i32_f32_e32 v4, v3
	s_mov_b64 s[2:3], 0
	global_store_byte v[0:1], v4, off
.LBB76_143:
	s_andn2_b64 vcc, exec, s[2:3]
	s_cbranch_vccnz .LBB76_145
; %bb.144:
	v_trunc_f32_e32 v3, v3
	s_mov_b32 s2, 0x2f800000
	v_mul_f32_e64 v4, |v3|, s2
	v_floor_f32_e32 v4, v4
	s_mov_b32 s2, 0xcf800000
	v_fma_f32 v4, v4, s2, |v3|
	v_cvt_u32_f32_e32 v4, v4
	v_ashrrev_i32_e32 v3, 31, v3
	v_xor_b32_e32 v4, v4, v3
	v_sub_u32_e32 v3, v4, v3
	global_store_byte v[0:1], v3, off
.LBB76_145:
	s_branch .LBB76_27
.LBB76_146:
	s_mov_b64 s[2:3], 0
                                        ; implicit-def: $vgpr2
	s_branch .LBB76_256
.LBB76_147:
	s_mov_b64 s[18:19], -1
                                        ; implicit-def: $vgpr3
.LBB76_148:
	s_mov_b64 s[2:3], 0
.LBB76_149:
	s_and_b64 vcc, exec, s[2:3]
	s_cbranch_vccz .LBB76_153
; %bb.150:
	s_cmp_eq_u32 s6, 29
	s_cbranch_scc0 .LBB76_152
; %bb.151:
	global_load_dwordx2 v[3:4], v[0:1], off
	s_movk_i32 s2, 0x7fff
	s_mov_b64 s[0:1], -1
	s_mov_b64 s[18:19], 0
	s_waitcnt vmcnt(0)
	v_ffbh_u32_e32 v5, v4
	v_min_u32_e32 v5, 32, v5
	v_lshlrev_b64 v[3:4], v5, v[3:4]
	v_min_u32_e32 v3, 1, v3
	v_or_b32_e32 v3, v4, v3
	v_cvt_f32_u32_e32 v3, v3
	v_sub_u32_e32 v4, 32, v5
	v_ldexp_f32 v3, v3, v4
	v_bfe_u32 v4, v3, 16, 1
	v_add3_u32 v3, v3, v4, s2
	v_lshrrev_b32_e32 v3, 16, v3
	s_branch .LBB76_153
.LBB76_152:
	s_mov_b64 s[18:19], -1
                                        ; implicit-def: $vgpr3
.LBB76_153:
	s_mov_b64 s[2:3], 0
.LBB76_154:
	s_and_b64 vcc, exec, s[2:3]
	s_cbranch_vccz .LBB76_172
; %bb.155:
	s_cmp_lt_i32 s6, 27
	s_cbranch_scc1 .LBB76_158
; %bb.156:
	s_cmp_gt_i32 s6, 27
	s_cbranch_scc0 .LBB76_159
; %bb.157:
	global_load_dword v3, v[0:1], off
	s_movk_i32 s0, 0x7fff
	s_waitcnt vmcnt(0)
	v_cvt_f32_u32_e32 v3, v3
	v_bfe_u32 v4, v3, 16, 1
	v_add3_u32 v3, v3, v4, s0
	v_lshrrev_b32_e32 v3, 16, v3
	s_mov_b64 s[0:1], 0
	s_branch .LBB76_160
.LBB76_158:
	s_mov_b64 s[0:1], -1
                                        ; implicit-def: $vgpr3
	s_branch .LBB76_163
.LBB76_159:
	s_mov_b64 s[0:1], -1
                                        ; implicit-def: $vgpr3
.LBB76_160:
	s_andn2_b64 vcc, exec, s[0:1]
	s_cbranch_vccnz .LBB76_162
; %bb.161:
	global_load_ushort v3, v[0:1], off
	s_movk_i32 s0, 0x7fff
	s_waitcnt vmcnt(0)
	v_cvt_f32_u32_e32 v3, v3
	v_bfe_u32 v4, v3, 16, 1
	v_add3_u32 v3, v3, v4, s0
	v_lshrrev_b32_e32 v3, 16, v3
.LBB76_162:
	s_mov_b64 s[0:1], 0
.LBB76_163:
	s_andn2_b64 vcc, exec, s[0:1]
	s_cbranch_vccnz .LBB76_171
; %bb.164:
	global_load_ubyte v3, v[0:1], off
	s_movk_i32 s0, 0x7f
	s_waitcnt vmcnt(0)
	v_cmp_lt_i16_e32 vcc, s0, v3
	s_mov_b64 s[0:1], 0
	s_and_saveexec_b64 s[2:3], vcc
	s_xor_b64 s[2:3], exec, s[2:3]
	s_cbranch_execz .LBB76_184
; %bb.165:
	s_movk_i32 s0, 0x80
	v_cmp_eq_u16_e32 vcc, s0, v3
	s_mov_b64 s[0:1], -1
	s_and_saveexec_b64 s[4:5], vcc
; %bb.166:
	s_xor_b64 s[0:1], exec, -1
; %bb.167:
	s_or_b64 exec, exec, s[4:5]
	s_and_b64 s[0:1], s[0:1], exec
	s_or_saveexec_b64 s[2:3], s[2:3]
	v_mov_b32_e32 v4, 0x7f800001
	s_xor_b64 exec, exec, s[2:3]
	s_cbranch_execnz .LBB76_185
.LBB76_168:
	s_or_b64 exec, exec, s[2:3]
	s_and_saveexec_b64 s[2:3], s[0:1]
	s_cbranch_execz .LBB76_170
.LBB76_169:
	v_lshlrev_b32_e32 v4, 24, v3
	v_and_b32_e32 v3, 0xffff, v3
	v_and_b32_e32 v5, 7, v3
	v_ffbh_u32_e32 v7, v5
	v_min_u32_e32 v7, 32, v7
	v_subrev_u32_e32 v8, 28, v7
	v_bfe_u32 v6, v3, 3, 4
	v_lshlrev_b32_e32 v3, v8, v3
	v_sub_u32_e32 v7, 29, v7
	v_and_b32_e32 v3, 7, v3
	v_cmp_eq_u32_e32 vcc, 0, v6
	v_cndmask_b32_e32 v6, v6, v7, vcc
	v_cndmask_b32_e32 v3, v5, v3, vcc
	v_mov_b32_e32 v5, 0x3b800000
	v_lshlrev_b32_e32 v3, 20, v3
	v_and_b32_e32 v4, 0x80000000, v4
	v_lshl_add_u32 v5, v6, 23, v5
	v_or3_b32 v4, v4, v5, v3
.LBB76_170:
	s_or_b64 exec, exec, s[2:3]
	v_bfe_u32 v3, v4, 16, 1
	s_movk_i32 s0, 0x7fff
	v_add3_u32 v3, v4, v3, s0
	v_cmp_o_f32_e32 vcc, v4, v4
	v_mov_b32_e32 v4, 0x7fc0
	v_cndmask_b32_sdwa v3, v4, v3, vcc dst_sel:DWORD dst_unused:UNUSED_PAD src0_sel:DWORD src1_sel:WORD_1
.LBB76_171:
	s_mov_b64 s[0:1], -1
.LBB76_172:
	s_branch .LBB76_207
.LBB76_173:
	s_cmp_gt_i32 s6, 22
	s_cbranch_scc0 .LBB76_183
; %bb.174:
	s_cmp_lt_i32 s6, 24
	s_cbranch_scc1 .LBB76_186
; %bb.175:
	s_cmp_gt_i32 s6, 24
	s_cbranch_scc0 .LBB76_187
; %bb.176:
	global_load_ubyte v3, v[0:1], off
	s_movk_i32 s0, 0x7f
	s_waitcnt vmcnt(0)
	v_cmp_lt_i16_e32 vcc, s0, v3
	s_mov_b64 s[0:1], 0
	s_and_saveexec_b64 s[2:3], vcc
	s_xor_b64 s[2:3], exec, s[2:3]
	s_cbranch_execz .LBB76_199
; %bb.177:
	s_movk_i32 s0, 0x80
	v_cmp_eq_u16_e32 vcc, s0, v3
	s_mov_b64 s[0:1], -1
	s_and_saveexec_b64 s[4:5], vcc
; %bb.178:
	s_xor_b64 s[0:1], exec, -1
; %bb.179:
	s_or_b64 exec, exec, s[4:5]
	s_and_b64 s[0:1], s[0:1], exec
	s_or_saveexec_b64 s[2:3], s[2:3]
	v_mov_b32_e32 v4, 0x7f800001
	s_xor_b64 exec, exec, s[2:3]
	s_cbranch_execnz .LBB76_200
.LBB76_180:
	s_or_b64 exec, exec, s[2:3]
	s_and_saveexec_b64 s[2:3], s[0:1]
	s_cbranch_execz .LBB76_182
.LBB76_181:
	v_lshlrev_b32_e32 v4, 24, v3
	v_and_b32_e32 v3, 0xffff, v3
	v_and_b32_e32 v5, 3, v3
	v_ffbh_u32_e32 v7, v5
	v_min_u32_e32 v7, 32, v7
	v_subrev_u32_e32 v8, 29, v7
	v_bfe_u32 v6, v3, 2, 5
	v_lshlrev_b32_e32 v3, v8, v3
	v_sub_u32_e32 v7, 30, v7
	v_and_b32_e32 v3, 3, v3
	v_cmp_eq_u32_e32 vcc, 0, v6
	v_cndmask_b32_e32 v6, v6, v7, vcc
	v_cndmask_b32_e32 v3, v5, v3, vcc
	v_mov_b32_e32 v5, 0x37800000
	v_lshlrev_b32_e32 v3, 21, v3
	v_and_b32_e32 v4, 0x80000000, v4
	v_lshl_add_u32 v5, v6, 23, v5
	v_or3_b32 v4, v4, v5, v3
.LBB76_182:
	s_or_b64 exec, exec, s[2:3]
	v_bfe_u32 v3, v4, 16, 1
	s_movk_i32 s0, 0x7fff
	v_add3_u32 v3, v4, v3, s0
	v_cmp_o_f32_e32 vcc, v4, v4
	v_mov_b32_e32 v4, 0x7fc0
	v_cndmask_b32_sdwa v3, v4, v3, vcc dst_sel:DWORD dst_unused:UNUSED_PAD src0_sel:DWORD src1_sel:WORD_1
	s_mov_b64 s[0:1], 0
	s_branch .LBB76_188
.LBB76_183:
	s_mov_b64 s[2:3], -1
                                        ; implicit-def: $vgpr3
	s_branch .LBB76_194
.LBB76_184:
	s_or_saveexec_b64 s[2:3], s[2:3]
	v_mov_b32_e32 v4, 0x7f800001
	s_xor_b64 exec, exec, s[2:3]
	s_cbranch_execz .LBB76_168
.LBB76_185:
	v_cmp_ne_u16_e32 vcc, 0, v3
	s_andn2_b64 s[0:1], s[0:1], exec
	s_and_b64 s[4:5], vcc, exec
	v_mov_b32_e32 v4, 0
	s_or_b64 s[0:1], s[0:1], s[4:5]
	s_or_b64 exec, exec, s[2:3]
	s_and_saveexec_b64 s[2:3], s[0:1]
	s_cbranch_execnz .LBB76_169
	s_branch .LBB76_170
.LBB76_186:
	s_mov_b64 s[0:1], -1
                                        ; implicit-def: $vgpr3
	s_branch .LBB76_191
.LBB76_187:
	s_mov_b64 s[0:1], -1
                                        ; implicit-def: $vgpr3
.LBB76_188:
	s_and_b64 vcc, exec, s[0:1]
	s_cbranch_vccz .LBB76_190
; %bb.189:
	global_load_ubyte v3, v[0:1], off
	s_mov_b32 s0, 0x7f800000
	s_brev_b32 s1, 1
	s_movk_i32 s2, 0x7fff
	s_waitcnt vmcnt(0)
	v_lshlrev_b32_e32 v3, 24, v3
	v_and_b32_e32 v4, 0x7f000000, v3
	v_ffbh_u32_e32 v5, v4
	v_min_u32_e32 v5, 32, v5
	v_sub_u32_e64 v5, v5, 4 clamp
	v_lshlrev_b32_e32 v7, v5, v4
	v_lshlrev_b32_e32 v5, 23, v5
	v_lshrrev_b32_e32 v7, 4, v7
	v_add_u32_e32 v6, 0x1000000, v4
	v_sub_u32_e32 v5, v7, v5
	v_ashrrev_i32_e32 v6, 8, v6
	v_add_u32_e32 v5, 0x3c000000, v5
	v_and_or_b32 v5, v6, s0, v5
	v_cmp_ne_u32_e32 vcc, 0, v4
	v_cndmask_b32_e32 v4, 0, v5, vcc
	v_and_or_b32 v3, v3, s1, v4
	v_bfe_u32 v4, v4, 16, 1
	v_add3_u32 v4, v3, v4, s2
	v_cmp_o_f32_e32 vcc, v3, v3
	v_mov_b32_e32 v3, 0x7fc0
	v_cndmask_b32_sdwa v3, v3, v4, vcc dst_sel:DWORD dst_unused:UNUSED_PAD src0_sel:DWORD src1_sel:WORD_1
.LBB76_190:
	s_mov_b64 s[0:1], 0
.LBB76_191:
	s_andn2_b64 vcc, exec, s[0:1]
	s_cbranch_vccnz .LBB76_193
; %bb.192:
	global_load_ubyte v3, v[0:1], off
	s_movk_i32 s0, 0x7f00
	s_brev_b32 s1, 16
	s_brev_b32 s2, 1
	s_movk_i32 s3, 0x7fff
	s_waitcnt vmcnt(0)
	v_lshlrev_b16_e32 v4, 8, v3
	v_lshlrev_b32_e32 v3, 25, v3
	v_lshrrev_b32_e32 v5, 4, v3
	v_and_or_b32 v6, v4, s0, 0.5
	v_or_b32_e32 v5, 0x70000000, v5
	v_add_f32_e32 v6, -0.5, v6
	v_mul_f32_e32 v5, 0x7800000, v5
	v_cmp_gt_u32_e32 vcc, s1, v3
	v_bfe_i32 v4, v4, 0, 16
	v_cndmask_b32_e32 v3, v5, v6, vcc
	v_and_or_b32 v4, v4, s2, v3
	v_bfe_u32 v3, v3, 16, 1
	v_add3_u32 v3, v4, v3, s3
	v_cmp_o_f32_e32 vcc, v4, v4
	v_mov_b32_e32 v4, 0x7fc0
	v_cndmask_b32_sdwa v3, v4, v3, vcc dst_sel:DWORD dst_unused:UNUSED_PAD src0_sel:DWORD src1_sel:WORD_1
.LBB76_193:
	s_mov_b64 s[2:3], 0
	s_mov_b64 s[0:1], -1
.LBB76_194:
	s_andn2_b64 vcc, exec, s[2:3]
	s_cbranch_vccnz .LBB76_207
; %bb.195:
	s_cmp_gt_i32 s6, 14
	s_cbranch_scc0 .LBB76_198
; %bb.196:
	s_cmp_eq_u32 s6, 15
	s_cbranch_scc0 .LBB76_201
; %bb.197:
	global_load_ushort v3, v[0:1], off
	s_mov_b64 s[0:1], -1
	s_mov_b64 s[18:19], 0
	s_branch .LBB76_202
.LBB76_198:
	s_mov_b64 s[2:3], -1
                                        ; implicit-def: $vgpr3
	s_branch .LBB76_203
.LBB76_199:
	s_or_saveexec_b64 s[2:3], s[2:3]
	v_mov_b32_e32 v4, 0x7f800001
	s_xor_b64 exec, exec, s[2:3]
	s_cbranch_execz .LBB76_180
.LBB76_200:
	v_cmp_ne_u16_e32 vcc, 0, v3
	s_andn2_b64 s[0:1], s[0:1], exec
	s_and_b64 s[4:5], vcc, exec
	v_mov_b32_e32 v4, 0
	s_or_b64 s[0:1], s[0:1], s[4:5]
	s_or_b64 exec, exec, s[2:3]
	s_and_saveexec_b64 s[2:3], s[0:1]
	s_cbranch_execnz .LBB76_181
	s_branch .LBB76_182
.LBB76_201:
	s_mov_b64 s[18:19], -1
                                        ; implicit-def: $vgpr3
.LBB76_202:
	s_mov_b64 s[2:3], 0
.LBB76_203:
	s_and_b64 vcc, exec, s[2:3]
	s_cbranch_vccz .LBB76_207
; %bb.204:
	s_cmp_eq_u32 s6, 11
	s_cbranch_scc0 .LBB76_206
; %bb.205:
	global_load_ubyte v3, v[0:1], off
	s_mov_b64 s[0:1], -1
	s_mov_b64 s[18:19], 0
	s_waitcnt vmcnt(0)
	v_cmp_ne_u16_e32 vcc, 0, v3
	v_cndmask_b32_e64 v3, 0, 1.0, vcc
	v_lshrrev_b32_e32 v3, 16, v3
	s_branch .LBB76_207
.LBB76_206:
	s_mov_b64 s[18:19], -1
                                        ; implicit-def: $vgpr3
.LBB76_207:
	s_branch .LBB76_10
.LBB76_208:
	s_cmp_lt_i32 s6, 5
	s_cbranch_scc1 .LBB76_213
; %bb.209:
	s_cmp_lt_i32 s6, 8
	s_cbranch_scc1 .LBB76_214
; %bb.210:
	;; [unrolled: 3-line block ×3, first 2 shown]
	s_cmp_gt_i32 s6, 9
	s_cbranch_scc0 .LBB76_216
; %bb.212:
	global_load_dwordx2 v[3:4], v[0:1], off
	s_movk_i32 s0, 0x7fff
	s_waitcnt vmcnt(0)
	v_cvt_f32_f64_e32 v3, v[3:4]
	v_mov_b32_e32 v4, 0x7fc0
	v_bfe_u32 v5, v3, 16, 1
	v_cmp_o_f32_e32 vcc, v3, v3
	v_add3_u32 v3, v3, v5, s0
	v_cndmask_b32_sdwa v3, v4, v3, vcc dst_sel:DWORD dst_unused:UNUSED_PAD src0_sel:DWORD src1_sel:WORD_1
	s_mov_b64 s[0:1], 0
	s_branch .LBB76_217
.LBB76_213:
                                        ; implicit-def: $vgpr3
	s_branch .LBB76_235
.LBB76_214:
	s_mov_b64 s[0:1], -1
                                        ; implicit-def: $vgpr3
	s_branch .LBB76_223
.LBB76_215:
	s_mov_b64 s[0:1], -1
                                        ; implicit-def: $vgpr3
	s_branch .LBB76_220
.LBB76_216:
	s_mov_b64 s[0:1], -1
                                        ; implicit-def: $vgpr3
.LBB76_217:
	s_andn2_b64 vcc, exec, s[0:1]
	s_cbranch_vccnz .LBB76_219
; %bb.218:
	global_load_dword v3, v[0:1], off
	s_movk_i32 s0, 0x7fff
	v_mov_b32_e32 v4, 0x7fc0
	s_waitcnt vmcnt(0)
	v_bfe_u32 v5, v3, 16, 1
	v_cmp_o_f32_e32 vcc, v3, v3
	v_add3_u32 v3, v3, v5, s0
	v_cndmask_b32_sdwa v3, v4, v3, vcc dst_sel:DWORD dst_unused:UNUSED_PAD src0_sel:DWORD src1_sel:WORD_1
.LBB76_219:
	s_mov_b64 s[0:1], 0
.LBB76_220:
	s_andn2_b64 vcc, exec, s[0:1]
	s_cbranch_vccnz .LBB76_222
; %bb.221:
	global_load_dword v3, v[0:1], off
	s_movk_i32 s0, 0x7fff
	v_mov_b32_e32 v5, 0x7fc0
	s_waitcnt vmcnt(0)
	v_cvt_f32_f16_e32 v4, v3
	v_cmp_o_f16_e32 vcc, v3, v3
	v_bfe_u32 v3, v4, 16, 1
	v_add3_u32 v3, v4, v3, s0
	v_cndmask_b32_sdwa v3, v5, v3, vcc dst_sel:DWORD dst_unused:UNUSED_PAD src0_sel:DWORD src1_sel:WORD_1
.LBB76_222:
	s_mov_b64 s[0:1], 0
.LBB76_223:
	s_andn2_b64 vcc, exec, s[0:1]
	s_cbranch_vccnz .LBB76_234
; %bb.224:
	s_cmp_lt_i32 s6, 6
	s_cbranch_scc1 .LBB76_227
; %bb.225:
	s_cmp_gt_i32 s6, 6
	s_cbranch_scc0 .LBB76_228
; %bb.226:
	global_load_dwordx2 v[3:4], v[0:1], off
	s_movk_i32 s0, 0x7fff
	s_waitcnt vmcnt(0)
	v_cvt_f32_f64_e32 v3, v[3:4]
	v_mov_b32_e32 v4, 0x7fc0
	v_bfe_u32 v5, v3, 16, 1
	v_cmp_o_f32_e32 vcc, v3, v3
	v_add3_u32 v3, v3, v5, s0
	v_cndmask_b32_sdwa v3, v4, v3, vcc dst_sel:DWORD dst_unused:UNUSED_PAD src0_sel:DWORD src1_sel:WORD_1
	s_mov_b64 s[0:1], 0
	s_branch .LBB76_229
.LBB76_227:
	s_mov_b64 s[0:1], -1
                                        ; implicit-def: $vgpr3
	s_branch .LBB76_232
.LBB76_228:
	s_mov_b64 s[0:1], -1
                                        ; implicit-def: $vgpr3
.LBB76_229:
	s_andn2_b64 vcc, exec, s[0:1]
	s_cbranch_vccnz .LBB76_231
; %bb.230:
	global_load_dword v3, v[0:1], off
	s_movk_i32 s0, 0x7fff
	v_mov_b32_e32 v4, 0x7fc0
	s_waitcnt vmcnt(0)
	v_bfe_u32 v5, v3, 16, 1
	v_cmp_o_f32_e32 vcc, v3, v3
	v_add3_u32 v3, v3, v5, s0
	v_cndmask_b32_sdwa v3, v4, v3, vcc dst_sel:DWORD dst_unused:UNUSED_PAD src0_sel:DWORD src1_sel:WORD_1
.LBB76_231:
	s_mov_b64 s[0:1], 0
.LBB76_232:
	s_andn2_b64 vcc, exec, s[0:1]
	s_cbranch_vccnz .LBB76_234
; %bb.233:
	global_load_ushort v3, v[0:1], off
	s_movk_i32 s0, 0x7fff
	v_mov_b32_e32 v5, 0x7fc0
	s_waitcnt vmcnt(0)
	v_cvt_f32_f16_e32 v4, v3
	v_cmp_o_f16_e32 vcc, v3, v3
	v_bfe_u32 v3, v4, 16, 1
	v_add3_u32 v3, v4, v3, s0
	v_cndmask_b32_sdwa v3, v5, v3, vcc dst_sel:DWORD dst_unused:UNUSED_PAD src0_sel:DWORD src1_sel:WORD_1
.LBB76_234:
	s_cbranch_execnz .LBB76_254
.LBB76_235:
	s_cmp_lt_i32 s6, 2
	s_cbranch_scc1 .LBB76_239
; %bb.236:
	s_cmp_lt_i32 s6, 3
	s_cbranch_scc1 .LBB76_240
; %bb.237:
	s_cmp_gt_i32 s6, 3
	s_cbranch_scc0 .LBB76_241
; %bb.238:
	global_load_dwordx2 v[3:4], v[0:1], off
	s_movk_i32 s0, 0x7fff
	s_waitcnt vmcnt(0)
	v_xor_b32_e32 v6, v3, v4
	v_ffbh_i32_e32 v5, v4
	v_ashrrev_i32_e32 v6, 31, v6
	v_add_u32_e32 v5, -1, v5
	v_add_u32_e32 v6, 32, v6
	v_min_u32_e32 v5, v5, v6
	v_lshlrev_b64 v[3:4], v5, v[3:4]
	v_min_u32_e32 v3, 1, v3
	v_or_b32_e32 v3, v4, v3
	v_cvt_f32_i32_e32 v3, v3
	v_sub_u32_e32 v4, 32, v5
	v_ldexp_f32 v3, v3, v4
	v_bfe_u32 v4, v3, 16, 1
	v_add3_u32 v3, v3, v4, s0
	v_lshrrev_b32_e32 v3, 16, v3
	s_mov_b64 s[0:1], 0
	s_branch .LBB76_242
.LBB76_239:
	s_mov_b64 s[0:1], -1
                                        ; implicit-def: $vgpr3
	s_branch .LBB76_248
.LBB76_240:
	s_mov_b64 s[0:1], -1
                                        ; implicit-def: $vgpr3
	s_branch .LBB76_245
.LBB76_241:
	s_mov_b64 s[0:1], -1
                                        ; implicit-def: $vgpr3
.LBB76_242:
	s_andn2_b64 vcc, exec, s[0:1]
	s_cbranch_vccnz .LBB76_244
; %bb.243:
	global_load_dword v3, v[0:1], off
	s_movk_i32 s0, 0x7fff
	s_waitcnt vmcnt(0)
	v_cvt_f32_i32_e32 v3, v3
	v_bfe_u32 v4, v3, 16, 1
	v_add3_u32 v3, v3, v4, s0
	v_lshrrev_b32_e32 v3, 16, v3
.LBB76_244:
	s_mov_b64 s[0:1], 0
.LBB76_245:
	s_andn2_b64 vcc, exec, s[0:1]
	s_cbranch_vccnz .LBB76_247
; %bb.246:
	global_load_sshort v3, v[0:1], off
	s_movk_i32 s0, 0x7fff
	s_waitcnt vmcnt(0)
	v_cvt_f32_i32_e32 v3, v3
	v_bfe_u32 v4, v3, 16, 1
	v_add3_u32 v3, v3, v4, s0
	v_lshrrev_b32_e32 v3, 16, v3
.LBB76_247:
	s_mov_b64 s[0:1], 0
.LBB76_248:
	s_andn2_b64 vcc, exec, s[0:1]
	s_cbranch_vccnz .LBB76_254
; %bb.249:
	s_cmp_gt_i32 s6, 0
	s_cbranch_scc0 .LBB76_251
; %bb.250:
	global_load_sbyte v3, v[0:1], off
	s_movk_i32 s0, 0x7fff
	s_waitcnt vmcnt(0)
	v_cvt_f32_i32_e32 v3, v3
	v_bfe_u32 v4, v3, 16, 1
	v_add3_u32 v3, v3, v4, s0
	v_lshrrev_b32_e32 v3, 16, v3
	s_mov_b64 s[0:1], 0
	s_branch .LBB76_252
.LBB76_251:
	s_mov_b64 s[0:1], -1
                                        ; implicit-def: $vgpr3
.LBB76_252:
	s_andn2_b64 vcc, exec, s[0:1]
	s_cbranch_vccnz .LBB76_254
; %bb.253:
	global_load_ubyte v0, v[0:1], off
	s_movk_i32 s0, 0x7fff
	s_waitcnt vmcnt(0)
	v_cvt_f32_ubyte0_e32 v0, v0
	v_bfe_u32 v1, v0, 16, 1
	v_add3_u32 v0, v0, v1, s0
	v_lshrrev_b32_e32 v3, 16, v0
.LBB76_254:
	s_branch .LBB76_11
.LBB76_255:
	s_mov_b64 s[0:1], 0
                                        ; implicit-def: $vgpr2
	s_mov_b64 s[2:3], 0
.LBB76_256:
	s_and_b64 s[6:7], s[0:1], exec
	s_and_b64 s[18:19], s[18:19], exec
	s_orn2_b64 s[2:3], s[2:3], exec
.LBB76_257:
	s_or_b64 exec, exec, s[20:21]
	s_mov_b64 s[4:5], 0
	s_mov_b64 s[0:1], 0
                                        ; implicit-def: $vgpr0_vgpr1
                                        ; implicit-def: $vgpr4
	s_and_saveexec_b64 s[20:21], s[2:3]
	s_cbranch_execz .LBB76_266
; %bb.258:
	v_cmp_gt_i32_e32 vcc, s38, v2
	s_mov_b64 s[0:1], -1
	s_mov_b64 s[22:23], s[18:19]
	s_mov_b64 s[24:25], s[6:7]
	s_and_saveexec_b64 s[26:27], vcc
	s_cbranch_execz .LBB76_524
; %bb.259:
	v_mul_lo_u32 v0, v2, s13
	v_mov_b32_e32 v1, s11
	s_and_b32 s24, 0xffff, s42
	s_cmp_lt_i32 s24, 11
	s_waitcnt vmcnt(0)
	v_ashrrev_i32_e32 v3, 31, v0
	v_add_co_u32_e32 v0, vcc, s10, v0
	v_addc_co_u32_e32 v1, vcc, v1, v3, vcc
	s_cbranch_scc1 .LBB76_269
; %bb.260:
	s_cmp_gt_i32 s24, 25
	s_cbranch_scc0 .LBB76_284
; %bb.261:
	s_cmp_gt_i32 s24, 28
	s_cbranch_scc0 .LBB76_286
	;; [unrolled: 3-line block ×4, first 2 shown]
; %bb.264:
	s_cmp_eq_u32 s24, 46
	s_mov_b64 s[2:3], 0
	s_cbranch_scc0 .LBB76_296
; %bb.265:
	global_load_dword v3, v[0:1], off
	s_mov_b64 s[22:23], 0
	s_branch .LBB76_297
.LBB76_266:
	s_or_b64 exec, exec, s[20:21]
	s_mov_b64 s[20:21], 0
	s_and_saveexec_b64 s[2:3], s[18:19]
	s_cbranch_execnz .LBB76_876
.LBB76_267:
	s_or_b64 exec, exec, s[2:3]
	s_and_saveexec_b64 s[2:3], s[24:25]
	s_xor_b64 s[2:3], exec, s[2:3]
	s_cbranch_execz .LBB76_877
.LBB76_268:
	global_load_ubyte v3, v[0:1], off
	s_or_b64 s[0:1], s[0:1], exec
	s_waitcnt vmcnt(0)
	v_cmp_ne_u16_e32 vcc, 0, v3
	v_cndmask_b32_e64 v3, 0, 1.0, vcc
	v_lshrrev_b32_e32 v4, 16, v3
	s_or_b64 exec, exec, s[2:3]
	s_and_saveexec_b64 s[2:3], s[4:5]
	s_cbranch_execz .LBB76_923
	s_branch .LBB76_878
.LBB76_269:
	s_mov_b64 s[0:1], 0
                                        ; implicit-def: $vgpr3
	s_mov_b64 s[22:23], s[18:19]
	s_cbranch_execnz .LBB76_474
.LBB76_270:
	s_andn2_b64 vcc, exec, s[0:1]
	s_cbranch_vccnz .LBB76_522
.LBB76_271:
	s_waitcnt vmcnt(0)
	v_lshlrev_b32_e32 v0, 16, v3
	v_cmp_gt_f32_e32 vcc, 0.5, v0
	v_mov_b32_e32 v3, 0
	v_mov_b32_e32 v1, 1.0
	s_and_saveexec_b64 s[24:25], vcc
	s_cbranch_execz .LBB76_277
; %bb.272:
	v_mul_f32_e32 v1, 0x40490fdb, v0
	s_brev_b32 s0, 18
	v_and_b32_e32 v3, 0x7fffffff, v1
	v_cmp_nlt_f32_e64 s[0:1], |v1|, s0
                                        ; implicit-def: $vgpr4
                                        ; implicit-def: $vgpr5
	s_and_saveexec_b64 s[2:3], s[0:1]
	s_xor_b64 s[28:29], exec, s[2:3]
	s_cbranch_execz .LBB76_274
; %bb.273:
	v_and_b32_e32 v4, 0x7fffff, v3
	v_or_b32_e32 v13, 0x800000, v4
	s_mov_b32 s0, 0xfe5163ab
	v_mad_u64_u32 v[4:5], s[0:1], v13, s0, 0
	v_mov_b32_e32 v6, 0
	s_mov_b32 s0, 0x3c439041
	v_mad_u64_u32 v[7:8], s[0:1], v13, s0, v[5:6]
	s_mov_b32 s0, 0xdb629599
	v_not_b32_e32 v12, 63
	v_mov_b32_e32 v5, v8
	v_mad_u64_u32 v[8:9], s[0:1], v13, s0, v[5:6]
	s_mov_b32 s0, 0xf534ddc0
	v_not_b32_e32 v15, 31
	v_mov_b32_e32 v5, v9
	v_mad_u64_u32 v[9:10], s[0:1], v13, s0, v[5:6]
	v_lshrrev_b32_e32 v5, 23, v3
	v_add_u32_e32 v14, 0xffffff88, v5
	v_mov_b32_e32 v5, v10
	s_mov_b32 s0, 0xfc2757d1
	v_mad_u64_u32 v[10:11], s[0:1], v13, s0, v[5:6]
	v_cmp_lt_u32_e32 vcc, 63, v14
	v_cndmask_b32_e32 v5, 0, v12, vcc
	v_add_u32_e32 v14, v5, v14
	v_mov_b32_e32 v5, v11
	s_mov_b32 s0, 0x4e441529
	v_mad_u64_u32 v[11:12], s[0:1], v13, s0, v[5:6]
	v_cmp_lt_u32_e64 s[0:1], 31, v14
	v_cndmask_b32_e64 v5, 0, v15, s[0:1]
	v_add_u32_e32 v14, v5, v14
	v_mov_b32_e32 v5, v12
	s_mov_b32 s2, 0xa2f9836e
	v_mad_u64_u32 v[5:6], s[2:3], v13, s2, v[5:6]
	v_cmp_lt_u32_e64 s[2:3], 31, v14
	v_cndmask_b32_e64 v12, 0, v15, s[2:3]
	v_cndmask_b32_e32 v13, v11, v9, vcc
	v_cndmask_b32_e32 v5, v5, v10, vcc
	;; [unrolled: 1-line block ×3, first 2 shown]
	v_add_u32_e32 v12, v12, v14
	v_cndmask_b32_e64 v14, v5, v13, s[0:1]
	v_cndmask_b32_e64 v5, v6, v5, s[0:1]
	v_cndmask_b32_e32 v6, v10, v8, vcc
	v_cndmask_b32_e64 v10, v13, v6, s[0:1]
	v_cndmask_b32_e64 v5, v5, v14, s[2:3]
	;; [unrolled: 1-line block ×3, first 2 shown]
	v_sub_u32_e32 v13, 32, v12
	v_alignbit_b32 v14, v5, v11, v13
	v_cmp_eq_u32_e64 s[4:5], 0, v12
	v_cndmask_b32_e64 v12, v14, v5, s[4:5]
	v_cndmask_b32_e32 v5, v9, v7, vcc
	v_cndmask_b32_e64 v6, v6, v5, s[0:1]
	v_cndmask_b32_e64 v7, v10, v6, s[2:3]
	v_alignbit_b32 v9, v11, v7, v13
	v_cndmask_b32_e32 v4, v8, v4, vcc
	v_cndmask_b32_e64 v9, v9, v11, s[4:5]
	v_bfe_u32 v14, v12, 29, 1
	v_cndmask_b32_e64 v4, v5, v4, s[0:1]
	v_alignbit_b32 v10, v12, v9, 30
	v_sub_u32_e32 v15, 0, v14
	v_cndmask_b32_e64 v4, v6, v4, s[2:3]
	v_xor_b32_e32 v10, v10, v15
	v_alignbit_b32 v5, v7, v4, v13
	v_cndmask_b32_e64 v5, v5, v7, s[4:5]
	v_ffbh_u32_e32 v7, v10
	v_alignbit_b32 v6, v9, v5, 30
	v_min_u32_e32 v7, 32, v7
	v_alignbit_b32 v4, v5, v4, 30
	v_xor_b32_e32 v6, v6, v15
	v_sub_u32_e32 v8, 31, v7
	v_xor_b32_e32 v4, v4, v15
	v_alignbit_b32 v9, v10, v6, v8
	v_alignbit_b32 v4, v6, v4, v8
	;; [unrolled: 1-line block ×3, first 2 shown]
	v_ffbh_u32_e32 v6, v5
	v_min_u32_e32 v6, 32, v6
	v_lshrrev_b32_e32 v11, 29, v12
	v_not_b32_e32 v8, v6
	v_alignbit_b32 v4, v5, v4, v8
	v_lshlrev_b32_e32 v5, 31, v11
	v_or_b32_e32 v8, 0x33000000, v5
	v_add_lshl_u32 v6, v6, v7, 23
	v_lshrrev_b32_e32 v4, 9, v4
	v_sub_u32_e32 v6, v8, v6
	v_or_b32_e32 v5, 0.5, v5
	v_lshlrev_b32_e32 v7, 23, v7
	v_or_b32_e32 v4, v6, v4
	v_lshrrev_b32_e32 v6, 9, v9
	v_sub_u32_e32 v5, v5, v7
	v_or_b32_e32 v5, v6, v5
	s_mov_b32 s0, 0x3fc90fda
	v_mul_f32_e32 v6, 0x3fc90fda, v5
	v_fma_f32 v7, v5, s0, -v6
	v_fmac_f32_e32 v7, 0x33a22168, v5
	v_fmac_f32_e32 v7, 0x3fc90fda, v4
	v_lshrrev_b32_e32 v4, 30, v12
	v_add_f32_e32 v5, v6, v7
	v_add_u32_e32 v4, v14, v4
.LBB76_274:
	s_andn2_saveexec_b64 s[0:1], s[28:29]
	s_cbranch_execz .LBB76_276
; %bb.275:
	s_mov_b32 s2, 0x3f22f983
	v_mul_f32_e64 v4, |v1|, s2
	v_rndne_f32_e32 v6, v4
	s_mov_b32 s2, 0xbfc90fda
	v_cvt_i32_f32_e32 v4, v6
	v_fma_f32 v5, v6, s2, |v1|
	v_fmac_f32_e32 v5, 0xb3a22168, v6
	v_fmac_f32_e32 v5, 0xa7c234c4, v6
.LBB76_276:
	s_or_b64 exec, exec, s[0:1]
	v_mul_f32_e32 v6, v5, v5
	v_mov_b32_e32 v7, 0x3c0881c4
	v_fmac_f32_e32 v7, 0xb94c1982, v6
	v_mov_b32_e32 v8, 0xbe2aaa9d
	v_fmac_f32_e32 v8, v6, v7
	v_mul_f32_e32 v7, v6, v8
	v_fmac_f32_e32 v5, v5, v7
	v_mov_b32_e32 v7, 0xbab64f3b
	v_fmac_f32_e32 v7, 0x37d75334, v6
	v_mov_b32_e32 v8, 0x3d2aabf7
	;; [unrolled: 2-line block ×3, first 2 shown]
	v_fmac_f32_e32 v7, v6, v8
	v_fma_f32 v6, v6, v7, 1.0
	v_and_b32_e32 v7, 1, v4
	v_lshlrev_b32_e32 v4, 30, v4
	v_cmp_eq_u32_e32 vcc, 0, v7
	v_and_b32_e32 v4, 0x80000000, v4
	v_xor_b32_e32 v3, v3, v1
	v_cndmask_b32_e32 v5, v6, v5, vcc
	v_xor_b32_e32 v3, v3, v4
	s_movk_i32 s0, 0x1f8
	v_xor_b32_e32 v3, v3, v5
	v_mov_b32_e32 v4, 0x7fc00000
	v_cmp_class_f32_e64 vcc, v1, s0
	v_cndmask_b32_e32 v1, v4, v3, vcc
	v_mul_f32_e32 v1, v1, v1
	s_mov_b32 s2, 0xc11de9e7
	v_div_scale_f32 v3, s[0:1], v1, v1, s2
	v_div_scale_f32 v4, vcc, s2, v1, s2
	v_sub_f32_e32 v0, 1.0, v0
	v_rcp_f32_e32 v5, v3
	v_fma_f32 v6, -v3, v5, 1.0
	v_fmac_f32_e32 v5, v6, v5
	v_mul_f32_e32 v6, v4, v5
	v_fma_f32 v7, -v3, v6, v4
	v_fmac_f32_e32 v6, v7, v5
	v_fma_f32 v3, -v3, v6, v4
	v_div_fmas_f32 v3, v3, v5, v6
	v_div_fixup_f32 v1, v3, v1, s2
	v_add_f32_e32 v3, 0, v1
	v_mov_b32_e32 v1, -1.0
.LBB76_277:
	s_or_b64 exec, exec, s[24:25]
	v_mul_f32_e32 v4, v0, v0
	v_div_scale_f32 v6, s[0:1], v4, v4, 1.0
	v_add_f32_e32 v5, 1.0, v0
	v_mul_f32_e32 v0, v5, v5
	v_div_scale_f32 v8, s[0:1], v0, v0, 1.0
	v_div_scale_f32 v7, vcc, 1.0, v4, 1.0
	v_div_scale_f32 v9, s[0:1], 1.0, v0, 1.0
	v_add_f32_e32 v10, 1.0, v5
	v_mul_f32_e32 v5, v10, v10
	v_div_scale_f32 v13, s[2:3], v5, v5, 1.0
	v_add_f32_e32 v10, 1.0, v10
	v_add_f32_e32 v18, 1.0, v10
	v_rcp_f32_e32 v11, v6
	s_and_b32 s28, s33, 0xff
	s_cmp_lt_i32 s28, 11
	v_rcp_f32_e32 v12, v8
	v_fma_f32 v14, -v6, v11, 1.0
	v_fmac_f32_e32 v11, v14, v11
	v_mul_f32_e32 v15, v7, v11
	v_fma_f32 v14, -v8, v12, 1.0
	v_fmac_f32_e32 v12, v14, v12
	v_fma_f32 v14, -v6, v15, v7
	v_fmac_f32_e32 v15, v14, v11
	v_fma_f32 v6, -v6, v15, v7
	v_mul_f32_e32 v16, v9, v12
	v_div_fmas_f32 v6, v6, v11, v15
	v_div_scale_f32 v11, s[2:3], 1.0, v5, 1.0
	v_fma_f32 v7, -v8, v16, v9
	v_fmac_f32_e32 v16, v7, v12
	v_mul_f32_e32 v7, v10, v10
	v_div_scale_f32 v14, s[4:5], v7, v7, 1.0
	v_div_scale_f32 v17, s[4:5], 1.0, v7, 1.0
	v_rcp_f32_e32 v15, v13
	v_fma_f32 v9, -v8, v16, v9
	v_mul_f32_e32 v8, v18, v18
	v_div_scale_f32 v19, s[24:25], v8, v8, 1.0
	v_fma_f32 v10, -v13, v15, 1.0
	v_fmac_f32_e32 v15, v10, v15
	s_mov_b64 vcc, s[0:1]
	v_mul_f32_e32 v10, v11, v15
	v_div_fmas_f32 v9, v9, v12, v16
	v_fma_f32 v12, -v13, v10, v11
	v_fmac_f32_e32 v10, v12, v15
	v_rcp_f32_e32 v12, v14
	v_fma_f32 v11, -v13, v10, v11
	s_mov_b64 vcc, s[2:3]
	v_div_fmas_f32 v10, v11, v15, v10
	v_div_scale_f32 v15, s[0:1], 1.0, v8, 1.0
	v_add_f32_e32 v16, 1.0, v18
	v_mul_f32_e32 v18, v16, v16
	v_fma_f32 v11, -v14, v12, 1.0
	v_div_scale_f32 v20, s[2:3], v18, v18, 1.0
	v_fmac_f32_e32 v12, v11, v12
	v_mul_f32_e32 v11, v17, v12
	v_fma_f32 v13, -v14, v11, v17
	v_fmac_f32_e32 v11, v13, v12
	v_fma_f32 v14, -v14, v11, v17
	s_mov_b64 vcc, s[4:5]
	v_div_fmas_f32 v11, v14, v12, v11
	v_div_scale_f32 v14, s[2:3], 1.0, v18, 1.0
	v_rcp_f32_e32 v13, v19
	v_add_f32_e32 v16, 1.0, v16
	v_mul_f32_e32 v17, v16, v16
	v_div_scale_f32 v21, s[4:5], v17, v17, 1.0
	v_fma_f32 v12, -v19, v13, 1.0
	v_fmac_f32_e32 v13, v12, v13
	v_mul_f32_e32 v12, v15, v13
	v_fma_f32 v22, -v19, v12, v15
	v_fmac_f32_e32 v12, v22, v13
	v_div_scale_f32 v22, s[4:5], 1.0, v17, 1.0
	v_fma_f32 v15, -v19, v12, v15
	v_rcp_f32_e32 v19, v20
	s_mov_b64 vcc, s[0:1]
	v_div_fmas_f32 v12, v15, v13, v12
	s_mov_b64 vcc, s[2:3]
	v_fma_f32 v13, -v20, v19, 1.0
	v_fmac_f32_e32 v19, v13, v19
	v_mul_f32_e32 v13, v14, v19
	v_fma_f32 v15, -v20, v13, v14
	v_fmac_f32_e32 v13, v15, v19
	v_rcp_f32_e32 v15, v21
	v_fma_f32 v14, -v20, v13, v14
	v_div_fmas_f32 v13, v14, v19, v13
	v_add_f32_e32 v19, v16, v16
	v_div_scale_f32 v20, s[0:1], v19, v19, 1.0
	v_fma_f32 v14, -v21, v15, 1.0
	v_fmac_f32_e32 v15, v14, v15
	v_mul_f32_e32 v14, v22, v15
	v_fma_f32 v23, -v21, v14, v22
	v_fmac_f32_e32 v14, v23, v15
	v_div_scale_f32 v23, s[0:1], 1.0, v19, 1.0
	v_fma_f32 v21, -v21, v14, v22
	s_mov_b64 vcc, s[4:5]
	v_div_fmas_f32 v14, v21, v15, v14
	s_mov_b64 vcc, s[0:1]
	s_mov_b32 s0, 0x3e2aaaab
	v_div_fixup_f32 v4, v6, v4, 1.0
	v_add_f32_e32 v3, v3, v4
	v_rcp_f32_e32 v22, v20
	v_div_fixup_f32 v0, v9, v0, 1.0
	v_add_f32_e32 v0, v3, v0
	v_div_fixup_f32 v3, v10, v5, 1.0
	v_fma_f32 v15, -v20, v22, 1.0
	v_fmac_f32_e32 v22, v15, v22
	v_add_f32_e32 v0, v0, v3
	v_mul_f32_e32 v15, v23, v22
	v_fma_f32 v21, -v20, v15, v23
	v_fmac_f32_e32 v15, v21, v22
	v_fma_f32 v20, -v20, v15, v23
	v_div_fmas_f32 v15, v20, v22, v15
	v_div_fixup_f32 v14, v14, v17, 1.0
	v_mov_b32_e32 v17, 0x3d088889
	v_fmac_f32_e32 v17, 0xbcc30c31, v14
	v_fma_f32 v17, -v14, v17, s0
	v_div_fixup_f32 v3, v11, v7, 1.0
	v_add_f32_e32 v0, v0, v3
	v_div_fixup_f32 v3, v12, v8, 1.0
	v_add_f32_e32 v0, v0, v3
	v_div_fixup_f32 v3, v13, v18, 1.0
	v_add_f32_e32 v0, v0, v3
	v_mov_b32_e32 v4, s9
	v_div_fixup_f32 v15, v15, v19, 1.0
	v_add_f32_e32 v15, 1.0, v15
	v_fmac_f32_e32 v15, v14, v17
	v_div_scale_f32 v14, s[0:1], v16, v16, v15
	v_div_scale_f32 v17, vcc, v15, v16, v15
	s_movk_i32 s0, 0x7fff
	v_rcp_f32_e32 v19, v14
	v_fma_f32 v20, -v14, v19, 1.0
	v_fmac_f32_e32 v19, v20, v19
	v_mul_f32_e32 v20, v17, v19
	v_fma_f32 v21, -v14, v20, v17
	v_fmac_f32_e32 v20, v21, v19
	v_fma_f32 v14, -v14, v20, v17
	v_div_fmas_f32 v14, v14, v19, v20
	v_div_fixup_f32 v3, v14, v16, v15
	v_add_f32_e32 v0, v0, v3
	v_mul_f32_e32 v0, v1, v0
	v_bfe_u32 v1, v0, 16, 1
	v_add3_u32 v1, v0, v1, s0
	v_cmp_o_f32_e32 vcc, v0, v0
	v_mul_lo_u32 v0, v2, s12
	v_mov_b32_e32 v3, 0x7fc0
	v_cndmask_b32_sdwa v3, v3, v1, vcc dst_sel:DWORD dst_unused:UNUSED_PAD src0_sel:DWORD src1_sel:WORD_1
	v_ashrrev_i32_e32 v1, 31, v0
	v_add_co_u32_e32 v0, vcc, s8, v0
	v_addc_co_u32_e32 v1, vcc, v4, v1, vcc
	s_cbranch_scc1 .LBB76_285
; %bb.278:
	s_and_b32 s29, 0xffff, s28
	s_cmp_gt_i32 s29, 25
	s_cbranch_scc0 .LBB76_287
; %bb.279:
	s_cmp_gt_i32 s29, 28
	s_cbranch_scc0 .LBB76_289
; %bb.280:
	;; [unrolled: 3-line block ×4, first 2 shown]
	s_mov_b64 s[4:5], 0
	s_mov_b64 s[0:1], -1
	s_cmp_eq_u32 s29, 46
	s_mov_b64 s[2:3], 0
	s_cbranch_scc0 .LBB76_301
; %bb.283:
	v_and_b32_e32 v4, 0xffff, v3
	global_store_dword v[0:1], v4, off
	s_mov_b64 s[2:3], -1
	s_mov_b64 s[0:1], 0
	s_branch .LBB76_301
.LBB76_284:
	s_mov_b64 s[2:3], -1
	s_mov_b64 s[0:1], 0
	s_mov_b64 s[22:23], s[18:19]
                                        ; implicit-def: $vgpr3
	s_branch .LBB76_438
.LBB76_285:
	s_mov_b64 s[4:5], -1
	s_mov_b64 s[2:3], 0
	s_mov_b64 s[0:1], s[6:7]
	s_branch .LBB76_370
.LBB76_286:
	s_mov_b64 s[2:3], -1
	s_mov_b64 s[0:1], 0
	s_mov_b64 s[22:23], s[18:19]
                                        ; implicit-def: $vgpr3
	s_branch .LBB76_419
.LBB76_287:
	s_mov_b64 s[4:5], -1
	s_mov_b64 s[2:3], 0
	s_mov_b64 s[0:1], s[6:7]
	s_branch .LBB76_328
.LBB76_288:
	s_mov_b64 s[2:3], -1
	s_mov_b64 s[0:1], 0
	s_mov_b64 s[22:23], s[18:19]
                                        ; implicit-def: $vgpr3
	s_branch .LBB76_414
.LBB76_289:
	s_mov_b64 s[4:5], -1
	s_mov_b64 s[2:3], 0
	s_mov_b64 s[0:1], s[6:7]
	s_branch .LBB76_311
.LBB76_290:
	s_andn2_saveexec_b64 s[6:7], s[6:7]
	s_cbranch_execz .LBB76_60
.LBB76_291:
	s_mov_b32 s26, 0x46000000
	v_add_f32_e64 v5, |v6|, s26
	v_and_b32_e32 v5, 0xff, v5
	v_cmp_ne_u32_e32 vcc, 0, v5
	s_andn2_b64 s[4:5], s[4:5], exec
	s_and_b64 s[26:27], vcc, exec
	s_or_b64 s[4:5], s[4:5], s[26:27]
	s_or_b64 exec, exec, s[6:7]
	v_mov_b32_e32 v7, 0
	s_and_saveexec_b64 s[6:7], s[4:5]
	s_cbranch_execnz .LBB76_61
	s_branch .LBB76_62
.LBB76_292:
	s_mov_b64 s[2:3], -1
	s_mov_b64 s[0:1], 0
	s_mov_b64 s[22:23], s[18:19]
                                        ; implicit-def: $vgpr3
	s_branch .LBB76_297
.LBB76_293:
	s_mov_b64 s[4:5], -1
	s_mov_b64 s[2:3], 0
	s_mov_b64 s[0:1], s[6:7]
	s_branch .LBB76_307
.LBB76_294:
	s_andn2_saveexec_b64 s[6:7], s[6:7]
	s_cbranch_execz .LBB76_73
.LBB76_295:
	s_mov_b32 s26, 0x42800000
	v_add_f32_e64 v5, |v6|, s26
	v_and_b32_e32 v5, 0xff, v5
	v_cmp_ne_u32_e32 vcc, 0, v5
	s_andn2_b64 s[4:5], s[4:5], exec
	s_and_b64 s[26:27], vcc, exec
	s_or_b64 s[4:5], s[4:5], s[26:27]
	s_or_b64 exec, exec, s[6:7]
	v_mov_b32_e32 v7, 0
	s_and_saveexec_b64 s[6:7], s[4:5]
	s_cbranch_execnz .LBB76_74
	s_branch .LBB76_75
.LBB76_296:
	s_mov_b64 s[22:23], -1
                                        ; implicit-def: $vgpr3
	s_mov_b64 s[0:1], 0
.LBB76_297:
	s_and_b64 vcc, exec, s[2:3]
	s_cbranch_vccz .LBB76_413
; %bb.298:
	s_cmp_eq_u32 s24, 44
	s_cbranch_scc0 .LBB76_412
; %bb.299:
	global_load_ubyte v3, v[0:1], off
	s_movk_i32 s2, 0xff
	v_mov_b32_e32 v4, 0x7f800001
	v_mov_b32_e32 v5, 0x400000
	;; [unrolled: 1-line block ×3, first 2 shown]
	s_mov_b64 s[0:1], -1
	s_mov_b64 s[22:23], 0
	s_waitcnt vmcnt(0)
	v_lshlrev_b32_e32 v7, 23, v3
	v_cmp_ne_u32_e32 vcc, s2, v3
	v_cndmask_b32_e32 v4, v4, v7, vcc
	v_cmp_ne_u32_e32 vcc, 0, v3
	v_cndmask_b32_e32 v3, v5, v4, vcc
	v_add_u32_e32 v4, 0x7fff, v3
	v_cmp_o_f32_e32 vcc, v3, v3
	v_cndmask_b32_sdwa v3, v6, v4, vcc dst_sel:DWORD dst_unused:UNUSED_PAD src0_sel:DWORD src1_sel:WORD_1
	s_branch .LBB76_413
.LBB76_300:
	s_mov_b64 s[4:5], -1
	s_mov_b64 s[2:3], 0
	s_mov_b64 s[0:1], s[6:7]
.LBB76_301:
	s_and_b64 vcc, exec, s[4:5]
	s_cbranch_vccz .LBB76_306
; %bb.302:
	s_cmp_eq_u32 s29, 44
	s_mov_b64 s[0:1], -1
	s_cbranch_scc0 .LBB76_306
; %bb.303:
	v_and_b32_e32 v5, 0xffff, v3
	v_bfe_u32 v4, v5, 7, 8
	s_movk_i32 s0, 0xff
	v_cmp_ne_u32_e32 vcc, s0, v4
	v_mov_b32_e32 v6, 0xff
	s_and_saveexec_b64 s[2:3], vcc
	s_cbranch_execz .LBB76_305
; %bb.304:
	v_lshlrev_b32_e32 v7, 16, v5
	s_mov_b32 s0, 0x3f0000
	v_lshrrev_b32_e32 v6, 7, v5
	v_and_b32_e32 v5, 64, v5
	v_and_or_b32 v4, v7, s0, v4
	v_cmp_ne_u32_e32 vcc, 0, v5
	v_cmp_ne_u32_e64 s[0:1], 0, v4
	s_and_b64 s[0:1], vcc, s[0:1]
	v_cndmask_b32_e64 v4, 0, 1, s[0:1]
	v_add_u32_e32 v6, v6, v4
.LBB76_305:
	s_or_b64 exec, exec, s[2:3]
	s_mov_b64 s[2:3], -1
	s_mov_b64 s[0:1], 0
	global_store_byte v[0:1], v6, off
.LBB76_306:
	s_mov_b64 s[4:5], 0
.LBB76_307:
	s_and_b64 vcc, exec, s[4:5]
	s_cbranch_vccz .LBB76_310
; %bb.308:
	s_cmp_eq_u32 s29, 29
	s_mov_b64 s[0:1], -1
	s_cbranch_scc0 .LBB76_310
; %bb.309:
	v_lshlrev_b32_e32 v4, 16, v3
	v_trunc_f32_e32 v4, v4
	v_mul_f32_e32 v5, 0x2f800000, v4
	v_floor_f32_e32 v6, v5
	v_fmac_f32_e32 v4, 0xcf800000, v6
	v_cvt_u32_f32_e32 v5, v6
	v_cvt_u32_f32_e32 v4, v4
	s_mov_b64 s[2:3], -1
	s_mov_b64 s[0:1], 0
	s_mov_b64 s[4:5], 0
	global_store_dwordx2 v[0:1], v[4:5], off
	s_branch .LBB76_311
.LBB76_310:
	s_mov_b64 s[4:5], 0
.LBB76_311:
	s_and_b64 vcc, exec, s[4:5]
	s_cbranch_vccz .LBB76_327
; %bb.312:
	s_cmp_lt_i32 s29, 27
	s_mov_b64 s[2:3], -1
	s_cbranch_scc1 .LBB76_318
; %bb.313:
	s_cmp_gt_i32 s29, 27
	s_cbranch_scc0 .LBB76_315
; %bb.314:
	v_lshlrev_b32_e32 v4, 16, v3
	v_cvt_u32_f32_e32 v4, v4
	s_mov_b64 s[2:3], 0
	global_store_dword v[0:1], v4, off
.LBB76_315:
	s_andn2_b64 vcc, exec, s[2:3]
	s_cbranch_vccnz .LBB76_317
; %bb.316:
	v_lshlrev_b32_e32 v4, 16, v3
	v_cvt_u32_f32_e32 v4, v4
	global_store_short v[0:1], v4, off
.LBB76_317:
	s_mov_b64 s[2:3], 0
.LBB76_318:
	s_andn2_b64 vcc, exec, s[2:3]
	s_cbranch_vccnz .LBB76_326
; %bb.319:
	v_lshlrev_b32_e32 v6, 16, v3
	v_and_b32_e32 v5, 0x7fffffff, v6
	s_mov_b32 s2, 0x43800000
	v_cmp_gt_u32_e32 vcc, s2, v5
	v_mov_b32_e32 v7, 0x80
	s_and_saveexec_b64 s[2:3], vcc
	s_cbranch_execz .LBB76_325
; %bb.320:
	s_mov_b32 s4, 0x3bffffff
	v_and_b32_e32 v4, 0xffff, v3
	v_cmp_lt_u32_e32 vcc, s4, v5
	s_mov_b64 s[4:5], 0
                                        ; implicit-def: $vgpr5
	s_and_saveexec_b64 s[24:25], vcc
	s_xor_b64 s[24:25], exec, s[24:25]
	s_cbranch_execz .LBB76_537
; %bb.321:
	v_bfe_u32 v5, v4, 4, 1
	s_mov_b32 s30, 0x487ffff
	v_add3_u32 v5, v6, v5, s30
	s_mov_b64 s[4:5], exec
	v_lshrrev_b32_e32 v5, 20, v5
                                        ; implicit-def: $vgpr6
	s_andn2_saveexec_b64 s[24:25], s[24:25]
	s_cbranch_execnz .LBB76_538
.LBB76_322:
	s_or_b64 exec, exec, s[24:25]
	v_mov_b32_e32 v7, 0
	s_and_saveexec_b64 s[24:25], s[4:5]
.LBB76_323:
	v_lshrrev_b32_e32 v4, 8, v4
	s_movk_i32 s4, 0x80
	v_and_or_b32 v7, v4, s4, v5
.LBB76_324:
	s_or_b64 exec, exec, s[24:25]
.LBB76_325:
	s_or_b64 exec, exec, s[2:3]
	global_store_byte v[0:1], v7, off
.LBB76_326:
	s_mov_b64 s[2:3], -1
.LBB76_327:
	s_mov_b64 s[4:5], 0
.LBB76_328:
	s_and_b64 vcc, exec, s[4:5]
	s_cbranch_vccz .LBB76_369
; %bb.329:
	s_cmp_gt_i32 s29, 22
	s_mov_b64 s[4:5], -1
	s_cbranch_scc0 .LBB76_361
; %bb.330:
	s_cmp_lt_i32 s29, 24
	s_mov_b64 s[2:3], -1
	s_cbranch_scc1 .LBB76_350
; %bb.331:
	s_cmp_gt_i32 s29, 24
	s_cbranch_scc0 .LBB76_339
; %bb.332:
	v_lshlrev_b32_e32 v6, 16, v3
	v_and_b32_e32 v5, 0x7fffffff, v6
	s_mov_b32 s2, 0x47800000
	v_cmp_gt_u32_e32 vcc, s2, v5
	v_mov_b32_e32 v7, 0x80
	s_and_saveexec_b64 s[2:3], vcc
	s_cbranch_execz .LBB76_338
; %bb.333:
	s_mov_b32 s4, 0x37ffffff
	v_and_b32_e32 v4, 0xffff, v3
	v_cmp_lt_u32_e32 vcc, s4, v5
	s_mov_b64 s[4:5], 0
                                        ; implicit-def: $vgpr5
	s_and_saveexec_b64 s[24:25], vcc
	s_xor_b64 s[24:25], exec, s[24:25]
	s_cbranch_execz .LBB76_540
; %bb.334:
	v_bfe_u32 v5, v4, 5, 1
	s_mov_b32 s30, 0x88fffff
	v_add3_u32 v5, v6, v5, s30
	s_mov_b64 s[4:5], exec
	v_lshrrev_b32_e32 v5, 21, v5
                                        ; implicit-def: $vgpr6
	s_andn2_saveexec_b64 s[24:25], s[24:25]
	s_cbranch_execnz .LBB76_541
.LBB76_335:
	s_or_b64 exec, exec, s[24:25]
	v_mov_b32_e32 v7, 0
	s_and_saveexec_b64 s[24:25], s[4:5]
.LBB76_336:
	v_lshrrev_b32_e32 v4, 8, v4
	s_movk_i32 s4, 0x80
	v_and_or_b32 v7, v4, s4, v5
.LBB76_337:
	s_or_b64 exec, exec, s[24:25]
.LBB76_338:
	s_or_b64 exec, exec, s[2:3]
	s_mov_b64 s[2:3], 0
	global_store_byte v[0:1], v7, off
.LBB76_339:
	s_and_b64 vcc, exec, s[2:3]
	s_cbranch_vccz .LBB76_349
; %bb.340:
	v_lshlrev_b32_e32 v6, 16, v3
	v_and_b32_e32 v7, 0x7fffffff, v6
	s_mov_b32 s2, 0x43f00000
	v_and_b32_e32 v4, 0xffff, v3
	v_cmp_gt_u32_e32 vcc, s2, v7
                                        ; implicit-def: $vgpr5
	s_and_saveexec_b64 s[2:3], vcc
	s_xor_b64 s[2:3], exec, s[2:3]
	s_cbranch_execz .LBB76_346
; %bb.341:
	s_mov_b32 s4, 0x3c7fffff
	v_cmp_lt_u32_e32 vcc, s4, v7
                                        ; implicit-def: $vgpr5
	s_and_saveexec_b64 s[4:5], vcc
	s_xor_b64 s[4:5], exec, s[4:5]
; %bb.342:
	v_bfe_u32 v5, v4, 4, 1
	s_mov_b32 s24, 0x407ffff
	v_add3_u32 v5, v6, v5, s24
	v_lshrrev_b32_e32 v6, 20, v5
	v_and_b32_e32 v5, 0xff00000, v5
	s_mov_b32 s24, 0x7f00000
	v_mov_b32_e32 v7, 0x7e
	v_cmp_ne_u32_e32 vcc, s24, v5
	v_cndmask_b32_e32 v5, v7, v6, vcc
                                        ; implicit-def: $vgpr6
; %bb.343:
	s_andn2_saveexec_b64 s[4:5], s[4:5]
; %bb.344:
	s_mov_b32 s24, 0x46800000
	v_add_f32_e64 v5, |v6|, s24
; %bb.345:
	s_or_b64 exec, exec, s[4:5]
                                        ; implicit-def: $vgpr7
.LBB76_346:
	s_andn2_saveexec_b64 s[2:3], s[2:3]
; %bb.347:
	s_mov_b32 s4, 0x7f800000
	v_mov_b32_e32 v5, 0x7e
	v_mov_b32_e32 v6, 0x7f
	v_cmp_lt_u32_e32 vcc, s4, v7
	v_cndmask_b32_e32 v5, v5, v6, vcc
; %bb.348:
	s_or_b64 exec, exec, s[2:3]
	v_lshrrev_b32_e32 v4, 8, v4
	s_movk_i32 s2, 0x80
	v_and_or_b32 v4, v4, s2, v5
	global_store_byte v[0:1], v4, off
.LBB76_349:
	s_mov_b64 s[2:3], 0
.LBB76_350:
	s_andn2_b64 vcc, exec, s[2:3]
	s_cbranch_vccnz .LBB76_360
; %bb.351:
	v_lshlrev_b32_e32 v6, 16, v3
	v_and_b32_e32 v7, 0x7fffffff, v6
	s_mov_b32 s2, 0x47800000
	v_and_b32_e32 v4, 0xffff, v3
	v_cmp_gt_u32_e32 vcc, s2, v7
                                        ; implicit-def: $vgpr5
	s_and_saveexec_b64 s[2:3], vcc
	s_xor_b64 s[2:3], exec, s[2:3]
	s_cbranch_execz .LBB76_357
; %bb.352:
	s_mov_b32 s4, 0x387fffff
	v_cmp_lt_u32_e32 vcc, s4, v7
                                        ; implicit-def: $vgpr5
	s_and_saveexec_b64 s[4:5], vcc
	s_xor_b64 s[4:5], exec, s[4:5]
; %bb.353:
	v_bfe_u32 v5, v4, 5, 1
	s_mov_b32 s24, 0x80fffff
	v_add3_u32 v5, v6, v5, s24
	v_lshrrev_b32_e32 v5, 21, v5
                                        ; implicit-def: $vgpr6
; %bb.354:
	s_andn2_saveexec_b64 s[4:5], s[4:5]
; %bb.355:
	s_mov_b32 s24, 0x43000000
	v_add_f32_e64 v5, |v6|, s24
; %bb.356:
	s_or_b64 exec, exec, s[4:5]
                                        ; implicit-def: $vgpr7
.LBB76_357:
	s_andn2_saveexec_b64 s[2:3], s[2:3]
; %bb.358:
	s_mov_b32 s4, 0x7f800000
	v_mov_b32_e32 v5, 0x7c
	v_mov_b32_e32 v6, 0x7f
	v_cmp_lt_u32_e32 vcc, s4, v7
	v_cndmask_b32_e32 v5, v5, v6, vcc
; %bb.359:
	s_or_b64 exec, exec, s[2:3]
	v_lshrrev_b32_e32 v4, 8, v4
	s_movk_i32 s2, 0x80
	v_and_or_b32 v4, v4, s2, v5
	global_store_byte v[0:1], v4, off
.LBB76_360:
	s_mov_b64 s[4:5], 0
	s_mov_b64 s[2:3], -1
.LBB76_361:
	s_andn2_b64 vcc, exec, s[4:5]
	s_cbranch_vccnz .LBB76_369
; %bb.362:
	s_cmp_gt_i32 s29, 14
	s_mov_b64 s[4:5], -1
	s_cbranch_scc0 .LBB76_366
; %bb.363:
	s_cmp_eq_u32 s29, 15
	s_mov_b64 s[0:1], -1
	s_cbranch_scc0 .LBB76_365
; %bb.364:
	global_store_short v[0:1], v3, off
	s_mov_b64 s[2:3], -1
	s_mov_b64 s[0:1], 0
.LBB76_365:
	s_mov_b64 s[4:5], 0
.LBB76_366:
	s_and_b64 vcc, exec, s[4:5]
	s_cbranch_vccz .LBB76_369
; %bb.367:
	s_cmp_eq_u32 s29, 11
	s_mov_b64 s[0:1], -1
	s_cbranch_scc0 .LBB76_369
; %bb.368:
	v_and_b32_e32 v4, 0x7fff, v3
	v_cmp_ne_u16_e32 vcc, 0, v4
	v_cndmask_b32_e64 v4, 0, 1, vcc
	s_mov_b64 s[2:3], -1
	s_mov_b64 s[0:1], 0
	global_store_byte v[0:1], v4, off
.LBB76_369:
	s_mov_b64 s[4:5], 0
.LBB76_370:
	s_and_b64 vcc, exec, s[4:5]
	s_cbranch_vccz .LBB76_409
; %bb.371:
	s_and_b32 s4, 0xffff, s28
	s_cmp_lt_i32 s4, 5
	s_mov_b64 s[2:3], -1
	s_cbranch_scc1 .LBB76_392
; %bb.372:
	s_cmp_lt_i32 s4, 8
	s_cbranch_scc1 .LBB76_382
; %bb.373:
	s_cmp_lt_i32 s4, 9
	s_cbranch_scc1 .LBB76_379
; %bb.374:
	s_cmp_gt_i32 s4, 9
	s_cbranch_scc0 .LBB76_376
; %bb.375:
	v_lshlrev_b32_e32 v4, 16, v3
	v_cvt_f64_f32_e32 v[4:5], v4
	v_mov_b32_e32 v6, 0
	v_mov_b32_e32 v7, v6
	s_mov_b64 s[2:3], 0
	global_store_dwordx4 v[0:1], v[4:7], off
.LBB76_376:
	s_andn2_b64 vcc, exec, s[2:3]
	s_cbranch_vccnz .LBB76_378
; %bb.377:
	v_lshlrev_b32_e32 v4, 16, v3
	v_mov_b32_e32 v5, 0
	global_store_dwordx2 v[0:1], v[4:5], off
.LBB76_378:
	s_mov_b64 s[2:3], 0
.LBB76_379:
	s_andn2_b64 vcc, exec, s[2:3]
	s_cbranch_vccnz .LBB76_381
; %bb.380:
	v_lshlrev_b32_e32 v4, 16, v3
	v_cvt_f16_f32_e32 v4, v4
	global_store_dword v[0:1], v4, off
.LBB76_381:
	s_mov_b64 s[2:3], 0
.LBB76_382:
	s_andn2_b64 vcc, exec, s[2:3]
	s_cbranch_vccnz .LBB76_391
; %bb.383:
	s_cmp_lt_i32 s4, 6
	s_mov_b64 s[2:3], -1
	s_cbranch_scc1 .LBB76_389
; %bb.384:
	s_cmp_gt_i32 s4, 6
	s_cbranch_scc0 .LBB76_386
; %bb.385:
	v_lshlrev_b32_e32 v4, 16, v3
	v_cvt_f64_f32_e32 v[4:5], v4
	s_mov_b64 s[2:3], 0
	global_store_dwordx2 v[0:1], v[4:5], off
.LBB76_386:
	s_andn2_b64 vcc, exec, s[2:3]
	s_cbranch_vccnz .LBB76_388
; %bb.387:
	v_lshlrev_b32_e32 v4, 16, v3
	global_store_dword v[0:1], v4, off
.LBB76_388:
	s_mov_b64 s[2:3], 0
.LBB76_389:
	s_andn2_b64 vcc, exec, s[2:3]
	s_cbranch_vccnz .LBB76_391
; %bb.390:
	v_lshlrev_b32_e32 v4, 16, v3
	v_cvt_f16_f32_e32 v4, v4
	global_store_short v[0:1], v4, off
.LBB76_391:
	s_mov_b64 s[2:3], 0
.LBB76_392:
	s_andn2_b64 vcc, exec, s[2:3]
	s_cbranch_vccnz .LBB76_408
; %bb.393:
	s_cmp_lt_i32 s4, 2
	s_mov_b64 s[2:3], -1
	s_cbranch_scc1 .LBB76_403
; %bb.394:
	s_cmp_lt_i32 s4, 3
	s_cbranch_scc1 .LBB76_400
; %bb.395:
	s_cmp_gt_i32 s4, 3
	s_cbranch_scc0 .LBB76_397
; %bb.396:
	v_lshlrev_b32_e32 v4, 16, v3
	v_trunc_f32_e32 v4, v4
	s_mov_b32 s2, 0x2f800000
	v_mul_f32_e64 v5, |v4|, s2
	v_floor_f32_e32 v5, v5
	s_mov_b32 s2, 0xcf800000
	v_cvt_u32_f32_e32 v6, v5
	v_fma_f32 v5, v5, s2, |v4|
	v_cvt_u32_f32_e32 v5, v5
	v_ashrrev_i32_e32 v7, 31, v4
	v_xor_b32_e32 v6, v6, v7
	s_mov_b64 s[2:3], 0
	v_xor_b32_e32 v4, v5, v7
	v_sub_co_u32_e32 v4, vcc, v4, v7
	v_subb_co_u32_e32 v5, vcc, v6, v7, vcc
	global_store_dwordx2 v[0:1], v[4:5], off
.LBB76_397:
	s_andn2_b64 vcc, exec, s[2:3]
	s_cbranch_vccnz .LBB76_399
; %bb.398:
	v_lshlrev_b32_e32 v4, 16, v3
	v_cvt_i32_f32_e32 v4, v4
	global_store_dword v[0:1], v4, off
.LBB76_399:
	s_mov_b64 s[2:3], 0
.LBB76_400:
	s_andn2_b64 vcc, exec, s[2:3]
	s_cbranch_vccnz .LBB76_402
; %bb.401:
	v_lshlrev_b32_e32 v4, 16, v3
	v_cvt_i32_f32_e32 v4, v4
	global_store_short v[0:1], v4, off
.LBB76_402:
	s_mov_b64 s[2:3], 0
.LBB76_403:
	s_andn2_b64 vcc, exec, s[2:3]
	s_cbranch_vccnz .LBB76_408
; %bb.404:
	s_mov_b64 s[2:3], -1
	s_cmp_gt_i32 s4, 0
	v_lshlrev_b32_e32 v3, 16, v3
	s_cbranch_scc0 .LBB76_406
; %bb.405:
	v_cvt_i32_f32_e32 v4, v3
	s_mov_b64 s[2:3], 0
	global_store_byte v[0:1], v4, off
.LBB76_406:
	s_andn2_b64 vcc, exec, s[2:3]
	s_cbranch_vccnz .LBB76_408
; %bb.407:
	v_trunc_f32_e32 v3, v3
	s_mov_b32 s2, 0x2f800000
	v_mul_f32_e64 v4, |v3|, s2
	v_floor_f32_e32 v4, v4
	s_mov_b32 s2, 0xcf800000
	v_fma_f32 v4, v4, s2, |v3|
	v_cvt_u32_f32_e32 v4, v4
	v_ashrrev_i32_e32 v3, 31, v3
	v_xor_b32_e32 v4, v4, v3
	v_sub_u32_e32 v3, v4, v3
	global_store_byte v[0:1], v3, off
.LBB76_408:
	s_mov_b64 s[2:3], -1
.LBB76_409:
	s_andn2_b64 vcc, exec, s[2:3]
	s_cbranch_vccnz .LBB76_411
; %bb.410:
	v_add_u32_e32 v2, 0x80, v2
	s_mov_b64 s[2:3], -1
	s_branch .LBB76_523
.LBB76_411:
	s_mov_b64 s[2:3], 0
                                        ; implicit-def: $vgpr2
	s_branch .LBB76_523
.LBB76_412:
	s_mov_b64 s[22:23], -1
                                        ; implicit-def: $vgpr3
.LBB76_413:
	s_mov_b64 s[2:3], 0
.LBB76_414:
	s_and_b64 vcc, exec, s[2:3]
	s_cbranch_vccz .LBB76_418
; %bb.415:
	s_cmp_eq_u32 s24, 29
	s_cbranch_scc0 .LBB76_417
; %bb.416:
	global_load_dwordx2 v[3:4], v[0:1], off
	s_movk_i32 s2, 0x7fff
	s_mov_b64 s[0:1], -1
	s_mov_b64 s[22:23], 0
	s_waitcnt vmcnt(0)
	v_ffbh_u32_e32 v5, v4
	v_min_u32_e32 v5, 32, v5
	v_lshlrev_b64 v[3:4], v5, v[3:4]
	v_min_u32_e32 v3, 1, v3
	v_or_b32_e32 v3, v4, v3
	v_cvt_f32_u32_e32 v3, v3
	v_sub_u32_e32 v4, 32, v5
	v_ldexp_f32 v3, v3, v4
	v_bfe_u32 v4, v3, 16, 1
	v_add3_u32 v3, v3, v4, s2
	v_lshrrev_b32_e32 v3, 16, v3
	s_branch .LBB76_418
.LBB76_417:
	s_mov_b64 s[22:23], -1
                                        ; implicit-def: $vgpr3
.LBB76_418:
	s_mov_b64 s[2:3], 0
.LBB76_419:
	s_and_b64 vcc, exec, s[2:3]
	s_cbranch_vccz .LBB76_437
; %bb.420:
	s_cmp_lt_i32 s24, 27
	s_cbranch_scc1 .LBB76_423
; %bb.421:
	s_cmp_gt_i32 s24, 27
	s_cbranch_scc0 .LBB76_424
; %bb.422:
	global_load_dword v3, v[0:1], off
	s_movk_i32 s0, 0x7fff
	s_waitcnt vmcnt(0)
	v_cvt_f32_u32_e32 v3, v3
	v_bfe_u32 v4, v3, 16, 1
	v_add3_u32 v3, v3, v4, s0
	v_lshrrev_b32_e32 v3, 16, v3
	s_mov_b64 s[0:1], 0
	s_branch .LBB76_425
.LBB76_423:
	s_mov_b64 s[0:1], -1
                                        ; implicit-def: $vgpr3
	s_branch .LBB76_428
.LBB76_424:
	s_mov_b64 s[0:1], -1
                                        ; implicit-def: $vgpr3
.LBB76_425:
	s_andn2_b64 vcc, exec, s[0:1]
	s_cbranch_vccnz .LBB76_427
; %bb.426:
	global_load_ushort v3, v[0:1], off
	s_movk_i32 s0, 0x7fff
	s_waitcnt vmcnt(0)
	v_cvt_f32_u32_e32 v3, v3
	v_bfe_u32 v4, v3, 16, 1
	v_add3_u32 v3, v3, v4, s0
	v_lshrrev_b32_e32 v3, 16, v3
.LBB76_427:
	s_mov_b64 s[0:1], 0
.LBB76_428:
	s_andn2_b64 vcc, exec, s[0:1]
	s_cbranch_vccnz .LBB76_436
; %bb.429:
	global_load_ubyte v3, v[0:1], off
	s_movk_i32 s0, 0x7f
	s_waitcnt vmcnt(0)
	v_cmp_lt_i16_e32 vcc, s0, v3
	s_mov_b64 s[0:1], 0
	s_and_saveexec_b64 s[2:3], vcc
	s_xor_b64 s[2:3], exec, s[2:3]
	s_cbranch_execz .LBB76_450
; %bb.430:
	s_movk_i32 s0, 0x80
	v_cmp_eq_u16_e32 vcc, s0, v3
	s_mov_b64 s[0:1], -1
	s_and_saveexec_b64 s[4:5], vcc
; %bb.431:
	s_xor_b64 s[0:1], exec, -1
; %bb.432:
	s_or_b64 exec, exec, s[4:5]
	s_and_b64 s[0:1], s[0:1], exec
	s_or_saveexec_b64 s[2:3], s[2:3]
	v_mov_b32_e32 v4, 0x7f800001
	s_xor_b64 exec, exec, s[2:3]
	s_cbranch_execnz .LBB76_451
.LBB76_433:
	s_or_b64 exec, exec, s[2:3]
	s_and_saveexec_b64 s[2:3], s[0:1]
	s_cbranch_execz .LBB76_435
.LBB76_434:
	v_lshlrev_b32_e32 v4, 24, v3
	v_and_b32_e32 v3, 0xffff, v3
	v_and_b32_e32 v5, 7, v3
	v_ffbh_u32_e32 v7, v5
	v_min_u32_e32 v7, 32, v7
	v_subrev_u32_e32 v8, 28, v7
	v_bfe_u32 v6, v3, 3, 4
	v_lshlrev_b32_e32 v3, v8, v3
	v_sub_u32_e32 v7, 29, v7
	v_and_b32_e32 v3, 7, v3
	v_cmp_eq_u32_e32 vcc, 0, v6
	v_cndmask_b32_e32 v6, v6, v7, vcc
	v_cndmask_b32_e32 v3, v5, v3, vcc
	v_mov_b32_e32 v5, 0x3b800000
	v_lshlrev_b32_e32 v3, 20, v3
	v_and_b32_e32 v4, 0x80000000, v4
	v_lshl_add_u32 v5, v6, 23, v5
	v_or3_b32 v4, v4, v5, v3
.LBB76_435:
	s_or_b64 exec, exec, s[2:3]
	v_bfe_u32 v3, v4, 16, 1
	s_movk_i32 s0, 0x7fff
	v_add3_u32 v3, v4, v3, s0
	v_cmp_o_f32_e32 vcc, v4, v4
	v_mov_b32_e32 v4, 0x7fc0
	v_cndmask_b32_sdwa v3, v4, v3, vcc dst_sel:DWORD dst_unused:UNUSED_PAD src0_sel:DWORD src1_sel:WORD_1
.LBB76_436:
	s_mov_b64 s[0:1], -1
.LBB76_437:
	s_mov_b64 s[2:3], 0
.LBB76_438:
	s_and_b64 vcc, exec, s[2:3]
	s_cbranch_vccz .LBB76_473
; %bb.439:
	s_cmp_gt_i32 s24, 22
	s_cbranch_scc0 .LBB76_449
; %bb.440:
	s_cmp_lt_i32 s24, 24
	s_cbranch_scc1 .LBB76_452
; %bb.441:
	s_cmp_gt_i32 s24, 24
	s_cbranch_scc0 .LBB76_453
; %bb.442:
	global_load_ubyte v3, v[0:1], off
	s_movk_i32 s0, 0x7f
	s_waitcnt vmcnt(0)
	v_cmp_lt_i16_e32 vcc, s0, v3
	s_mov_b64 s[0:1], 0
	s_and_saveexec_b64 s[2:3], vcc
	s_xor_b64 s[2:3], exec, s[2:3]
	s_cbranch_execz .LBB76_465
; %bb.443:
	s_movk_i32 s0, 0x80
	v_cmp_eq_u16_e32 vcc, s0, v3
	s_mov_b64 s[0:1], -1
	s_and_saveexec_b64 s[4:5], vcc
; %bb.444:
	s_xor_b64 s[0:1], exec, -1
; %bb.445:
	s_or_b64 exec, exec, s[4:5]
	s_and_b64 s[0:1], s[0:1], exec
	s_or_saveexec_b64 s[2:3], s[2:3]
	v_mov_b32_e32 v4, 0x7f800001
	s_xor_b64 exec, exec, s[2:3]
	s_cbranch_execnz .LBB76_466
.LBB76_446:
	s_or_b64 exec, exec, s[2:3]
	s_and_saveexec_b64 s[2:3], s[0:1]
	s_cbranch_execz .LBB76_448
.LBB76_447:
	v_lshlrev_b32_e32 v4, 24, v3
	v_and_b32_e32 v3, 0xffff, v3
	v_and_b32_e32 v5, 3, v3
	v_ffbh_u32_e32 v7, v5
	v_min_u32_e32 v7, 32, v7
	v_subrev_u32_e32 v8, 29, v7
	v_bfe_u32 v6, v3, 2, 5
	v_lshlrev_b32_e32 v3, v8, v3
	v_sub_u32_e32 v7, 30, v7
	v_and_b32_e32 v3, 3, v3
	v_cmp_eq_u32_e32 vcc, 0, v6
	v_cndmask_b32_e32 v6, v6, v7, vcc
	v_cndmask_b32_e32 v3, v5, v3, vcc
	v_mov_b32_e32 v5, 0x37800000
	v_lshlrev_b32_e32 v3, 21, v3
	v_and_b32_e32 v4, 0x80000000, v4
	v_lshl_add_u32 v5, v6, 23, v5
	v_or3_b32 v4, v4, v5, v3
.LBB76_448:
	s_or_b64 exec, exec, s[2:3]
	v_bfe_u32 v3, v4, 16, 1
	s_movk_i32 s0, 0x7fff
	v_add3_u32 v3, v4, v3, s0
	v_cmp_o_f32_e32 vcc, v4, v4
	v_mov_b32_e32 v4, 0x7fc0
	v_cndmask_b32_sdwa v3, v4, v3, vcc dst_sel:DWORD dst_unused:UNUSED_PAD src0_sel:DWORD src1_sel:WORD_1
	s_mov_b64 s[0:1], 0
	s_branch .LBB76_454
.LBB76_449:
	s_mov_b64 s[2:3], -1
                                        ; implicit-def: $vgpr3
	s_branch .LBB76_460
.LBB76_450:
	s_or_saveexec_b64 s[2:3], s[2:3]
	v_mov_b32_e32 v4, 0x7f800001
	s_xor_b64 exec, exec, s[2:3]
	s_cbranch_execz .LBB76_433
.LBB76_451:
	v_cmp_ne_u16_e32 vcc, 0, v3
	s_andn2_b64 s[0:1], s[0:1], exec
	s_and_b64 s[4:5], vcc, exec
	v_mov_b32_e32 v4, 0
	s_or_b64 s[0:1], s[0:1], s[4:5]
	s_or_b64 exec, exec, s[2:3]
	s_and_saveexec_b64 s[2:3], s[0:1]
	s_cbranch_execnz .LBB76_434
	s_branch .LBB76_435
.LBB76_452:
	s_mov_b64 s[0:1], -1
                                        ; implicit-def: $vgpr3
	s_branch .LBB76_457
.LBB76_453:
	s_mov_b64 s[0:1], -1
                                        ; implicit-def: $vgpr3
.LBB76_454:
	s_and_b64 vcc, exec, s[0:1]
	s_cbranch_vccz .LBB76_456
; %bb.455:
	global_load_ubyte v3, v[0:1], off
	s_mov_b32 s0, 0x7f800000
	s_brev_b32 s1, 1
	s_movk_i32 s2, 0x7fff
	s_waitcnt vmcnt(0)
	v_lshlrev_b32_e32 v3, 24, v3
	v_and_b32_e32 v4, 0x7f000000, v3
	v_ffbh_u32_e32 v5, v4
	v_min_u32_e32 v5, 32, v5
	v_sub_u32_e64 v5, v5, 4 clamp
	v_lshlrev_b32_e32 v7, v5, v4
	v_lshlrev_b32_e32 v5, 23, v5
	v_lshrrev_b32_e32 v7, 4, v7
	v_add_u32_e32 v6, 0x1000000, v4
	v_sub_u32_e32 v5, v7, v5
	v_ashrrev_i32_e32 v6, 8, v6
	v_add_u32_e32 v5, 0x3c000000, v5
	v_and_or_b32 v5, v6, s0, v5
	v_cmp_ne_u32_e32 vcc, 0, v4
	v_cndmask_b32_e32 v4, 0, v5, vcc
	v_and_or_b32 v3, v3, s1, v4
	v_bfe_u32 v4, v4, 16, 1
	v_add3_u32 v4, v3, v4, s2
	v_cmp_o_f32_e32 vcc, v3, v3
	v_mov_b32_e32 v3, 0x7fc0
	v_cndmask_b32_sdwa v3, v3, v4, vcc dst_sel:DWORD dst_unused:UNUSED_PAD src0_sel:DWORD src1_sel:WORD_1
.LBB76_456:
	s_mov_b64 s[0:1], 0
.LBB76_457:
	s_andn2_b64 vcc, exec, s[0:1]
	s_cbranch_vccnz .LBB76_459
; %bb.458:
	global_load_ubyte v3, v[0:1], off
	s_movk_i32 s0, 0x7f00
	s_brev_b32 s1, 16
	s_brev_b32 s2, 1
	s_movk_i32 s3, 0x7fff
	s_waitcnt vmcnt(0)
	v_lshlrev_b16_e32 v4, 8, v3
	v_lshlrev_b32_e32 v3, 25, v3
	v_lshrrev_b32_e32 v5, 4, v3
	v_and_or_b32 v6, v4, s0, 0.5
	v_or_b32_e32 v5, 0x70000000, v5
	v_add_f32_e32 v6, -0.5, v6
	v_mul_f32_e32 v5, 0x7800000, v5
	v_cmp_gt_u32_e32 vcc, s1, v3
	v_bfe_i32 v4, v4, 0, 16
	v_cndmask_b32_e32 v3, v5, v6, vcc
	v_and_or_b32 v4, v4, s2, v3
	v_bfe_u32 v3, v3, 16, 1
	v_add3_u32 v3, v4, v3, s3
	v_cmp_o_f32_e32 vcc, v4, v4
	v_mov_b32_e32 v4, 0x7fc0
	v_cndmask_b32_sdwa v3, v4, v3, vcc dst_sel:DWORD dst_unused:UNUSED_PAD src0_sel:DWORD src1_sel:WORD_1
.LBB76_459:
	s_mov_b64 s[2:3], 0
	s_mov_b64 s[0:1], -1
.LBB76_460:
	s_andn2_b64 vcc, exec, s[2:3]
	s_cbranch_vccnz .LBB76_473
; %bb.461:
	s_cmp_gt_i32 s24, 14
	s_cbranch_scc0 .LBB76_464
; %bb.462:
	s_cmp_eq_u32 s24, 15
	s_cbranch_scc0 .LBB76_467
; %bb.463:
	global_load_ushort v3, v[0:1], off
	s_mov_b64 s[0:1], -1
	s_mov_b64 s[22:23], 0
	s_branch .LBB76_468
.LBB76_464:
	s_mov_b64 s[2:3], -1
                                        ; implicit-def: $vgpr3
	s_branch .LBB76_469
.LBB76_465:
	s_or_saveexec_b64 s[2:3], s[2:3]
	v_mov_b32_e32 v4, 0x7f800001
	s_xor_b64 exec, exec, s[2:3]
	s_cbranch_execz .LBB76_446
.LBB76_466:
	v_cmp_ne_u16_e32 vcc, 0, v3
	s_andn2_b64 s[0:1], s[0:1], exec
	s_and_b64 s[4:5], vcc, exec
	v_mov_b32_e32 v4, 0
	s_or_b64 s[0:1], s[0:1], s[4:5]
	s_or_b64 exec, exec, s[2:3]
	s_and_saveexec_b64 s[2:3], s[0:1]
	s_cbranch_execnz .LBB76_447
	s_branch .LBB76_448
.LBB76_467:
	s_mov_b64 s[22:23], -1
                                        ; implicit-def: $vgpr3
.LBB76_468:
	s_mov_b64 s[2:3], 0
.LBB76_469:
	s_and_b64 vcc, exec, s[2:3]
	s_cbranch_vccz .LBB76_473
; %bb.470:
	s_cmp_eq_u32 s24, 11
	s_cbranch_scc0 .LBB76_472
; %bb.471:
	global_load_ubyte v3, v[0:1], off
	s_mov_b64 s[0:1], -1
	s_mov_b64 s[22:23], 0
	s_waitcnt vmcnt(0)
	v_cmp_ne_u16_e32 vcc, 0, v3
	v_cndmask_b32_e64 v3, 0, 1.0, vcc
	v_lshrrev_b32_e32 v3, 16, v3
	s_branch .LBB76_473
.LBB76_472:
	s_mov_b64 s[22:23], -1
                                        ; implicit-def: $vgpr3
.LBB76_473:
	s_branch .LBB76_270
.LBB76_474:
	s_cmp_lt_i32 s24, 5
	s_cbranch_scc1 .LBB76_479
; %bb.475:
	s_cmp_lt_i32 s24, 8
	s_cbranch_scc1 .LBB76_480
; %bb.476:
	;; [unrolled: 3-line block ×3, first 2 shown]
	s_cmp_gt_i32 s24, 9
	s_cbranch_scc0 .LBB76_482
; %bb.478:
	global_load_dwordx2 v[3:4], v[0:1], off
	s_movk_i32 s0, 0x7fff
	s_waitcnt vmcnt(0)
	v_cvt_f32_f64_e32 v3, v[3:4]
	v_mov_b32_e32 v4, 0x7fc0
	v_bfe_u32 v5, v3, 16, 1
	v_cmp_o_f32_e32 vcc, v3, v3
	v_add3_u32 v3, v3, v5, s0
	v_cndmask_b32_sdwa v3, v4, v3, vcc dst_sel:DWORD dst_unused:UNUSED_PAD src0_sel:DWORD src1_sel:WORD_1
	s_mov_b64 s[0:1], 0
	s_branch .LBB76_483
.LBB76_479:
	s_mov_b64 s[0:1], -1
                                        ; implicit-def: $vgpr3
	s_branch .LBB76_501
.LBB76_480:
	s_mov_b64 s[0:1], -1
                                        ; implicit-def: $vgpr3
	s_branch .LBB76_489
.LBB76_481:
	s_mov_b64 s[0:1], -1
                                        ; implicit-def: $vgpr3
	s_branch .LBB76_486
.LBB76_482:
	s_mov_b64 s[0:1], -1
                                        ; implicit-def: $vgpr3
.LBB76_483:
	s_andn2_b64 vcc, exec, s[0:1]
	s_cbranch_vccnz .LBB76_485
; %bb.484:
	global_load_dword v3, v[0:1], off
	s_movk_i32 s0, 0x7fff
	v_mov_b32_e32 v4, 0x7fc0
	s_waitcnt vmcnt(0)
	v_bfe_u32 v5, v3, 16, 1
	v_cmp_o_f32_e32 vcc, v3, v3
	v_add3_u32 v3, v3, v5, s0
	v_cndmask_b32_sdwa v3, v4, v3, vcc dst_sel:DWORD dst_unused:UNUSED_PAD src0_sel:DWORD src1_sel:WORD_1
.LBB76_485:
	s_mov_b64 s[0:1], 0
.LBB76_486:
	s_andn2_b64 vcc, exec, s[0:1]
	s_cbranch_vccnz .LBB76_488
; %bb.487:
	global_load_dword v3, v[0:1], off
	s_movk_i32 s0, 0x7fff
	v_mov_b32_e32 v5, 0x7fc0
	s_waitcnt vmcnt(0)
	v_cvt_f32_f16_e32 v4, v3
	v_cmp_o_f16_e32 vcc, v3, v3
	v_bfe_u32 v3, v4, 16, 1
	v_add3_u32 v3, v4, v3, s0
	v_cndmask_b32_sdwa v3, v5, v3, vcc dst_sel:DWORD dst_unused:UNUSED_PAD src0_sel:DWORD src1_sel:WORD_1
.LBB76_488:
	s_mov_b64 s[0:1], 0
.LBB76_489:
	s_andn2_b64 vcc, exec, s[0:1]
	s_cbranch_vccnz .LBB76_500
; %bb.490:
	s_cmp_lt_i32 s24, 6
	s_cbranch_scc1 .LBB76_493
; %bb.491:
	s_cmp_gt_i32 s24, 6
	s_cbranch_scc0 .LBB76_494
; %bb.492:
	global_load_dwordx2 v[3:4], v[0:1], off
	s_movk_i32 s0, 0x7fff
	s_waitcnt vmcnt(0)
	v_cvt_f32_f64_e32 v3, v[3:4]
	v_mov_b32_e32 v4, 0x7fc0
	v_bfe_u32 v5, v3, 16, 1
	v_cmp_o_f32_e32 vcc, v3, v3
	v_add3_u32 v3, v3, v5, s0
	v_cndmask_b32_sdwa v3, v4, v3, vcc dst_sel:DWORD dst_unused:UNUSED_PAD src0_sel:DWORD src1_sel:WORD_1
	s_mov_b64 s[0:1], 0
	s_branch .LBB76_495
.LBB76_493:
	s_mov_b64 s[0:1], -1
                                        ; implicit-def: $vgpr3
	s_branch .LBB76_498
.LBB76_494:
	s_mov_b64 s[0:1], -1
                                        ; implicit-def: $vgpr3
.LBB76_495:
	s_andn2_b64 vcc, exec, s[0:1]
	s_cbranch_vccnz .LBB76_497
; %bb.496:
	global_load_dword v3, v[0:1], off
	s_movk_i32 s0, 0x7fff
	v_mov_b32_e32 v4, 0x7fc0
	s_waitcnt vmcnt(0)
	v_bfe_u32 v5, v3, 16, 1
	v_cmp_o_f32_e32 vcc, v3, v3
	v_add3_u32 v3, v3, v5, s0
	v_cndmask_b32_sdwa v3, v4, v3, vcc dst_sel:DWORD dst_unused:UNUSED_PAD src0_sel:DWORD src1_sel:WORD_1
.LBB76_497:
	s_mov_b64 s[0:1], 0
.LBB76_498:
	s_andn2_b64 vcc, exec, s[0:1]
	s_cbranch_vccnz .LBB76_500
; %bb.499:
	global_load_ushort v3, v[0:1], off
	s_movk_i32 s0, 0x7fff
	v_mov_b32_e32 v5, 0x7fc0
	s_waitcnt vmcnt(0)
	v_cvt_f32_f16_e32 v4, v3
	v_cmp_o_f16_e32 vcc, v3, v3
	v_bfe_u32 v3, v4, 16, 1
	v_add3_u32 v3, v4, v3, s0
	v_cndmask_b32_sdwa v3, v5, v3, vcc dst_sel:DWORD dst_unused:UNUSED_PAD src0_sel:DWORD src1_sel:WORD_1
.LBB76_500:
	s_mov_b64 s[0:1], 0
.LBB76_501:
	s_andn2_b64 vcc, exec, s[0:1]
	s_cbranch_vccnz .LBB76_521
; %bb.502:
	s_cmp_lt_i32 s24, 2
	s_cbranch_scc1 .LBB76_506
; %bb.503:
	s_cmp_lt_i32 s24, 3
	s_cbranch_scc1 .LBB76_507
; %bb.504:
	s_cmp_gt_i32 s24, 3
	s_cbranch_scc0 .LBB76_508
; %bb.505:
	global_load_dwordx2 v[3:4], v[0:1], off
	s_movk_i32 s0, 0x7fff
	s_waitcnt vmcnt(0)
	v_xor_b32_e32 v6, v3, v4
	v_ffbh_i32_e32 v5, v4
	v_ashrrev_i32_e32 v6, 31, v6
	v_add_u32_e32 v5, -1, v5
	v_add_u32_e32 v6, 32, v6
	v_min_u32_e32 v5, v5, v6
	v_lshlrev_b64 v[3:4], v5, v[3:4]
	v_min_u32_e32 v3, 1, v3
	v_or_b32_e32 v3, v4, v3
	v_cvt_f32_i32_e32 v3, v3
	v_sub_u32_e32 v4, 32, v5
	v_ldexp_f32 v3, v3, v4
	v_bfe_u32 v4, v3, 16, 1
	v_add3_u32 v3, v3, v4, s0
	v_lshrrev_b32_e32 v3, 16, v3
	s_mov_b64 s[0:1], 0
	s_branch .LBB76_509
.LBB76_506:
	s_mov_b64 s[0:1], -1
                                        ; implicit-def: $vgpr3
	s_branch .LBB76_515
.LBB76_507:
	s_mov_b64 s[0:1], -1
                                        ; implicit-def: $vgpr3
	s_branch .LBB76_512
.LBB76_508:
	s_mov_b64 s[0:1], -1
                                        ; implicit-def: $vgpr3
.LBB76_509:
	s_andn2_b64 vcc, exec, s[0:1]
	s_cbranch_vccnz .LBB76_511
; %bb.510:
	global_load_dword v3, v[0:1], off
	s_movk_i32 s0, 0x7fff
	s_waitcnt vmcnt(0)
	v_cvt_f32_i32_e32 v3, v3
	v_bfe_u32 v4, v3, 16, 1
	v_add3_u32 v3, v3, v4, s0
	v_lshrrev_b32_e32 v3, 16, v3
.LBB76_511:
	s_mov_b64 s[0:1], 0
.LBB76_512:
	s_andn2_b64 vcc, exec, s[0:1]
	s_cbranch_vccnz .LBB76_514
; %bb.513:
	global_load_sshort v3, v[0:1], off
	s_movk_i32 s0, 0x7fff
	s_waitcnt vmcnt(0)
	v_cvt_f32_i32_e32 v3, v3
	v_bfe_u32 v4, v3, 16, 1
	v_add3_u32 v3, v3, v4, s0
	v_lshrrev_b32_e32 v3, 16, v3
.LBB76_514:
	s_mov_b64 s[0:1], 0
.LBB76_515:
	s_andn2_b64 vcc, exec, s[0:1]
	s_cbranch_vccnz .LBB76_521
; %bb.516:
	s_cmp_gt_i32 s24, 0
	s_cbranch_scc0 .LBB76_518
; %bb.517:
	global_load_sbyte v3, v[0:1], off
	s_movk_i32 s0, 0x7fff
	s_waitcnt vmcnt(0)
	v_cvt_f32_i32_e32 v3, v3
	v_bfe_u32 v4, v3, 16, 1
	v_add3_u32 v3, v3, v4, s0
	v_lshrrev_b32_e32 v3, 16, v3
	s_mov_b64 s[0:1], 0
	s_branch .LBB76_519
.LBB76_518:
	s_mov_b64 s[0:1], -1
                                        ; implicit-def: $vgpr3
.LBB76_519:
	s_andn2_b64 vcc, exec, s[0:1]
	s_cbranch_vccnz .LBB76_521
; %bb.520:
	global_load_ubyte v0, v[0:1], off
	s_movk_i32 s0, 0x7fff
	s_waitcnt vmcnt(0)
	v_cvt_f32_ubyte0_e32 v0, v0
	v_bfe_u32 v1, v0, 16, 1
	v_add3_u32 v0, v0, v1, s0
	v_lshrrev_b32_e32 v3, 16, v0
.LBB76_521:
	s_branch .LBB76_271
.LBB76_522:
	s_mov_b64 s[2:3], 0
                                        ; implicit-def: $vgpr2
	s_mov_b64 s[0:1], s[6:7]
.LBB76_523:
	s_andn2_b64 s[4:5], s[6:7], exec
	s_and_b64 s[0:1], s[0:1], exec
	s_or_b64 s[24:25], s[4:5], s[0:1]
	s_andn2_b64 s[0:1], s[18:19], exec
	s_and_b64 s[4:5], s[22:23], exec
	s_or_b64 s[22:23], s[0:1], s[4:5]
	s_orn2_b64 s[0:1], s[2:3], exec
.LBB76_524:
	s_or_b64 exec, exec, s[26:27]
	s_mov_b64 s[2:3], 0
	s_mov_b64 s[4:5], 0
	;; [unrolled: 1-line block ×3, first 2 shown]
                                        ; implicit-def: $vgpr0_vgpr1
                                        ; implicit-def: $vgpr4
	s_and_saveexec_b64 s[26:27], s[0:1]
	s_cbranch_execz .LBB76_875
; %bb.525:
	v_cmp_gt_i32_e32 vcc, s38, v2
	s_mov_b64 s[34:35], -1
	s_mov_b64 s[0:1], s[22:23]
	s_mov_b64 s[2:3], s[24:25]
	s_and_saveexec_b64 s[28:29], vcc
	s_cbranch_execz .LBB76_789
; %bb.526:
	v_mul_lo_u32 v0, v2, s13
	v_mov_b32_e32 v1, s11
	s_and_b32 s34, 0xffff, s42
	s_cmp_lt_i32 s34, 11
	s_waitcnt vmcnt(0)
	v_ashrrev_i32_e32 v3, 31, v0
	v_add_co_u32_e32 v0, vcc, s10, v0
	v_addc_co_u32_e32 v1, vcc, v1, v3, vcc
	s_cbranch_scc1 .LBB76_533
; %bb.527:
	s_cmp_gt_i32 s34, 25
	s_cbranch_scc0 .LBB76_534
; %bb.528:
	s_cmp_gt_i32 s34, 28
	s_cbranch_scc0 .LBB76_535
	;; [unrolled: 3-line block ×4, first 2 shown]
; %bb.531:
	s_cmp_eq_u32 s34, 46
	s_mov_b64 s[2:3], 0
	s_cbranch_scc0 .LBB76_542
; %bb.532:
	global_load_dword v3, v[0:1], off
	s_mov_b64 s[0:1], -1
	s_mov_b64 s[30:31], 0
	s_branch .LBB76_543
.LBB76_533:
	s_mov_b64 s[2:3], -1
	s_mov_b64 s[0:1], 0
                                        ; implicit-def: $vgpr3
	s_mov_b64 s[30:31], s[22:23]
	s_branch .LBB76_608
.LBB76_534:
	s_mov_b64 s[2:3], -1
	s_mov_b64 s[0:1], 0
	s_mov_b64 s[30:31], s[22:23]
                                        ; implicit-def: $vgpr3
	s_branch .LBB76_572
.LBB76_535:
	s_mov_b64 s[2:3], -1
	s_mov_b64 s[0:1], 0
	s_mov_b64 s[30:31], s[22:23]
                                        ; implicit-def: $vgpr3
	s_branch .LBB76_553
.LBB76_536:
	s_mov_b64 s[2:3], -1
	s_mov_b64 s[0:1], 0
	s_mov_b64 s[30:31], s[22:23]
                                        ; implicit-def: $vgpr3
	s_branch .LBB76_548
.LBB76_537:
	s_andn2_saveexec_b64 s[24:25], s[24:25]
	s_cbranch_execz .LBB76_322
.LBB76_538:
	s_mov_b32 s30, 0x46000000
	v_add_f32_e64 v5, |v6|, s30
	v_and_b32_e32 v5, 0xff, v5
	v_cmp_ne_u32_e32 vcc, 0, v5
	s_andn2_b64 s[4:5], s[4:5], exec
	s_and_b64 s[30:31], vcc, exec
	s_or_b64 s[4:5], s[4:5], s[30:31]
	s_or_b64 exec, exec, s[24:25]
	v_mov_b32_e32 v7, 0
	s_and_saveexec_b64 s[24:25], s[4:5]
	s_cbranch_execnz .LBB76_323
	s_branch .LBB76_324
.LBB76_539:
	s_mov_b64 s[2:3], -1
	s_mov_b64 s[0:1], 0
	s_mov_b64 s[30:31], s[22:23]
                                        ; implicit-def: $vgpr3
	s_branch .LBB76_543
.LBB76_540:
	s_andn2_saveexec_b64 s[24:25], s[24:25]
	s_cbranch_execz .LBB76_335
.LBB76_541:
	s_mov_b32 s30, 0x42800000
	v_add_f32_e64 v5, |v6|, s30
	v_and_b32_e32 v5, 0xff, v5
	v_cmp_ne_u32_e32 vcc, 0, v5
	s_andn2_b64 s[4:5], s[4:5], exec
	s_and_b64 s[30:31], vcc, exec
	s_or_b64 s[4:5], s[4:5], s[30:31]
	s_or_b64 exec, exec, s[24:25]
	v_mov_b32_e32 v7, 0
	s_and_saveexec_b64 s[24:25], s[4:5]
	s_cbranch_execnz .LBB76_336
	s_branch .LBB76_337
.LBB76_542:
	s_mov_b64 s[30:31], -1
                                        ; implicit-def: $vgpr3
	s_mov_b64 s[0:1], 0
.LBB76_543:
	s_and_b64 vcc, exec, s[2:3]
	s_cbranch_vccz .LBB76_547
; %bb.544:
	s_cmp_eq_u32 s34, 44
	s_cbranch_scc0 .LBB76_546
; %bb.545:
	global_load_ubyte v3, v[0:1], off
	s_movk_i32 s2, 0xff
	v_mov_b32_e32 v4, 0x7f800001
	v_mov_b32_e32 v5, 0x400000
	;; [unrolled: 1-line block ×3, first 2 shown]
	s_mov_b64 s[0:1], -1
	s_mov_b64 s[30:31], 0
	s_waitcnt vmcnt(0)
	v_lshlrev_b32_e32 v7, 23, v3
	v_cmp_ne_u32_e32 vcc, s2, v3
	v_cndmask_b32_e32 v4, v4, v7, vcc
	v_cmp_ne_u32_e32 vcc, 0, v3
	v_cndmask_b32_e32 v3, v5, v4, vcc
	v_add_u32_e32 v4, 0x7fff, v3
	v_cmp_o_f32_e32 vcc, v3, v3
	v_cndmask_b32_sdwa v3, v6, v4, vcc dst_sel:DWORD dst_unused:UNUSED_PAD src0_sel:DWORD src1_sel:WORD_1
	s_branch .LBB76_547
.LBB76_546:
	s_mov_b64 s[30:31], -1
                                        ; implicit-def: $vgpr3
.LBB76_547:
	s_mov_b64 s[2:3], 0
.LBB76_548:
	s_and_b64 vcc, exec, s[2:3]
	s_cbranch_vccz .LBB76_552
; %bb.549:
	s_cmp_eq_u32 s34, 29
	s_cbranch_scc0 .LBB76_551
; %bb.550:
	global_load_dwordx2 v[3:4], v[0:1], off
	s_movk_i32 s2, 0x7fff
	s_mov_b64 s[0:1], -1
	s_mov_b64 s[30:31], 0
	s_waitcnt vmcnt(0)
	v_ffbh_u32_e32 v5, v4
	v_min_u32_e32 v5, 32, v5
	v_lshlrev_b64 v[3:4], v5, v[3:4]
	v_min_u32_e32 v3, 1, v3
	v_or_b32_e32 v3, v4, v3
	v_cvt_f32_u32_e32 v3, v3
	v_sub_u32_e32 v4, 32, v5
	v_ldexp_f32 v3, v3, v4
	v_bfe_u32 v4, v3, 16, 1
	v_add3_u32 v3, v3, v4, s2
	v_lshrrev_b32_e32 v3, 16, v3
	s_branch .LBB76_552
.LBB76_551:
	s_mov_b64 s[30:31], -1
                                        ; implicit-def: $vgpr3
.LBB76_552:
	s_mov_b64 s[2:3], 0
.LBB76_553:
	s_and_b64 vcc, exec, s[2:3]
	s_cbranch_vccz .LBB76_571
; %bb.554:
	s_cmp_lt_i32 s34, 27
	s_cbranch_scc1 .LBB76_557
; %bb.555:
	s_cmp_gt_i32 s34, 27
	s_cbranch_scc0 .LBB76_558
; %bb.556:
	global_load_dword v3, v[0:1], off
	s_movk_i32 s0, 0x7fff
	s_waitcnt vmcnt(0)
	v_cvt_f32_u32_e32 v3, v3
	v_bfe_u32 v4, v3, 16, 1
	v_add3_u32 v3, v3, v4, s0
	v_lshrrev_b32_e32 v3, 16, v3
	s_mov_b64 s[0:1], 0
	s_branch .LBB76_559
.LBB76_557:
	s_mov_b64 s[0:1], -1
                                        ; implicit-def: $vgpr3
	s_branch .LBB76_562
.LBB76_558:
	s_mov_b64 s[0:1], -1
                                        ; implicit-def: $vgpr3
.LBB76_559:
	s_andn2_b64 vcc, exec, s[0:1]
	s_cbranch_vccnz .LBB76_561
; %bb.560:
	global_load_ushort v3, v[0:1], off
	s_movk_i32 s0, 0x7fff
	s_waitcnt vmcnt(0)
	v_cvt_f32_u32_e32 v3, v3
	v_bfe_u32 v4, v3, 16, 1
	v_add3_u32 v3, v3, v4, s0
	v_lshrrev_b32_e32 v3, 16, v3
.LBB76_561:
	s_mov_b64 s[0:1], 0
.LBB76_562:
	s_andn2_b64 vcc, exec, s[0:1]
	s_cbranch_vccnz .LBB76_570
; %bb.563:
	global_load_ubyte v3, v[0:1], off
	s_movk_i32 s0, 0x7f
	s_waitcnt vmcnt(0)
	v_cmp_lt_i16_e32 vcc, s0, v3
	s_mov_b64 s[0:1], 0
	s_and_saveexec_b64 s[2:3], vcc
	s_xor_b64 s[2:3], exec, s[2:3]
	s_cbranch_execz .LBB76_584
; %bb.564:
	s_movk_i32 s0, 0x80
	v_cmp_eq_u16_e32 vcc, s0, v3
	s_mov_b64 s[0:1], -1
	s_and_saveexec_b64 s[4:5], vcc
; %bb.565:
	s_xor_b64 s[0:1], exec, -1
; %bb.566:
	s_or_b64 exec, exec, s[4:5]
	s_and_b64 s[0:1], s[0:1], exec
	s_or_saveexec_b64 s[2:3], s[2:3]
	v_mov_b32_e32 v4, 0x7f800001
	s_xor_b64 exec, exec, s[2:3]
	s_cbranch_execnz .LBB76_585
.LBB76_567:
	s_or_b64 exec, exec, s[2:3]
	s_and_saveexec_b64 s[2:3], s[0:1]
	s_cbranch_execz .LBB76_569
.LBB76_568:
	v_lshlrev_b32_e32 v4, 24, v3
	v_and_b32_e32 v3, 0xffff, v3
	v_and_b32_e32 v5, 7, v3
	v_ffbh_u32_e32 v7, v5
	v_min_u32_e32 v7, 32, v7
	v_subrev_u32_e32 v8, 28, v7
	v_bfe_u32 v6, v3, 3, 4
	v_lshlrev_b32_e32 v3, v8, v3
	v_sub_u32_e32 v7, 29, v7
	v_and_b32_e32 v3, 7, v3
	v_cmp_eq_u32_e32 vcc, 0, v6
	v_cndmask_b32_e32 v6, v6, v7, vcc
	v_cndmask_b32_e32 v3, v5, v3, vcc
	v_mov_b32_e32 v5, 0x3b800000
	v_lshlrev_b32_e32 v3, 20, v3
	v_and_b32_e32 v4, 0x80000000, v4
	v_lshl_add_u32 v5, v6, 23, v5
	v_or3_b32 v4, v4, v5, v3
.LBB76_569:
	s_or_b64 exec, exec, s[2:3]
	v_bfe_u32 v3, v4, 16, 1
	s_movk_i32 s0, 0x7fff
	v_add3_u32 v3, v4, v3, s0
	v_cmp_o_f32_e32 vcc, v4, v4
	v_mov_b32_e32 v4, 0x7fc0
	v_cndmask_b32_sdwa v3, v4, v3, vcc dst_sel:DWORD dst_unused:UNUSED_PAD src0_sel:DWORD src1_sel:WORD_1
.LBB76_570:
	s_mov_b64 s[0:1], -1
.LBB76_571:
	s_mov_b64 s[2:3], 0
.LBB76_572:
	s_and_b64 vcc, exec, s[2:3]
	s_cbranch_vccz .LBB76_607
; %bb.573:
	s_cmp_gt_i32 s34, 22
	s_cbranch_scc0 .LBB76_583
; %bb.574:
	s_cmp_lt_i32 s34, 24
	s_cbranch_scc1 .LBB76_586
; %bb.575:
	s_cmp_gt_i32 s34, 24
	s_cbranch_scc0 .LBB76_587
; %bb.576:
	global_load_ubyte v3, v[0:1], off
	s_movk_i32 s0, 0x7f
	s_waitcnt vmcnt(0)
	v_cmp_lt_i16_e32 vcc, s0, v3
	s_mov_b64 s[0:1], 0
	s_and_saveexec_b64 s[2:3], vcc
	s_xor_b64 s[2:3], exec, s[2:3]
	s_cbranch_execz .LBB76_599
; %bb.577:
	s_movk_i32 s0, 0x80
	v_cmp_eq_u16_e32 vcc, s0, v3
	s_mov_b64 s[0:1], -1
	s_and_saveexec_b64 s[4:5], vcc
; %bb.578:
	s_xor_b64 s[0:1], exec, -1
; %bb.579:
	s_or_b64 exec, exec, s[4:5]
	s_and_b64 s[0:1], s[0:1], exec
	s_or_saveexec_b64 s[2:3], s[2:3]
	v_mov_b32_e32 v4, 0x7f800001
	s_xor_b64 exec, exec, s[2:3]
	s_cbranch_execnz .LBB76_600
.LBB76_580:
	s_or_b64 exec, exec, s[2:3]
	s_and_saveexec_b64 s[2:3], s[0:1]
	s_cbranch_execz .LBB76_582
.LBB76_581:
	v_lshlrev_b32_e32 v4, 24, v3
	v_and_b32_e32 v3, 0xffff, v3
	v_and_b32_e32 v5, 3, v3
	v_ffbh_u32_e32 v7, v5
	v_min_u32_e32 v7, 32, v7
	v_subrev_u32_e32 v8, 29, v7
	v_bfe_u32 v6, v3, 2, 5
	v_lshlrev_b32_e32 v3, v8, v3
	v_sub_u32_e32 v7, 30, v7
	v_and_b32_e32 v3, 3, v3
	v_cmp_eq_u32_e32 vcc, 0, v6
	v_cndmask_b32_e32 v6, v6, v7, vcc
	v_cndmask_b32_e32 v3, v5, v3, vcc
	v_mov_b32_e32 v5, 0x37800000
	v_lshlrev_b32_e32 v3, 21, v3
	v_and_b32_e32 v4, 0x80000000, v4
	v_lshl_add_u32 v5, v6, 23, v5
	v_or3_b32 v4, v4, v5, v3
.LBB76_582:
	s_or_b64 exec, exec, s[2:3]
	v_bfe_u32 v3, v4, 16, 1
	s_movk_i32 s0, 0x7fff
	v_add3_u32 v3, v4, v3, s0
	v_cmp_o_f32_e32 vcc, v4, v4
	v_mov_b32_e32 v4, 0x7fc0
	v_cndmask_b32_sdwa v3, v4, v3, vcc dst_sel:DWORD dst_unused:UNUSED_PAD src0_sel:DWORD src1_sel:WORD_1
	s_mov_b64 s[0:1], 0
	s_branch .LBB76_588
.LBB76_583:
	s_mov_b64 s[2:3], -1
                                        ; implicit-def: $vgpr3
	s_branch .LBB76_594
.LBB76_584:
	s_or_saveexec_b64 s[2:3], s[2:3]
	v_mov_b32_e32 v4, 0x7f800001
	s_xor_b64 exec, exec, s[2:3]
	s_cbranch_execz .LBB76_567
.LBB76_585:
	v_cmp_ne_u16_e32 vcc, 0, v3
	s_andn2_b64 s[0:1], s[0:1], exec
	s_and_b64 s[4:5], vcc, exec
	v_mov_b32_e32 v4, 0
	s_or_b64 s[0:1], s[0:1], s[4:5]
	s_or_b64 exec, exec, s[2:3]
	s_and_saveexec_b64 s[2:3], s[0:1]
	s_cbranch_execnz .LBB76_568
	s_branch .LBB76_569
.LBB76_586:
	s_mov_b64 s[0:1], -1
                                        ; implicit-def: $vgpr3
	s_branch .LBB76_591
.LBB76_587:
	s_mov_b64 s[0:1], -1
                                        ; implicit-def: $vgpr3
.LBB76_588:
	s_and_b64 vcc, exec, s[0:1]
	s_cbranch_vccz .LBB76_590
; %bb.589:
	global_load_ubyte v3, v[0:1], off
	s_mov_b32 s0, 0x7f800000
	s_brev_b32 s1, 1
	s_movk_i32 s2, 0x7fff
	s_waitcnt vmcnt(0)
	v_lshlrev_b32_e32 v3, 24, v3
	v_and_b32_e32 v4, 0x7f000000, v3
	v_ffbh_u32_e32 v5, v4
	v_min_u32_e32 v5, 32, v5
	v_sub_u32_e64 v5, v5, 4 clamp
	v_lshlrev_b32_e32 v7, v5, v4
	v_lshlrev_b32_e32 v5, 23, v5
	v_lshrrev_b32_e32 v7, 4, v7
	v_add_u32_e32 v6, 0x1000000, v4
	v_sub_u32_e32 v5, v7, v5
	v_ashrrev_i32_e32 v6, 8, v6
	v_add_u32_e32 v5, 0x3c000000, v5
	v_and_or_b32 v5, v6, s0, v5
	v_cmp_ne_u32_e32 vcc, 0, v4
	v_cndmask_b32_e32 v4, 0, v5, vcc
	v_and_or_b32 v3, v3, s1, v4
	v_bfe_u32 v4, v4, 16, 1
	v_add3_u32 v4, v3, v4, s2
	v_cmp_o_f32_e32 vcc, v3, v3
	v_mov_b32_e32 v3, 0x7fc0
	v_cndmask_b32_sdwa v3, v3, v4, vcc dst_sel:DWORD dst_unused:UNUSED_PAD src0_sel:DWORD src1_sel:WORD_1
.LBB76_590:
	s_mov_b64 s[0:1], 0
.LBB76_591:
	s_andn2_b64 vcc, exec, s[0:1]
	s_cbranch_vccnz .LBB76_593
; %bb.592:
	global_load_ubyte v3, v[0:1], off
	s_movk_i32 s0, 0x7f00
	s_brev_b32 s1, 16
	s_brev_b32 s2, 1
	s_movk_i32 s3, 0x7fff
	s_waitcnt vmcnt(0)
	v_lshlrev_b16_e32 v4, 8, v3
	v_lshlrev_b32_e32 v3, 25, v3
	v_lshrrev_b32_e32 v5, 4, v3
	v_and_or_b32 v6, v4, s0, 0.5
	v_or_b32_e32 v5, 0x70000000, v5
	v_add_f32_e32 v6, -0.5, v6
	v_mul_f32_e32 v5, 0x7800000, v5
	v_cmp_gt_u32_e32 vcc, s1, v3
	v_bfe_i32 v4, v4, 0, 16
	v_cndmask_b32_e32 v3, v5, v6, vcc
	v_and_or_b32 v4, v4, s2, v3
	v_bfe_u32 v3, v3, 16, 1
	v_add3_u32 v3, v4, v3, s3
	v_cmp_o_f32_e32 vcc, v4, v4
	v_mov_b32_e32 v4, 0x7fc0
	v_cndmask_b32_sdwa v3, v4, v3, vcc dst_sel:DWORD dst_unused:UNUSED_PAD src0_sel:DWORD src1_sel:WORD_1
.LBB76_593:
	s_mov_b64 s[2:3], 0
	s_mov_b64 s[0:1], -1
.LBB76_594:
	s_andn2_b64 vcc, exec, s[2:3]
	s_cbranch_vccnz .LBB76_607
; %bb.595:
	s_cmp_gt_i32 s34, 14
	s_cbranch_scc0 .LBB76_598
; %bb.596:
	s_cmp_eq_u32 s34, 15
	s_cbranch_scc0 .LBB76_601
; %bb.597:
	global_load_ushort v3, v[0:1], off
	s_mov_b64 s[0:1], -1
	s_mov_b64 s[30:31], 0
	s_branch .LBB76_602
.LBB76_598:
	s_mov_b64 s[2:3], -1
                                        ; implicit-def: $vgpr3
	s_branch .LBB76_603
.LBB76_599:
	s_or_saveexec_b64 s[2:3], s[2:3]
	v_mov_b32_e32 v4, 0x7f800001
	s_xor_b64 exec, exec, s[2:3]
	s_cbranch_execz .LBB76_580
.LBB76_600:
	v_cmp_ne_u16_e32 vcc, 0, v3
	s_andn2_b64 s[0:1], s[0:1], exec
	s_and_b64 s[4:5], vcc, exec
	v_mov_b32_e32 v4, 0
	s_or_b64 s[0:1], s[0:1], s[4:5]
	s_or_b64 exec, exec, s[2:3]
	s_and_saveexec_b64 s[2:3], s[0:1]
	s_cbranch_execnz .LBB76_581
	s_branch .LBB76_582
.LBB76_601:
	s_mov_b64 s[30:31], -1
                                        ; implicit-def: $vgpr3
.LBB76_602:
	s_mov_b64 s[2:3], 0
.LBB76_603:
	s_and_b64 vcc, exec, s[2:3]
	s_cbranch_vccz .LBB76_607
; %bb.604:
	s_cmp_eq_u32 s34, 11
	s_cbranch_scc0 .LBB76_606
; %bb.605:
	global_load_ubyte v3, v[0:1], off
	s_mov_b64 s[0:1], -1
	s_mov_b64 s[30:31], 0
	s_waitcnt vmcnt(0)
	v_cmp_ne_u16_e32 vcc, 0, v3
	v_cndmask_b32_e64 v3, 0, 1.0, vcc
	v_lshrrev_b32_e32 v3, 16, v3
	s_branch .LBB76_607
.LBB76_606:
	s_mov_b64 s[30:31], -1
                                        ; implicit-def: $vgpr3
.LBB76_607:
	s_mov_b64 s[2:3], 0
.LBB76_608:
	s_and_b64 vcc, exec, s[2:3]
	s_cbranch_vccz .LBB76_657
; %bb.609:
	s_cmp_lt_i32 s34, 5
	s_cbranch_scc1 .LBB76_614
; %bb.610:
	s_cmp_lt_i32 s34, 8
	s_cbranch_scc1 .LBB76_615
	;; [unrolled: 3-line block ×3, first 2 shown]
; %bb.612:
	s_cmp_gt_i32 s34, 9
	s_cbranch_scc0 .LBB76_617
; %bb.613:
	global_load_dwordx2 v[3:4], v[0:1], off
	s_movk_i32 s0, 0x7fff
	s_waitcnt vmcnt(0)
	v_cvt_f32_f64_e32 v3, v[3:4]
	v_mov_b32_e32 v4, 0x7fc0
	v_bfe_u32 v5, v3, 16, 1
	v_cmp_o_f32_e32 vcc, v3, v3
	v_add3_u32 v3, v3, v5, s0
	v_cndmask_b32_sdwa v3, v4, v3, vcc dst_sel:DWORD dst_unused:UNUSED_PAD src0_sel:DWORD src1_sel:WORD_1
	s_mov_b64 s[0:1], 0
	s_branch .LBB76_618
.LBB76_614:
	s_mov_b64 s[0:1], -1
                                        ; implicit-def: $vgpr3
	s_branch .LBB76_636
.LBB76_615:
	s_mov_b64 s[0:1], -1
                                        ; implicit-def: $vgpr3
	s_branch .LBB76_624
.LBB76_616:
	s_mov_b64 s[0:1], -1
                                        ; implicit-def: $vgpr3
	s_branch .LBB76_621
.LBB76_617:
	s_mov_b64 s[0:1], -1
                                        ; implicit-def: $vgpr3
.LBB76_618:
	s_andn2_b64 vcc, exec, s[0:1]
	s_cbranch_vccnz .LBB76_620
; %bb.619:
	global_load_dword v3, v[0:1], off
	s_movk_i32 s0, 0x7fff
	v_mov_b32_e32 v4, 0x7fc0
	s_waitcnt vmcnt(0)
	v_bfe_u32 v5, v3, 16, 1
	v_cmp_o_f32_e32 vcc, v3, v3
	v_add3_u32 v3, v3, v5, s0
	v_cndmask_b32_sdwa v3, v4, v3, vcc dst_sel:DWORD dst_unused:UNUSED_PAD src0_sel:DWORD src1_sel:WORD_1
.LBB76_620:
	s_mov_b64 s[0:1], 0
.LBB76_621:
	s_andn2_b64 vcc, exec, s[0:1]
	s_cbranch_vccnz .LBB76_623
; %bb.622:
	global_load_dword v3, v[0:1], off
	s_movk_i32 s0, 0x7fff
	v_mov_b32_e32 v5, 0x7fc0
	s_waitcnt vmcnt(0)
	v_cvt_f32_f16_e32 v4, v3
	v_cmp_o_f16_e32 vcc, v3, v3
	v_bfe_u32 v3, v4, 16, 1
	v_add3_u32 v3, v4, v3, s0
	v_cndmask_b32_sdwa v3, v5, v3, vcc dst_sel:DWORD dst_unused:UNUSED_PAD src0_sel:DWORD src1_sel:WORD_1
.LBB76_623:
	s_mov_b64 s[0:1], 0
.LBB76_624:
	s_andn2_b64 vcc, exec, s[0:1]
	s_cbranch_vccnz .LBB76_635
; %bb.625:
	s_cmp_lt_i32 s34, 6
	s_cbranch_scc1 .LBB76_628
; %bb.626:
	s_cmp_gt_i32 s34, 6
	s_cbranch_scc0 .LBB76_629
; %bb.627:
	global_load_dwordx2 v[3:4], v[0:1], off
	s_movk_i32 s0, 0x7fff
	s_waitcnt vmcnt(0)
	v_cvt_f32_f64_e32 v3, v[3:4]
	v_mov_b32_e32 v4, 0x7fc0
	v_bfe_u32 v5, v3, 16, 1
	v_cmp_o_f32_e32 vcc, v3, v3
	v_add3_u32 v3, v3, v5, s0
	v_cndmask_b32_sdwa v3, v4, v3, vcc dst_sel:DWORD dst_unused:UNUSED_PAD src0_sel:DWORD src1_sel:WORD_1
	s_mov_b64 s[0:1], 0
	s_branch .LBB76_630
.LBB76_628:
	s_mov_b64 s[0:1], -1
                                        ; implicit-def: $vgpr3
	s_branch .LBB76_633
.LBB76_629:
	s_mov_b64 s[0:1], -1
                                        ; implicit-def: $vgpr3
.LBB76_630:
	s_andn2_b64 vcc, exec, s[0:1]
	s_cbranch_vccnz .LBB76_632
; %bb.631:
	global_load_dword v3, v[0:1], off
	s_movk_i32 s0, 0x7fff
	v_mov_b32_e32 v4, 0x7fc0
	s_waitcnt vmcnt(0)
	v_bfe_u32 v5, v3, 16, 1
	v_cmp_o_f32_e32 vcc, v3, v3
	v_add3_u32 v3, v3, v5, s0
	v_cndmask_b32_sdwa v3, v4, v3, vcc dst_sel:DWORD dst_unused:UNUSED_PAD src0_sel:DWORD src1_sel:WORD_1
.LBB76_632:
	s_mov_b64 s[0:1], 0
.LBB76_633:
	s_andn2_b64 vcc, exec, s[0:1]
	s_cbranch_vccnz .LBB76_635
; %bb.634:
	global_load_ushort v3, v[0:1], off
	s_movk_i32 s0, 0x7fff
	v_mov_b32_e32 v5, 0x7fc0
	s_waitcnt vmcnt(0)
	v_cvt_f32_f16_e32 v4, v3
	v_cmp_o_f16_e32 vcc, v3, v3
	v_bfe_u32 v3, v4, 16, 1
	v_add3_u32 v3, v4, v3, s0
	v_cndmask_b32_sdwa v3, v5, v3, vcc dst_sel:DWORD dst_unused:UNUSED_PAD src0_sel:DWORD src1_sel:WORD_1
.LBB76_635:
	s_mov_b64 s[0:1], 0
.LBB76_636:
	s_andn2_b64 vcc, exec, s[0:1]
	s_cbranch_vccnz .LBB76_656
; %bb.637:
	s_cmp_lt_i32 s34, 2
	s_cbranch_scc1 .LBB76_641
; %bb.638:
	s_cmp_lt_i32 s34, 3
	s_cbranch_scc1 .LBB76_642
; %bb.639:
	s_cmp_gt_i32 s34, 3
	s_cbranch_scc0 .LBB76_643
; %bb.640:
	global_load_dwordx2 v[3:4], v[0:1], off
	s_movk_i32 s0, 0x7fff
	s_waitcnt vmcnt(0)
	v_xor_b32_e32 v6, v3, v4
	v_ffbh_i32_e32 v5, v4
	v_ashrrev_i32_e32 v6, 31, v6
	v_add_u32_e32 v5, -1, v5
	v_add_u32_e32 v6, 32, v6
	v_min_u32_e32 v5, v5, v6
	v_lshlrev_b64 v[3:4], v5, v[3:4]
	v_min_u32_e32 v3, 1, v3
	v_or_b32_e32 v3, v4, v3
	v_cvt_f32_i32_e32 v3, v3
	v_sub_u32_e32 v4, 32, v5
	v_ldexp_f32 v3, v3, v4
	v_bfe_u32 v4, v3, 16, 1
	v_add3_u32 v3, v3, v4, s0
	v_lshrrev_b32_e32 v3, 16, v3
	s_mov_b64 s[0:1], 0
	s_branch .LBB76_644
.LBB76_641:
	s_mov_b64 s[0:1], -1
                                        ; implicit-def: $vgpr3
	s_branch .LBB76_650
.LBB76_642:
	s_mov_b64 s[0:1], -1
                                        ; implicit-def: $vgpr3
	s_branch .LBB76_647
.LBB76_643:
	s_mov_b64 s[0:1], -1
                                        ; implicit-def: $vgpr3
.LBB76_644:
	s_andn2_b64 vcc, exec, s[0:1]
	s_cbranch_vccnz .LBB76_646
; %bb.645:
	global_load_dword v3, v[0:1], off
	s_movk_i32 s0, 0x7fff
	s_waitcnt vmcnt(0)
	v_cvt_f32_i32_e32 v3, v3
	v_bfe_u32 v4, v3, 16, 1
	v_add3_u32 v3, v3, v4, s0
	v_lshrrev_b32_e32 v3, 16, v3
.LBB76_646:
	s_mov_b64 s[0:1], 0
.LBB76_647:
	s_andn2_b64 vcc, exec, s[0:1]
	s_cbranch_vccnz .LBB76_649
; %bb.648:
	global_load_sshort v3, v[0:1], off
	s_movk_i32 s0, 0x7fff
	s_waitcnt vmcnt(0)
	v_cvt_f32_i32_e32 v3, v3
	v_bfe_u32 v4, v3, 16, 1
	v_add3_u32 v3, v3, v4, s0
	v_lshrrev_b32_e32 v3, 16, v3
.LBB76_649:
	s_mov_b64 s[0:1], 0
.LBB76_650:
	s_andn2_b64 vcc, exec, s[0:1]
	s_cbranch_vccnz .LBB76_656
; %bb.651:
	s_cmp_gt_i32 s34, 0
	s_cbranch_scc0 .LBB76_653
; %bb.652:
	global_load_sbyte v3, v[0:1], off
	s_movk_i32 s0, 0x7fff
	s_waitcnt vmcnt(0)
	v_cvt_f32_i32_e32 v3, v3
	v_bfe_u32 v4, v3, 16, 1
	v_add3_u32 v3, v3, v4, s0
	v_lshrrev_b32_e32 v3, 16, v3
	s_mov_b64 s[0:1], 0
	s_branch .LBB76_654
.LBB76_653:
	s_mov_b64 s[0:1], -1
                                        ; implicit-def: $vgpr3
.LBB76_654:
	s_andn2_b64 vcc, exec, s[0:1]
	s_cbranch_vccnz .LBB76_656
; %bb.655:
	global_load_ubyte v0, v[0:1], off
	s_movk_i32 s0, 0x7fff
	s_waitcnt vmcnt(0)
	v_cvt_f32_ubyte0_e32 v0, v0
	v_bfe_u32 v1, v0, 16, 1
	v_add3_u32 v0, v0, v1, s0
	v_lshrrev_b32_e32 v3, 16, v0
.LBB76_656:
	s_mov_b64 s[0:1], -1
.LBB76_657:
	s_andn2_b64 vcc, exec, s[0:1]
	s_cbranch_vccnz .LBB76_671
; %bb.658:
	s_waitcnt vmcnt(0)
	v_lshlrev_b32_e32 v0, 16, v3
	v_cmp_gt_f32_e32 vcc, 0.5, v0
	v_mov_b32_e32 v3, 0
	v_mov_b32_e32 v1, 1.0
	s_and_saveexec_b64 s[34:35], vcc
	s_cbranch_execz .LBB76_664
; %bb.659:
	v_mul_f32_e32 v1, 0x40490fdb, v0
	s_brev_b32 s0, 18
	v_and_b32_e32 v3, 0x7fffffff, v1
	v_cmp_nlt_f32_e64 s[0:1], |v1|, s0
                                        ; implicit-def: $vgpr4
                                        ; implicit-def: $vgpr5
	s_and_saveexec_b64 s[2:3], s[0:1]
	s_xor_b64 s[36:37], exec, s[2:3]
	s_cbranch_execz .LBB76_661
; %bb.660:
	v_and_b32_e32 v4, 0x7fffff, v3
	v_or_b32_e32 v13, 0x800000, v4
	s_mov_b32 s0, 0xfe5163ab
	v_mad_u64_u32 v[4:5], s[0:1], v13, s0, 0
	v_mov_b32_e32 v6, 0
	s_mov_b32 s0, 0x3c439041
	v_mad_u64_u32 v[7:8], s[0:1], v13, s0, v[5:6]
	s_mov_b32 s0, 0xdb629599
	v_not_b32_e32 v12, 63
	v_mov_b32_e32 v5, v8
	v_mad_u64_u32 v[8:9], s[0:1], v13, s0, v[5:6]
	s_mov_b32 s0, 0xf534ddc0
	v_not_b32_e32 v15, 31
	v_mov_b32_e32 v5, v9
	v_mad_u64_u32 v[9:10], s[0:1], v13, s0, v[5:6]
	v_lshrrev_b32_e32 v5, 23, v3
	v_add_u32_e32 v14, 0xffffff88, v5
	v_mov_b32_e32 v5, v10
	s_mov_b32 s0, 0xfc2757d1
	v_mad_u64_u32 v[10:11], s[0:1], v13, s0, v[5:6]
	v_cmp_lt_u32_e32 vcc, 63, v14
	v_cndmask_b32_e32 v5, 0, v12, vcc
	v_add_u32_e32 v14, v5, v14
	v_mov_b32_e32 v5, v11
	s_mov_b32 s0, 0x4e441529
	v_mad_u64_u32 v[11:12], s[0:1], v13, s0, v[5:6]
	v_cmp_lt_u32_e64 s[0:1], 31, v14
	v_cndmask_b32_e64 v5, 0, v15, s[0:1]
	v_add_u32_e32 v14, v5, v14
	v_mov_b32_e32 v5, v12
	s_mov_b32 s2, 0xa2f9836e
	v_mad_u64_u32 v[5:6], s[2:3], v13, s2, v[5:6]
	v_cmp_lt_u32_e64 s[2:3], 31, v14
	v_cndmask_b32_e64 v12, 0, v15, s[2:3]
	v_cndmask_b32_e32 v13, v11, v9, vcc
	v_cndmask_b32_e32 v5, v5, v10, vcc
	;; [unrolled: 1-line block ×3, first 2 shown]
	v_add_u32_e32 v12, v12, v14
	v_cndmask_b32_e64 v14, v5, v13, s[0:1]
	v_cndmask_b32_e64 v5, v6, v5, s[0:1]
	v_cndmask_b32_e32 v6, v10, v8, vcc
	v_cndmask_b32_e64 v10, v13, v6, s[0:1]
	v_cndmask_b32_e64 v5, v5, v14, s[2:3]
	;; [unrolled: 1-line block ×3, first 2 shown]
	v_sub_u32_e32 v13, 32, v12
	v_alignbit_b32 v14, v5, v11, v13
	v_cmp_eq_u32_e64 s[4:5], 0, v12
	v_cndmask_b32_e64 v12, v14, v5, s[4:5]
	v_cndmask_b32_e32 v5, v9, v7, vcc
	v_cndmask_b32_e64 v6, v6, v5, s[0:1]
	v_cndmask_b32_e64 v7, v10, v6, s[2:3]
	v_alignbit_b32 v9, v11, v7, v13
	v_cndmask_b32_e32 v4, v8, v4, vcc
	v_cndmask_b32_e64 v9, v9, v11, s[4:5]
	v_bfe_u32 v14, v12, 29, 1
	v_cndmask_b32_e64 v4, v5, v4, s[0:1]
	v_alignbit_b32 v10, v12, v9, 30
	v_sub_u32_e32 v15, 0, v14
	v_cndmask_b32_e64 v4, v6, v4, s[2:3]
	v_xor_b32_e32 v10, v10, v15
	v_alignbit_b32 v5, v7, v4, v13
	v_cndmask_b32_e64 v5, v5, v7, s[4:5]
	v_ffbh_u32_e32 v7, v10
	v_alignbit_b32 v6, v9, v5, 30
	v_min_u32_e32 v7, 32, v7
	v_alignbit_b32 v4, v5, v4, 30
	v_xor_b32_e32 v6, v6, v15
	v_sub_u32_e32 v8, 31, v7
	v_xor_b32_e32 v4, v4, v15
	v_alignbit_b32 v9, v10, v6, v8
	v_alignbit_b32 v4, v6, v4, v8
	;; [unrolled: 1-line block ×3, first 2 shown]
	v_ffbh_u32_e32 v6, v5
	v_min_u32_e32 v6, 32, v6
	v_lshrrev_b32_e32 v11, 29, v12
	v_not_b32_e32 v8, v6
	v_alignbit_b32 v4, v5, v4, v8
	v_lshlrev_b32_e32 v5, 31, v11
	v_or_b32_e32 v8, 0x33000000, v5
	v_add_lshl_u32 v6, v6, v7, 23
	v_lshrrev_b32_e32 v4, 9, v4
	v_sub_u32_e32 v6, v8, v6
	v_or_b32_e32 v5, 0.5, v5
	v_lshlrev_b32_e32 v7, 23, v7
	v_or_b32_e32 v4, v6, v4
	v_lshrrev_b32_e32 v6, 9, v9
	v_sub_u32_e32 v5, v5, v7
	v_or_b32_e32 v5, v6, v5
	s_mov_b32 s0, 0x3fc90fda
	v_mul_f32_e32 v6, 0x3fc90fda, v5
	v_fma_f32 v7, v5, s0, -v6
	v_fmac_f32_e32 v7, 0x33a22168, v5
	v_fmac_f32_e32 v7, 0x3fc90fda, v4
	v_lshrrev_b32_e32 v4, 30, v12
	v_add_f32_e32 v5, v6, v7
	v_add_u32_e32 v4, v14, v4
.LBB76_661:
	s_andn2_saveexec_b64 s[0:1], s[36:37]
	s_cbranch_execz .LBB76_663
; %bb.662:
	s_mov_b32 s2, 0x3f22f983
	v_mul_f32_e64 v4, |v1|, s2
	v_rndne_f32_e32 v6, v4
	s_mov_b32 s2, 0xbfc90fda
	v_cvt_i32_f32_e32 v4, v6
	v_fma_f32 v5, v6, s2, |v1|
	v_fmac_f32_e32 v5, 0xb3a22168, v6
	v_fmac_f32_e32 v5, 0xa7c234c4, v6
.LBB76_663:
	s_or_b64 exec, exec, s[0:1]
	v_mul_f32_e32 v6, v5, v5
	v_mov_b32_e32 v7, 0x3c0881c4
	v_fmac_f32_e32 v7, 0xb94c1982, v6
	v_mov_b32_e32 v8, 0xbe2aaa9d
	v_fmac_f32_e32 v8, v6, v7
	v_mul_f32_e32 v7, v6, v8
	v_fmac_f32_e32 v5, v5, v7
	v_mov_b32_e32 v7, 0xbab64f3b
	v_fmac_f32_e32 v7, 0x37d75334, v6
	v_mov_b32_e32 v8, 0x3d2aabf7
	;; [unrolled: 2-line block ×3, first 2 shown]
	v_fmac_f32_e32 v7, v6, v8
	v_fma_f32 v6, v6, v7, 1.0
	v_and_b32_e32 v7, 1, v4
	v_lshlrev_b32_e32 v4, 30, v4
	v_cmp_eq_u32_e32 vcc, 0, v7
	v_and_b32_e32 v4, 0x80000000, v4
	v_xor_b32_e32 v3, v3, v1
	v_cndmask_b32_e32 v5, v6, v5, vcc
	v_xor_b32_e32 v3, v3, v4
	s_movk_i32 s0, 0x1f8
	v_xor_b32_e32 v3, v3, v5
	v_mov_b32_e32 v4, 0x7fc00000
	v_cmp_class_f32_e64 vcc, v1, s0
	v_cndmask_b32_e32 v1, v4, v3, vcc
	v_mul_f32_e32 v1, v1, v1
	s_mov_b32 s2, 0xc11de9e7
	v_div_scale_f32 v3, s[0:1], v1, v1, s2
	v_div_scale_f32 v4, vcc, s2, v1, s2
	v_sub_f32_e32 v0, 1.0, v0
	v_rcp_f32_e32 v5, v3
	v_fma_f32 v6, -v3, v5, 1.0
	v_fmac_f32_e32 v5, v6, v5
	v_mul_f32_e32 v6, v4, v5
	v_fma_f32 v7, -v3, v6, v4
	v_fmac_f32_e32 v6, v7, v5
	v_fma_f32 v3, -v3, v6, v4
	v_div_fmas_f32 v3, v3, v5, v6
	v_div_fixup_f32 v1, v3, v1, s2
	v_add_f32_e32 v3, 0, v1
	v_mov_b32_e32 v1, -1.0
.LBB76_664:
	s_or_b64 exec, exec, s[34:35]
	v_mul_f32_e32 v4, v0, v0
	v_div_scale_f32 v6, s[0:1], v4, v4, 1.0
	v_add_f32_e32 v5, 1.0, v0
	v_mul_f32_e32 v0, v5, v5
	v_div_scale_f32 v8, s[0:1], v0, v0, 1.0
	v_div_scale_f32 v7, vcc, 1.0, v4, 1.0
	v_div_scale_f32 v9, s[0:1], 1.0, v0, 1.0
	v_add_f32_e32 v10, 1.0, v5
	v_mul_f32_e32 v5, v10, v10
	v_div_scale_f32 v13, s[2:3], v5, v5, 1.0
	v_add_f32_e32 v10, 1.0, v10
	v_add_f32_e32 v18, 1.0, v10
	v_rcp_f32_e32 v11, v6
	s_and_b32 s36, s33, 0xff
	s_cmp_lt_i32 s36, 11
	v_rcp_f32_e32 v12, v8
	v_fma_f32 v14, -v6, v11, 1.0
	v_fmac_f32_e32 v11, v14, v11
	v_mul_f32_e32 v15, v7, v11
	v_fma_f32 v14, -v8, v12, 1.0
	v_fmac_f32_e32 v12, v14, v12
	v_fma_f32 v14, -v6, v15, v7
	v_fmac_f32_e32 v15, v14, v11
	v_fma_f32 v6, -v6, v15, v7
	v_mul_f32_e32 v16, v9, v12
	v_div_fmas_f32 v6, v6, v11, v15
	v_div_scale_f32 v11, s[2:3], 1.0, v5, 1.0
	v_fma_f32 v7, -v8, v16, v9
	v_fmac_f32_e32 v16, v7, v12
	v_mul_f32_e32 v7, v10, v10
	v_div_scale_f32 v14, s[4:5], v7, v7, 1.0
	v_div_scale_f32 v17, s[4:5], 1.0, v7, 1.0
	v_rcp_f32_e32 v15, v13
	v_fma_f32 v9, -v8, v16, v9
	v_mul_f32_e32 v8, v18, v18
	v_div_scale_f32 v19, s[34:35], v8, v8, 1.0
	v_fma_f32 v10, -v13, v15, 1.0
	v_fmac_f32_e32 v15, v10, v15
	s_mov_b64 vcc, s[0:1]
	v_mul_f32_e32 v10, v11, v15
	v_div_fmas_f32 v9, v9, v12, v16
	v_fma_f32 v12, -v13, v10, v11
	v_fmac_f32_e32 v10, v12, v15
	v_rcp_f32_e32 v12, v14
	v_fma_f32 v11, -v13, v10, v11
	s_mov_b64 vcc, s[2:3]
	v_div_fmas_f32 v10, v11, v15, v10
	v_div_scale_f32 v15, s[0:1], 1.0, v8, 1.0
	v_add_f32_e32 v16, 1.0, v18
	v_mul_f32_e32 v18, v16, v16
	v_fma_f32 v11, -v14, v12, 1.0
	v_div_scale_f32 v20, s[2:3], v18, v18, 1.0
	v_fmac_f32_e32 v12, v11, v12
	v_mul_f32_e32 v11, v17, v12
	v_fma_f32 v13, -v14, v11, v17
	v_fmac_f32_e32 v11, v13, v12
	v_fma_f32 v14, -v14, v11, v17
	s_mov_b64 vcc, s[4:5]
	v_div_fmas_f32 v11, v14, v12, v11
	v_div_scale_f32 v14, s[2:3], 1.0, v18, 1.0
	v_rcp_f32_e32 v13, v19
	v_add_f32_e32 v16, 1.0, v16
	v_mul_f32_e32 v17, v16, v16
	v_div_scale_f32 v21, s[4:5], v17, v17, 1.0
	v_fma_f32 v12, -v19, v13, 1.0
	v_fmac_f32_e32 v13, v12, v13
	v_mul_f32_e32 v12, v15, v13
	v_fma_f32 v22, -v19, v12, v15
	v_fmac_f32_e32 v12, v22, v13
	v_div_scale_f32 v22, s[4:5], 1.0, v17, 1.0
	v_fma_f32 v15, -v19, v12, v15
	v_rcp_f32_e32 v19, v20
	s_mov_b64 vcc, s[0:1]
	v_div_fmas_f32 v12, v15, v13, v12
	s_mov_b64 vcc, s[2:3]
	v_fma_f32 v13, -v20, v19, 1.0
	v_fmac_f32_e32 v19, v13, v19
	v_mul_f32_e32 v13, v14, v19
	v_fma_f32 v15, -v20, v13, v14
	v_fmac_f32_e32 v13, v15, v19
	v_rcp_f32_e32 v15, v21
	v_fma_f32 v14, -v20, v13, v14
	v_div_fmas_f32 v13, v14, v19, v13
	v_add_f32_e32 v19, v16, v16
	v_div_scale_f32 v20, s[0:1], v19, v19, 1.0
	v_fma_f32 v14, -v21, v15, 1.0
	v_fmac_f32_e32 v15, v14, v15
	v_mul_f32_e32 v14, v22, v15
	v_fma_f32 v23, -v21, v14, v22
	v_fmac_f32_e32 v14, v23, v15
	v_div_scale_f32 v23, s[0:1], 1.0, v19, 1.0
	v_fma_f32 v21, -v21, v14, v22
	s_mov_b64 vcc, s[4:5]
	v_div_fmas_f32 v14, v21, v15, v14
	s_mov_b64 vcc, s[0:1]
	s_mov_b32 s0, 0x3e2aaaab
	v_div_fixup_f32 v4, v6, v4, 1.0
	v_add_f32_e32 v3, v3, v4
	v_rcp_f32_e32 v22, v20
	v_div_fixup_f32 v0, v9, v0, 1.0
	v_add_f32_e32 v0, v3, v0
	v_div_fixup_f32 v3, v10, v5, 1.0
	v_fma_f32 v15, -v20, v22, 1.0
	v_fmac_f32_e32 v22, v15, v22
	v_add_f32_e32 v0, v0, v3
	v_mul_f32_e32 v15, v23, v22
	v_fma_f32 v21, -v20, v15, v23
	v_fmac_f32_e32 v15, v21, v22
	v_fma_f32 v20, -v20, v15, v23
	v_div_fmas_f32 v15, v20, v22, v15
	v_div_fixup_f32 v14, v14, v17, 1.0
	v_mov_b32_e32 v17, 0x3d088889
	v_fmac_f32_e32 v17, 0xbcc30c31, v14
	v_fma_f32 v17, -v14, v17, s0
	v_div_fixup_f32 v3, v11, v7, 1.0
	v_add_f32_e32 v0, v0, v3
	v_div_fixup_f32 v3, v12, v8, 1.0
	v_add_f32_e32 v0, v0, v3
	;; [unrolled: 2-line block ×3, first 2 shown]
	v_mov_b32_e32 v4, s9
	v_div_fixup_f32 v15, v15, v19, 1.0
	v_add_f32_e32 v15, 1.0, v15
	v_fmac_f32_e32 v15, v14, v17
	v_div_scale_f32 v14, s[0:1], v16, v16, v15
	v_div_scale_f32 v17, vcc, v15, v16, v15
	s_movk_i32 s0, 0x7fff
	v_rcp_f32_e32 v19, v14
	v_fma_f32 v20, -v14, v19, 1.0
	v_fmac_f32_e32 v19, v20, v19
	v_mul_f32_e32 v20, v17, v19
	v_fma_f32 v21, -v14, v20, v17
	v_fmac_f32_e32 v20, v21, v19
	v_fma_f32 v14, -v14, v20, v17
	v_div_fmas_f32 v14, v14, v19, v20
	v_div_fixup_f32 v3, v14, v16, v15
	v_add_f32_e32 v0, v0, v3
	v_mul_f32_e32 v0, v1, v0
	v_bfe_u32 v1, v0, 16, 1
	v_add3_u32 v1, v0, v1, s0
	v_cmp_o_f32_e32 vcc, v0, v0
	v_mul_lo_u32 v0, v2, s12
	v_mov_b32_e32 v3, 0x7fc0
	v_cndmask_b32_sdwa v3, v3, v1, vcc dst_sel:DWORD dst_unused:UNUSED_PAD src0_sel:DWORD src1_sel:WORD_1
	v_ashrrev_i32_e32 v1, 31, v0
	v_add_co_u32_e32 v0, vcc, s8, v0
	v_addc_co_u32_e32 v1, vcc, v4, v1, vcc
	s_cbranch_scc1 .LBB76_672
; %bb.665:
	s_and_b32 s37, 0xffff, s36
	s_cmp_gt_i32 s37, 25
	s_cbranch_scc0 .LBB76_673
; %bb.666:
	s_cmp_gt_i32 s37, 28
	s_cbranch_scc0 .LBB76_674
; %bb.667:
	;; [unrolled: 3-line block ×4, first 2 shown]
	s_mov_b64 s[4:5], 0
	s_mov_b64 s[0:1], -1
	s_cmp_eq_u32 s37, 46
	s_mov_b64 s[2:3], 0
	s_cbranch_scc0 .LBB76_677
; %bb.670:
	v_and_b32_e32 v4, 0xffff, v3
	global_store_dword v[0:1], v4, off
	s_mov_b64 s[2:3], -1
	s_mov_b64 s[0:1], 0
	s_branch .LBB76_677
.LBB76_671:
	s_mov_b64 s[4:5], 0
                                        ; implicit-def: $vgpr2
	s_mov_b64 s[0:1], s[24:25]
	s_branch .LBB76_788
.LBB76_672:
	s_mov_b64 s[4:5], -1
	s_mov_b64 s[2:3], 0
	s_mov_b64 s[0:1], s[24:25]
	s_branch .LBB76_746
.LBB76_673:
	s_mov_b64 s[4:5], -1
	s_mov_b64 s[2:3], 0
	s_mov_b64 s[0:1], s[24:25]
	s_branch .LBB76_704
.LBB76_674:
	s_mov_b64 s[4:5], -1
	s_mov_b64 s[2:3], 0
	s_mov_b64 s[0:1], s[24:25]
	s_branch .LBB76_687
.LBB76_675:
	s_mov_b64 s[4:5], -1
	s_mov_b64 s[2:3], 0
	s_mov_b64 s[0:1], s[24:25]
	s_branch .LBB76_683
.LBB76_676:
	s_mov_b64 s[4:5], -1
	s_mov_b64 s[2:3], 0
	s_mov_b64 s[0:1], s[24:25]
.LBB76_677:
	s_and_b64 vcc, exec, s[4:5]
	s_cbranch_vccz .LBB76_682
; %bb.678:
	s_cmp_eq_u32 s37, 44
	s_mov_b64 s[0:1], -1
	s_cbranch_scc0 .LBB76_682
; %bb.679:
	v_and_b32_e32 v5, 0xffff, v3
	v_bfe_u32 v4, v5, 7, 8
	s_movk_i32 s0, 0xff
	v_cmp_ne_u32_e32 vcc, s0, v4
	v_mov_b32_e32 v6, 0xff
	s_and_saveexec_b64 s[2:3], vcc
	s_cbranch_execz .LBB76_681
; %bb.680:
	v_lshlrev_b32_e32 v7, 16, v5
	s_mov_b32 s0, 0x3f0000
	v_lshrrev_b32_e32 v6, 7, v5
	v_and_b32_e32 v5, 64, v5
	v_and_or_b32 v4, v7, s0, v4
	v_cmp_ne_u32_e32 vcc, 0, v5
	v_cmp_ne_u32_e64 s[0:1], 0, v4
	s_and_b64 s[0:1], vcc, s[0:1]
	v_cndmask_b32_e64 v4, 0, 1, s[0:1]
	v_add_u32_e32 v6, v6, v4
.LBB76_681:
	s_or_b64 exec, exec, s[2:3]
	s_mov_b64 s[2:3], -1
	s_mov_b64 s[0:1], 0
	global_store_byte v[0:1], v6, off
.LBB76_682:
	s_mov_b64 s[4:5], 0
.LBB76_683:
	s_and_b64 vcc, exec, s[4:5]
	s_cbranch_vccz .LBB76_686
; %bb.684:
	s_cmp_eq_u32 s37, 29
	s_mov_b64 s[0:1], -1
	s_cbranch_scc0 .LBB76_686
; %bb.685:
	v_lshlrev_b32_e32 v4, 16, v3
	v_trunc_f32_e32 v4, v4
	v_mul_f32_e32 v5, 0x2f800000, v4
	v_floor_f32_e32 v6, v5
	v_fmac_f32_e32 v4, 0xcf800000, v6
	v_cvt_u32_f32_e32 v5, v6
	v_cvt_u32_f32_e32 v4, v4
	s_mov_b64 s[2:3], -1
	s_mov_b64 s[0:1], 0
	s_mov_b64 s[4:5], 0
	global_store_dwordx2 v[0:1], v[4:5], off
	s_branch .LBB76_687
.LBB76_686:
	s_mov_b64 s[4:5], 0
.LBB76_687:
	s_and_b64 vcc, exec, s[4:5]
	s_cbranch_vccz .LBB76_703
; %bb.688:
	s_cmp_lt_i32 s37, 27
	s_mov_b64 s[2:3], -1
	s_cbranch_scc1 .LBB76_694
; %bb.689:
	s_cmp_gt_i32 s37, 27
	s_cbranch_scc0 .LBB76_691
; %bb.690:
	v_lshlrev_b32_e32 v4, 16, v3
	v_cvt_u32_f32_e32 v4, v4
	s_mov_b64 s[2:3], 0
	global_store_dword v[0:1], v4, off
.LBB76_691:
	s_andn2_b64 vcc, exec, s[2:3]
	s_cbranch_vccnz .LBB76_693
; %bb.692:
	v_lshlrev_b32_e32 v4, 16, v3
	v_cvt_u32_f32_e32 v4, v4
	global_store_short v[0:1], v4, off
.LBB76_693:
	s_mov_b64 s[2:3], 0
.LBB76_694:
	s_andn2_b64 vcc, exec, s[2:3]
	s_cbranch_vccnz .LBB76_702
; %bb.695:
	v_lshlrev_b32_e32 v6, 16, v3
	v_and_b32_e32 v5, 0x7fffffff, v6
	s_mov_b32 s2, 0x43800000
	v_cmp_gt_u32_e32 vcc, s2, v5
	v_mov_b32_e32 v7, 0x80
	s_and_saveexec_b64 s[2:3], vcc
	s_cbranch_execz .LBB76_701
; %bb.696:
	s_mov_b32 s4, 0x3bffffff
	v_and_b32_e32 v4, 0xffff, v3
	v_cmp_lt_u32_e32 vcc, s4, v5
	s_mov_b64 s[4:5], 0
                                        ; implicit-def: $vgpr5
	s_and_saveexec_b64 s[34:35], vcc
	s_xor_b64 s[34:35], exec, s[34:35]
	s_cbranch_execz .LBB76_802
; %bb.697:
	v_bfe_u32 v5, v4, 4, 1
	s_mov_b32 s39, 0x487ffff
	v_add3_u32 v5, v6, v5, s39
	s_mov_b64 s[4:5], exec
	v_lshrrev_b32_e32 v5, 20, v5
                                        ; implicit-def: $vgpr6
	s_andn2_saveexec_b64 s[34:35], s[34:35]
	s_cbranch_execnz .LBB76_803
.LBB76_698:
	s_or_b64 exec, exec, s[34:35]
	v_mov_b32_e32 v7, 0
	s_and_saveexec_b64 s[34:35], s[4:5]
.LBB76_699:
	v_lshrrev_b32_e32 v4, 8, v4
	s_movk_i32 s4, 0x80
	v_and_or_b32 v7, v4, s4, v5
.LBB76_700:
	s_or_b64 exec, exec, s[34:35]
.LBB76_701:
	s_or_b64 exec, exec, s[2:3]
	global_store_byte v[0:1], v7, off
.LBB76_702:
	s_mov_b64 s[2:3], -1
.LBB76_703:
	s_mov_b64 s[4:5], 0
.LBB76_704:
	s_and_b64 vcc, exec, s[4:5]
	s_cbranch_vccz .LBB76_745
; %bb.705:
	s_cmp_gt_i32 s37, 22
	s_mov_b64 s[4:5], -1
	s_cbranch_scc0 .LBB76_737
; %bb.706:
	s_cmp_lt_i32 s37, 24
	s_mov_b64 s[2:3], -1
	s_cbranch_scc1 .LBB76_726
; %bb.707:
	s_cmp_gt_i32 s37, 24
	s_cbranch_scc0 .LBB76_715
; %bb.708:
	v_lshlrev_b32_e32 v6, 16, v3
	v_and_b32_e32 v5, 0x7fffffff, v6
	s_mov_b32 s2, 0x47800000
	v_cmp_gt_u32_e32 vcc, s2, v5
	v_mov_b32_e32 v7, 0x80
	s_and_saveexec_b64 s[2:3], vcc
	s_cbranch_execz .LBB76_714
; %bb.709:
	s_mov_b32 s4, 0x37ffffff
	v_and_b32_e32 v4, 0xffff, v3
	v_cmp_lt_u32_e32 vcc, s4, v5
	s_mov_b64 s[4:5], 0
                                        ; implicit-def: $vgpr5
	s_and_saveexec_b64 s[34:35], vcc
	s_xor_b64 s[34:35], exec, s[34:35]
	s_cbranch_execz .LBB76_805
; %bb.710:
	v_bfe_u32 v5, v4, 5, 1
	s_mov_b32 s39, 0x88fffff
	v_add3_u32 v5, v6, v5, s39
	s_mov_b64 s[4:5], exec
	v_lshrrev_b32_e32 v5, 21, v5
                                        ; implicit-def: $vgpr6
	s_andn2_saveexec_b64 s[34:35], s[34:35]
	s_cbranch_execnz .LBB76_806
.LBB76_711:
	s_or_b64 exec, exec, s[34:35]
	v_mov_b32_e32 v7, 0
	s_and_saveexec_b64 s[34:35], s[4:5]
.LBB76_712:
	v_lshrrev_b32_e32 v4, 8, v4
	s_movk_i32 s4, 0x80
	v_and_or_b32 v7, v4, s4, v5
.LBB76_713:
	s_or_b64 exec, exec, s[34:35]
.LBB76_714:
	s_or_b64 exec, exec, s[2:3]
	s_mov_b64 s[2:3], 0
	global_store_byte v[0:1], v7, off
.LBB76_715:
	s_and_b64 vcc, exec, s[2:3]
	s_cbranch_vccz .LBB76_725
; %bb.716:
	v_lshlrev_b32_e32 v6, 16, v3
	v_and_b32_e32 v7, 0x7fffffff, v6
	s_mov_b32 s2, 0x43f00000
	v_and_b32_e32 v4, 0xffff, v3
	v_cmp_gt_u32_e32 vcc, s2, v7
                                        ; implicit-def: $vgpr5
	s_and_saveexec_b64 s[2:3], vcc
	s_xor_b64 s[2:3], exec, s[2:3]
	s_cbranch_execz .LBB76_722
; %bb.717:
	s_mov_b32 s4, 0x3c7fffff
	v_cmp_lt_u32_e32 vcc, s4, v7
                                        ; implicit-def: $vgpr5
	s_and_saveexec_b64 s[4:5], vcc
	s_xor_b64 s[4:5], exec, s[4:5]
; %bb.718:
	v_bfe_u32 v5, v4, 4, 1
	s_mov_b32 s34, 0x407ffff
	v_add3_u32 v5, v6, v5, s34
	v_lshrrev_b32_e32 v6, 20, v5
	v_and_b32_e32 v5, 0xff00000, v5
	s_mov_b32 s34, 0x7f00000
	v_mov_b32_e32 v7, 0x7e
	v_cmp_ne_u32_e32 vcc, s34, v5
	v_cndmask_b32_e32 v5, v7, v6, vcc
                                        ; implicit-def: $vgpr6
; %bb.719:
	s_andn2_saveexec_b64 s[4:5], s[4:5]
; %bb.720:
	s_mov_b32 s34, 0x46800000
	v_add_f32_e64 v5, |v6|, s34
; %bb.721:
	s_or_b64 exec, exec, s[4:5]
                                        ; implicit-def: $vgpr7
.LBB76_722:
	s_andn2_saveexec_b64 s[2:3], s[2:3]
; %bb.723:
	s_mov_b32 s4, 0x7f800000
	v_mov_b32_e32 v5, 0x7e
	v_mov_b32_e32 v6, 0x7f
	v_cmp_lt_u32_e32 vcc, s4, v7
	v_cndmask_b32_e32 v5, v5, v6, vcc
; %bb.724:
	s_or_b64 exec, exec, s[2:3]
	v_lshrrev_b32_e32 v4, 8, v4
	s_movk_i32 s2, 0x80
	v_and_or_b32 v4, v4, s2, v5
	global_store_byte v[0:1], v4, off
.LBB76_725:
	s_mov_b64 s[2:3], 0
.LBB76_726:
	s_andn2_b64 vcc, exec, s[2:3]
	s_cbranch_vccnz .LBB76_736
; %bb.727:
	v_lshlrev_b32_e32 v6, 16, v3
	v_and_b32_e32 v7, 0x7fffffff, v6
	s_mov_b32 s2, 0x47800000
	v_and_b32_e32 v4, 0xffff, v3
	v_cmp_gt_u32_e32 vcc, s2, v7
                                        ; implicit-def: $vgpr5
	s_and_saveexec_b64 s[2:3], vcc
	s_xor_b64 s[2:3], exec, s[2:3]
	s_cbranch_execz .LBB76_733
; %bb.728:
	s_mov_b32 s4, 0x387fffff
	v_cmp_lt_u32_e32 vcc, s4, v7
                                        ; implicit-def: $vgpr5
	s_and_saveexec_b64 s[4:5], vcc
	s_xor_b64 s[4:5], exec, s[4:5]
; %bb.729:
	v_bfe_u32 v5, v4, 5, 1
	s_mov_b32 s34, 0x80fffff
	v_add3_u32 v5, v6, v5, s34
	v_lshrrev_b32_e32 v5, 21, v5
                                        ; implicit-def: $vgpr6
; %bb.730:
	s_andn2_saveexec_b64 s[4:5], s[4:5]
; %bb.731:
	s_mov_b32 s34, 0x43000000
	v_add_f32_e64 v5, |v6|, s34
; %bb.732:
	s_or_b64 exec, exec, s[4:5]
                                        ; implicit-def: $vgpr7
.LBB76_733:
	s_andn2_saveexec_b64 s[2:3], s[2:3]
; %bb.734:
	s_mov_b32 s4, 0x7f800000
	v_mov_b32_e32 v5, 0x7c
	v_mov_b32_e32 v6, 0x7f
	v_cmp_lt_u32_e32 vcc, s4, v7
	v_cndmask_b32_e32 v5, v5, v6, vcc
; %bb.735:
	s_or_b64 exec, exec, s[2:3]
	v_lshrrev_b32_e32 v4, 8, v4
	s_movk_i32 s2, 0x80
	v_and_or_b32 v4, v4, s2, v5
	global_store_byte v[0:1], v4, off
.LBB76_736:
	s_mov_b64 s[4:5], 0
	s_mov_b64 s[2:3], -1
.LBB76_737:
	s_andn2_b64 vcc, exec, s[4:5]
	s_cbranch_vccnz .LBB76_745
; %bb.738:
	s_cmp_gt_i32 s37, 14
	s_mov_b64 s[4:5], -1
	s_cbranch_scc0 .LBB76_742
; %bb.739:
	s_cmp_eq_u32 s37, 15
	s_mov_b64 s[0:1], -1
	s_cbranch_scc0 .LBB76_741
; %bb.740:
	global_store_short v[0:1], v3, off
	s_mov_b64 s[2:3], -1
	s_mov_b64 s[0:1], 0
.LBB76_741:
	s_mov_b64 s[4:5], 0
.LBB76_742:
	s_and_b64 vcc, exec, s[4:5]
	s_cbranch_vccz .LBB76_745
; %bb.743:
	s_cmp_eq_u32 s37, 11
	s_mov_b64 s[0:1], -1
	s_cbranch_scc0 .LBB76_745
; %bb.744:
	v_and_b32_e32 v4, 0x7fff, v3
	v_cmp_ne_u16_e32 vcc, 0, v4
	v_cndmask_b32_e64 v4, 0, 1, vcc
	s_mov_b64 s[2:3], -1
	s_mov_b64 s[0:1], 0
	global_store_byte v[0:1], v4, off
.LBB76_745:
	s_mov_b64 s[4:5], 0
.LBB76_746:
	s_and_b64 vcc, exec, s[4:5]
	s_cbranch_vccz .LBB76_785
; %bb.747:
	s_and_b32 s4, 0xffff, s36
	s_cmp_lt_i32 s4, 5
	s_mov_b64 s[2:3], -1
	s_cbranch_scc1 .LBB76_768
; %bb.748:
	s_cmp_lt_i32 s4, 8
	s_cbranch_scc1 .LBB76_758
; %bb.749:
	s_cmp_lt_i32 s4, 9
	s_cbranch_scc1 .LBB76_755
; %bb.750:
	s_cmp_gt_i32 s4, 9
	s_cbranch_scc0 .LBB76_752
; %bb.751:
	v_lshlrev_b32_e32 v4, 16, v3
	v_cvt_f64_f32_e32 v[4:5], v4
	v_mov_b32_e32 v6, 0
	v_mov_b32_e32 v7, v6
	s_mov_b64 s[2:3], 0
	global_store_dwordx4 v[0:1], v[4:7], off
.LBB76_752:
	s_andn2_b64 vcc, exec, s[2:3]
	s_cbranch_vccnz .LBB76_754
; %bb.753:
	v_lshlrev_b32_e32 v4, 16, v3
	v_mov_b32_e32 v5, 0
	global_store_dwordx2 v[0:1], v[4:5], off
.LBB76_754:
	s_mov_b64 s[2:3], 0
.LBB76_755:
	s_andn2_b64 vcc, exec, s[2:3]
	s_cbranch_vccnz .LBB76_757
; %bb.756:
	v_lshlrev_b32_e32 v4, 16, v3
	v_cvt_f16_f32_e32 v4, v4
	global_store_dword v[0:1], v4, off
.LBB76_757:
	s_mov_b64 s[2:3], 0
.LBB76_758:
	s_andn2_b64 vcc, exec, s[2:3]
	s_cbranch_vccnz .LBB76_767
; %bb.759:
	s_cmp_lt_i32 s4, 6
	s_mov_b64 s[2:3], -1
	s_cbranch_scc1 .LBB76_765
; %bb.760:
	s_cmp_gt_i32 s4, 6
	s_cbranch_scc0 .LBB76_762
; %bb.761:
	v_lshlrev_b32_e32 v4, 16, v3
	v_cvt_f64_f32_e32 v[4:5], v4
	s_mov_b64 s[2:3], 0
	global_store_dwordx2 v[0:1], v[4:5], off
.LBB76_762:
	s_andn2_b64 vcc, exec, s[2:3]
	s_cbranch_vccnz .LBB76_764
; %bb.763:
	v_lshlrev_b32_e32 v4, 16, v3
	global_store_dword v[0:1], v4, off
.LBB76_764:
	s_mov_b64 s[2:3], 0
.LBB76_765:
	s_andn2_b64 vcc, exec, s[2:3]
	s_cbranch_vccnz .LBB76_767
; %bb.766:
	v_lshlrev_b32_e32 v4, 16, v3
	v_cvt_f16_f32_e32 v4, v4
	global_store_short v[0:1], v4, off
.LBB76_767:
	s_mov_b64 s[2:3], 0
.LBB76_768:
	s_andn2_b64 vcc, exec, s[2:3]
	s_cbranch_vccnz .LBB76_784
; %bb.769:
	s_cmp_lt_i32 s4, 2
	s_mov_b64 s[2:3], -1
	s_cbranch_scc1 .LBB76_779
; %bb.770:
	s_cmp_lt_i32 s4, 3
	s_cbranch_scc1 .LBB76_776
; %bb.771:
	s_cmp_gt_i32 s4, 3
	s_cbranch_scc0 .LBB76_773
; %bb.772:
	v_lshlrev_b32_e32 v4, 16, v3
	v_trunc_f32_e32 v4, v4
	s_mov_b32 s2, 0x2f800000
	v_mul_f32_e64 v5, |v4|, s2
	v_floor_f32_e32 v5, v5
	s_mov_b32 s2, 0xcf800000
	v_cvt_u32_f32_e32 v6, v5
	v_fma_f32 v5, v5, s2, |v4|
	v_cvt_u32_f32_e32 v5, v5
	v_ashrrev_i32_e32 v7, 31, v4
	v_xor_b32_e32 v6, v6, v7
	s_mov_b64 s[2:3], 0
	v_xor_b32_e32 v4, v5, v7
	v_sub_co_u32_e32 v4, vcc, v4, v7
	v_subb_co_u32_e32 v5, vcc, v6, v7, vcc
	global_store_dwordx2 v[0:1], v[4:5], off
.LBB76_773:
	s_andn2_b64 vcc, exec, s[2:3]
	s_cbranch_vccnz .LBB76_775
; %bb.774:
	v_lshlrev_b32_e32 v4, 16, v3
	v_cvt_i32_f32_e32 v4, v4
	global_store_dword v[0:1], v4, off
.LBB76_775:
	s_mov_b64 s[2:3], 0
.LBB76_776:
	s_andn2_b64 vcc, exec, s[2:3]
	s_cbranch_vccnz .LBB76_778
; %bb.777:
	v_lshlrev_b32_e32 v4, 16, v3
	v_cvt_i32_f32_e32 v4, v4
	global_store_short v[0:1], v4, off
.LBB76_778:
	s_mov_b64 s[2:3], 0
.LBB76_779:
	s_andn2_b64 vcc, exec, s[2:3]
	s_cbranch_vccnz .LBB76_784
; %bb.780:
	s_mov_b64 s[2:3], -1
	s_cmp_gt_i32 s4, 0
	v_lshlrev_b32_e32 v3, 16, v3
	s_cbranch_scc0 .LBB76_782
; %bb.781:
	v_cvt_i32_f32_e32 v4, v3
	s_mov_b64 s[2:3], 0
	global_store_byte v[0:1], v4, off
.LBB76_782:
	s_andn2_b64 vcc, exec, s[2:3]
	s_cbranch_vccnz .LBB76_784
; %bb.783:
	v_trunc_f32_e32 v3, v3
	s_mov_b32 s2, 0x2f800000
	v_mul_f32_e64 v4, |v3|, s2
	v_floor_f32_e32 v4, v4
	s_mov_b32 s2, 0xcf800000
	v_fma_f32 v4, v4, s2, |v3|
	v_cvt_u32_f32_e32 v4, v4
	v_ashrrev_i32_e32 v3, 31, v3
	v_xor_b32_e32 v4, v4, v3
	v_sub_u32_e32 v3, v4, v3
	global_store_byte v[0:1], v3, off
.LBB76_784:
	s_mov_b64 s[2:3], -1
.LBB76_785:
	s_andn2_b64 vcc, exec, s[2:3]
	s_cbranch_vccnz .LBB76_787
; %bb.786:
	v_add_u32_e32 v2, 0x80, v2
	s_mov_b64 s[4:5], -1
	s_branch .LBB76_788
.LBB76_787:
	s_mov_b64 s[4:5], 0
                                        ; implicit-def: $vgpr2
.LBB76_788:
	s_andn2_b64 s[2:3], s[24:25], exec
	s_and_b64 s[0:1], s[0:1], exec
	s_or_b64 s[2:3], s[2:3], s[0:1]
	s_andn2_b64 s[0:1], s[22:23], exec
	s_and_b64 s[30:31], s[30:31], exec
	s_or_b64 s[0:1], s[0:1], s[30:31]
	s_orn2_b64 s[34:35], s[4:5], exec
.LBB76_789:
	s_or_b64 exec, exec, s[28:29]
	s_mov_b64 s[30:31], 0
	s_mov_b64 s[36:37], 0
	;; [unrolled: 1-line block ×3, first 2 shown]
                                        ; implicit-def: $vgpr0_vgpr1
                                        ; implicit-def: $vgpr4
	s_and_saveexec_b64 s[4:5], s[34:35]
	s_cbranch_execz .LBB76_874
; %bb.790:
	v_cmp_gt_i32_e32 vcc, s38, v2
	s_mov_b64 s[34:35], 0
	s_mov_b64 s[38:39], s[0:1]
	;; [unrolled: 1-line block ×3, first 2 shown]
                                        ; implicit-def: $vgpr0_vgpr1
                                        ; implicit-def: $vgpr4
	s_and_saveexec_b64 s[28:29], vcc
	s_cbranch_execz .LBB76_873
; %bb.791:
	v_mul_lo_u32 v0, v2, s13
	v_mov_b32_e32 v1, s11
	s_and_b32 s43, 0xffff, s42
	s_cmp_lt_i32 s43, 11
	s_waitcnt vmcnt(0)
	v_ashrrev_i32_e32 v3, 31, v0
	v_add_co_u32_e32 v0, vcc, s10, v0
	v_addc_co_u32_e32 v1, vcc, v1, v3, vcc
	s_cbranch_scc1 .LBB76_798
; %bb.792:
	s_cmp_gt_i32 s43, 25
	s_cbranch_scc0 .LBB76_799
; %bb.793:
	s_cmp_gt_i32 s43, 28
	s_cbranch_scc0 .LBB76_800
	;; [unrolled: 3-line block ×4, first 2 shown]
; %bb.796:
	s_cmp_eq_u32 s43, 46
	s_mov_b64 s[38:39], 0
	s_cbranch_scc0 .LBB76_807
; %bb.797:
	global_load_dword v4, v[0:1], off
	s_mov_b64 s[36:37], -1
	s_branch .LBB76_809
.LBB76_798:
	s_mov_b64 s[38:39], -1
                                        ; implicit-def: $vgpr4
	s_mov_b64 s[30:31], s[0:1]
	s_branch .LBB76_872
.LBB76_799:
	s_mov_b64 s[38:39], -1
	s_mov_b64 s[30:31], s[0:1]
                                        ; implicit-def: $vgpr4
	s_branch .LBB76_838
.LBB76_800:
	s_mov_b64 s[38:39], -1
	s_mov_b64 s[30:31], s[0:1]
                                        ; implicit-def: $vgpr4
	s_branch .LBB76_819
.LBB76_801:
	s_mov_b64 s[38:39], -1
	s_mov_b64 s[30:31], s[0:1]
                                        ; implicit-def: $vgpr4
	s_branch .LBB76_814
.LBB76_802:
	s_andn2_saveexec_b64 s[34:35], s[34:35]
	s_cbranch_execz .LBB76_698
.LBB76_803:
	s_mov_b32 s39, 0x46000000
	v_add_f32_e64 v5, |v6|, s39
	v_and_b32_e32 v5, 0xff, v5
	v_cmp_ne_u32_e32 vcc, 0, v5
	s_andn2_b64 s[4:5], s[4:5], exec
	s_and_b64 s[40:41], vcc, exec
	s_or_b64 s[4:5], s[4:5], s[40:41]
	s_or_b64 exec, exec, s[34:35]
	v_mov_b32_e32 v7, 0
	s_and_saveexec_b64 s[34:35], s[4:5]
	s_cbranch_execnz .LBB76_699
	s_branch .LBB76_700
.LBB76_804:
	s_mov_b64 s[38:39], -1
	s_mov_b64 s[30:31], s[0:1]
	s_branch .LBB76_808
.LBB76_805:
	s_andn2_saveexec_b64 s[34:35], s[34:35]
	s_cbranch_execz .LBB76_711
.LBB76_806:
	s_mov_b32 s39, 0x42800000
	v_add_f32_e64 v5, |v6|, s39
	v_and_b32_e32 v5, 0xff, v5
	v_cmp_ne_u32_e32 vcc, 0, v5
	s_andn2_b64 s[4:5], s[4:5], exec
	s_and_b64 s[40:41], vcc, exec
	s_or_b64 s[4:5], s[4:5], s[40:41]
	s_or_b64 exec, exec, s[34:35]
	v_mov_b32_e32 v7, 0
	s_and_saveexec_b64 s[34:35], s[4:5]
	s_cbranch_execnz .LBB76_712
	s_branch .LBB76_713
.LBB76_807:
	s_mov_b64 s[30:31], -1
.LBB76_808:
                                        ; implicit-def: $vgpr4
.LBB76_809:
	s_and_b64 vcc, exec, s[38:39]
	s_cbranch_vccz .LBB76_813
; %bb.810:
	s_cmp_eq_u32 s43, 44
	s_cbranch_scc0 .LBB76_812
; %bb.811:
	global_load_ubyte v3, v[0:1], off
	s_movk_i32 s36, 0xff
	s_waitcnt vmcnt(1)
	v_mov_b32_e32 v4, 0x7f800001
	v_mov_b32_e32 v5, 0x400000
	;; [unrolled: 1-line block ×3, first 2 shown]
	s_mov_b64 s[30:31], 0
	s_waitcnt vmcnt(0)
	v_lshlrev_b32_e32 v7, 23, v3
	v_cmp_ne_u32_e32 vcc, s36, v3
	v_cndmask_b32_e32 v4, v4, v7, vcc
	v_cmp_ne_u32_e32 vcc, 0, v3
	v_cndmask_b32_e32 v3, v5, v4, vcc
	v_add_u32_e32 v4, 0x7fff, v3
	v_cmp_o_f32_e32 vcc, v3, v3
	v_cndmask_b32_sdwa v4, v6, v4, vcc dst_sel:DWORD dst_unused:UNUSED_PAD src0_sel:DWORD src1_sel:WORD_1
	s_mov_b64 s[36:37], -1
	s_branch .LBB76_813
.LBB76_812:
	s_mov_b64 s[30:31], -1
                                        ; implicit-def: $vgpr4
.LBB76_813:
	s_mov_b64 s[38:39], 0
.LBB76_814:
	s_and_b64 vcc, exec, s[38:39]
	s_cbranch_vccz .LBB76_818
; %bb.815:
	s_cmp_eq_u32 s43, 29
	s_cbranch_scc0 .LBB76_817
; %bb.816:
	global_load_dwordx2 v[3:4], v[0:1], off
	s_movk_i32 s36, 0x7fff
	s_mov_b64 s[30:31], 0
	s_mov_b64 s[38:39], 0
	s_waitcnt vmcnt(0)
	v_ffbh_u32_e32 v5, v4
	v_min_u32_e32 v5, 32, v5
	v_lshlrev_b64 v[3:4], v5, v[3:4]
	v_min_u32_e32 v3, 1, v3
	v_or_b32_e32 v3, v4, v3
	v_cvt_f32_u32_e32 v3, v3
	v_sub_u32_e32 v4, 32, v5
	v_ldexp_f32 v3, v3, v4
	v_bfe_u32 v4, v3, 16, 1
	v_add3_u32 v3, v3, v4, s36
	v_lshrrev_b32_e32 v4, 16, v3
	s_mov_b64 s[36:37], -1
	s_branch .LBB76_819
.LBB76_817:
	s_mov_b64 s[30:31], -1
                                        ; implicit-def: $vgpr4
.LBB76_818:
	s_mov_b64 s[38:39], 0
.LBB76_819:
	s_and_b64 vcc, exec, s[38:39]
	s_cbranch_vccz .LBB76_837
; %bb.820:
	s_cmp_lt_i32 s43, 27
	s_cbranch_scc1 .LBB76_823
; %bb.821:
	s_cmp_gt_i32 s43, 27
	s_cbranch_scc0 .LBB76_824
; %bb.822:
	global_load_dword v3, v[0:1], off
	s_movk_i32 s36, 0x7fff
	s_waitcnt vmcnt(0)
	v_cvt_f32_u32_e32 v3, v3
	v_bfe_u32 v4, v3, 16, 1
	v_add3_u32 v3, v3, v4, s36
	v_lshrrev_b32_e32 v4, 16, v3
	s_mov_b64 s[36:37], 0
	s_branch .LBB76_825
.LBB76_823:
	s_mov_b64 s[36:37], -1
                                        ; implicit-def: $vgpr4
	s_branch .LBB76_828
.LBB76_824:
	s_mov_b64 s[36:37], -1
                                        ; implicit-def: $vgpr4
.LBB76_825:
	s_andn2_b64 vcc, exec, s[36:37]
	s_cbranch_vccnz .LBB76_827
; %bb.826:
	global_load_ushort v3, v[0:1], off
	s_movk_i32 s36, 0x7fff
	s_waitcnt vmcnt(0)
	v_cvt_f32_u32_e32 v3, v3
	v_bfe_u32 v4, v3, 16, 1
	v_add3_u32 v3, v3, v4, s36
	v_lshrrev_b32_e32 v4, 16, v3
.LBB76_827:
	s_mov_b64 s[36:37], 0
.LBB76_828:
	s_andn2_b64 vcc, exec, s[36:37]
	s_cbranch_vccnz .LBB76_836
; %bb.829:
	global_load_ubyte v3, v[0:1], off
	s_movk_i32 s36, 0x7f
	s_waitcnt vmcnt(0)
	v_cmp_lt_i16_e32 vcc, s36, v3
	s_mov_b64 s[36:37], 0
	s_and_saveexec_b64 s[38:39], vcc
	s_xor_b64 s[38:39], exec, s[38:39]
	s_cbranch_execz .LBB76_850
; %bb.830:
	s_movk_i32 s36, 0x80
	v_cmp_eq_u16_e32 vcc, s36, v3
	s_mov_b64 s[36:37], -1
	s_and_saveexec_b64 s[40:41], vcc
; %bb.831:
	s_xor_b64 s[36:37], exec, -1
; %bb.832:
	s_or_b64 exec, exec, s[40:41]
	s_and_b64 s[36:37], s[36:37], exec
	s_or_saveexec_b64 s[38:39], s[38:39]
	v_mov_b32_e32 v4, 0x7f800001
	s_xor_b64 exec, exec, s[38:39]
	s_cbranch_execnz .LBB76_851
.LBB76_833:
	s_or_b64 exec, exec, s[38:39]
	s_and_saveexec_b64 s[38:39], s[36:37]
	s_cbranch_execz .LBB76_835
.LBB76_834:
	v_lshlrev_b32_e32 v4, 24, v3
	v_and_b32_e32 v3, 0xffff, v3
	v_and_b32_e32 v5, 7, v3
	v_ffbh_u32_e32 v7, v5
	v_min_u32_e32 v7, 32, v7
	v_subrev_u32_e32 v8, 28, v7
	v_bfe_u32 v6, v3, 3, 4
	v_lshlrev_b32_e32 v3, v8, v3
	v_sub_u32_e32 v7, 29, v7
	v_and_b32_e32 v3, 7, v3
	v_cmp_eq_u32_e32 vcc, 0, v6
	v_cndmask_b32_e32 v6, v6, v7, vcc
	v_cndmask_b32_e32 v3, v5, v3, vcc
	v_mov_b32_e32 v5, 0x3b800000
	v_lshlrev_b32_e32 v3, 20, v3
	v_and_b32_e32 v4, 0x80000000, v4
	v_lshl_add_u32 v5, v6, 23, v5
	v_or3_b32 v4, v4, v5, v3
.LBB76_835:
	s_or_b64 exec, exec, s[38:39]
	v_bfe_u32 v3, v4, 16, 1
	s_movk_i32 s36, 0x7fff
	v_add3_u32 v3, v4, v3, s36
	v_cmp_o_f32_e32 vcc, v4, v4
	v_mov_b32_e32 v4, 0x7fc0
	v_cndmask_b32_sdwa v4, v4, v3, vcc dst_sel:DWORD dst_unused:UNUSED_PAD src0_sel:DWORD src1_sel:WORD_1
.LBB76_836:
	s_mov_b64 s[36:37], -1
.LBB76_837:
	s_mov_b64 s[38:39], 0
.LBB76_838:
	s_and_b64 vcc, exec, s[38:39]
	s_cbranch_vccz .LBB76_871
; %bb.839:
	s_cmp_gt_i32 s43, 22
	s_cbranch_scc0 .LBB76_849
; %bb.840:
	s_cmp_lt_i32 s43, 24
	s_cbranch_scc1 .LBB76_852
; %bb.841:
	s_cmp_gt_i32 s43, 24
	s_cbranch_scc0 .LBB76_853
; %bb.842:
	global_load_ubyte v3, v[0:1], off
	s_movk_i32 s34, 0x7f
	s_waitcnt vmcnt(0)
	v_cmp_lt_i16_e32 vcc, s34, v3
	s_mov_b64 s[34:35], 0
	s_and_saveexec_b64 s[36:37], vcc
	s_xor_b64 s[36:37], exec, s[36:37]
	s_cbranch_execz .LBB76_865
; %bb.843:
	s_movk_i32 s34, 0x80
	v_cmp_eq_u16_e32 vcc, s34, v3
	s_mov_b64 s[34:35], -1
	s_and_saveexec_b64 s[38:39], vcc
; %bb.844:
	s_xor_b64 s[34:35], exec, -1
; %bb.845:
	s_or_b64 exec, exec, s[38:39]
	s_and_b64 s[34:35], s[34:35], exec
	s_or_saveexec_b64 s[36:37], s[36:37]
	v_mov_b32_e32 v4, 0x7f800001
	s_xor_b64 exec, exec, s[36:37]
	s_cbranch_execnz .LBB76_866
.LBB76_846:
	s_or_b64 exec, exec, s[36:37]
	s_and_saveexec_b64 s[36:37], s[34:35]
	s_cbranch_execz .LBB76_848
.LBB76_847:
	v_lshlrev_b32_e32 v4, 24, v3
	v_and_b32_e32 v3, 0xffff, v3
	v_and_b32_e32 v5, 3, v3
	v_ffbh_u32_e32 v7, v5
	v_min_u32_e32 v7, 32, v7
	v_subrev_u32_e32 v8, 29, v7
	v_bfe_u32 v6, v3, 2, 5
	v_lshlrev_b32_e32 v3, v8, v3
	v_sub_u32_e32 v7, 30, v7
	v_and_b32_e32 v3, 3, v3
	v_cmp_eq_u32_e32 vcc, 0, v6
	v_cndmask_b32_e32 v6, v6, v7, vcc
	v_cndmask_b32_e32 v3, v5, v3, vcc
	v_mov_b32_e32 v5, 0x37800000
	v_lshlrev_b32_e32 v3, 21, v3
	v_and_b32_e32 v4, 0x80000000, v4
	v_lshl_add_u32 v5, v6, 23, v5
	v_or3_b32 v4, v4, v5, v3
.LBB76_848:
	s_or_b64 exec, exec, s[36:37]
	v_bfe_u32 v3, v4, 16, 1
	s_movk_i32 s34, 0x7fff
	v_add3_u32 v3, v4, v3, s34
	v_cmp_o_f32_e32 vcc, v4, v4
	v_mov_b32_e32 v4, 0x7fc0
	v_cndmask_b32_sdwa v4, v4, v3, vcc dst_sel:DWORD dst_unused:UNUSED_PAD src0_sel:DWORD src1_sel:WORD_1
	s_mov_b64 s[34:35], 0
	s_branch .LBB76_854
.LBB76_849:
	s_mov_b64 s[34:35], -1
                                        ; implicit-def: $vgpr4
	s_branch .LBB76_860
.LBB76_850:
	s_or_saveexec_b64 s[38:39], s[38:39]
	v_mov_b32_e32 v4, 0x7f800001
	s_xor_b64 exec, exec, s[38:39]
	s_cbranch_execz .LBB76_833
.LBB76_851:
	v_cmp_ne_u16_e32 vcc, 0, v3
	s_andn2_b64 s[36:37], s[36:37], exec
	s_and_b64 s[40:41], vcc, exec
	v_mov_b32_e32 v4, 0
	s_or_b64 s[36:37], s[36:37], s[40:41]
	s_or_b64 exec, exec, s[38:39]
	s_and_saveexec_b64 s[38:39], s[36:37]
	s_cbranch_execnz .LBB76_834
	s_branch .LBB76_835
.LBB76_852:
	s_mov_b64 s[34:35], -1
                                        ; implicit-def: $vgpr4
	s_branch .LBB76_857
.LBB76_853:
	s_mov_b64 s[34:35], -1
                                        ; implicit-def: $vgpr4
.LBB76_854:
	s_and_b64 vcc, exec, s[34:35]
	s_cbranch_vccz .LBB76_856
; %bb.855:
	global_load_ubyte v3, v[0:1], off
	s_mov_b32 s34, 0x7f800000
	s_brev_b32 s35, 1
	s_movk_i32 s36, 0x7fff
	s_waitcnt vmcnt(0)
	v_lshlrev_b32_e32 v3, 24, v3
	v_and_b32_e32 v4, 0x7f000000, v3
	v_ffbh_u32_e32 v5, v4
	v_min_u32_e32 v5, 32, v5
	v_sub_u32_e64 v5, v5, 4 clamp
	v_lshlrev_b32_e32 v7, v5, v4
	v_lshlrev_b32_e32 v5, 23, v5
	v_lshrrev_b32_e32 v7, 4, v7
	v_add_u32_e32 v6, 0x1000000, v4
	v_sub_u32_e32 v5, v7, v5
	v_ashrrev_i32_e32 v6, 8, v6
	v_add_u32_e32 v5, 0x3c000000, v5
	v_and_or_b32 v5, v6, s34, v5
	v_cmp_ne_u32_e32 vcc, 0, v4
	v_cndmask_b32_e32 v4, 0, v5, vcc
	v_and_or_b32 v3, v3, s35, v4
	v_bfe_u32 v4, v4, 16, 1
	v_add3_u32 v4, v3, v4, s36
	v_cmp_o_f32_e32 vcc, v3, v3
	v_mov_b32_e32 v3, 0x7fc0
	v_cndmask_b32_sdwa v4, v3, v4, vcc dst_sel:DWORD dst_unused:UNUSED_PAD src0_sel:DWORD src1_sel:WORD_1
.LBB76_856:
	s_mov_b64 s[34:35], 0
.LBB76_857:
	s_andn2_b64 vcc, exec, s[34:35]
	s_cbranch_vccnz .LBB76_859
; %bb.858:
	global_load_ubyte v3, v[0:1], off
	s_movk_i32 s34, 0x7f00
	s_brev_b32 s35, 16
	s_brev_b32 s36, 1
	s_movk_i32 s37, 0x7fff
	s_waitcnt vmcnt(0)
	v_lshlrev_b16_e32 v4, 8, v3
	v_lshlrev_b32_e32 v3, 25, v3
	v_lshrrev_b32_e32 v5, 4, v3
	v_and_or_b32 v6, v4, s34, 0.5
	v_or_b32_e32 v5, 0x70000000, v5
	v_add_f32_e32 v6, -0.5, v6
	v_mul_f32_e32 v5, 0x7800000, v5
	v_cmp_gt_u32_e32 vcc, s35, v3
	v_bfe_i32 v4, v4, 0, 16
	v_cndmask_b32_e32 v3, v5, v6, vcc
	v_and_or_b32 v4, v4, s36, v3
	v_bfe_u32 v3, v3, 16, 1
	v_add3_u32 v3, v4, v3, s37
	v_cmp_o_f32_e32 vcc, v4, v4
	v_mov_b32_e32 v4, 0x7fc0
	v_cndmask_b32_sdwa v4, v4, v3, vcc dst_sel:DWORD dst_unused:UNUSED_PAD src0_sel:DWORD src1_sel:WORD_1
.LBB76_859:
	s_mov_b64 s[34:35], 0
	s_mov_b64 s[36:37], -1
.LBB76_860:
	s_andn2_b64 vcc, exec, s[34:35]
	s_mov_b64 s[34:35], 0
	s_cbranch_vccnz .LBB76_871
; %bb.861:
	s_cmp_gt_i32 s43, 14
	s_cbranch_scc0 .LBB76_864
; %bb.862:
	s_cmp_eq_u32 s43, 15
	s_cbranch_scc0 .LBB76_867
; %bb.863:
	global_load_ushort v4, v[0:1], off
	s_mov_b64 s[30:31], 0
	s_mov_b64 s[36:37], -1
	s_branch .LBB76_868
.LBB76_864:
	s_mov_b64 s[38:39], -1
                                        ; implicit-def: $vgpr4
	s_branch .LBB76_869
.LBB76_865:
	s_or_saveexec_b64 s[36:37], s[36:37]
	v_mov_b32_e32 v4, 0x7f800001
	s_xor_b64 exec, exec, s[36:37]
	s_cbranch_execz .LBB76_846
.LBB76_866:
	v_cmp_ne_u16_e32 vcc, 0, v3
	s_andn2_b64 s[34:35], s[34:35], exec
	s_and_b64 s[38:39], vcc, exec
	v_mov_b32_e32 v4, 0
	s_or_b64 s[34:35], s[34:35], s[38:39]
	s_or_b64 exec, exec, s[36:37]
	s_and_saveexec_b64 s[36:37], s[34:35]
	s_cbranch_execnz .LBB76_847
	s_branch .LBB76_848
.LBB76_867:
	s_mov_b64 s[30:31], -1
                                        ; implicit-def: $vgpr4
.LBB76_868:
	s_mov_b64 s[38:39], 0
.LBB76_869:
	s_and_b64 vcc, exec, s[38:39]
	s_cbranch_vccz .LBB76_871
; %bb.870:
	s_cmp_lg_u32 s43, 11
	s_cselect_b64 s[38:39], -1, 0
	s_andn2_b64 s[30:31], s[30:31], exec
	s_and_b64 s[38:39], s[38:39], exec
	s_mov_b64 s[34:35], -1
	s_or_b64 s[30:31], s[30:31], s[38:39]
.LBB76_871:
	s_mov_b64 s[38:39], 0
.LBB76_872:
	s_and_b64 s[40:41], s[36:37], exec
	s_and_b64 s[36:37], s[38:39], exec
	s_andn2_b64 s[38:39], s[0:1], exec
	s_and_b64 s[30:31], s[30:31], exec
	s_and_b64 s[34:35], s[34:35], exec
	s_or_b64 s[38:39], s[38:39], s[30:31]
.LBB76_873:
	s_or_b64 exec, exec, s[28:29]
	s_and_b64 s[30:31], s[34:35], exec
	s_andn2_b64 s[0:1], s[0:1], exec
	s_and_b64 s[34:35], s[38:39], exec
	s_and_b64 s[28:29], s[40:41], exec
	;; [unrolled: 1-line block ×3, first 2 shown]
	s_or_b64 s[0:1], s[0:1], s[34:35]
.LBB76_874:
	s_or_b64 exec, exec, s[4:5]
	s_andn2_b64 s[4:5], s[24:25], exec
	s_and_b64 s[2:3], s[2:3], exec
	s_andn2_b64 s[22:23], s[22:23], exec
	s_and_b64 s[0:1], s[0:1], exec
	s_or_b64 s[24:25], s[4:5], s[2:3]
	s_and_b64 s[28:29], s[28:29], exec
	s_and_b64 s[4:5], s[36:37], exec
	;; [unrolled: 1-line block ×3, first 2 shown]
	s_or_b64 s[22:23], s[22:23], s[0:1]
.LBB76_875:
	s_or_b64 exec, exec, s[26:27]
	s_andn2_b64 s[0:1], s[6:7], exec
	s_and_b64 s[6:7], s[24:25], exec
	s_and_b64 s[24:25], s[2:3], exec
	s_andn2_b64 s[2:3], s[18:19], exec
	s_and_b64 s[18:19], s[22:23], exec
	s_or_b64 s[6:7], s[0:1], s[6:7]
	s_and_b64 s[0:1], s[28:29], exec
	s_and_b64 s[4:5], s[4:5], exec
	s_or_b64 s[18:19], s[2:3], s[18:19]
	s_or_b64 exec, exec, s[20:21]
	s_mov_b64 s[20:21], 0
	s_and_saveexec_b64 s[2:3], s[18:19]
	s_cbranch_execz .LBB76_267
.LBB76_876:
	s_mov_b64 s[20:21], exec
	s_andn2_b64 s[24:25], s[24:25], exec
	s_trap 2
	s_or_b64 exec, exec, s[2:3]
	s_and_saveexec_b64 s[2:3], s[24:25]
	s_xor_b64 s[2:3], exec, s[2:3]
	s_cbranch_execnz .LBB76_268
.LBB76_877:
	s_or_b64 exec, exec, s[2:3]
	s_and_saveexec_b64 s[2:3], s[4:5]
	s_cbranch_execz .LBB76_923
.LBB76_878:
	s_sext_i32_i16 s4, s42
	s_cmp_lt_i32 s4, 5
	s_cbranch_scc1 .LBB76_883
; %bb.879:
	s_cmp_lt_i32 s4, 8
	s_cbranch_scc1 .LBB76_884
; %bb.880:
	s_cmp_lt_i32 s4, 9
	s_cbranch_scc1 .LBB76_885
; %bb.881:
	s_cmp_gt_i32 s4, 9
	s_cbranch_scc0 .LBB76_886
; %bb.882:
	global_load_dwordx2 v[3:4], v[0:1], off
	s_movk_i32 s4, 0x7fff
	s_waitcnt vmcnt(0)
	v_cvt_f32_f64_e32 v3, v[3:4]
	v_mov_b32_e32 v4, 0x7fc0
	v_bfe_u32 v5, v3, 16, 1
	v_cmp_o_f32_e32 vcc, v3, v3
	v_add3_u32 v3, v3, v5, s4
	v_cndmask_b32_sdwa v4, v4, v3, vcc dst_sel:DWORD dst_unused:UNUSED_PAD src0_sel:DWORD src1_sel:WORD_1
	s_mov_b64 s[4:5], 0
	s_branch .LBB76_887
.LBB76_883:
                                        ; implicit-def: $vgpr4
	s_branch .LBB76_904
.LBB76_884:
                                        ; implicit-def: $vgpr4
	s_branch .LBB76_893
.LBB76_885:
	s_mov_b64 s[4:5], -1
                                        ; implicit-def: $vgpr4
	s_branch .LBB76_890
.LBB76_886:
	s_mov_b64 s[4:5], -1
                                        ; implicit-def: $vgpr4
.LBB76_887:
	s_andn2_b64 vcc, exec, s[4:5]
	s_cbranch_vccnz .LBB76_889
; %bb.888:
	global_load_dword v3, v[0:1], off
	s_movk_i32 s4, 0x7fff
	s_waitcnt vmcnt(1)
	v_mov_b32_e32 v4, 0x7fc0
	s_waitcnt vmcnt(0)
	v_bfe_u32 v5, v3, 16, 1
	v_cmp_o_f32_e32 vcc, v3, v3
	v_add3_u32 v3, v3, v5, s4
	v_cndmask_b32_sdwa v4, v4, v3, vcc dst_sel:DWORD dst_unused:UNUSED_PAD src0_sel:DWORD src1_sel:WORD_1
.LBB76_889:
	s_mov_b64 s[4:5], 0
.LBB76_890:
	s_andn2_b64 vcc, exec, s[4:5]
	s_cbranch_vccnz .LBB76_892
; %bb.891:
	global_load_dword v3, v[0:1], off
	s_movk_i32 s4, 0x7fff
	v_mov_b32_e32 v5, 0x7fc0
	s_waitcnt vmcnt(0)
	v_cvt_f32_f16_e32 v4, v3
	v_cmp_o_f16_e32 vcc, v3, v3
	v_bfe_u32 v3, v4, 16, 1
	v_add3_u32 v3, v4, v3, s4
	v_cndmask_b32_sdwa v4, v5, v3, vcc dst_sel:DWORD dst_unused:UNUSED_PAD src0_sel:DWORD src1_sel:WORD_1
.LBB76_892:
	s_cbranch_execnz .LBB76_903
.LBB76_893:
	s_sext_i32_i16 s4, s42
	s_cmp_lt_i32 s4, 6
	s_cbranch_scc1 .LBB76_896
; %bb.894:
	s_cmp_gt_i32 s4, 6
	s_cbranch_scc0 .LBB76_897
; %bb.895:
	global_load_dwordx2 v[3:4], v[0:1], off
	s_movk_i32 s4, 0x7fff
	s_waitcnt vmcnt(0)
	v_cvt_f32_f64_e32 v3, v[3:4]
	v_mov_b32_e32 v4, 0x7fc0
	v_bfe_u32 v5, v3, 16, 1
	v_cmp_o_f32_e32 vcc, v3, v3
	v_add3_u32 v3, v3, v5, s4
	v_cndmask_b32_sdwa v4, v4, v3, vcc dst_sel:DWORD dst_unused:UNUSED_PAD src0_sel:DWORD src1_sel:WORD_1
	s_mov_b64 s[4:5], 0
	s_branch .LBB76_898
.LBB76_896:
	s_mov_b64 s[4:5], -1
                                        ; implicit-def: $vgpr4
	s_branch .LBB76_901
.LBB76_897:
	s_mov_b64 s[4:5], -1
                                        ; implicit-def: $vgpr4
.LBB76_898:
	s_andn2_b64 vcc, exec, s[4:5]
	s_cbranch_vccnz .LBB76_900
; %bb.899:
	global_load_dword v3, v[0:1], off
	s_movk_i32 s4, 0x7fff
	s_waitcnt vmcnt(1)
	v_mov_b32_e32 v4, 0x7fc0
	s_waitcnt vmcnt(0)
	v_bfe_u32 v5, v3, 16, 1
	v_cmp_o_f32_e32 vcc, v3, v3
	v_add3_u32 v3, v3, v5, s4
	v_cndmask_b32_sdwa v4, v4, v3, vcc dst_sel:DWORD dst_unused:UNUSED_PAD src0_sel:DWORD src1_sel:WORD_1
.LBB76_900:
	s_mov_b64 s[4:5], 0
.LBB76_901:
	s_andn2_b64 vcc, exec, s[4:5]
	s_cbranch_vccnz .LBB76_903
; %bb.902:
	global_load_ushort v3, v[0:1], off
	s_movk_i32 s4, 0x7fff
	v_mov_b32_e32 v5, 0x7fc0
	s_waitcnt vmcnt(0)
	v_cvt_f32_f16_e32 v4, v3
	v_cmp_o_f16_e32 vcc, v3, v3
	v_bfe_u32 v3, v4, 16, 1
	v_add3_u32 v3, v4, v3, s4
	v_cndmask_b32_sdwa v4, v5, v3, vcc dst_sel:DWORD dst_unused:UNUSED_PAD src0_sel:DWORD src1_sel:WORD_1
.LBB76_903:
	s_cbranch_execnz .LBB76_922
.LBB76_904:
	s_sext_i32_i16 s4, s42
	s_cmp_lt_i32 s4, 2
	s_cbranch_scc1 .LBB76_908
; %bb.905:
	s_cmp_lt_i32 s4, 3
	s_cbranch_scc1 .LBB76_909
; %bb.906:
	s_cmp_gt_i32 s4, 3
	s_cbranch_scc0 .LBB76_910
; %bb.907:
	global_load_dwordx2 v[3:4], v[0:1], off
	s_movk_i32 s4, 0x7fff
	s_waitcnt vmcnt(0)
	v_xor_b32_e32 v6, v3, v4
	v_ffbh_i32_e32 v5, v4
	v_ashrrev_i32_e32 v6, 31, v6
	v_add_u32_e32 v5, -1, v5
	v_add_u32_e32 v6, 32, v6
	v_min_u32_e32 v5, v5, v6
	v_lshlrev_b64 v[3:4], v5, v[3:4]
	v_min_u32_e32 v3, 1, v3
	v_or_b32_e32 v3, v4, v3
	v_cvt_f32_i32_e32 v3, v3
	v_sub_u32_e32 v4, 32, v5
	v_ldexp_f32 v3, v3, v4
	v_bfe_u32 v4, v3, 16, 1
	v_add3_u32 v3, v3, v4, s4
	v_lshrrev_b32_e32 v4, 16, v3
	s_mov_b64 s[4:5], 0
	s_branch .LBB76_911
.LBB76_908:
                                        ; implicit-def: $vgpr4
	s_branch .LBB76_917
.LBB76_909:
	s_mov_b64 s[4:5], -1
                                        ; implicit-def: $vgpr4
	s_branch .LBB76_914
.LBB76_910:
	s_mov_b64 s[4:5], -1
                                        ; implicit-def: $vgpr4
.LBB76_911:
	s_andn2_b64 vcc, exec, s[4:5]
	s_cbranch_vccnz .LBB76_913
; %bb.912:
	global_load_dword v3, v[0:1], off
	s_movk_i32 s4, 0x7fff
	s_waitcnt vmcnt(0)
	v_cvt_f32_i32_e32 v3, v3
	v_bfe_u32 v4, v3, 16, 1
	v_add3_u32 v3, v3, v4, s4
	v_lshrrev_b32_e32 v4, 16, v3
.LBB76_913:
	s_mov_b64 s[4:5], 0
.LBB76_914:
	s_andn2_b64 vcc, exec, s[4:5]
	s_cbranch_vccnz .LBB76_916
; %bb.915:
	global_load_sshort v3, v[0:1], off
	s_movk_i32 s4, 0x7fff
	s_waitcnt vmcnt(0)
	v_cvt_f32_i32_e32 v3, v3
	v_bfe_u32 v4, v3, 16, 1
	v_add3_u32 v3, v3, v4, s4
	v_lshrrev_b32_e32 v4, 16, v3
.LBB76_916:
	s_cbranch_execnz .LBB76_922
.LBB76_917:
	s_sext_i32_i16 s4, s42
	s_cmp_gt_i32 s4, 0
	s_cbranch_scc0 .LBB76_919
; %bb.918:
	global_load_sbyte v3, v[0:1], off
	s_movk_i32 s4, 0x7fff
	s_waitcnt vmcnt(0)
	v_cvt_f32_i32_e32 v3, v3
	v_bfe_u32 v4, v3, 16, 1
	v_add3_u32 v3, v3, v4, s4
	v_lshrrev_b32_e32 v4, 16, v3
	s_mov_b64 s[4:5], 0
	s_branch .LBB76_920
.LBB76_919:
	s_mov_b64 s[4:5], -1
                                        ; implicit-def: $vgpr4
.LBB76_920:
	s_andn2_b64 vcc, exec, s[4:5]
	s_cbranch_vccnz .LBB76_922
; %bb.921:
	global_load_ubyte v0, v[0:1], off
	s_movk_i32 s4, 0x7fff
	s_waitcnt vmcnt(0)
	v_cvt_f32_ubyte0_e32 v0, v0
	v_bfe_u32 v1, v0, 16, 1
	v_add3_u32 v0, v0, v1, s4
	v_lshrrev_b32_e32 v4, 16, v0
.LBB76_922:
	s_or_b64 s[0:1], s[0:1], exec
.LBB76_923:
	s_or_b64 exec, exec, s[2:3]
	s_mov_b64 s[4:5], 0
	s_mov_b64 s[2:3], 0
                                        ; implicit-def: $sgpr26
                                        ; implicit-def: $vgpr0_vgpr1
                                        ; implicit-def: $vgpr3
	s_and_saveexec_b64 s[18:19], s[0:1]
	s_cbranch_execz .LBB76_947
; %bb.924:
	s_waitcnt vmcnt(0)
	v_lshlrev_b32_e32 v0, 16, v4
	v_cmp_gt_f32_e32 vcc, 0.5, v0
	v_mov_b32_e32 v3, 0
	v_mov_b32_e32 v1, 1.0
	s_and_saveexec_b64 s[22:23], vcc
	s_cbranch_execz .LBB76_930
; %bb.925:
	v_mul_f32_e32 v1, 0x40490fdb, v0
	s_brev_b32 s0, 18
	v_and_b32_e32 v3, 0x7fffffff, v1
	v_cmp_nlt_f32_e64 s[0:1], |v1|, s0
                                        ; implicit-def: $vgpr4
                                        ; implicit-def: $vgpr5
	s_and_saveexec_b64 s[2:3], s[0:1]
	s_xor_b64 s[24:25], exec, s[2:3]
	s_cbranch_execz .LBB76_927
; %bb.926:
	v_and_b32_e32 v4, 0x7fffff, v3
	v_or_b32_e32 v13, 0x800000, v4
	s_mov_b32 s0, 0xfe5163ab
	v_mad_u64_u32 v[4:5], s[0:1], v13, s0, 0
	v_mov_b32_e32 v6, 0
	s_mov_b32 s0, 0x3c439041
	v_mad_u64_u32 v[7:8], s[0:1], v13, s0, v[5:6]
	s_mov_b32 s0, 0xdb629599
	v_not_b32_e32 v12, 63
	v_mov_b32_e32 v5, v8
	v_mad_u64_u32 v[8:9], s[0:1], v13, s0, v[5:6]
	s_mov_b32 s0, 0xf534ddc0
	v_not_b32_e32 v15, 31
	v_mov_b32_e32 v5, v9
	v_mad_u64_u32 v[9:10], s[0:1], v13, s0, v[5:6]
	v_lshrrev_b32_e32 v5, 23, v3
	v_add_u32_e32 v14, 0xffffff88, v5
	v_mov_b32_e32 v5, v10
	s_mov_b32 s0, 0xfc2757d1
	v_mad_u64_u32 v[10:11], s[0:1], v13, s0, v[5:6]
	v_cmp_lt_u32_e32 vcc, 63, v14
	v_cndmask_b32_e32 v5, 0, v12, vcc
	v_add_u32_e32 v14, v5, v14
	v_mov_b32_e32 v5, v11
	s_mov_b32 s0, 0x4e441529
	v_mad_u64_u32 v[11:12], s[0:1], v13, s0, v[5:6]
	v_cmp_lt_u32_e64 s[0:1], 31, v14
	v_cndmask_b32_e64 v5, 0, v15, s[0:1]
	v_add_u32_e32 v14, v5, v14
	v_mov_b32_e32 v5, v12
	s_mov_b32 s2, 0xa2f9836e
	v_mad_u64_u32 v[5:6], s[2:3], v13, s2, v[5:6]
	v_cmp_lt_u32_e64 s[2:3], 31, v14
	v_cndmask_b32_e64 v12, 0, v15, s[2:3]
	v_cndmask_b32_e32 v13, v11, v9, vcc
	v_cndmask_b32_e32 v5, v5, v10, vcc
	;; [unrolled: 1-line block ×3, first 2 shown]
	v_add_u32_e32 v12, v12, v14
	v_cndmask_b32_e64 v14, v5, v13, s[0:1]
	v_cndmask_b32_e64 v5, v6, v5, s[0:1]
	v_cndmask_b32_e32 v6, v10, v8, vcc
	v_cndmask_b32_e64 v10, v13, v6, s[0:1]
	v_cndmask_b32_e64 v5, v5, v14, s[2:3]
	v_cndmask_b32_e64 v11, v14, v10, s[2:3]
	v_sub_u32_e32 v13, 32, v12
	v_alignbit_b32 v14, v5, v11, v13
	v_cmp_eq_u32_e64 s[4:5], 0, v12
	v_cndmask_b32_e64 v12, v14, v5, s[4:5]
	v_cndmask_b32_e32 v5, v9, v7, vcc
	v_cndmask_b32_e64 v6, v6, v5, s[0:1]
	v_cndmask_b32_e64 v7, v10, v6, s[2:3]
	v_alignbit_b32 v9, v11, v7, v13
	v_cndmask_b32_e32 v4, v8, v4, vcc
	v_cndmask_b32_e64 v9, v9, v11, s[4:5]
	v_bfe_u32 v14, v12, 29, 1
	v_cndmask_b32_e64 v4, v5, v4, s[0:1]
	v_alignbit_b32 v10, v12, v9, 30
	v_sub_u32_e32 v15, 0, v14
	v_cndmask_b32_e64 v4, v6, v4, s[2:3]
	v_xor_b32_e32 v10, v10, v15
	v_alignbit_b32 v5, v7, v4, v13
	v_cndmask_b32_e64 v5, v5, v7, s[4:5]
	v_ffbh_u32_e32 v7, v10
	v_alignbit_b32 v6, v9, v5, 30
	v_min_u32_e32 v7, 32, v7
	v_alignbit_b32 v4, v5, v4, 30
	v_xor_b32_e32 v6, v6, v15
	v_sub_u32_e32 v8, 31, v7
	v_xor_b32_e32 v4, v4, v15
	v_alignbit_b32 v9, v10, v6, v8
	v_alignbit_b32 v4, v6, v4, v8
	;; [unrolled: 1-line block ×3, first 2 shown]
	v_ffbh_u32_e32 v6, v5
	v_min_u32_e32 v6, 32, v6
	v_lshrrev_b32_e32 v11, 29, v12
	v_not_b32_e32 v8, v6
	v_alignbit_b32 v4, v5, v4, v8
	v_lshlrev_b32_e32 v5, 31, v11
	v_or_b32_e32 v8, 0x33000000, v5
	v_add_lshl_u32 v6, v6, v7, 23
	v_lshrrev_b32_e32 v4, 9, v4
	v_sub_u32_e32 v6, v8, v6
	v_or_b32_e32 v5, 0.5, v5
	v_lshlrev_b32_e32 v7, 23, v7
	v_or_b32_e32 v4, v6, v4
	v_lshrrev_b32_e32 v6, 9, v9
	v_sub_u32_e32 v5, v5, v7
	v_or_b32_e32 v5, v6, v5
	s_mov_b32 s0, 0x3fc90fda
	v_mul_f32_e32 v6, 0x3fc90fda, v5
	v_fma_f32 v7, v5, s0, -v6
	v_fmac_f32_e32 v7, 0x33a22168, v5
	v_fmac_f32_e32 v7, 0x3fc90fda, v4
	v_lshrrev_b32_e32 v4, 30, v12
	v_add_f32_e32 v5, v6, v7
	v_add_u32_e32 v4, v14, v4
.LBB76_927:
	s_andn2_saveexec_b64 s[0:1], s[24:25]
	s_cbranch_execz .LBB76_929
; %bb.928:
	s_mov_b32 s2, 0x3f22f983
	v_mul_f32_e64 v4, |v1|, s2
	v_rndne_f32_e32 v6, v4
	s_mov_b32 s2, 0xbfc90fda
	v_cvt_i32_f32_e32 v4, v6
	v_fma_f32 v5, v6, s2, |v1|
	v_fmac_f32_e32 v5, 0xb3a22168, v6
	v_fmac_f32_e32 v5, 0xa7c234c4, v6
.LBB76_929:
	s_or_b64 exec, exec, s[0:1]
	v_mul_f32_e32 v6, v5, v5
	v_mov_b32_e32 v7, 0x3c0881c4
	v_fmac_f32_e32 v7, 0xb94c1982, v6
	v_mov_b32_e32 v8, 0xbe2aaa9d
	v_fmac_f32_e32 v8, v6, v7
	v_mul_f32_e32 v7, v6, v8
	v_fmac_f32_e32 v5, v5, v7
	v_mov_b32_e32 v7, 0xbab64f3b
	v_fmac_f32_e32 v7, 0x37d75334, v6
	v_mov_b32_e32 v8, 0x3d2aabf7
	;; [unrolled: 2-line block ×3, first 2 shown]
	v_fmac_f32_e32 v7, v6, v8
	v_fma_f32 v6, v6, v7, 1.0
	v_and_b32_e32 v7, 1, v4
	v_lshlrev_b32_e32 v4, 30, v4
	v_cmp_eq_u32_e32 vcc, 0, v7
	v_and_b32_e32 v4, 0x80000000, v4
	v_xor_b32_e32 v3, v3, v1
	v_cndmask_b32_e32 v5, v6, v5, vcc
	v_xor_b32_e32 v3, v3, v4
	s_movk_i32 s0, 0x1f8
	v_xor_b32_e32 v3, v3, v5
	v_mov_b32_e32 v4, 0x7fc00000
	v_cmp_class_f32_e64 vcc, v1, s0
	v_cndmask_b32_e32 v1, v4, v3, vcc
	v_mul_f32_e32 v1, v1, v1
	s_mov_b32 s2, 0xc11de9e7
	v_div_scale_f32 v3, s[0:1], v1, v1, s2
	v_div_scale_f32 v4, vcc, s2, v1, s2
	v_sub_f32_e32 v0, 1.0, v0
	v_rcp_f32_e32 v5, v3
	v_fma_f32 v6, -v3, v5, 1.0
	v_fmac_f32_e32 v5, v6, v5
	v_mul_f32_e32 v6, v4, v5
	v_fma_f32 v7, -v3, v6, v4
	v_fmac_f32_e32 v6, v7, v5
	v_fma_f32 v3, -v3, v6, v4
	v_div_fmas_f32 v3, v3, v5, v6
	v_div_fixup_f32 v1, v3, v1, s2
	v_add_f32_e32 v3, 0, v1
	v_mov_b32_e32 v1, -1.0
.LBB76_930:
	s_or_b64 exec, exec, s[22:23]
	v_mul_f32_e32 v4, v0, v0
	v_div_scale_f32 v6, s[0:1], v4, v4, 1.0
	v_add_f32_e32 v5, 1.0, v0
	v_mul_f32_e32 v0, v5, v5
	v_div_scale_f32 v8, s[0:1], v0, v0, 1.0
	v_div_scale_f32 v7, vcc, 1.0, v4, 1.0
	v_div_scale_f32 v9, s[0:1], 1.0, v0, 1.0
	v_add_f32_e32 v10, 1.0, v5
	v_mul_f32_e32 v5, v10, v10
	v_div_scale_f32 v13, s[2:3], v5, v5, 1.0
	v_add_f32_e32 v10, 1.0, v10
	v_add_f32_e32 v18, 1.0, v10
	v_rcp_f32_e32 v11, v6
	s_and_b32 s26, s33, 0xff
	s_cmp_lt_i32 s26, 11
	v_rcp_f32_e32 v12, v8
	v_fma_f32 v14, -v6, v11, 1.0
	v_fmac_f32_e32 v11, v14, v11
	v_mul_f32_e32 v15, v7, v11
	v_fma_f32 v14, -v8, v12, 1.0
	v_fmac_f32_e32 v12, v14, v12
	v_fma_f32 v14, -v6, v15, v7
	v_fmac_f32_e32 v15, v14, v11
	v_fma_f32 v6, -v6, v15, v7
	v_mul_f32_e32 v16, v9, v12
	v_div_fmas_f32 v6, v6, v11, v15
	v_div_scale_f32 v11, s[2:3], 1.0, v5, 1.0
	v_fma_f32 v7, -v8, v16, v9
	v_fmac_f32_e32 v16, v7, v12
	v_mul_f32_e32 v7, v10, v10
	v_div_scale_f32 v14, s[4:5], v7, v7, 1.0
	v_div_scale_f32 v17, s[4:5], 1.0, v7, 1.0
	v_rcp_f32_e32 v15, v13
	v_fma_f32 v9, -v8, v16, v9
	v_mul_f32_e32 v8, v18, v18
	v_div_scale_f32 v19, s[22:23], v8, v8, 1.0
	v_fma_f32 v10, -v13, v15, 1.0
	v_fmac_f32_e32 v15, v10, v15
	s_mov_b64 vcc, s[0:1]
	v_mul_f32_e32 v10, v11, v15
	v_div_fmas_f32 v9, v9, v12, v16
	v_fma_f32 v12, -v13, v10, v11
	v_fmac_f32_e32 v10, v12, v15
	v_rcp_f32_e32 v12, v14
	v_fma_f32 v11, -v13, v10, v11
	s_mov_b64 vcc, s[2:3]
	v_div_fmas_f32 v10, v11, v15, v10
	v_div_scale_f32 v15, s[0:1], 1.0, v8, 1.0
	v_add_f32_e32 v16, 1.0, v18
	v_mul_f32_e32 v18, v16, v16
	v_fma_f32 v11, -v14, v12, 1.0
	v_div_scale_f32 v20, s[2:3], v18, v18, 1.0
	v_fmac_f32_e32 v12, v11, v12
	v_mul_f32_e32 v11, v17, v12
	v_fma_f32 v13, -v14, v11, v17
	v_fmac_f32_e32 v11, v13, v12
	v_fma_f32 v14, -v14, v11, v17
	s_mov_b64 vcc, s[4:5]
	v_div_fmas_f32 v11, v14, v12, v11
	v_div_scale_f32 v14, s[2:3], 1.0, v18, 1.0
	v_rcp_f32_e32 v13, v19
	v_add_f32_e32 v16, 1.0, v16
	v_mul_f32_e32 v17, v16, v16
	v_div_scale_f32 v21, s[4:5], v17, v17, 1.0
	v_fma_f32 v12, -v19, v13, 1.0
	v_fmac_f32_e32 v13, v12, v13
	v_mul_f32_e32 v12, v15, v13
	v_fma_f32 v22, -v19, v12, v15
	v_fmac_f32_e32 v12, v22, v13
	v_div_scale_f32 v22, s[4:5], 1.0, v17, 1.0
	v_fma_f32 v15, -v19, v12, v15
	v_rcp_f32_e32 v19, v20
	s_mov_b64 vcc, s[0:1]
	v_div_fmas_f32 v12, v15, v13, v12
	s_mov_b64 vcc, s[2:3]
	v_fma_f32 v13, -v20, v19, 1.0
	v_fmac_f32_e32 v19, v13, v19
	v_mul_f32_e32 v13, v14, v19
	v_fma_f32 v15, -v20, v13, v14
	v_fmac_f32_e32 v13, v15, v19
	v_rcp_f32_e32 v15, v21
	v_fma_f32 v14, -v20, v13, v14
	v_div_fmas_f32 v13, v14, v19, v13
	v_add_f32_e32 v19, v16, v16
	v_div_scale_f32 v20, s[0:1], v19, v19, 1.0
	v_fma_f32 v14, -v21, v15, 1.0
	v_fmac_f32_e32 v15, v14, v15
	v_mul_f32_e32 v14, v22, v15
	v_fma_f32 v23, -v21, v14, v22
	v_fmac_f32_e32 v14, v23, v15
	v_div_scale_f32 v23, s[0:1], 1.0, v19, 1.0
	v_fma_f32 v21, -v21, v14, v22
	s_mov_b64 vcc, s[4:5]
	v_div_fmas_f32 v14, v21, v15, v14
	s_mov_b64 vcc, s[0:1]
	s_mov_b32 s0, 0x3e2aaaab
	v_div_fixup_f32 v4, v6, v4, 1.0
	v_add_f32_e32 v3, v3, v4
	v_rcp_f32_e32 v22, v20
	v_div_fixup_f32 v0, v9, v0, 1.0
	v_add_f32_e32 v0, v3, v0
	v_div_fixup_f32 v3, v10, v5, 1.0
	v_fma_f32 v15, -v20, v22, 1.0
	v_fmac_f32_e32 v22, v15, v22
	v_add_f32_e32 v0, v0, v3
	v_mul_f32_e32 v15, v23, v22
	v_fma_f32 v21, -v20, v15, v23
	v_fmac_f32_e32 v15, v21, v22
	v_fma_f32 v20, -v20, v15, v23
	v_div_fmas_f32 v15, v20, v22, v15
	v_div_fixup_f32 v14, v14, v17, 1.0
	v_mov_b32_e32 v17, 0x3d088889
	v_fmac_f32_e32 v17, 0xbcc30c31, v14
	v_fma_f32 v17, -v14, v17, s0
	v_div_fixup_f32 v3, v11, v7, 1.0
	v_add_f32_e32 v0, v0, v3
	v_div_fixup_f32 v3, v12, v8, 1.0
	v_add_f32_e32 v0, v0, v3
	;; [unrolled: 2-line block ×3, first 2 shown]
	v_div_fixup_f32 v15, v15, v19, 1.0
	v_add_f32_e32 v15, 1.0, v15
	v_fmac_f32_e32 v15, v14, v17
	v_div_scale_f32 v14, s[0:1], v16, v16, v15
	v_div_scale_f32 v17, vcc, v15, v16, v15
	s_movk_i32 s0, 0x7fff
	v_rcp_f32_e32 v19, v14
	v_fma_f32 v20, -v14, v19, 1.0
	v_fmac_f32_e32 v19, v20, v19
	v_mul_f32_e32 v20, v17, v19
	v_fma_f32 v21, -v14, v20, v17
	v_fmac_f32_e32 v20, v21, v19
	v_fma_f32 v14, -v14, v20, v17
	v_div_fmas_f32 v14, v14, v19, v20
	v_div_fixup_f32 v3, v14, v16, v15
	v_add_f32_e32 v0, v0, v3
	v_mul_f32_e32 v0, v1, v0
	v_bfe_u32 v1, v0, 16, 1
	v_add3_u32 v1, v0, v1, s0
	v_cmp_o_f32_e32 vcc, v0, v0
	v_mul_lo_u32 v0, v2, s12
	v_mov_b32_e32 v2, 0x7fc0
	v_cndmask_b32_sdwa v3, v2, v1, vcc dst_sel:DWORD dst_unused:UNUSED_PAD src0_sel:DWORD src1_sel:WORD_1
	v_mov_b32_e32 v2, s9
	v_ashrrev_i32_e32 v1, 31, v0
	v_add_co_u32_e32 v0, vcc, s8, v0
	v_addc_co_u32_e32 v1, vcc, v2, v1, vcc
	s_cbranch_scc1 .LBB76_950
; %bb.931:
	s_and_b32 s27, 0xffff, s26
	s_mov_b64 s[4:5], -1
	s_cmp_gt_i32 s27, 25
	s_mov_b64 s[0:1], s[6:7]
	s_cbranch_scc0 .LBB76_968
; %bb.932:
	s_mov_b64 s[2:3], -1
	s_cmp_gt_i32 s27, 28
	s_mov_b64 s[0:1], s[6:7]
	s_cbranch_scc0 .LBB76_952
; %bb.933:
	s_cmp_gt_i32 s27, 43
	s_mov_b64 s[0:1], s[6:7]
	s_cbranch_scc0 .LBB76_944
; %bb.934:
	;; [unrolled: 4-line block ×3, first 2 shown]
	s_cmp_eq_u32 s27, 46
	s_mov_b64 s[0:1], -1
	s_cbranch_scc0 .LBB76_937
; %bb.936:
	v_and_b32_e32 v2, 0xffff, v3
	global_store_dword v[0:1], v2, off
	s_mov_b64 s[0:1], 0
.LBB76_937:
	s_mov_b64 s[2:3], 0
.LBB76_938:
	s_and_b64 vcc, exec, s[2:3]
	s_cbranch_vccz .LBB76_943
; %bb.939:
	s_cmp_eq_u32 s27, 44
	s_mov_b64 s[0:1], -1
	s_cbranch_scc0 .LBB76_943
; %bb.940:
	v_and_b32_e32 v4, 0xffff, v3
	v_bfe_u32 v2, v4, 7, 8
	s_movk_i32 s0, 0xff
	v_cmp_ne_u32_e32 vcc, s0, v2
	v_mov_b32_e32 v5, 0xff
	s_and_saveexec_b64 s[2:3], vcc
	s_cbranch_execz .LBB76_942
; %bb.941:
	v_lshlrev_b32_e32 v6, 16, v4
	s_mov_b32 s0, 0x3f0000
	v_lshrrev_b32_e32 v5, 7, v4
	v_and_b32_e32 v4, 64, v4
	v_and_or_b32 v2, v6, s0, v2
	v_cmp_ne_u32_e32 vcc, 0, v4
	v_cmp_ne_u32_e64 s[0:1], 0, v2
	s_and_b64 s[0:1], vcc, s[0:1]
	v_cndmask_b32_e64 v2, 0, 1, s[0:1]
	v_add_u32_e32 v5, v5, v2
.LBB76_942:
	s_or_b64 exec, exec, s[2:3]
	s_mov_b64 s[0:1], 0
	global_store_byte v[0:1], v5, off
.LBB76_943:
	s_mov_b64 s[2:3], 0
.LBB76_944:
	s_and_b64 vcc, exec, s[2:3]
	s_cbranch_vccz .LBB76_951
; %bb.945:
	s_cmp_eq_u32 s27, 29
	s_mov_b64 s[0:1], -1
	s_cbranch_scc0 .LBB76_951
; %bb.946:
	v_lshlrev_b32_e32 v2, 16, v3
	v_trunc_f32_e32 v2, v2
	v_mul_f32_e32 v4, 0x2f800000, v2
	v_floor_f32_e32 v4, v4
	v_fmac_f32_e32 v2, 0xcf800000, v4
	v_cvt_u32_f32_e32 v5, v4
	v_cvt_u32_f32_e32 v4, v2
	s_mov_b64 s[0:1], 0
	s_mov_b64 s[2:3], 0
	global_store_dwordx2 v[0:1], v[4:5], off
	s_branch .LBB76_952
.LBB76_947:
	s_or_b64 exec, exec, s[18:19]
	s_and_saveexec_b64 s[0:1], s[6:7]
	s_cbranch_execnz .LBB76_1010
.LBB76_948:
	s_or_b64 exec, exec, s[0:1]
	s_and_saveexec_b64 s[0:1], s[4:5]
	s_xor_b64 s[0:1], exec, s[0:1]
	s_cbranch_execz .LBB76_1011
.LBB76_949:
	s_waitcnt vmcnt(0)
	v_and_b32_e32 v2, 0x7fff, v3
	v_cmp_ne_u16_e32 vcc, 0, v2
	v_cndmask_b32_e64 v2, 0, 1, vcc
	global_store_byte v[0:1], v2, off
	s_or_b64 exec, exec, s[0:1]
	s_and_saveexec_b64 s[0:1], s[2:3]
	s_xor_b64 s[0:1], exec, s[0:1]
	s_cbranch_execz .LBB76_1049
	s_branch .LBB76_1012
.LBB76_950:
	s_mov_b64 s[4:5], 0
	s_mov_b64 s[2:3], -1
	s_mov_b64 s[0:1], s[6:7]
	s_branch .LBB76_1009
.LBB76_951:
	s_mov_b64 s[2:3], 0
.LBB76_952:
	s_and_b64 vcc, exec, s[2:3]
	s_cbranch_vccz .LBB76_967
; %bb.953:
	s_cmp_lt_i32 s27, 27
	s_mov_b64 s[2:3], -1
	s_cbranch_scc1 .LBB76_959
; %bb.954:
	s_cmp_gt_i32 s27, 27
	s_cbranch_scc0 .LBB76_956
; %bb.955:
	v_lshlrev_b32_e32 v2, 16, v3
	v_cvt_u32_f32_e32 v2, v2
	s_mov_b64 s[2:3], 0
	global_store_dword v[0:1], v2, off
.LBB76_956:
	s_andn2_b64 vcc, exec, s[2:3]
	s_cbranch_vccnz .LBB76_958
; %bb.957:
	v_lshlrev_b32_e32 v2, 16, v3
	v_cvt_u32_f32_e32 v2, v2
	global_store_short v[0:1], v2, off
.LBB76_958:
	s_mov_b64 s[2:3], 0
.LBB76_959:
	s_andn2_b64 vcc, exec, s[2:3]
	s_cbranch_vccnz .LBB76_967
; %bb.960:
	v_lshlrev_b32_e32 v5, 16, v3
	v_and_b32_e32 v4, 0x7fffffff, v5
	s_mov_b32 s2, 0x43800000
	v_cmp_gt_u32_e32 vcc, s2, v4
	v_mov_b32_e32 v6, 0x80
	s_and_saveexec_b64 s[2:3], vcc
	s_cbranch_execz .LBB76_966
; %bb.961:
	s_mov_b32 s4, 0x3bffffff
	v_and_b32_e32 v2, 0xffff, v3
	v_cmp_lt_u32_e32 vcc, s4, v4
	s_mov_b64 s[4:5], 0
                                        ; implicit-def: $vgpr4
	s_and_saveexec_b64 s[22:23], vcc
	s_xor_b64 s[22:23], exec, s[22:23]
	s_cbranch_execz .LBB76_1064
; %bb.962:
	v_bfe_u32 v4, v2, 4, 1
	s_mov_b32 s24, 0x487ffff
	v_add3_u32 v4, v5, v4, s24
	s_mov_b64 s[4:5], exec
	v_lshrrev_b32_e32 v4, 20, v4
                                        ; implicit-def: $vgpr5
	s_andn2_saveexec_b64 s[22:23], s[22:23]
	s_cbranch_execnz .LBB76_1065
.LBB76_963:
	s_or_b64 exec, exec, s[22:23]
	v_mov_b32_e32 v6, 0
	s_and_saveexec_b64 s[22:23], s[4:5]
.LBB76_964:
	v_lshrrev_b32_e32 v2, 8, v2
	s_movk_i32 s4, 0x80
	v_and_or_b32 v6, v2, s4, v4
.LBB76_965:
	s_or_b64 exec, exec, s[22:23]
.LBB76_966:
	s_or_b64 exec, exec, s[2:3]
	global_store_byte v[0:1], v6, off
.LBB76_967:
	s_mov_b64 s[4:5], 0
.LBB76_968:
	s_mov_b64 s[2:3], 0
	s_and_b64 vcc, exec, s[4:5]
	s_cbranch_vccz .LBB76_1008
; %bb.969:
	s_cmp_gt_i32 s27, 22
	s_mov_b64 s[4:5], -1
	s_cbranch_scc0 .LBB76_1001
; %bb.970:
	s_cmp_lt_i32 s27, 24
	s_cbranch_scc1 .LBB76_990
; %bb.971:
	s_cmp_gt_i32 s27, 24
	s_cbranch_scc0 .LBB76_979
; %bb.972:
	v_lshlrev_b32_e32 v5, 16, v3
	v_and_b32_e32 v4, 0x7fffffff, v5
	s_mov_b32 s4, 0x47800000
	v_cmp_gt_u32_e32 vcc, s4, v4
	v_mov_b32_e32 v6, 0x80
	s_and_saveexec_b64 s[4:5], vcc
	s_cbranch_execz .LBB76_978
; %bb.973:
	s_mov_b32 s22, 0x37ffffff
	v_and_b32_e32 v2, 0xffff, v3
	v_cmp_lt_u32_e32 vcc, s22, v4
	s_mov_b64 s[22:23], 0
                                        ; implicit-def: $vgpr4
	s_and_saveexec_b64 s[24:25], vcc
	s_xor_b64 s[24:25], exec, s[24:25]
	s_cbranch_execz .LBB76_1195
; %bb.974:
	v_bfe_u32 v4, v2, 5, 1
	s_mov_b32 s28, 0x88fffff
	v_add3_u32 v4, v5, v4, s28
	s_mov_b64 s[22:23], exec
	v_lshrrev_b32_e32 v4, 21, v4
                                        ; implicit-def: $vgpr5
	s_andn2_saveexec_b64 s[24:25], s[24:25]
	s_cbranch_execnz .LBB76_1196
.LBB76_975:
	s_or_b64 exec, exec, s[24:25]
	v_mov_b32_e32 v6, 0
	s_and_saveexec_b64 s[24:25], s[22:23]
.LBB76_976:
	v_lshrrev_b32_e32 v2, 8, v2
	s_movk_i32 s22, 0x80
	v_and_or_b32 v6, v2, s22, v4
.LBB76_977:
	s_or_b64 exec, exec, s[24:25]
.LBB76_978:
	s_or_b64 exec, exec, s[4:5]
	s_mov_b64 s[4:5], 0
	global_store_byte v[0:1], v6, off
.LBB76_979:
	s_and_b64 vcc, exec, s[4:5]
	s_cbranch_vccz .LBB76_989
; %bb.980:
	v_lshlrev_b32_e32 v5, 16, v3
	v_and_b32_e32 v6, 0x7fffffff, v5
	s_mov_b32 s4, 0x43f00000
	v_and_b32_e32 v2, 0xffff, v3
	v_cmp_gt_u32_e32 vcc, s4, v6
                                        ; implicit-def: $vgpr4
	s_and_saveexec_b64 s[4:5], vcc
	s_xor_b64 s[4:5], exec, s[4:5]
	s_cbranch_execz .LBB76_986
; %bb.981:
	s_mov_b32 s22, 0x3c7fffff
	v_cmp_lt_u32_e32 vcc, s22, v6
                                        ; implicit-def: $vgpr4
	s_and_saveexec_b64 s[22:23], vcc
	s_xor_b64 s[22:23], exec, s[22:23]
; %bb.982:
	v_bfe_u32 v4, v2, 4, 1
	s_mov_b32 s24, 0x407ffff
	v_add3_u32 v4, v5, v4, s24
	v_lshrrev_b32_e32 v5, 20, v4
	v_and_b32_e32 v4, 0xff00000, v4
	s_mov_b32 s24, 0x7f00000
	v_mov_b32_e32 v6, 0x7e
	v_cmp_ne_u32_e32 vcc, s24, v4
	v_cndmask_b32_e32 v4, v6, v5, vcc
                                        ; implicit-def: $vgpr5
; %bb.983:
	s_andn2_saveexec_b64 s[22:23], s[22:23]
; %bb.984:
	s_mov_b32 s24, 0x46800000
	v_add_f32_e64 v4, |v5|, s24
; %bb.985:
	s_or_b64 exec, exec, s[22:23]
                                        ; implicit-def: $vgpr6
.LBB76_986:
	s_andn2_saveexec_b64 s[4:5], s[4:5]
; %bb.987:
	s_mov_b32 s22, 0x7f800000
	v_mov_b32_e32 v4, 0x7e
	v_mov_b32_e32 v5, 0x7f
	v_cmp_lt_u32_e32 vcc, s22, v6
	v_cndmask_b32_e32 v4, v4, v5, vcc
; %bb.988:
	s_or_b64 exec, exec, s[4:5]
	v_lshrrev_b32_e32 v2, 8, v2
	s_movk_i32 s4, 0x80
	v_and_or_b32 v2, v2, s4, v4
	global_store_byte v[0:1], v2, off
.LBB76_989:
	s_mov_b64 s[4:5], 0
.LBB76_990:
	s_andn2_b64 vcc, exec, s[4:5]
	s_cbranch_vccnz .LBB76_1000
; %bb.991:
	v_lshlrev_b32_e32 v5, 16, v3
	v_and_b32_e32 v6, 0x7fffffff, v5
	s_mov_b32 s4, 0x47800000
	v_and_b32_e32 v2, 0xffff, v3
	v_cmp_gt_u32_e32 vcc, s4, v6
                                        ; implicit-def: $vgpr4
	s_and_saveexec_b64 s[4:5], vcc
	s_xor_b64 s[4:5], exec, s[4:5]
	s_cbranch_execz .LBB76_997
; %bb.992:
	s_mov_b32 s22, 0x387fffff
	v_cmp_lt_u32_e32 vcc, s22, v6
                                        ; implicit-def: $vgpr4
	s_and_saveexec_b64 s[22:23], vcc
	s_xor_b64 s[22:23], exec, s[22:23]
; %bb.993:
	v_bfe_u32 v4, v2, 5, 1
	s_mov_b32 s24, 0x80fffff
	v_add3_u32 v4, v5, v4, s24
	v_lshrrev_b32_e32 v4, 21, v4
                                        ; implicit-def: $vgpr5
; %bb.994:
	s_andn2_saveexec_b64 s[22:23], s[22:23]
; %bb.995:
	s_mov_b32 s24, 0x43000000
	v_add_f32_e64 v4, |v5|, s24
; %bb.996:
	s_or_b64 exec, exec, s[22:23]
                                        ; implicit-def: $vgpr6
.LBB76_997:
	s_andn2_saveexec_b64 s[4:5], s[4:5]
; %bb.998:
	s_mov_b32 s22, 0x7f800000
	v_mov_b32_e32 v4, 0x7c
	v_mov_b32_e32 v5, 0x7f
	v_cmp_lt_u32_e32 vcc, s22, v6
	v_cndmask_b32_e32 v4, v4, v5, vcc
; %bb.999:
	s_or_b64 exec, exec, s[4:5]
	v_lshrrev_b32_e32 v2, 8, v2
	s_movk_i32 s4, 0x80
	v_and_or_b32 v2, v2, s4, v4
	global_store_byte v[0:1], v2, off
.LBB76_1000:
	s_mov_b64 s[4:5], 0
.LBB76_1001:
	s_andn2_b64 vcc, exec, s[4:5]
	s_mov_b64 s[4:5], 0
	s_cbranch_vccnz .LBB76_1009
; %bb.1002:
	s_cmp_gt_i32 s27, 14
	s_mov_b64 s[22:23], -1
	s_cbranch_scc0 .LBB76_1006
; %bb.1003:
	s_cmp_eq_u32 s27, 15
	s_mov_b64 s[0:1], -1
	s_cbranch_scc0 .LBB76_1005
; %bb.1004:
	global_store_short v[0:1], v3, off
	s_mov_b64 s[0:1], 0
.LBB76_1005:
	s_mov_b64 s[22:23], 0
.LBB76_1006:
	s_and_b64 vcc, exec, s[22:23]
	s_cbranch_vccz .LBB76_1009
; %bb.1007:
	s_cmp_lg_u32 s27, 11
	s_cselect_b64 s[22:23], -1, 0
	s_andn2_b64 s[0:1], s[0:1], exec
	s_and_b64 s[22:23], s[22:23], exec
	s_mov_b64 s[4:5], -1
	s_or_b64 s[0:1], s[0:1], s[22:23]
	s_branch .LBB76_1009
.LBB76_1008:
	s_mov_b64 s[4:5], 0
.LBB76_1009:
	s_andn2_b64 s[6:7], s[6:7], exec
	s_and_b64 s[0:1], s[0:1], exec
	s_and_b64 s[2:3], s[2:3], exec
	;; [unrolled: 1-line block ×3, first 2 shown]
	s_or_b64 s[6:7], s[6:7], s[0:1]
	s_or_b64 exec, exec, s[18:19]
	s_and_saveexec_b64 s[0:1], s[6:7]
	s_cbranch_execz .LBB76_948
.LBB76_1010:
	s_or_b64 s[20:21], s[20:21], exec
	s_andn2_b64 s[4:5], s[4:5], exec
	s_trap 2
	s_or_b64 exec, exec, s[0:1]
	s_and_saveexec_b64 s[0:1], s[4:5]
	s_xor_b64 s[0:1], exec, s[0:1]
	s_cbranch_execnz .LBB76_949
.LBB76_1011:
	s_or_b64 exec, exec, s[0:1]
	s_and_saveexec_b64 s[0:1], s[2:3]
	s_xor_b64 s[0:1], exec, s[0:1]
	s_cbranch_execz .LBB76_1049
.LBB76_1012:
	s_sext_i32_i16 s4, s26
	s_cmp_lt_i32 s4, 5
	s_mov_b64 s[2:3], -1
	s_cbranch_scc1 .LBB76_1033
; %bb.1013:
	s_cmp_lt_i32 s4, 8
	s_cbranch_scc1 .LBB76_1023
; %bb.1014:
	s_cmp_lt_i32 s4, 9
	s_cbranch_scc1 .LBB76_1020
; %bb.1015:
	s_cmp_gt_i32 s4, 9
	s_cbranch_scc0 .LBB76_1017
; %bb.1016:
	s_waitcnt vmcnt(0)
	v_lshlrev_b32_e32 v2, 16, v3
	v_cvt_f64_f32_e32 v[4:5], v2
	v_mov_b32_e32 v6, 0
	v_mov_b32_e32 v7, v6
	s_mov_b64 s[2:3], 0
	global_store_dwordx4 v[0:1], v[4:7], off
.LBB76_1017:
	s_andn2_b64 vcc, exec, s[2:3]
	s_cbranch_vccnz .LBB76_1019
; %bb.1018:
	s_waitcnt vmcnt(0)
	v_lshlrev_b32_e32 v4, 16, v3
	v_mov_b32_e32 v5, 0
	global_store_dwordx2 v[0:1], v[4:5], off
.LBB76_1019:
	s_mov_b64 s[2:3], 0
.LBB76_1020:
	s_andn2_b64 vcc, exec, s[2:3]
	s_cbranch_vccnz .LBB76_1022
; %bb.1021:
	s_waitcnt vmcnt(0)
	v_lshlrev_b32_e32 v2, 16, v3
	v_cvt_f16_f32_e32 v2, v2
	global_store_dword v[0:1], v2, off
.LBB76_1022:
	s_mov_b64 s[2:3], 0
.LBB76_1023:
	s_andn2_b64 vcc, exec, s[2:3]
	s_cbranch_vccnz .LBB76_1032
; %bb.1024:
	s_sext_i32_i16 s4, s26
	s_cmp_lt_i32 s4, 6
	s_mov_b64 s[2:3], -1
	s_cbranch_scc1 .LBB76_1030
; %bb.1025:
	s_cmp_gt_i32 s4, 6
	s_cbranch_scc0 .LBB76_1027
; %bb.1026:
	s_waitcnt vmcnt(0)
	v_lshlrev_b32_e32 v2, 16, v3
	v_cvt_f64_f32_e32 v[4:5], v2
	s_mov_b64 s[2:3], 0
	global_store_dwordx2 v[0:1], v[4:5], off
.LBB76_1027:
	s_andn2_b64 vcc, exec, s[2:3]
	s_cbranch_vccnz .LBB76_1029
; %bb.1028:
	s_waitcnt vmcnt(0)
	v_lshlrev_b32_e32 v2, 16, v3
	global_store_dword v[0:1], v2, off
.LBB76_1029:
	s_mov_b64 s[2:3], 0
.LBB76_1030:
	s_andn2_b64 vcc, exec, s[2:3]
	s_cbranch_vccnz .LBB76_1032
; %bb.1031:
	s_waitcnt vmcnt(0)
	v_lshlrev_b32_e32 v2, 16, v3
	v_cvt_f16_f32_e32 v2, v2
	global_store_short v[0:1], v2, off
.LBB76_1032:
	s_mov_b64 s[2:3], 0
.LBB76_1033:
	s_andn2_b64 vcc, exec, s[2:3]
	s_cbranch_vccnz .LBB76_1049
; %bb.1034:
	s_sext_i32_i16 s4, s26
	s_cmp_lt_i32 s4, 2
	s_mov_b64 s[2:3], -1
	s_cbranch_scc1 .LBB76_1044
; %bb.1035:
	s_cmp_lt_i32 s4, 3
	s_cbranch_scc1 .LBB76_1041
; %bb.1036:
	s_cmp_gt_i32 s4, 3
	s_cbranch_scc0 .LBB76_1038
; %bb.1037:
	s_waitcnt vmcnt(0)
	v_lshlrev_b32_e32 v2, 16, v3
	v_trunc_f32_e32 v2, v2
	s_mov_b32 s2, 0x2f800000
	v_mul_f32_e64 v4, |v2|, s2
	v_floor_f32_e32 v4, v4
	s_mov_b32 s2, 0xcf800000
	v_cvt_u32_f32_e32 v5, v4
	v_fma_f32 v4, v4, s2, |v2|
	v_cvt_u32_f32_e32 v4, v4
	v_ashrrev_i32_e32 v2, 31, v2
	v_xor_b32_e32 v5, v5, v2
	s_mov_b64 s[2:3], 0
	v_xor_b32_e32 v4, v4, v2
	v_sub_co_u32_e32 v4, vcc, v4, v2
	v_subb_co_u32_e32 v5, vcc, v5, v2, vcc
	global_store_dwordx2 v[0:1], v[4:5], off
.LBB76_1038:
	s_andn2_b64 vcc, exec, s[2:3]
	s_cbranch_vccnz .LBB76_1040
; %bb.1039:
	s_waitcnt vmcnt(0)
	v_lshlrev_b32_e32 v2, 16, v3
	v_cvt_i32_f32_e32 v2, v2
	global_store_dword v[0:1], v2, off
.LBB76_1040:
	s_mov_b64 s[2:3], 0
.LBB76_1041:
	s_andn2_b64 vcc, exec, s[2:3]
	s_cbranch_vccnz .LBB76_1043
; %bb.1042:
	s_waitcnt vmcnt(0)
	v_lshlrev_b32_e32 v2, 16, v3
	v_cvt_i32_f32_e32 v2, v2
	global_store_short v[0:1], v2, off
.LBB76_1043:
	s_mov_b64 s[2:3], 0
.LBB76_1044:
	s_andn2_b64 vcc, exec, s[2:3]
	s_cbranch_vccnz .LBB76_1049
; %bb.1045:
	s_sext_i32_i16 s4, s26
	s_mov_b64 s[2:3], -1
	s_cmp_gt_i32 s4, 0
	s_waitcnt vmcnt(0)
	v_lshlrev_b32_e32 v2, 16, v3
	s_cbranch_scc0 .LBB76_1047
; %bb.1046:
	v_cvt_i32_f32_e32 v3, v2
	s_mov_b64 s[2:3], 0
	global_store_byte v[0:1], v3, off
.LBB76_1047:
	s_andn2_b64 vcc, exec, s[2:3]
	s_cbranch_vccnz .LBB76_1049
; %bb.1048:
	v_trunc_f32_e32 v2, v2
	s_mov_b32 s2, 0x2f800000
	v_mul_f32_e64 v3, |v2|, s2
	v_floor_f32_e32 v3, v3
	s_mov_b32 s2, 0xcf800000
	v_fma_f32 v3, v3, s2, |v2|
	v_cvt_u32_f32_e32 v3, v3
	v_ashrrev_i32_e32 v2, 31, v2
	v_xor_b32_e32 v3, v3, v2
	v_sub_u32_e32 v2, v3, v2
	global_store_byte v[0:1], v2, off
.LBB76_1049:
	s_or_b64 exec, exec, s[0:1]
	s_and_b64 s[6:7], s[20:21], exec
                                        ; implicit-def: $vgpr2
.LBB76_1050:
	s_or_saveexec_b64 s[14:15], s[14:15]
	s_mov_b64 s[0:1], 0
                                        ; implicit-def: $sgpr20
                                        ; implicit-def: $vgpr0_vgpr1
                                        ; implicit-def: $vgpr3
	s_xor_b64 exec, exec, s[14:15]
	s_cbranch_execz .LBB76_2022
; %bb.1051:
	s_waitcnt vmcnt(0)
	v_mul_lo_u32 v3, s13, v2
	v_mov_b32_e32 v1, s11
	s_and_b32 s22, 0xffff, s42
	s_cmp_lt_i32 s22, 11
	v_ashrrev_i32_e32 v4, 31, v3
	v_add_co_u32_e32 v0, vcc, s10, v3
	v_addc_co_u32_e32 v1, vcc, v1, v4, vcc
	s_cbranch_scc1 .LBB76_1058
; %bb.1052:
	s_cmp_gt_i32 s22, 25
	s_mov_b64 s[2:3], 0
	s_cbranch_scc0 .LBB76_1060
; %bb.1053:
	s_cmp_gt_i32 s22, 28
	s_cbranch_scc0 .LBB76_1061
; %bb.1054:
	s_cmp_gt_i32 s22, 43
	;; [unrolled: 3-line block ×3, first 2 shown]
	s_cbranch_scc0 .LBB76_1063
; %bb.1056:
	s_cmp_eq_u32 s22, 46
	s_cbranch_scc0 .LBB76_1066
; %bb.1057:
	global_load_dword v4, v[0:1], off
	s_mov_b64 s[4:5], -1
	s_branch .LBB76_1067
.LBB76_1058:
	s_mov_b64 s[4:5], 0
                                        ; implicit-def: $vgpr4
	s_mov_b64 s[18:19], s[6:7]
	s_cbranch_execnz .LBB76_1130
.LBB76_1059:
	s_andn2_b64 vcc, exec, s[4:5]
	s_cbranch_vccz .LBB76_1175
	s_branch .LBB76_2020
.LBB76_1060:
	s_mov_b64 s[4:5], 0
                                        ; implicit-def: $vgpr4
	s_cbranch_execnz .LBB76_1095
	s_branch .LBB76_1126
.LBB76_1061:
	s_mov_b64 s[16:17], -1
	s_mov_b64 s[4:5], 0
                                        ; implicit-def: $vgpr4
	s_branch .LBB76_1076
.LBB76_1062:
	s_mov_b64 s[4:5], 0
                                        ; implicit-def: $vgpr4
	s_cbranch_execnz .LBB76_1072
	s_branch .LBB76_1075
.LBB76_1063:
	s_mov_b64 s[16:17], -1
	s_mov_b64 s[4:5], 0
                                        ; implicit-def: $vgpr4
	s_branch .LBB76_1067
.LBB76_1064:
	s_andn2_saveexec_b64 s[22:23], s[22:23]
	s_cbranch_execz .LBB76_963
.LBB76_1065:
	s_mov_b32 s24, 0x46000000
	v_add_f32_e64 v4, |v5|, s24
	v_and_b32_e32 v4, 0xff, v4
	v_cmp_ne_u32_e32 vcc, 0, v4
	s_andn2_b64 s[4:5], s[4:5], exec
	s_and_b64 s[24:25], vcc, exec
	s_or_b64 s[4:5], s[4:5], s[24:25]
	s_or_b64 exec, exec, s[22:23]
	v_mov_b32_e32 v6, 0
	s_and_saveexec_b64 s[22:23], s[4:5]
	s_cbranch_execnz .LBB76_964
	s_branch .LBB76_965
.LBB76_1066:
	s_mov_b64 s[0:1], -1
                                        ; implicit-def: $vgpr4
	s_mov_b64 s[4:5], 0
.LBB76_1067:
	s_and_b64 vcc, exec, s[16:17]
	s_cbranch_vccz .LBB76_1070
; %bb.1068:
	s_cmp_eq_u32 s22, 44
	s_cbranch_scc0 .LBB76_1071
; %bb.1069:
	global_load_ubyte v4, v[0:1], off
	s_movk_i32 s4, 0xff
	v_mov_b32_e32 v5, 0x7f800001
	v_mov_b32_e32 v6, 0x400000
	;; [unrolled: 1-line block ×3, first 2 shown]
	s_mov_b64 s[0:1], 0
	s_waitcnt vmcnt(0)
	v_lshlrev_b32_e32 v8, 23, v4
	v_cmp_ne_u32_e32 vcc, s4, v4
	v_cndmask_b32_e32 v5, v5, v8, vcc
	v_cmp_ne_u32_e32 vcc, 0, v4
	v_cndmask_b32_e32 v4, v6, v5, vcc
	v_add_u32_e32 v5, 0x7fff, v4
	v_cmp_o_f32_e32 vcc, v4, v4
	v_cndmask_b32_sdwa v4, v7, v5, vcc dst_sel:DWORD dst_unused:UNUSED_PAD src0_sel:DWORD src1_sel:WORD_1
	s_mov_b64 s[4:5], -1
.LBB76_1070:
	s_branch .LBB76_1075
.LBB76_1071:
	s_mov_b64 s[0:1], -1
                                        ; implicit-def: $vgpr4
	s_branch .LBB76_1075
.LBB76_1072:
	s_cmp_eq_u32 s22, 29
	s_cbranch_scc0 .LBB76_1074
; %bb.1073:
	global_load_dwordx2 v[4:5], v[0:1], off
	s_movk_i32 s4, 0x7fff
	s_mov_b64 s[0:1], 0
	s_mov_b64 s[16:17], 0
	s_waitcnt vmcnt(0)
	v_ffbh_u32_e32 v6, v5
	v_min_u32_e32 v6, 32, v6
	v_lshlrev_b64 v[4:5], v6, v[4:5]
	v_min_u32_e32 v4, 1, v4
	v_or_b32_e32 v4, v5, v4
	v_cvt_f32_u32_e32 v4, v4
	v_sub_u32_e32 v5, 32, v6
	v_ldexp_f32 v4, v4, v5
	v_bfe_u32 v5, v4, 16, 1
	v_add3_u32 v4, v4, v5, s4
	v_lshrrev_b32_e32 v4, 16, v4
	s_mov_b64 s[4:5], -1
	s_branch .LBB76_1076
.LBB76_1074:
	s_mov_b64 s[0:1], -1
                                        ; implicit-def: $vgpr4
.LBB76_1075:
	s_mov_b64 s[16:17], 0
.LBB76_1076:
	s_and_b64 vcc, exec, s[16:17]
	s_cbranch_vccz .LBB76_1094
; %bb.1077:
	s_cmp_lt_i32 s22, 27
	s_cbranch_scc1 .LBB76_1080
; %bb.1078:
	s_cmp_gt_i32 s22, 27
	s_cbranch_scc0 .LBB76_1081
; %bb.1079:
	global_load_dword v4, v[0:1], off
	s_movk_i32 s4, 0x7fff
	s_waitcnt vmcnt(0)
	v_cvt_f32_u32_e32 v4, v4
	v_bfe_u32 v5, v4, 16, 1
	v_add3_u32 v4, v4, v5, s4
	v_lshrrev_b32_e32 v4, 16, v4
	s_mov_b64 s[4:5], 0
	s_branch .LBB76_1082
.LBB76_1080:
	s_mov_b64 s[4:5], -1
                                        ; implicit-def: $vgpr4
	s_branch .LBB76_1085
.LBB76_1081:
	s_mov_b64 s[4:5], -1
                                        ; implicit-def: $vgpr4
.LBB76_1082:
	s_andn2_b64 vcc, exec, s[4:5]
	s_cbranch_vccnz .LBB76_1084
; %bb.1083:
	global_load_ushort v4, v[0:1], off
	s_movk_i32 s4, 0x7fff
	s_waitcnt vmcnt(0)
	v_cvt_f32_u32_e32 v4, v4
	v_bfe_u32 v5, v4, 16, 1
	v_add3_u32 v4, v4, v5, s4
	v_lshrrev_b32_e32 v4, 16, v4
.LBB76_1084:
	s_mov_b64 s[4:5], 0
.LBB76_1085:
	s_andn2_b64 vcc, exec, s[4:5]
	s_cbranch_vccnz .LBB76_1093
; %bb.1086:
	global_load_ubyte v4, v[0:1], off
	s_movk_i32 s4, 0x7f
	s_waitcnt vmcnt(0)
	v_cmp_lt_i16_e32 vcc, s4, v4
	s_mov_b64 s[4:5], 0
	s_and_saveexec_b64 s[16:17], vcc
	s_xor_b64 s[16:17], exec, s[16:17]
	s_cbranch_execz .LBB76_1106
; %bb.1087:
	s_movk_i32 s4, 0x80
	v_cmp_eq_u16_e32 vcc, s4, v4
	s_mov_b64 s[4:5], -1
	s_and_saveexec_b64 s[18:19], vcc
; %bb.1088:
	s_xor_b64 s[4:5], exec, -1
; %bb.1089:
	s_or_b64 exec, exec, s[18:19]
	s_and_b64 s[4:5], s[4:5], exec
	s_or_saveexec_b64 s[16:17], s[16:17]
	v_mov_b32_e32 v5, 0x7f800001
	s_xor_b64 exec, exec, s[16:17]
	s_cbranch_execnz .LBB76_1107
.LBB76_1090:
	s_or_b64 exec, exec, s[16:17]
	s_and_saveexec_b64 s[16:17], s[4:5]
	s_cbranch_execz .LBB76_1092
.LBB76_1091:
	v_lshlrev_b32_e32 v5, 24, v4
	v_and_b32_e32 v4, 0xffff, v4
	v_and_b32_e32 v6, 7, v4
	v_ffbh_u32_e32 v8, v6
	v_min_u32_e32 v8, 32, v8
	v_subrev_u32_e32 v9, 28, v8
	v_bfe_u32 v7, v4, 3, 4
	v_lshlrev_b32_e32 v4, v9, v4
	v_sub_u32_e32 v8, 29, v8
	v_and_b32_e32 v4, 7, v4
	v_cmp_eq_u32_e32 vcc, 0, v7
	v_cndmask_b32_e32 v7, v7, v8, vcc
	v_cndmask_b32_e32 v4, v6, v4, vcc
	v_mov_b32_e32 v6, 0x3b800000
	v_lshlrev_b32_e32 v4, 20, v4
	v_and_b32_e32 v5, 0x80000000, v5
	v_lshl_add_u32 v6, v7, 23, v6
	v_or3_b32 v5, v5, v6, v4
.LBB76_1092:
	s_or_b64 exec, exec, s[16:17]
	v_bfe_u32 v4, v5, 16, 1
	s_movk_i32 s4, 0x7fff
	v_add3_u32 v4, v5, v4, s4
	v_cmp_o_f32_e32 vcc, v5, v5
	v_mov_b32_e32 v5, 0x7fc0
	v_cndmask_b32_sdwa v4, v5, v4, vcc dst_sel:DWORD dst_unused:UNUSED_PAD src0_sel:DWORD src1_sel:WORD_1
.LBB76_1093:
	s_mov_b64 s[4:5], -1
.LBB76_1094:
	s_branch .LBB76_1126
.LBB76_1095:
	s_cmp_gt_i32 s22, 22
	s_cbranch_scc0 .LBB76_1105
; %bb.1096:
	s_cmp_lt_i32 s22, 24
	s_cbranch_scc1 .LBB76_1108
; %bb.1097:
	s_cmp_gt_i32 s22, 24
	s_cbranch_scc0 .LBB76_1109
; %bb.1098:
	global_load_ubyte v4, v[0:1], off
	s_movk_i32 s2, 0x7f
	s_waitcnt vmcnt(0)
	v_cmp_lt_i16_e32 vcc, s2, v4
	s_mov_b64 s[2:3], 0
	s_and_saveexec_b64 s[4:5], vcc
	s_xor_b64 s[4:5], exec, s[4:5]
	s_cbranch_execz .LBB76_1120
; %bb.1099:
	s_movk_i32 s2, 0x80
	v_cmp_eq_u16_e32 vcc, s2, v4
	s_mov_b64 s[2:3], -1
	s_and_saveexec_b64 s[16:17], vcc
; %bb.1100:
	s_xor_b64 s[2:3], exec, -1
; %bb.1101:
	s_or_b64 exec, exec, s[16:17]
	s_and_b64 s[2:3], s[2:3], exec
	s_or_saveexec_b64 s[4:5], s[4:5]
	v_mov_b32_e32 v5, 0x7f800001
	s_xor_b64 exec, exec, s[4:5]
	s_cbranch_execnz .LBB76_1121
.LBB76_1102:
	s_or_b64 exec, exec, s[4:5]
	s_and_saveexec_b64 s[4:5], s[2:3]
	s_cbranch_execz .LBB76_1104
.LBB76_1103:
	v_lshlrev_b32_e32 v5, 24, v4
	v_and_b32_e32 v4, 0xffff, v4
	v_and_b32_e32 v6, 3, v4
	v_ffbh_u32_e32 v8, v6
	v_min_u32_e32 v8, 32, v8
	v_subrev_u32_e32 v9, 29, v8
	v_bfe_u32 v7, v4, 2, 5
	v_lshlrev_b32_e32 v4, v9, v4
	v_sub_u32_e32 v8, 30, v8
	v_and_b32_e32 v4, 3, v4
	v_cmp_eq_u32_e32 vcc, 0, v7
	v_cndmask_b32_e32 v7, v7, v8, vcc
	v_cndmask_b32_e32 v4, v6, v4, vcc
	v_mov_b32_e32 v6, 0x37800000
	v_lshlrev_b32_e32 v4, 21, v4
	v_and_b32_e32 v5, 0x80000000, v5
	v_lshl_add_u32 v6, v7, 23, v6
	v_or3_b32 v5, v5, v6, v4
.LBB76_1104:
	s_or_b64 exec, exec, s[4:5]
	v_bfe_u32 v4, v5, 16, 1
	s_movk_i32 s2, 0x7fff
	v_add3_u32 v4, v5, v4, s2
	v_cmp_o_f32_e32 vcc, v5, v5
	v_mov_b32_e32 v5, 0x7fc0
	v_cndmask_b32_sdwa v4, v5, v4, vcc dst_sel:DWORD dst_unused:UNUSED_PAD src0_sel:DWORD src1_sel:WORD_1
	s_mov_b64 s[2:3], 0
	s_branch .LBB76_1110
.LBB76_1105:
                                        ; implicit-def: $vgpr4
	s_mov_b64 s[2:3], 0
	s_branch .LBB76_1116
.LBB76_1106:
	s_or_saveexec_b64 s[16:17], s[16:17]
	v_mov_b32_e32 v5, 0x7f800001
	s_xor_b64 exec, exec, s[16:17]
	s_cbranch_execz .LBB76_1090
.LBB76_1107:
	v_cmp_ne_u16_e32 vcc, 0, v4
	s_andn2_b64 s[4:5], s[4:5], exec
	s_and_b64 s[18:19], vcc, exec
	v_mov_b32_e32 v5, 0
	s_or_b64 s[4:5], s[4:5], s[18:19]
	s_or_b64 exec, exec, s[16:17]
	s_and_saveexec_b64 s[16:17], s[4:5]
	s_cbranch_execnz .LBB76_1091
	s_branch .LBB76_1092
.LBB76_1108:
	s_mov_b64 s[2:3], -1
                                        ; implicit-def: $vgpr4
	s_branch .LBB76_1113
.LBB76_1109:
	s_mov_b64 s[2:3], -1
                                        ; implicit-def: $vgpr4
.LBB76_1110:
	s_and_b64 vcc, exec, s[2:3]
	s_cbranch_vccz .LBB76_1112
; %bb.1111:
	global_load_ubyte v4, v[0:1], off
	s_mov_b32 s2, 0x7f800000
	s_brev_b32 s3, 1
	s_movk_i32 s4, 0x7fff
	s_waitcnt vmcnt(0)
	v_lshlrev_b32_e32 v4, 24, v4
	v_and_b32_e32 v5, 0x7f000000, v4
	v_ffbh_u32_e32 v6, v5
	v_min_u32_e32 v6, 32, v6
	v_sub_u32_e64 v6, v6, 4 clamp
	v_lshlrev_b32_e32 v8, v6, v5
	v_lshlrev_b32_e32 v6, 23, v6
	v_lshrrev_b32_e32 v8, 4, v8
	v_add_u32_e32 v7, 0x1000000, v5
	v_sub_u32_e32 v6, v8, v6
	v_ashrrev_i32_e32 v7, 8, v7
	v_add_u32_e32 v6, 0x3c000000, v6
	v_and_or_b32 v6, v7, s2, v6
	v_cmp_ne_u32_e32 vcc, 0, v5
	v_cndmask_b32_e32 v5, 0, v6, vcc
	v_and_or_b32 v4, v4, s3, v5
	v_bfe_u32 v5, v5, 16, 1
	v_add3_u32 v5, v4, v5, s4
	v_cmp_o_f32_e32 vcc, v4, v4
	v_mov_b32_e32 v4, 0x7fc0
	v_cndmask_b32_sdwa v4, v4, v5, vcc dst_sel:DWORD dst_unused:UNUSED_PAD src0_sel:DWORD src1_sel:WORD_1
.LBB76_1112:
	s_mov_b64 s[2:3], 0
.LBB76_1113:
	s_andn2_b64 vcc, exec, s[2:3]
	s_cbranch_vccnz .LBB76_1115
; %bb.1114:
	global_load_ubyte v4, v[0:1], off
	s_movk_i32 s2, 0x7f00
	s_brev_b32 s3, 16
	s_brev_b32 s4, 1
	s_movk_i32 s5, 0x7fff
	s_waitcnt vmcnt(0)
	v_lshlrev_b16_e32 v5, 8, v4
	v_lshlrev_b32_e32 v4, 25, v4
	v_lshrrev_b32_e32 v6, 4, v4
	v_and_or_b32 v7, v5, s2, 0.5
	v_or_b32_e32 v6, 0x70000000, v6
	v_add_f32_e32 v7, -0.5, v7
	v_mul_f32_e32 v6, 0x7800000, v6
	v_cmp_gt_u32_e32 vcc, s3, v4
	v_bfe_i32 v5, v5, 0, 16
	v_cndmask_b32_e32 v4, v6, v7, vcc
	v_and_or_b32 v5, v5, s4, v4
	v_bfe_u32 v4, v4, 16, 1
	v_add3_u32 v4, v5, v4, s5
	v_cmp_o_f32_e32 vcc, v5, v5
	v_mov_b32_e32 v5, 0x7fc0
	v_cndmask_b32_sdwa v4, v5, v4, vcc dst_sel:DWORD dst_unused:UNUSED_PAD src0_sel:DWORD src1_sel:WORD_1
.LBB76_1115:
	s_mov_b64 s[4:5], -1
	s_mov_b64 s[2:3], 0
	s_cbranch_execnz .LBB76_1126
.LBB76_1116:
	s_cmp_gt_i32 s22, 14
	s_cbranch_scc0 .LBB76_1119
; %bb.1117:
	s_cmp_eq_u32 s22, 15
	s_cbranch_scc0 .LBB76_1122
; %bb.1118:
	global_load_ushort v4, v[0:1], off
	s_mov_b64 s[0:1], 0
	s_mov_b64 s[4:5], -1
	s_branch .LBB76_1123
.LBB76_1119:
	s_mov_b64 s[16:17], -1
                                        ; implicit-def: $vgpr4
	s_branch .LBB76_1124
.LBB76_1120:
	s_or_saveexec_b64 s[4:5], s[4:5]
	v_mov_b32_e32 v5, 0x7f800001
	s_xor_b64 exec, exec, s[4:5]
	s_cbranch_execz .LBB76_1102
.LBB76_1121:
	v_cmp_ne_u16_e32 vcc, 0, v4
	s_andn2_b64 s[2:3], s[2:3], exec
	s_and_b64 s[16:17], vcc, exec
	v_mov_b32_e32 v5, 0
	s_or_b64 s[2:3], s[2:3], s[16:17]
	s_or_b64 exec, exec, s[4:5]
	s_and_saveexec_b64 s[4:5], s[2:3]
	s_cbranch_execnz .LBB76_1103
	s_branch .LBB76_1104
.LBB76_1122:
	s_mov_b64 s[0:1], -1
                                        ; implicit-def: $vgpr4
.LBB76_1123:
	s_mov_b64 s[16:17], 0
.LBB76_1124:
	s_and_b64 vcc, exec, s[16:17]
	s_cbranch_vccz .LBB76_1126
; %bb.1125:
	s_cmp_lg_u32 s22, 11
	s_mov_b64 s[2:3], -1
	s_cselect_b64 s[0:1], -1, 0
.LBB76_1126:
	s_and_b64 vcc, exec, s[0:1]
	s_mov_b64 s[18:19], s[6:7]
	s_cbranch_vccnz .LBB76_1193
; %bb.1127:
	s_andn2_b64 vcc, exec, s[2:3]
	s_cbranch_vccnz .LBB76_1129
.LBB76_1128:
	global_load_ubyte v4, v[0:1], off
	s_mov_b64 s[4:5], -1
	s_waitcnt vmcnt(0)
	v_cmp_ne_u16_e32 vcc, 0, v4
	v_cndmask_b32_e64 v4, 0, 1.0, vcc
	v_lshrrev_b32_e32 v4, 16, v4
.LBB76_1129:
	s_branch .LBB76_1059
.LBB76_1130:
	s_cmp_lt_i32 s22, 5
	s_cbranch_scc1 .LBB76_1135
; %bb.1131:
	s_cmp_lt_i32 s22, 8
	s_cbranch_scc1 .LBB76_1136
; %bb.1132:
	;; [unrolled: 3-line block ×3, first 2 shown]
	s_cmp_gt_i32 s22, 9
	s_cbranch_scc0 .LBB76_1138
; %bb.1134:
	global_load_dwordx2 v[4:5], v[0:1], off
	s_movk_i32 s0, 0x7fff
	s_waitcnt vmcnt(0)
	v_cvt_f32_f64_e32 v4, v[4:5]
	v_mov_b32_e32 v5, 0x7fc0
	v_bfe_u32 v6, v4, 16, 1
	v_cmp_o_f32_e32 vcc, v4, v4
	v_add3_u32 v4, v4, v6, s0
	v_cndmask_b32_sdwa v4, v5, v4, vcc dst_sel:DWORD dst_unused:UNUSED_PAD src0_sel:DWORD src1_sel:WORD_1
	s_mov_b64 s[0:1], 0
	s_branch .LBB76_1139
.LBB76_1135:
                                        ; implicit-def: $vgpr4
	s_branch .LBB76_1156
.LBB76_1136:
                                        ; implicit-def: $vgpr4
	s_branch .LBB76_1145
.LBB76_1137:
	s_mov_b64 s[0:1], -1
                                        ; implicit-def: $vgpr4
	s_branch .LBB76_1142
.LBB76_1138:
	s_mov_b64 s[0:1], -1
                                        ; implicit-def: $vgpr4
.LBB76_1139:
	s_andn2_b64 vcc, exec, s[0:1]
	s_cbranch_vccnz .LBB76_1141
; %bb.1140:
	global_load_dword v4, v[0:1], off
	s_movk_i32 s0, 0x7fff
	v_mov_b32_e32 v5, 0x7fc0
	s_waitcnt vmcnt(0)
	v_bfe_u32 v6, v4, 16, 1
	v_cmp_o_f32_e32 vcc, v4, v4
	v_add3_u32 v4, v4, v6, s0
	v_cndmask_b32_sdwa v4, v5, v4, vcc dst_sel:DWORD dst_unused:UNUSED_PAD src0_sel:DWORD src1_sel:WORD_1
.LBB76_1141:
	s_mov_b64 s[0:1], 0
.LBB76_1142:
	s_andn2_b64 vcc, exec, s[0:1]
	s_cbranch_vccnz .LBB76_1144
; %bb.1143:
	global_load_dword v4, v[0:1], off
	s_movk_i32 s0, 0x7fff
	v_mov_b32_e32 v6, 0x7fc0
	s_waitcnt vmcnt(0)
	v_cvt_f32_f16_e32 v5, v4
	v_cmp_o_f16_e32 vcc, v4, v4
	v_bfe_u32 v4, v5, 16, 1
	v_add3_u32 v4, v5, v4, s0
	v_cndmask_b32_sdwa v4, v6, v4, vcc dst_sel:DWORD dst_unused:UNUSED_PAD src0_sel:DWORD src1_sel:WORD_1
.LBB76_1144:
	s_cbranch_execnz .LBB76_1155
.LBB76_1145:
	s_cmp_lt_i32 s22, 6
	s_cbranch_scc1 .LBB76_1148
; %bb.1146:
	s_cmp_gt_i32 s22, 6
	s_cbranch_scc0 .LBB76_1149
; %bb.1147:
	global_load_dwordx2 v[4:5], v[0:1], off
	s_movk_i32 s0, 0x7fff
	s_waitcnt vmcnt(0)
	v_cvt_f32_f64_e32 v4, v[4:5]
	v_mov_b32_e32 v5, 0x7fc0
	v_bfe_u32 v6, v4, 16, 1
	v_cmp_o_f32_e32 vcc, v4, v4
	v_add3_u32 v4, v4, v6, s0
	v_cndmask_b32_sdwa v4, v5, v4, vcc dst_sel:DWORD dst_unused:UNUSED_PAD src0_sel:DWORD src1_sel:WORD_1
	s_mov_b64 s[0:1], 0
	s_branch .LBB76_1150
.LBB76_1148:
	s_mov_b64 s[0:1], -1
                                        ; implicit-def: $vgpr4
	s_branch .LBB76_1153
.LBB76_1149:
	s_mov_b64 s[0:1], -1
                                        ; implicit-def: $vgpr4
.LBB76_1150:
	s_andn2_b64 vcc, exec, s[0:1]
	s_cbranch_vccnz .LBB76_1152
; %bb.1151:
	global_load_dword v4, v[0:1], off
	s_movk_i32 s0, 0x7fff
	v_mov_b32_e32 v5, 0x7fc0
	s_waitcnt vmcnt(0)
	v_bfe_u32 v6, v4, 16, 1
	v_cmp_o_f32_e32 vcc, v4, v4
	v_add3_u32 v4, v4, v6, s0
	v_cndmask_b32_sdwa v4, v5, v4, vcc dst_sel:DWORD dst_unused:UNUSED_PAD src0_sel:DWORD src1_sel:WORD_1
.LBB76_1152:
	s_mov_b64 s[0:1], 0
.LBB76_1153:
	s_andn2_b64 vcc, exec, s[0:1]
	s_cbranch_vccnz .LBB76_1155
; %bb.1154:
	global_load_ushort v4, v[0:1], off
	s_movk_i32 s0, 0x7fff
	v_mov_b32_e32 v6, 0x7fc0
	s_waitcnt vmcnt(0)
	v_cvt_f32_f16_e32 v5, v4
	v_cmp_o_f16_e32 vcc, v4, v4
	v_bfe_u32 v4, v5, 16, 1
	v_add3_u32 v4, v5, v4, s0
	v_cndmask_b32_sdwa v4, v6, v4, vcc dst_sel:DWORD dst_unused:UNUSED_PAD src0_sel:DWORD src1_sel:WORD_1
.LBB76_1155:
	s_cbranch_execnz .LBB76_1174
.LBB76_1156:
	s_cmp_lt_i32 s22, 2
	s_cbranch_scc1 .LBB76_1160
; %bb.1157:
	s_cmp_lt_i32 s22, 3
	s_cbranch_scc1 .LBB76_1161
; %bb.1158:
	s_cmp_gt_i32 s22, 3
	s_cbranch_scc0 .LBB76_1162
; %bb.1159:
	global_load_dwordx2 v[4:5], v[0:1], off
	s_movk_i32 s0, 0x7fff
	s_waitcnt vmcnt(0)
	v_xor_b32_e32 v7, v4, v5
	v_ffbh_i32_e32 v6, v5
	v_ashrrev_i32_e32 v7, 31, v7
	v_add_u32_e32 v6, -1, v6
	v_add_u32_e32 v7, 32, v7
	v_min_u32_e32 v6, v6, v7
	v_lshlrev_b64 v[4:5], v6, v[4:5]
	v_min_u32_e32 v4, 1, v4
	v_or_b32_e32 v4, v5, v4
	v_cvt_f32_i32_e32 v4, v4
	v_sub_u32_e32 v5, 32, v6
	v_ldexp_f32 v4, v4, v5
	v_bfe_u32 v5, v4, 16, 1
	v_add3_u32 v4, v4, v5, s0
	v_lshrrev_b32_e32 v4, 16, v4
	s_mov_b64 s[0:1], 0
	s_branch .LBB76_1163
.LBB76_1160:
                                        ; implicit-def: $vgpr4
	s_branch .LBB76_1169
.LBB76_1161:
	s_mov_b64 s[0:1], -1
                                        ; implicit-def: $vgpr4
	s_branch .LBB76_1166
.LBB76_1162:
	s_mov_b64 s[0:1], -1
                                        ; implicit-def: $vgpr4
.LBB76_1163:
	s_andn2_b64 vcc, exec, s[0:1]
	s_cbranch_vccnz .LBB76_1165
; %bb.1164:
	global_load_dword v4, v[0:1], off
	s_movk_i32 s0, 0x7fff
	s_waitcnt vmcnt(0)
	v_cvt_f32_i32_e32 v4, v4
	v_bfe_u32 v5, v4, 16, 1
	v_add3_u32 v4, v4, v5, s0
	v_lshrrev_b32_e32 v4, 16, v4
.LBB76_1165:
	s_mov_b64 s[0:1], 0
.LBB76_1166:
	s_andn2_b64 vcc, exec, s[0:1]
	s_cbranch_vccnz .LBB76_1168
; %bb.1167:
	global_load_sshort v4, v[0:1], off
	s_movk_i32 s0, 0x7fff
	s_waitcnt vmcnt(0)
	v_cvt_f32_i32_e32 v4, v4
	v_bfe_u32 v5, v4, 16, 1
	v_add3_u32 v4, v4, v5, s0
	v_lshrrev_b32_e32 v4, 16, v4
.LBB76_1168:
	s_cbranch_execnz .LBB76_1174
.LBB76_1169:
	s_cmp_gt_i32 s22, 0
	s_cbranch_scc0 .LBB76_1171
; %bb.1170:
	global_load_sbyte v4, v[0:1], off
	s_movk_i32 s0, 0x7fff
	s_waitcnt vmcnt(0)
	v_cvt_f32_i32_e32 v4, v4
	v_bfe_u32 v5, v4, 16, 1
	v_add3_u32 v4, v4, v5, s0
	v_lshrrev_b32_e32 v4, 16, v4
	s_mov_b64 s[0:1], 0
	s_branch .LBB76_1172
.LBB76_1171:
	s_mov_b64 s[0:1], -1
                                        ; implicit-def: $vgpr4
.LBB76_1172:
	s_andn2_b64 vcc, exec, s[0:1]
	s_cbranch_vccnz .LBB76_1174
; %bb.1173:
	global_load_ubyte v0, v[0:1], off
	s_movk_i32 s0, 0x7fff
	s_waitcnt vmcnt(0)
	v_cvt_f32_ubyte0_e32 v0, v0
	v_bfe_u32 v1, v0, 16, 1
	v_add3_u32 v0, v0, v1, s0
	v_lshrrev_b32_e32 v4, 16, v0
.LBB76_1174:
.LBB76_1175:
	s_waitcnt vmcnt(0)
	v_lshlrev_b32_e32 v10, 16, v4
	v_cmp_gt_f32_e32 vcc, 0.5, v10
	v_mov_b32_e32 v14, 0
	v_mov_b32_e32 v4, 1.0
	s_and_saveexec_b64 s[16:17], vcc
	s_cbranch_execz .LBB76_1181
; %bb.1176:
	v_mul_f32_e32 v0, 0x40490fdb, v10
	s_brev_b32 s0, 18
	v_and_b32_e32 v1, 0x7fffffff, v0
	v_cmp_nlt_f32_e64 s[0:1], |v0|, s0
                                        ; implicit-def: $vgpr4
                                        ; implicit-def: $vgpr5
	s_and_saveexec_b64 s[2:3], s[0:1]
	s_xor_b64 s[20:21], exec, s[2:3]
	s_cbranch_execz .LBB76_1178
; %bb.1177:
	v_and_b32_e32 v4, 0x7fffff, v1
	v_or_b32_e32 v15, 0x800000, v4
	s_mov_b32 s0, 0xfe5163ab
	v_mad_u64_u32 v[4:5], s[0:1], v15, s0, 0
	v_mov_b32_e32 v6, 0
	s_mov_b32 s0, 0x3c439041
	v_mad_u64_u32 v[7:8], s[0:1], v15, s0, v[5:6]
	s_mov_b32 s0, 0xdb629599
	v_not_b32_e32 v16, 31
	v_mov_b32_e32 v5, v8
	v_mad_u64_u32 v[8:9], s[0:1], v15, s0, v[5:6]
	s_mov_b32 s0, 0xf534ddc0
	s_mov_b32 s2, 0xa2f9836e
	v_mov_b32_e32 v5, v9
	v_mad_u64_u32 v[11:12], s[0:1], v15, s0, v[5:6]
	v_lshrrev_b32_e32 v5, 23, v1
	v_add_u32_e32 v14, 0xffffff88, v5
	v_mov_b32_e32 v5, v12
	s_mov_b32 s0, 0xfc2757d1
	v_mad_u64_u32 v[12:13], s[0:1], v15, s0, v[5:6]
	v_not_b32_e32 v9, 63
	v_cmp_lt_u32_e32 vcc, 63, v14
	v_cndmask_b32_e32 v5, 0, v9, vcc
	v_add_u32_e32 v9, v5, v14
	v_mov_b32_e32 v5, v13
	s_mov_b32 s0, 0x4e441529
	v_mad_u64_u32 v[13:14], s[0:1], v15, s0, v[5:6]
	v_cmp_lt_u32_e64 s[0:1], 31, v9
	v_cndmask_b32_e64 v5, 0, v16, s[0:1]
	v_add_u32_e32 v9, v5, v9
	v_mov_b32_e32 v5, v14
	v_mad_u64_u32 v[5:6], s[2:3], v15, s2, v[5:6]
	v_cmp_lt_u32_e64 s[2:3], 31, v9
	v_cndmask_b32_e64 v14, 0, v16, s[2:3]
	v_add_u32_e32 v9, v14, v9
	v_cndmask_b32_e32 v14, v13, v11, vcc
	v_cndmask_b32_e32 v5, v5, v12, vcc
	;; [unrolled: 1-line block ×3, first 2 shown]
	v_cndmask_b32_e64 v15, v5, v14, s[0:1]
	v_cndmask_b32_e64 v5, v6, v5, s[0:1]
	v_cndmask_b32_e32 v6, v12, v8, vcc
	v_cndmask_b32_e64 v12, v14, v6, s[0:1]
	v_cndmask_b32_e64 v5, v5, v15, s[2:3]
	;; [unrolled: 1-line block ×3, first 2 shown]
	v_sub_u32_e32 v14, 32, v9
	v_alignbit_b32 v15, v5, v13, v14
	v_cmp_eq_u32_e64 s[4:5], 0, v9
	v_cndmask_b32_e64 v9, v15, v5, s[4:5]
	v_cndmask_b32_e32 v5, v11, v7, vcc
	v_cndmask_b32_e64 v6, v6, v5, s[0:1]
	v_cndmask_b32_e64 v7, v12, v6, s[2:3]
	v_alignbit_b32 v11, v13, v7, v14
	v_cndmask_b32_e32 v4, v8, v4, vcc
	v_cndmask_b32_e64 v11, v11, v13, s[4:5]
	v_bfe_u32 v15, v9, 29, 1
	v_cndmask_b32_e64 v4, v5, v4, s[0:1]
	v_alignbit_b32 v12, v9, v11, 30
	v_sub_u32_e32 v16, 0, v15
	v_cndmask_b32_e64 v4, v6, v4, s[2:3]
	v_xor_b32_e32 v12, v12, v16
	v_alignbit_b32 v5, v7, v4, v14
	v_cndmask_b32_e64 v5, v5, v7, s[4:5]
	v_ffbh_u32_e32 v7, v12
	v_alignbit_b32 v6, v11, v5, 30
	v_min_u32_e32 v7, 32, v7
	v_alignbit_b32 v4, v5, v4, 30
	v_xor_b32_e32 v6, v6, v16
	v_sub_u32_e32 v8, 31, v7
	v_xor_b32_e32 v4, v4, v16
	v_alignbit_b32 v11, v12, v6, v8
	v_alignbit_b32 v4, v6, v4, v8
	;; [unrolled: 1-line block ×3, first 2 shown]
	v_ffbh_u32_e32 v6, v5
	v_min_u32_e32 v6, 32, v6
	v_lshrrev_b32_e32 v13, 29, v9
	v_not_b32_e32 v8, v6
	v_alignbit_b32 v4, v5, v4, v8
	v_lshlrev_b32_e32 v5, 31, v13
	v_or_b32_e32 v8, 0x33000000, v5
	v_add_lshl_u32 v6, v6, v7, 23
	v_lshrrev_b32_e32 v4, 9, v4
	v_sub_u32_e32 v6, v8, v6
	v_or_b32_e32 v5, 0.5, v5
	v_lshlrev_b32_e32 v7, 23, v7
	v_or_b32_e32 v4, v6, v4
	v_lshrrev_b32_e32 v6, 9, v11
	v_sub_u32_e32 v5, v5, v7
	v_or_b32_e32 v5, v6, v5
	s_mov_b32 s0, 0x3fc90fda
	v_mul_f32_e32 v6, 0x3fc90fda, v5
	v_fma_f32 v7, v5, s0, -v6
	v_fmac_f32_e32 v7, 0x33a22168, v5
	v_fmac_f32_e32 v7, 0x3fc90fda, v4
	v_lshrrev_b32_e32 v4, 30, v9
	v_add_f32_e32 v5, v6, v7
	v_add_u32_e32 v4, v15, v4
.LBB76_1178:
	s_andn2_saveexec_b64 s[0:1], s[20:21]
	s_cbranch_execz .LBB76_1180
; %bb.1179:
	s_mov_b32 s2, 0x3f22f983
	v_mul_f32_e64 v4, |v0|, s2
	v_rndne_f32_e32 v6, v4
	s_mov_b32 s2, 0xbfc90fda
	v_cvt_i32_f32_e32 v4, v6
	v_fma_f32 v5, v6, s2, |v0|
	v_fmac_f32_e32 v5, 0xb3a22168, v6
	v_fmac_f32_e32 v5, 0xa7c234c4, v6
.LBB76_1180:
	s_or_b64 exec, exec, s[0:1]
	v_mul_f32_e32 v6, v5, v5
	v_mov_b32_e32 v7, 0x3c0881c4
	v_fmac_f32_e32 v7, 0xb94c1982, v6
	v_mov_b32_e32 v8, 0xbe2aaa9d
	v_fmac_f32_e32 v8, v6, v7
	v_mul_f32_e32 v7, v6, v8
	v_fmac_f32_e32 v5, v5, v7
	v_mov_b32_e32 v7, 0xbab64f3b
	v_fmac_f32_e32 v7, 0x37d75334, v6
	v_mov_b32_e32 v8, 0x3d2aabf7
	;; [unrolled: 2-line block ×3, first 2 shown]
	v_fmac_f32_e32 v7, v6, v8
	v_fma_f32 v6, v6, v7, 1.0
	v_and_b32_e32 v7, 1, v4
	v_lshlrev_b32_e32 v4, 30, v4
	v_cmp_eq_u32_e32 vcc, 0, v7
	v_and_b32_e32 v4, 0x80000000, v4
	v_xor_b32_e32 v1, v1, v0
	v_cndmask_b32_e32 v5, v6, v5, vcc
	v_xor_b32_e32 v1, v1, v4
	s_movk_i32 s0, 0x1f8
	v_xor_b32_e32 v1, v1, v5
	v_mov_b32_e32 v4, 0x7fc00000
	v_cmp_class_f32_e64 vcc, v0, s0
	v_cndmask_b32_e32 v0, v4, v1, vcc
	v_mul_f32_e32 v0, v0, v0
	s_mov_b32 s2, 0xc11de9e7
	v_div_scale_f32 v1, s[0:1], v0, v0, s2
	v_div_scale_f32 v4, vcc, s2, v0, s2
	v_sub_f32_e32 v10, 1.0, v10
	v_rcp_f32_e32 v5, v1
	v_fma_f32 v6, -v1, v5, 1.0
	v_fmac_f32_e32 v5, v6, v5
	v_mul_f32_e32 v6, v4, v5
	v_fma_f32 v7, -v1, v6, v4
	v_fmac_f32_e32 v6, v7, v5
	v_fma_f32 v1, -v1, v6, v4
	v_div_fmas_f32 v1, v1, v5, v6
	v_mov_b32_e32 v4, -1.0
	v_div_fixup_f32 v0, v1, v0, s2
	v_add_f32_e32 v14, 0, v0
.LBB76_1181:
	s_or_b64 exec, exec, s[16:17]
	s_lshl_b32 s13, s13, 7
	v_add_u32_e32 v5, s13, v3
	v_ashrrev_i32_e32 v1, 31, v5
	v_mov_b32_e32 v3, s11
	v_add_co_u32_e32 v0, vcc, s10, v5
	s_cmp_lt_i32 s22, 11
	v_addc_co_u32_e32 v1, vcc, v3, v1, vcc
	s_cbranch_scc1 .LBB76_1188
; %bb.1182:
	s_cmp_gt_i32 s22, 25
	s_mov_b64 s[2:3], 0
	s_cbranch_scc0 .LBB76_1190
; %bb.1183:
	s_cmp_gt_i32 s22, 28
	s_cbranch_scc0 .LBB76_1191
; %bb.1184:
	s_cmp_gt_i32 s22, 43
	;; [unrolled: 3-line block ×3, first 2 shown]
	s_cbranch_scc0 .LBB76_1194
; %bb.1186:
	s_cmp_eq_u32 s22, 46
	s_mov_b64 s[16:17], 0
	s_cbranch_scc0 .LBB76_1197
; %bb.1187:
	global_load_dword v3, v[0:1], off
	s_mov_b64 s[0:1], 0
	s_mov_b64 s[4:5], -1
	s_branch .LBB76_1198
.LBB76_1188:
	s_mov_b64 s[4:5], 0
                                        ; implicit-def: $vgpr3
	s_cbranch_execnz .LBB76_1263
.LBB76_1189:
	s_andn2_b64 vcc, exec, s[4:5]
	s_cbranch_vccnz .LBB76_2020
	s_branch .LBB76_1310
.LBB76_1190:
	s_mov_b64 s[4:5], 0
	s_mov_b64 s[0:1], 0
                                        ; implicit-def: $vgpr3
	s_cbranch_execnz .LBB76_1227
	s_branch .LBB76_1259
.LBB76_1191:
	s_mov_b64 s[16:17], -1
	s_mov_b64 s[4:5], 0
	s_mov_b64 s[0:1], 0
                                        ; implicit-def: $vgpr3
	s_branch .LBB76_1208
.LBB76_1192:
	s_mov_b64 s[16:17], -1
	s_mov_b64 s[4:5], 0
	s_mov_b64 s[0:1], 0
                                        ; implicit-def: $vgpr3
	s_branch .LBB76_1203
.LBB76_1193:
	s_or_b64 s[18:19], s[6:7], exec
	s_trap 2
	s_cbranch_execz .LBB76_1128
	s_branch .LBB76_1129
.LBB76_1194:
	s_mov_b64 s[16:17], -1
	s_mov_b64 s[4:5], 0
	s_mov_b64 s[0:1], 0
                                        ; implicit-def: $vgpr3
	s_branch .LBB76_1198
.LBB76_1195:
	s_andn2_saveexec_b64 s[24:25], s[24:25]
	s_cbranch_execz .LBB76_975
.LBB76_1196:
	s_mov_b32 s28, 0x42800000
	v_add_f32_e64 v4, |v5|, s28
	v_and_b32_e32 v4, 0xff, v4
	v_cmp_ne_u32_e32 vcc, 0, v4
	s_andn2_b64 s[22:23], s[22:23], exec
	s_and_b64 s[28:29], vcc, exec
	s_or_b64 s[22:23], s[22:23], s[28:29]
	s_or_b64 exec, exec, s[24:25]
	v_mov_b32_e32 v6, 0
	s_and_saveexec_b64 s[24:25], s[22:23]
	s_cbranch_execnz .LBB76_976
	s_branch .LBB76_977
.LBB76_1197:
	s_mov_b64 s[0:1], -1
                                        ; implicit-def: $vgpr3
	s_mov_b64 s[4:5], 0
.LBB76_1198:
	s_and_b64 vcc, exec, s[16:17]
	s_cbranch_vccz .LBB76_1202
; %bb.1199:
	s_cmp_eq_u32 s22, 44
	s_cbranch_scc0 .LBB76_1201
; %bb.1200:
	global_load_ubyte v3, v[0:1], off
	s_movk_i32 s4, 0xff
	v_mov_b32_e32 v6, 0x7f800001
	v_mov_b32_e32 v7, 0x400000
	;; [unrolled: 1-line block ×3, first 2 shown]
	s_mov_b64 s[0:1], 0
	s_waitcnt vmcnt(0)
	v_lshlrev_b32_e32 v9, 23, v3
	v_cmp_ne_u32_e32 vcc, s4, v3
	v_cndmask_b32_e32 v6, v6, v9, vcc
	v_cmp_ne_u32_e32 vcc, 0, v3
	v_cndmask_b32_e32 v3, v7, v6, vcc
	v_add_u32_e32 v6, 0x7fff, v3
	v_cmp_o_f32_e32 vcc, v3, v3
	v_cndmask_b32_sdwa v3, v8, v6, vcc dst_sel:DWORD dst_unused:UNUSED_PAD src0_sel:DWORD src1_sel:WORD_1
	s_mov_b64 s[4:5], -1
	s_branch .LBB76_1202
.LBB76_1201:
	s_mov_b64 s[0:1], -1
                                        ; implicit-def: $vgpr3
.LBB76_1202:
	s_mov_b64 s[16:17], 0
.LBB76_1203:
	s_and_b64 vcc, exec, s[16:17]
	s_cbranch_vccz .LBB76_1207
; %bb.1204:
	s_cmp_eq_u32 s22, 29
	s_cbranch_scc0 .LBB76_1206
; %bb.1205:
	global_load_dwordx2 v[6:7], v[0:1], off
	s_movk_i32 s4, 0x7fff
	s_mov_b64 s[0:1], 0
	s_mov_b64 s[16:17], 0
	s_waitcnt vmcnt(0)
	v_ffbh_u32_e32 v3, v7
	v_min_u32_e32 v3, 32, v3
	v_lshlrev_b64 v[6:7], v3, v[6:7]
	v_sub_u32_e32 v3, 32, v3
	v_min_u32_e32 v6, 1, v6
	v_or_b32_e32 v6, v7, v6
	v_cvt_f32_u32_e32 v6, v6
	v_ldexp_f32 v3, v6, v3
	v_bfe_u32 v6, v3, 16, 1
	v_add3_u32 v3, v3, v6, s4
	v_lshrrev_b32_e32 v3, 16, v3
	s_mov_b64 s[4:5], -1
	s_branch .LBB76_1208
.LBB76_1206:
	s_mov_b64 s[0:1], -1
                                        ; implicit-def: $vgpr3
.LBB76_1207:
	s_mov_b64 s[16:17], 0
.LBB76_1208:
	s_and_b64 vcc, exec, s[16:17]
	s_cbranch_vccz .LBB76_1226
; %bb.1209:
	s_cmp_lt_i32 s22, 27
	s_cbranch_scc1 .LBB76_1212
; %bb.1210:
	s_cmp_gt_i32 s22, 27
	s_cbranch_scc0 .LBB76_1213
; %bb.1211:
	global_load_dword v3, v[0:1], off
	s_movk_i32 s4, 0x7fff
	s_waitcnt vmcnt(0)
	v_cvt_f32_u32_e32 v3, v3
	v_bfe_u32 v6, v3, 16, 1
	v_add3_u32 v3, v3, v6, s4
	v_lshrrev_b32_e32 v3, 16, v3
	s_mov_b64 s[4:5], 0
	s_branch .LBB76_1214
.LBB76_1212:
	s_mov_b64 s[4:5], -1
                                        ; implicit-def: $vgpr3
	s_branch .LBB76_1217
.LBB76_1213:
	s_mov_b64 s[4:5], -1
                                        ; implicit-def: $vgpr3
.LBB76_1214:
	s_andn2_b64 vcc, exec, s[4:5]
	s_cbranch_vccnz .LBB76_1216
; %bb.1215:
	global_load_ushort v3, v[0:1], off
	s_movk_i32 s4, 0x7fff
	s_waitcnt vmcnt(0)
	v_cvt_f32_u32_e32 v3, v3
	v_bfe_u32 v6, v3, 16, 1
	v_add3_u32 v3, v3, v6, s4
	v_lshrrev_b32_e32 v3, 16, v3
.LBB76_1216:
	s_mov_b64 s[4:5], 0
.LBB76_1217:
	s_andn2_b64 vcc, exec, s[4:5]
	s_cbranch_vccnz .LBB76_1225
; %bb.1218:
	global_load_ubyte v3, v[0:1], off
	s_movk_i32 s4, 0x7f
	s_waitcnt vmcnt(0)
	v_cmp_lt_i16_e32 vcc, s4, v3
	s_mov_b64 s[4:5], 0
	s_and_saveexec_b64 s[16:17], vcc
	s_xor_b64 s[16:17], exec, s[16:17]
	s_cbranch_execz .LBB76_1238
; %bb.1219:
	s_movk_i32 s4, 0x80
	v_cmp_eq_u16_e32 vcc, s4, v3
	s_mov_b64 s[4:5], -1
	s_and_saveexec_b64 s[20:21], vcc
; %bb.1220:
	s_xor_b64 s[4:5], exec, -1
; %bb.1221:
	s_or_b64 exec, exec, s[20:21]
	s_and_b64 s[4:5], s[4:5], exec
	s_or_saveexec_b64 s[16:17], s[16:17]
	v_mov_b32_e32 v6, 0x7f800001
	s_xor_b64 exec, exec, s[16:17]
	s_cbranch_execnz .LBB76_1239
.LBB76_1222:
	s_or_b64 exec, exec, s[16:17]
	s_and_saveexec_b64 s[16:17], s[4:5]
	s_cbranch_execz .LBB76_1224
.LBB76_1223:
	v_lshlrev_b32_e32 v6, 24, v3
	v_and_b32_e32 v3, 0xffff, v3
	v_and_b32_e32 v7, 7, v3
	v_ffbh_u32_e32 v9, v7
	v_min_u32_e32 v9, 32, v9
	v_subrev_u32_e32 v11, 28, v9
	v_bfe_u32 v8, v3, 3, 4
	v_lshlrev_b32_e32 v3, v11, v3
	v_sub_u32_e32 v9, 29, v9
	v_and_b32_e32 v3, 7, v3
	v_cmp_eq_u32_e32 vcc, 0, v8
	v_cndmask_b32_e32 v8, v8, v9, vcc
	v_cndmask_b32_e32 v3, v7, v3, vcc
	v_mov_b32_e32 v7, 0x3b800000
	v_lshlrev_b32_e32 v3, 20, v3
	v_and_b32_e32 v6, 0x80000000, v6
	v_lshl_add_u32 v7, v8, 23, v7
	v_or3_b32 v6, v6, v7, v3
.LBB76_1224:
	s_or_b64 exec, exec, s[16:17]
	v_bfe_u32 v3, v6, 16, 1
	s_movk_i32 s4, 0x7fff
	v_add3_u32 v3, v6, v3, s4
	v_cmp_o_f32_e32 vcc, v6, v6
	v_mov_b32_e32 v6, 0x7fc0
	v_cndmask_b32_sdwa v3, v6, v3, vcc dst_sel:DWORD dst_unused:UNUSED_PAD src0_sel:DWORD src1_sel:WORD_1
.LBB76_1225:
	s_mov_b64 s[4:5], -1
.LBB76_1226:
	s_branch .LBB76_1259
.LBB76_1227:
	s_cmp_gt_i32 s22, 22
	s_cbranch_scc0 .LBB76_1237
; %bb.1228:
	s_cmp_lt_i32 s22, 24
	s_cbranch_scc1 .LBB76_1240
; %bb.1229:
	s_cmp_gt_i32 s22, 24
	s_cbranch_scc0 .LBB76_1241
; %bb.1230:
	global_load_ubyte v3, v[0:1], off
	s_movk_i32 s2, 0x7f
	s_waitcnt vmcnt(0)
	v_cmp_lt_i16_e32 vcc, s2, v3
	s_mov_b64 s[2:3], 0
	s_and_saveexec_b64 s[4:5], vcc
	s_xor_b64 s[4:5], exec, s[4:5]
	s_cbranch_execz .LBB76_1253
; %bb.1231:
	s_movk_i32 s2, 0x80
	v_cmp_eq_u16_e32 vcc, s2, v3
	s_mov_b64 s[2:3], -1
	s_and_saveexec_b64 s[16:17], vcc
; %bb.1232:
	s_xor_b64 s[2:3], exec, -1
; %bb.1233:
	s_or_b64 exec, exec, s[16:17]
	s_and_b64 s[2:3], s[2:3], exec
	s_or_saveexec_b64 s[4:5], s[4:5]
	v_mov_b32_e32 v6, 0x7f800001
	s_xor_b64 exec, exec, s[4:5]
	s_cbranch_execnz .LBB76_1254
.LBB76_1234:
	s_or_b64 exec, exec, s[4:5]
	s_and_saveexec_b64 s[4:5], s[2:3]
	s_cbranch_execz .LBB76_1236
.LBB76_1235:
	v_lshlrev_b32_e32 v6, 24, v3
	v_and_b32_e32 v3, 0xffff, v3
	v_and_b32_e32 v7, 3, v3
	v_ffbh_u32_e32 v9, v7
	v_min_u32_e32 v9, 32, v9
	v_subrev_u32_e32 v11, 29, v9
	v_bfe_u32 v8, v3, 2, 5
	v_lshlrev_b32_e32 v3, v11, v3
	v_sub_u32_e32 v9, 30, v9
	v_and_b32_e32 v3, 3, v3
	v_cmp_eq_u32_e32 vcc, 0, v8
	v_cndmask_b32_e32 v8, v8, v9, vcc
	v_cndmask_b32_e32 v3, v7, v3, vcc
	v_mov_b32_e32 v7, 0x37800000
	v_lshlrev_b32_e32 v3, 21, v3
	v_and_b32_e32 v6, 0x80000000, v6
	v_lshl_add_u32 v7, v8, 23, v7
	v_or3_b32 v6, v6, v7, v3
.LBB76_1236:
	s_or_b64 exec, exec, s[4:5]
	v_bfe_u32 v3, v6, 16, 1
	s_movk_i32 s2, 0x7fff
	v_add3_u32 v3, v6, v3, s2
	v_cmp_o_f32_e32 vcc, v6, v6
	v_mov_b32_e32 v6, 0x7fc0
	v_cndmask_b32_sdwa v3, v6, v3, vcc dst_sel:DWORD dst_unused:UNUSED_PAD src0_sel:DWORD src1_sel:WORD_1
	s_mov_b64 s[2:3], 0
	s_branch .LBB76_1242
.LBB76_1237:
	s_mov_b64 s[2:3], -1
                                        ; implicit-def: $vgpr3
	s_branch .LBB76_1248
.LBB76_1238:
	s_or_saveexec_b64 s[16:17], s[16:17]
	v_mov_b32_e32 v6, 0x7f800001
	s_xor_b64 exec, exec, s[16:17]
	s_cbranch_execz .LBB76_1222
.LBB76_1239:
	v_cmp_ne_u16_e32 vcc, 0, v3
	s_andn2_b64 s[4:5], s[4:5], exec
	s_and_b64 s[20:21], vcc, exec
	v_mov_b32_e32 v6, 0
	s_or_b64 s[4:5], s[4:5], s[20:21]
	s_or_b64 exec, exec, s[16:17]
	s_and_saveexec_b64 s[16:17], s[4:5]
	s_cbranch_execnz .LBB76_1223
	s_branch .LBB76_1224
.LBB76_1240:
	s_mov_b64 s[2:3], -1
                                        ; implicit-def: $vgpr3
	s_branch .LBB76_1245
.LBB76_1241:
	s_mov_b64 s[2:3], -1
                                        ; implicit-def: $vgpr3
.LBB76_1242:
	s_and_b64 vcc, exec, s[2:3]
	s_cbranch_vccz .LBB76_1244
; %bb.1243:
	global_load_ubyte v3, v[0:1], off
	s_mov_b32 s2, 0x7f800000
	s_brev_b32 s3, 1
	s_movk_i32 s4, 0x7fff
	s_waitcnt vmcnt(0)
	v_lshlrev_b32_e32 v3, 24, v3
	v_and_b32_e32 v6, 0x7f000000, v3
	v_ffbh_u32_e32 v7, v6
	v_min_u32_e32 v7, 32, v7
	v_sub_u32_e64 v7, v7, 4 clamp
	v_lshlrev_b32_e32 v9, v7, v6
	v_lshlrev_b32_e32 v7, 23, v7
	v_lshrrev_b32_e32 v9, 4, v9
	v_add_u32_e32 v8, 0x1000000, v6
	v_sub_u32_e32 v7, v9, v7
	v_ashrrev_i32_e32 v8, 8, v8
	v_add_u32_e32 v7, 0x3c000000, v7
	v_and_or_b32 v7, v8, s2, v7
	v_cmp_ne_u32_e32 vcc, 0, v6
	v_cndmask_b32_e32 v6, 0, v7, vcc
	v_and_or_b32 v3, v3, s3, v6
	v_bfe_u32 v6, v6, 16, 1
	v_add3_u32 v6, v3, v6, s4
	v_cmp_o_f32_e32 vcc, v3, v3
	v_mov_b32_e32 v3, 0x7fc0
	v_cndmask_b32_sdwa v3, v3, v6, vcc dst_sel:DWORD dst_unused:UNUSED_PAD src0_sel:DWORD src1_sel:WORD_1
.LBB76_1244:
	s_mov_b64 s[2:3], 0
.LBB76_1245:
	s_andn2_b64 vcc, exec, s[2:3]
	s_cbranch_vccnz .LBB76_1247
; %bb.1246:
	global_load_ubyte v3, v[0:1], off
	s_movk_i32 s2, 0x7f00
	s_brev_b32 s3, 16
	s_brev_b32 s4, 1
	s_movk_i32 s5, 0x7fff
	s_waitcnt vmcnt(0)
	v_lshlrev_b16_e32 v6, 8, v3
	v_lshlrev_b32_e32 v3, 25, v3
	v_lshrrev_b32_e32 v7, 4, v3
	v_and_or_b32 v8, v6, s2, 0.5
	v_or_b32_e32 v7, 0x70000000, v7
	v_add_f32_e32 v8, -0.5, v8
	v_mul_f32_e32 v7, 0x7800000, v7
	v_cmp_gt_u32_e32 vcc, s3, v3
	v_bfe_i32 v6, v6, 0, 16
	v_cndmask_b32_e32 v3, v7, v8, vcc
	v_and_or_b32 v6, v6, s4, v3
	v_bfe_u32 v3, v3, 16, 1
	v_add3_u32 v3, v6, v3, s5
	v_cmp_o_f32_e32 vcc, v6, v6
	v_mov_b32_e32 v6, 0x7fc0
	v_cndmask_b32_sdwa v3, v6, v3, vcc dst_sel:DWORD dst_unused:UNUSED_PAD src0_sel:DWORD src1_sel:WORD_1
.LBB76_1247:
	s_mov_b64 s[2:3], 0
	s_mov_b64 s[4:5], -1
.LBB76_1248:
	s_andn2_b64 vcc, exec, s[2:3]
	s_mov_b64 s[2:3], 0
	s_cbranch_vccnz .LBB76_1259
; %bb.1249:
	s_cmp_gt_i32 s22, 14
	s_cbranch_scc0 .LBB76_1252
; %bb.1250:
	s_cmp_eq_u32 s22, 15
	s_cbranch_scc0 .LBB76_1255
; %bb.1251:
	global_load_ushort v3, v[0:1], off
	s_mov_b64 s[0:1], 0
	s_mov_b64 s[4:5], -1
	s_branch .LBB76_1256
.LBB76_1252:
	s_mov_b64 s[16:17], -1
                                        ; implicit-def: $vgpr3
	s_branch .LBB76_1257
.LBB76_1253:
	s_or_saveexec_b64 s[4:5], s[4:5]
	v_mov_b32_e32 v6, 0x7f800001
	s_xor_b64 exec, exec, s[4:5]
	s_cbranch_execz .LBB76_1234
.LBB76_1254:
	v_cmp_ne_u16_e32 vcc, 0, v3
	s_andn2_b64 s[2:3], s[2:3], exec
	s_and_b64 s[16:17], vcc, exec
	v_mov_b32_e32 v6, 0
	s_or_b64 s[2:3], s[2:3], s[16:17]
	s_or_b64 exec, exec, s[4:5]
	s_and_saveexec_b64 s[4:5], s[2:3]
	s_cbranch_execnz .LBB76_1235
	s_branch .LBB76_1236
.LBB76_1255:
	s_mov_b64 s[0:1], -1
                                        ; implicit-def: $vgpr3
.LBB76_1256:
	s_mov_b64 s[16:17], 0
.LBB76_1257:
	s_and_b64 vcc, exec, s[16:17]
	s_cbranch_vccz .LBB76_1259
; %bb.1258:
	s_cmp_lg_u32 s22, 11
	s_mov_b64 s[2:3], -1
	s_cselect_b64 s[0:1], -1, 0
.LBB76_1259:
	s_and_b64 vcc, exec, s[0:1]
	s_cbranch_vccnz .LBB76_1328
; %bb.1260:
	s_andn2_b64 vcc, exec, s[2:3]
	s_cbranch_vccnz .LBB76_1262
.LBB76_1261:
	global_load_ubyte v3, v[0:1], off
	s_mov_b64 s[4:5], -1
	s_waitcnt vmcnt(0)
	v_cmp_ne_u16_e32 vcc, 0, v3
	v_cndmask_b32_e64 v3, 0, 1.0, vcc
	v_lshrrev_b32_e32 v3, 16, v3
.LBB76_1262:
	s_branch .LBB76_1189
.LBB76_1263:
	s_cmp_lt_i32 s22, 5
	s_cbranch_scc1 .LBB76_1268
; %bb.1264:
	s_cmp_lt_i32 s22, 8
	s_cbranch_scc1 .LBB76_1269
; %bb.1265:
	;; [unrolled: 3-line block ×3, first 2 shown]
	s_cmp_gt_i32 s22, 9
	s_cbranch_scc0 .LBB76_1271
; %bb.1267:
	global_load_dwordx2 v[6:7], v[0:1], off
	s_movk_i32 s0, 0x7fff
	s_waitcnt vmcnt(0)
	v_cvt_f32_f64_e32 v3, v[6:7]
	v_mov_b32_e32 v6, 0x7fc0
	v_bfe_u32 v7, v3, 16, 1
	v_cmp_o_f32_e32 vcc, v3, v3
	v_add3_u32 v3, v3, v7, s0
	v_cndmask_b32_sdwa v3, v6, v3, vcc dst_sel:DWORD dst_unused:UNUSED_PAD src0_sel:DWORD src1_sel:WORD_1
	s_mov_b64 s[0:1], 0
	s_branch .LBB76_1272
.LBB76_1268:
                                        ; implicit-def: $vgpr3
	s_branch .LBB76_1290
.LBB76_1269:
	s_mov_b64 s[0:1], -1
                                        ; implicit-def: $vgpr3
	s_branch .LBB76_1278
.LBB76_1270:
	s_mov_b64 s[0:1], -1
                                        ; implicit-def: $vgpr3
	s_branch .LBB76_1275
.LBB76_1271:
	s_mov_b64 s[0:1], -1
                                        ; implicit-def: $vgpr3
.LBB76_1272:
	s_andn2_b64 vcc, exec, s[0:1]
	s_cbranch_vccnz .LBB76_1274
; %bb.1273:
	global_load_dword v3, v[0:1], off
	s_movk_i32 s0, 0x7fff
	v_mov_b32_e32 v6, 0x7fc0
	s_waitcnt vmcnt(0)
	v_bfe_u32 v7, v3, 16, 1
	v_cmp_o_f32_e32 vcc, v3, v3
	v_add3_u32 v3, v3, v7, s0
	v_cndmask_b32_sdwa v3, v6, v3, vcc dst_sel:DWORD dst_unused:UNUSED_PAD src0_sel:DWORD src1_sel:WORD_1
.LBB76_1274:
	s_mov_b64 s[0:1], 0
.LBB76_1275:
	s_andn2_b64 vcc, exec, s[0:1]
	s_cbranch_vccnz .LBB76_1277
; %bb.1276:
	global_load_dword v3, v[0:1], off
	s_movk_i32 s0, 0x7fff
	v_mov_b32_e32 v7, 0x7fc0
	s_waitcnt vmcnt(0)
	v_cvt_f32_f16_e32 v6, v3
	v_cmp_o_f16_e32 vcc, v3, v3
	v_bfe_u32 v3, v6, 16, 1
	v_add3_u32 v3, v6, v3, s0
	v_cndmask_b32_sdwa v3, v7, v3, vcc dst_sel:DWORD dst_unused:UNUSED_PAD src0_sel:DWORD src1_sel:WORD_1
.LBB76_1277:
	s_mov_b64 s[0:1], 0
.LBB76_1278:
	s_andn2_b64 vcc, exec, s[0:1]
	s_cbranch_vccnz .LBB76_1289
; %bb.1279:
	s_cmp_lt_i32 s22, 6
	s_cbranch_scc1 .LBB76_1282
; %bb.1280:
	s_cmp_gt_i32 s22, 6
	s_cbranch_scc0 .LBB76_1283
; %bb.1281:
	global_load_dwordx2 v[6:7], v[0:1], off
	s_movk_i32 s0, 0x7fff
	s_waitcnt vmcnt(0)
	v_cvt_f32_f64_e32 v3, v[6:7]
	v_mov_b32_e32 v6, 0x7fc0
	v_bfe_u32 v7, v3, 16, 1
	v_cmp_o_f32_e32 vcc, v3, v3
	v_add3_u32 v3, v3, v7, s0
	v_cndmask_b32_sdwa v3, v6, v3, vcc dst_sel:DWORD dst_unused:UNUSED_PAD src0_sel:DWORD src1_sel:WORD_1
	s_mov_b64 s[0:1], 0
	s_branch .LBB76_1284
.LBB76_1282:
	s_mov_b64 s[0:1], -1
                                        ; implicit-def: $vgpr3
	s_branch .LBB76_1287
.LBB76_1283:
	s_mov_b64 s[0:1], -1
                                        ; implicit-def: $vgpr3
.LBB76_1284:
	s_andn2_b64 vcc, exec, s[0:1]
	s_cbranch_vccnz .LBB76_1286
; %bb.1285:
	global_load_dword v3, v[0:1], off
	s_movk_i32 s0, 0x7fff
	v_mov_b32_e32 v6, 0x7fc0
	s_waitcnt vmcnt(0)
	v_bfe_u32 v7, v3, 16, 1
	v_cmp_o_f32_e32 vcc, v3, v3
	v_add3_u32 v3, v3, v7, s0
	v_cndmask_b32_sdwa v3, v6, v3, vcc dst_sel:DWORD dst_unused:UNUSED_PAD src0_sel:DWORD src1_sel:WORD_1
.LBB76_1286:
	s_mov_b64 s[0:1], 0
.LBB76_1287:
	s_andn2_b64 vcc, exec, s[0:1]
	s_cbranch_vccnz .LBB76_1289
; %bb.1288:
	global_load_ushort v3, v[0:1], off
	s_movk_i32 s0, 0x7fff
	v_mov_b32_e32 v7, 0x7fc0
	s_waitcnt vmcnt(0)
	v_cvt_f32_f16_e32 v6, v3
	v_cmp_o_f16_e32 vcc, v3, v3
	v_bfe_u32 v3, v6, 16, 1
	v_add3_u32 v3, v6, v3, s0
	v_cndmask_b32_sdwa v3, v7, v3, vcc dst_sel:DWORD dst_unused:UNUSED_PAD src0_sel:DWORD src1_sel:WORD_1
.LBB76_1289:
	s_cbranch_execnz .LBB76_1309
.LBB76_1290:
	s_cmp_lt_i32 s22, 2
	s_cbranch_scc1 .LBB76_1294
; %bb.1291:
	s_cmp_lt_i32 s22, 3
	s_cbranch_scc1 .LBB76_1295
; %bb.1292:
	s_cmp_gt_i32 s22, 3
	s_cbranch_scc0 .LBB76_1296
; %bb.1293:
	global_load_dwordx2 v[6:7], v[0:1], off
	s_movk_i32 s0, 0x7fff
	s_waitcnt vmcnt(0)
	v_xor_b32_e32 v8, v6, v7
	v_ffbh_i32_e32 v3, v7
	v_ashrrev_i32_e32 v8, 31, v8
	v_add_u32_e32 v3, -1, v3
	v_add_u32_e32 v8, 32, v8
	v_min_u32_e32 v3, v3, v8
	v_lshlrev_b64 v[6:7], v3, v[6:7]
	v_sub_u32_e32 v3, 32, v3
	v_min_u32_e32 v6, 1, v6
	v_or_b32_e32 v6, v7, v6
	v_cvt_f32_i32_e32 v6, v6
	v_ldexp_f32 v3, v6, v3
	v_bfe_u32 v6, v3, 16, 1
	v_add3_u32 v3, v3, v6, s0
	v_lshrrev_b32_e32 v3, 16, v3
	s_mov_b64 s[0:1], 0
	s_branch .LBB76_1297
.LBB76_1294:
	s_mov_b64 s[0:1], -1
                                        ; implicit-def: $vgpr3
	s_branch .LBB76_1303
.LBB76_1295:
	s_mov_b64 s[0:1], -1
                                        ; implicit-def: $vgpr3
	s_branch .LBB76_1300
.LBB76_1296:
	s_mov_b64 s[0:1], -1
                                        ; implicit-def: $vgpr3
.LBB76_1297:
	s_andn2_b64 vcc, exec, s[0:1]
	s_cbranch_vccnz .LBB76_1299
; %bb.1298:
	global_load_dword v3, v[0:1], off
	s_movk_i32 s0, 0x7fff
	s_waitcnt vmcnt(0)
	v_cvt_f32_i32_e32 v3, v3
	v_bfe_u32 v6, v3, 16, 1
	v_add3_u32 v3, v3, v6, s0
	v_lshrrev_b32_e32 v3, 16, v3
.LBB76_1299:
	s_mov_b64 s[0:1], 0
.LBB76_1300:
	s_andn2_b64 vcc, exec, s[0:1]
	s_cbranch_vccnz .LBB76_1302
; %bb.1301:
	global_load_sshort v3, v[0:1], off
	s_movk_i32 s0, 0x7fff
	s_waitcnt vmcnt(0)
	v_cvt_f32_i32_e32 v3, v3
	v_bfe_u32 v6, v3, 16, 1
	v_add3_u32 v3, v3, v6, s0
	v_lshrrev_b32_e32 v3, 16, v3
.LBB76_1302:
	s_mov_b64 s[0:1], 0
.LBB76_1303:
	s_andn2_b64 vcc, exec, s[0:1]
	s_cbranch_vccnz .LBB76_1309
; %bb.1304:
	s_cmp_gt_i32 s22, 0
	s_cbranch_scc0 .LBB76_1306
; %bb.1305:
	global_load_sbyte v3, v[0:1], off
	s_movk_i32 s0, 0x7fff
	s_waitcnt vmcnt(0)
	v_cvt_f32_i32_e32 v3, v3
	v_bfe_u32 v6, v3, 16, 1
	v_add3_u32 v3, v3, v6, s0
	v_lshrrev_b32_e32 v3, 16, v3
	s_mov_b64 s[0:1], 0
	s_branch .LBB76_1307
.LBB76_1306:
	s_mov_b64 s[0:1], -1
                                        ; implicit-def: $vgpr3
.LBB76_1307:
	s_andn2_b64 vcc, exec, s[0:1]
	s_cbranch_vccnz .LBB76_1309
; %bb.1308:
	global_load_ubyte v0, v[0:1], off
	s_movk_i32 s0, 0x7fff
	s_waitcnt vmcnt(0)
	v_cvt_f32_ubyte0_e32 v0, v0
	v_bfe_u32 v1, v0, 16, 1
	v_add3_u32 v0, v0, v1, s0
	v_lshrrev_b32_e32 v3, 16, v0
.LBB76_1309:
.LBB76_1310:
	s_waitcnt vmcnt(0)
	v_lshlrev_b32_e32 v8, 16, v3
	v_cmp_gt_f32_e32 vcc, 0.5, v8
	v_mov_b32_e32 v13, 0
	v_mov_b32_e32 v3, 1.0
	s_and_saveexec_b64 s[16:17], vcc
	s_cbranch_execz .LBB76_1316
; %bb.1311:
	v_mul_f32_e32 v0, 0x40490fdb, v8
	s_brev_b32 s0, 18
	v_and_b32_e32 v1, 0x7fffffff, v0
	v_cmp_nlt_f32_e64 s[0:1], |v0|, s0
                                        ; implicit-def: $vgpr3
                                        ; implicit-def: $vgpr6
	s_and_saveexec_b64 s[2:3], s[0:1]
	s_xor_b64 s[20:21], exec, s[2:3]
	s_cbranch_execz .LBB76_1313
; %bb.1312:
	v_and_b32_e32 v3, 0x7fffff, v1
	v_or_b32_e32 v3, 0x800000, v3
	s_mov_b32 s0, 0xfe5163ab
	v_mad_u64_u32 v[6:7], s[0:1], v3, s0, 0
	v_mov_b32_e32 v12, 0
	s_mov_b32 s0, 0x3c439041
	v_mov_b32_e32 v11, v7
	v_mad_u64_u32 v[15:16], s[0:1], v3, s0, v[11:12]
	s_mov_b32 s0, 0xdb629599
	v_lshrrev_b32_e32 v7, 23, v1
	v_mov_b32_e32 v11, v16
	v_mad_u64_u32 v[16:17], s[0:1], v3, s0, v[11:12]
	s_mov_b32 s0, 0xf534ddc0
	v_add_u32_e32 v7, 0xffffff88, v7
	v_mov_b32_e32 v11, v17
	v_mad_u64_u32 v[17:18], s[0:1], v3, s0, v[11:12]
	s_mov_b32 s0, 0xfc2757d1
	v_not_b32_e32 v9, 63
	v_mov_b32_e32 v11, v18
	v_mad_u64_u32 v[18:19], s[0:1], v3, s0, v[11:12]
	v_cmp_lt_u32_e32 vcc, 63, v7
	s_mov_b32 s0, 0x4e441529
	v_mov_b32_e32 v11, v19
	v_cndmask_b32_e32 v9, 0, v9, vcc
	v_mad_u64_u32 v[19:20], s[0:1], v3, s0, v[11:12]
	v_add_u32_e32 v7, v9, v7
	v_not_b32_e32 v9, 31
	v_cmp_lt_u32_e64 s[0:1], 31, v7
	v_cndmask_b32_e64 v11, 0, v9, s[0:1]
	v_add_u32_e32 v7, v11, v7
	v_mov_b32_e32 v11, v20
	s_mov_b32 s2, 0xa2f9836e
	v_mad_u64_u32 v[11:12], s[2:3], v3, s2, v[11:12]
	v_cmp_lt_u32_e64 s[2:3], 31, v7
	v_cndmask_b32_e64 v3, 0, v9, s[2:3]
	v_add_u32_e32 v3, v3, v7
	v_cndmask_b32_e32 v7, v19, v17, vcc
	v_cndmask_b32_e32 v9, v11, v18, vcc
	;; [unrolled: 1-line block ×3, first 2 shown]
	v_cndmask_b32_e64 v11, v9, v7, s[0:1]
	v_cndmask_b32_e64 v9, v12, v9, s[0:1]
	v_cndmask_b32_e32 v12, v18, v16, vcc
	v_cndmask_b32_e64 v7, v7, v12, s[0:1]
	v_cndmask_b32_e64 v9, v9, v11, s[2:3]
	;; [unrolled: 1-line block ×3, first 2 shown]
	v_sub_u32_e32 v13, 32, v3
	v_alignbit_b32 v18, v9, v11, v13
	v_cmp_eq_u32_e64 s[4:5], 0, v3
	v_cndmask_b32_e64 v3, v18, v9, s[4:5]
	v_cndmask_b32_e32 v9, v17, v15, vcc
	v_cndmask_b32_e64 v12, v12, v9, s[0:1]
	v_cndmask_b32_e64 v7, v7, v12, s[2:3]
	v_cndmask_b32_e32 v6, v16, v6, vcc
	v_alignbit_b32 v15, v11, v7, v13
	v_cndmask_b32_e64 v6, v9, v6, s[0:1]
	v_cndmask_b32_e64 v11, v15, v11, s[4:5]
	v_bfe_u32 v18, v3, 29, 1
	v_cndmask_b32_e64 v6, v12, v6, s[2:3]
	v_alignbit_b32 v15, v3, v11, 30
	v_sub_u32_e32 v19, 0, v18
	v_alignbit_b32 v9, v7, v6, v13
	v_xor_b32_e32 v15, v15, v19
	v_cndmask_b32_e64 v7, v9, v7, s[4:5]
	v_alignbit_b32 v9, v11, v7, 30
	v_ffbh_u32_e32 v11, v15
	v_min_u32_e32 v11, 32, v11
	v_alignbit_b32 v6, v7, v6, 30
	v_xor_b32_e32 v9, v9, v19
	v_sub_u32_e32 v12, 31, v11
	v_xor_b32_e32 v6, v6, v19
	v_alignbit_b32 v13, v15, v9, v12
	v_alignbit_b32 v6, v9, v6, v12
	;; [unrolled: 1-line block ×3, first 2 shown]
	v_ffbh_u32_e32 v9, v7
	v_min_u32_e32 v9, 32, v9
	v_lshrrev_b32_e32 v17, 29, v3
	v_not_b32_e32 v12, v9
	v_alignbit_b32 v6, v7, v6, v12
	v_lshlrev_b32_e32 v7, 31, v17
	v_or_b32_e32 v12, 0x33000000, v7
	v_add_lshl_u32 v9, v9, v11, 23
	v_lshrrev_b32_e32 v6, 9, v6
	v_sub_u32_e32 v9, v12, v9
	v_or_b32_e32 v7, 0.5, v7
	v_lshlrev_b32_e32 v11, 23, v11
	v_or_b32_e32 v6, v9, v6
	v_lshrrev_b32_e32 v9, 9, v13
	v_sub_u32_e32 v7, v7, v11
	v_or_b32_e32 v7, v9, v7
	s_mov_b32 s0, 0x3fc90fda
	v_mul_f32_e32 v9, 0x3fc90fda, v7
	v_fma_f32 v11, v7, s0, -v9
	v_fmac_f32_e32 v11, 0x33a22168, v7
	v_fmac_f32_e32 v11, 0x3fc90fda, v6
	v_lshrrev_b32_e32 v3, 30, v3
	v_add_f32_e32 v6, v9, v11
	v_add_u32_e32 v3, v18, v3
.LBB76_1313:
	s_andn2_saveexec_b64 s[0:1], s[20:21]
	s_cbranch_execz .LBB76_1315
; %bb.1314:
	s_mov_b32 s2, 0x3f22f983
	v_mul_f32_e64 v3, |v0|, s2
	v_rndne_f32_e32 v7, v3
	s_mov_b32 s2, 0xbfc90fda
	v_cvt_i32_f32_e32 v3, v7
	v_fma_f32 v6, v7, s2, |v0|
	v_fmac_f32_e32 v6, 0xb3a22168, v7
	v_fmac_f32_e32 v6, 0xa7c234c4, v7
.LBB76_1315:
	s_or_b64 exec, exec, s[0:1]
	v_mul_f32_e32 v7, v6, v6
	v_mov_b32_e32 v9, 0x3c0881c4
	v_fmac_f32_e32 v9, 0xb94c1982, v7
	v_mov_b32_e32 v11, 0xbe2aaa9d
	v_fmac_f32_e32 v11, v7, v9
	v_mul_f32_e32 v9, v7, v11
	v_fmac_f32_e32 v6, v6, v9
	v_mov_b32_e32 v9, 0xbab64f3b
	v_fmac_f32_e32 v9, 0x37d75334, v7
	v_mov_b32_e32 v11, 0x3d2aabf7
	;; [unrolled: 2-line block ×3, first 2 shown]
	v_fmac_f32_e32 v9, v7, v11
	v_fma_f32 v7, v7, v9, 1.0
	v_and_b32_e32 v9, 1, v3
	v_lshlrev_b32_e32 v3, 30, v3
	v_cmp_eq_u32_e32 vcc, 0, v9
	v_and_b32_e32 v3, 0x80000000, v3
	v_xor_b32_e32 v1, v1, v0
	v_cndmask_b32_e32 v6, v7, v6, vcc
	v_xor_b32_e32 v1, v1, v3
	s_movk_i32 s0, 0x1f8
	v_xor_b32_e32 v1, v1, v6
	v_mov_b32_e32 v3, 0x7fc00000
	v_cmp_class_f32_e64 vcc, v0, s0
	v_cndmask_b32_e32 v0, v3, v1, vcc
	v_mul_f32_e32 v0, v0, v0
	s_mov_b32 s2, 0xc11de9e7
	v_div_scale_f32 v1, s[0:1], v0, v0, s2
	v_div_scale_f32 v3, vcc, s2, v0, s2
	v_sub_f32_e32 v8, 1.0, v8
	v_rcp_f32_e32 v6, v1
	v_fma_f32 v7, -v1, v6, 1.0
	v_fmac_f32_e32 v6, v7, v6
	v_mul_f32_e32 v7, v3, v6
	v_fma_f32 v9, -v1, v7, v3
	v_fmac_f32_e32 v7, v9, v6
	v_fma_f32 v1, -v1, v7, v3
	v_div_fmas_f32 v1, v1, v6, v7
	v_mov_b32_e32 v3, -1.0
	v_div_fixup_f32 v0, v1, v0, s2
	v_add_f32_e32 v13, 0, v0
.LBB76_1316:
	s_or_b64 exec, exec, s[16:17]
	v_add_u32_e32 v9, s13, v5
	v_ashrrev_i32_e32 v1, 31, v9
	v_mov_b32_e32 v5, s11
	v_add_co_u32_e32 v0, vcc, s10, v9
	s_cmp_lt_i32 s22, 11
	v_addc_co_u32_e32 v1, vcc, v5, v1, vcc
	s_cbranch_scc1 .LBB76_1323
; %bb.1317:
	s_cmp_gt_i32 s22, 25
	s_mov_b64 s[2:3], 0
	s_cbranch_scc0 .LBB76_1325
; %bb.1318:
	s_cmp_gt_i32 s22, 28
	s_cbranch_scc0 .LBB76_1326
; %bb.1319:
	s_cmp_gt_i32 s22, 43
	s_cbranch_scc0 .LBB76_1327
; %bb.1320:
	s_cmp_gt_i32 s22, 45
	s_cbranch_scc0 .LBB76_1329
; %bb.1321:
	s_cmp_eq_u32 s22, 46
	s_mov_b64 s[16:17], 0
	s_cbranch_scc0 .LBB76_1330
; %bb.1322:
	global_load_dword v5, v[0:1], off
	s_mov_b64 s[0:1], 0
	s_mov_b64 s[4:5], -1
	s_branch .LBB76_1331
.LBB76_1323:
	s_mov_b64 s[4:5], 0
                                        ; implicit-def: $vgpr5
	s_cbranch_execnz .LBB76_1397
.LBB76_1324:
	s_andn2_b64 vcc, exec, s[4:5]
	s_cbranch_vccnz .LBB76_2020
	s_branch .LBB76_1445
.LBB76_1325:
	s_mov_b64 s[16:17], -1
	s_mov_b64 s[4:5], 0
	s_mov_b64 s[0:1], 0
                                        ; implicit-def: $vgpr5
	s_branch .LBB76_1360
.LBB76_1326:
	s_mov_b64 s[16:17], -1
	s_mov_b64 s[4:5], 0
	s_mov_b64 s[0:1], 0
                                        ; implicit-def: $vgpr5
	s_branch .LBB76_1341
.LBB76_1327:
	s_mov_b64 s[16:17], -1
	s_mov_b64 s[4:5], 0
	s_mov_b64 s[0:1], 0
                                        ; implicit-def: $vgpr5
	s_branch .LBB76_1336
.LBB76_1328:
	s_trap 2
	s_or_b64 s[18:19], s[18:19], exec
	s_cbranch_execz .LBB76_1261
	s_branch .LBB76_1262
.LBB76_1329:
	s_mov_b64 s[16:17], -1
	s_mov_b64 s[4:5], 0
	s_mov_b64 s[0:1], 0
                                        ; implicit-def: $vgpr5
	s_branch .LBB76_1331
.LBB76_1330:
	s_mov_b64 s[0:1], -1
                                        ; implicit-def: $vgpr5
	s_mov_b64 s[4:5], 0
.LBB76_1331:
	s_and_b64 vcc, exec, s[16:17]
	s_cbranch_vccz .LBB76_1335
; %bb.1332:
	s_cmp_eq_u32 s22, 44
	s_cbranch_scc0 .LBB76_1334
; %bb.1333:
	global_load_ubyte v5, v[0:1], off
	s_movk_i32 s4, 0xff
	v_mov_b32_e32 v6, 0x7f800001
	v_mov_b32_e32 v7, 0x400000
	;; [unrolled: 1-line block ×3, first 2 shown]
	s_mov_b64 s[0:1], 0
	s_waitcnt vmcnt(0)
	v_lshlrev_b32_e32 v12, 23, v5
	v_cmp_ne_u32_e32 vcc, s4, v5
	v_cndmask_b32_e32 v6, v6, v12, vcc
	v_cmp_ne_u32_e32 vcc, 0, v5
	v_cndmask_b32_e32 v5, v7, v6, vcc
	v_add_u32_e32 v6, 0x7fff, v5
	v_cmp_o_f32_e32 vcc, v5, v5
	v_cndmask_b32_sdwa v5, v11, v6, vcc dst_sel:DWORD dst_unused:UNUSED_PAD src0_sel:DWORD src1_sel:WORD_1
	s_mov_b64 s[4:5], -1
	s_branch .LBB76_1335
.LBB76_1334:
	s_mov_b64 s[0:1], -1
                                        ; implicit-def: $vgpr5
.LBB76_1335:
	s_mov_b64 s[16:17], 0
.LBB76_1336:
	s_and_b64 vcc, exec, s[16:17]
	s_cbranch_vccz .LBB76_1340
; %bb.1337:
	s_cmp_eq_u32 s22, 29
	s_cbranch_scc0 .LBB76_1339
; %bb.1338:
	global_load_dwordx2 v[5:6], v[0:1], off
	s_movk_i32 s4, 0x7fff
	s_mov_b64 s[0:1], 0
	s_mov_b64 s[16:17], 0
	s_waitcnt vmcnt(0)
	v_ffbh_u32_e32 v7, v6
	v_min_u32_e32 v7, 32, v7
	v_lshlrev_b64 v[5:6], v7, v[5:6]
	v_min_u32_e32 v5, 1, v5
	v_or_b32_e32 v5, v6, v5
	v_cvt_f32_u32_e32 v5, v5
	v_sub_u32_e32 v6, 32, v7
	v_ldexp_f32 v5, v5, v6
	v_bfe_u32 v6, v5, 16, 1
	v_add3_u32 v5, v5, v6, s4
	v_lshrrev_b32_e32 v5, 16, v5
	s_mov_b64 s[4:5], -1
	s_branch .LBB76_1341
.LBB76_1339:
	s_mov_b64 s[0:1], -1
                                        ; implicit-def: $vgpr5
.LBB76_1340:
	s_mov_b64 s[16:17], 0
.LBB76_1341:
	s_and_b64 vcc, exec, s[16:17]
	s_cbranch_vccz .LBB76_1359
; %bb.1342:
	s_cmp_lt_i32 s22, 27
	s_cbranch_scc1 .LBB76_1345
; %bb.1343:
	s_cmp_gt_i32 s22, 27
	s_cbranch_scc0 .LBB76_1346
; %bb.1344:
	global_load_dword v5, v[0:1], off
	s_movk_i32 s4, 0x7fff
	s_waitcnt vmcnt(0)
	v_cvt_f32_u32_e32 v5, v5
	v_bfe_u32 v6, v5, 16, 1
	v_add3_u32 v5, v5, v6, s4
	v_lshrrev_b32_e32 v5, 16, v5
	s_mov_b64 s[4:5], 0
	s_branch .LBB76_1347
.LBB76_1345:
	s_mov_b64 s[4:5], -1
                                        ; implicit-def: $vgpr5
	s_branch .LBB76_1350
.LBB76_1346:
	s_mov_b64 s[4:5], -1
                                        ; implicit-def: $vgpr5
.LBB76_1347:
	s_andn2_b64 vcc, exec, s[4:5]
	s_cbranch_vccnz .LBB76_1349
; %bb.1348:
	global_load_ushort v5, v[0:1], off
	s_movk_i32 s4, 0x7fff
	s_waitcnt vmcnt(0)
	v_cvt_f32_u32_e32 v5, v5
	v_bfe_u32 v6, v5, 16, 1
	v_add3_u32 v5, v5, v6, s4
	v_lshrrev_b32_e32 v5, 16, v5
.LBB76_1349:
	s_mov_b64 s[4:5], 0
.LBB76_1350:
	s_andn2_b64 vcc, exec, s[4:5]
	s_cbranch_vccnz .LBB76_1358
; %bb.1351:
	global_load_ubyte v5, v[0:1], off
	s_movk_i32 s4, 0x7f
	s_waitcnt vmcnt(0)
	v_cmp_lt_i16_e32 vcc, s4, v5
	s_mov_b64 s[4:5], 0
	s_and_saveexec_b64 s[16:17], vcc
	s_xor_b64 s[16:17], exec, s[16:17]
	s_cbranch_execz .LBB76_1372
; %bb.1352:
	s_movk_i32 s4, 0x80
	v_cmp_eq_u16_e32 vcc, s4, v5
	s_mov_b64 s[4:5], -1
	s_and_saveexec_b64 s[20:21], vcc
; %bb.1353:
	s_xor_b64 s[4:5], exec, -1
; %bb.1354:
	s_or_b64 exec, exec, s[20:21]
	s_and_b64 s[4:5], s[4:5], exec
	s_or_saveexec_b64 s[16:17], s[16:17]
	v_mov_b32_e32 v6, 0x7f800001
	s_xor_b64 exec, exec, s[16:17]
	s_cbranch_execnz .LBB76_1373
.LBB76_1355:
	s_or_b64 exec, exec, s[16:17]
	s_and_saveexec_b64 s[16:17], s[4:5]
	s_cbranch_execz .LBB76_1357
.LBB76_1356:
	v_lshlrev_b32_e32 v6, 24, v5
	v_and_b32_e32 v5, 0xffff, v5
	v_and_b32_e32 v7, 7, v5
	v_ffbh_u32_e32 v12, v7
	v_min_u32_e32 v12, 32, v12
	v_subrev_u32_e32 v15, 28, v12
	v_bfe_u32 v11, v5, 3, 4
	v_lshlrev_b32_e32 v5, v15, v5
	v_sub_u32_e32 v12, 29, v12
	v_and_b32_e32 v5, 7, v5
	v_cmp_eq_u32_e32 vcc, 0, v11
	v_cndmask_b32_e32 v11, v11, v12, vcc
	v_cndmask_b32_e32 v5, v7, v5, vcc
	v_mov_b32_e32 v7, 0x3b800000
	v_lshlrev_b32_e32 v5, 20, v5
	v_and_b32_e32 v6, 0x80000000, v6
	v_lshl_add_u32 v7, v11, 23, v7
	v_or3_b32 v6, v6, v7, v5
.LBB76_1357:
	s_or_b64 exec, exec, s[16:17]
	v_bfe_u32 v5, v6, 16, 1
	s_movk_i32 s4, 0x7fff
	v_add3_u32 v5, v6, v5, s4
	v_cmp_o_f32_e32 vcc, v6, v6
	v_mov_b32_e32 v6, 0x7fc0
	v_cndmask_b32_sdwa v5, v6, v5, vcc dst_sel:DWORD dst_unused:UNUSED_PAD src0_sel:DWORD src1_sel:WORD_1
.LBB76_1358:
	s_mov_b64 s[4:5], -1
.LBB76_1359:
	s_mov_b64 s[16:17], 0
.LBB76_1360:
	s_and_b64 vcc, exec, s[16:17]
	s_cbranch_vccz .LBB76_1393
; %bb.1361:
	s_cmp_gt_i32 s22, 22
	s_cbranch_scc0 .LBB76_1371
; %bb.1362:
	s_cmp_lt_i32 s22, 24
	s_cbranch_scc1 .LBB76_1374
; %bb.1363:
	s_cmp_gt_i32 s22, 24
	s_cbranch_scc0 .LBB76_1375
; %bb.1364:
	global_load_ubyte v5, v[0:1], off
	s_movk_i32 s2, 0x7f
	s_waitcnt vmcnt(0)
	v_cmp_lt_i16_e32 vcc, s2, v5
	s_mov_b64 s[2:3], 0
	s_and_saveexec_b64 s[4:5], vcc
	s_xor_b64 s[4:5], exec, s[4:5]
	s_cbranch_execz .LBB76_1387
; %bb.1365:
	s_movk_i32 s2, 0x80
	v_cmp_eq_u16_e32 vcc, s2, v5
	s_mov_b64 s[2:3], -1
	s_and_saveexec_b64 s[16:17], vcc
; %bb.1366:
	s_xor_b64 s[2:3], exec, -1
; %bb.1367:
	s_or_b64 exec, exec, s[16:17]
	s_and_b64 s[2:3], s[2:3], exec
	s_or_saveexec_b64 s[4:5], s[4:5]
	v_mov_b32_e32 v6, 0x7f800001
	s_xor_b64 exec, exec, s[4:5]
	s_cbranch_execnz .LBB76_1388
.LBB76_1368:
	s_or_b64 exec, exec, s[4:5]
	s_and_saveexec_b64 s[4:5], s[2:3]
	s_cbranch_execz .LBB76_1370
.LBB76_1369:
	v_lshlrev_b32_e32 v6, 24, v5
	v_and_b32_e32 v5, 0xffff, v5
	v_and_b32_e32 v7, 3, v5
	v_ffbh_u32_e32 v12, v7
	v_min_u32_e32 v12, 32, v12
	v_subrev_u32_e32 v15, 29, v12
	v_bfe_u32 v11, v5, 2, 5
	v_lshlrev_b32_e32 v5, v15, v5
	v_sub_u32_e32 v12, 30, v12
	v_and_b32_e32 v5, 3, v5
	v_cmp_eq_u32_e32 vcc, 0, v11
	v_cndmask_b32_e32 v11, v11, v12, vcc
	v_cndmask_b32_e32 v5, v7, v5, vcc
	v_mov_b32_e32 v7, 0x37800000
	v_lshlrev_b32_e32 v5, 21, v5
	v_and_b32_e32 v6, 0x80000000, v6
	v_lshl_add_u32 v7, v11, 23, v7
	v_or3_b32 v6, v6, v7, v5
.LBB76_1370:
	s_or_b64 exec, exec, s[4:5]
	v_bfe_u32 v5, v6, 16, 1
	s_movk_i32 s2, 0x7fff
	v_add3_u32 v5, v6, v5, s2
	v_cmp_o_f32_e32 vcc, v6, v6
	v_mov_b32_e32 v6, 0x7fc0
	v_cndmask_b32_sdwa v5, v6, v5, vcc dst_sel:DWORD dst_unused:UNUSED_PAD src0_sel:DWORD src1_sel:WORD_1
	s_mov_b64 s[2:3], 0
	s_branch .LBB76_1376
.LBB76_1371:
	s_mov_b64 s[2:3], -1
                                        ; implicit-def: $vgpr5
	s_branch .LBB76_1382
.LBB76_1372:
	s_or_saveexec_b64 s[16:17], s[16:17]
	v_mov_b32_e32 v6, 0x7f800001
	s_xor_b64 exec, exec, s[16:17]
	s_cbranch_execz .LBB76_1355
.LBB76_1373:
	v_cmp_ne_u16_e32 vcc, 0, v5
	s_andn2_b64 s[4:5], s[4:5], exec
	s_and_b64 s[20:21], vcc, exec
	v_mov_b32_e32 v6, 0
	s_or_b64 s[4:5], s[4:5], s[20:21]
	s_or_b64 exec, exec, s[16:17]
	s_and_saveexec_b64 s[16:17], s[4:5]
	s_cbranch_execnz .LBB76_1356
	s_branch .LBB76_1357
.LBB76_1374:
	s_mov_b64 s[2:3], -1
                                        ; implicit-def: $vgpr5
	s_branch .LBB76_1379
.LBB76_1375:
	s_mov_b64 s[2:3], -1
                                        ; implicit-def: $vgpr5
.LBB76_1376:
	s_and_b64 vcc, exec, s[2:3]
	s_cbranch_vccz .LBB76_1378
; %bb.1377:
	global_load_ubyte v5, v[0:1], off
	s_mov_b32 s2, 0x7f800000
	s_brev_b32 s3, 1
	s_movk_i32 s4, 0x7fff
	s_waitcnt vmcnt(0)
	v_lshlrev_b32_e32 v5, 24, v5
	v_and_b32_e32 v6, 0x7f000000, v5
	v_ffbh_u32_e32 v7, v6
	v_min_u32_e32 v7, 32, v7
	v_sub_u32_e64 v7, v7, 4 clamp
	v_lshlrev_b32_e32 v12, v7, v6
	v_lshlrev_b32_e32 v7, 23, v7
	v_lshrrev_b32_e32 v12, 4, v12
	v_add_u32_e32 v11, 0x1000000, v6
	v_sub_u32_e32 v7, v12, v7
	v_ashrrev_i32_e32 v11, 8, v11
	v_add_u32_e32 v7, 0x3c000000, v7
	v_and_or_b32 v7, v11, s2, v7
	v_cmp_ne_u32_e32 vcc, 0, v6
	v_cndmask_b32_e32 v6, 0, v7, vcc
	v_and_or_b32 v5, v5, s3, v6
	v_bfe_u32 v6, v6, 16, 1
	v_add3_u32 v6, v5, v6, s4
	v_cmp_o_f32_e32 vcc, v5, v5
	v_mov_b32_e32 v5, 0x7fc0
	v_cndmask_b32_sdwa v5, v5, v6, vcc dst_sel:DWORD dst_unused:UNUSED_PAD src0_sel:DWORD src1_sel:WORD_1
.LBB76_1378:
	s_mov_b64 s[2:3], 0
.LBB76_1379:
	s_andn2_b64 vcc, exec, s[2:3]
	s_cbranch_vccnz .LBB76_1381
; %bb.1380:
	global_load_ubyte v5, v[0:1], off
	s_movk_i32 s2, 0x7f00
	s_brev_b32 s3, 16
	s_brev_b32 s4, 1
	s_movk_i32 s5, 0x7fff
	s_waitcnt vmcnt(0)
	v_lshlrev_b16_e32 v6, 8, v5
	v_lshlrev_b32_e32 v5, 25, v5
	v_lshrrev_b32_e32 v7, 4, v5
	v_and_or_b32 v11, v6, s2, 0.5
	v_or_b32_e32 v7, 0x70000000, v7
	v_add_f32_e32 v11, -0.5, v11
	v_mul_f32_e32 v7, 0x7800000, v7
	v_cmp_gt_u32_e32 vcc, s3, v5
	v_bfe_i32 v6, v6, 0, 16
	v_cndmask_b32_e32 v5, v7, v11, vcc
	v_and_or_b32 v6, v6, s4, v5
	v_bfe_u32 v5, v5, 16, 1
	v_add3_u32 v5, v6, v5, s5
	v_cmp_o_f32_e32 vcc, v6, v6
	v_mov_b32_e32 v6, 0x7fc0
	v_cndmask_b32_sdwa v5, v6, v5, vcc dst_sel:DWORD dst_unused:UNUSED_PAD src0_sel:DWORD src1_sel:WORD_1
.LBB76_1381:
	s_mov_b64 s[2:3], 0
	s_mov_b64 s[4:5], -1
.LBB76_1382:
	s_andn2_b64 vcc, exec, s[2:3]
	s_mov_b64 s[2:3], 0
	s_cbranch_vccnz .LBB76_1393
; %bb.1383:
	s_cmp_gt_i32 s22, 14
	s_cbranch_scc0 .LBB76_1386
; %bb.1384:
	s_cmp_eq_u32 s22, 15
	s_cbranch_scc0 .LBB76_1389
; %bb.1385:
	global_load_ushort v5, v[0:1], off
	s_mov_b64 s[0:1], 0
	s_mov_b64 s[4:5], -1
	s_branch .LBB76_1390
.LBB76_1386:
	s_mov_b64 s[16:17], -1
                                        ; implicit-def: $vgpr5
	s_branch .LBB76_1391
.LBB76_1387:
	s_or_saveexec_b64 s[4:5], s[4:5]
	v_mov_b32_e32 v6, 0x7f800001
	s_xor_b64 exec, exec, s[4:5]
	s_cbranch_execz .LBB76_1368
.LBB76_1388:
	v_cmp_ne_u16_e32 vcc, 0, v5
	s_andn2_b64 s[2:3], s[2:3], exec
	s_and_b64 s[16:17], vcc, exec
	v_mov_b32_e32 v6, 0
	s_or_b64 s[2:3], s[2:3], s[16:17]
	s_or_b64 exec, exec, s[4:5]
	s_and_saveexec_b64 s[4:5], s[2:3]
	s_cbranch_execnz .LBB76_1369
	s_branch .LBB76_1370
.LBB76_1389:
	s_mov_b64 s[0:1], -1
                                        ; implicit-def: $vgpr5
.LBB76_1390:
	s_mov_b64 s[16:17], 0
.LBB76_1391:
	s_and_b64 vcc, exec, s[16:17]
	s_cbranch_vccz .LBB76_1393
; %bb.1392:
	s_cmp_lg_u32 s22, 11
	s_mov_b64 s[2:3], -1
	s_cselect_b64 s[0:1], -1, 0
.LBB76_1393:
	s_and_b64 vcc, exec, s[0:1]
	s_cbranch_vccnz .LBB76_1462
; %bb.1394:
	s_andn2_b64 vcc, exec, s[2:3]
	s_cbranch_vccnz .LBB76_1396
.LBB76_1395:
	global_load_ubyte v5, v[0:1], off
	s_mov_b64 s[4:5], -1
	s_waitcnt vmcnt(0)
	v_cmp_ne_u16_e32 vcc, 0, v5
	v_cndmask_b32_e64 v5, 0, 1.0, vcc
	v_lshrrev_b32_e32 v5, 16, v5
.LBB76_1396:
	s_branch .LBB76_1324
.LBB76_1397:
	s_cmp_lt_i32 s22, 5
	s_cbranch_scc1 .LBB76_1402
; %bb.1398:
	s_cmp_lt_i32 s22, 8
	s_cbranch_scc1 .LBB76_1403
; %bb.1399:
	;; [unrolled: 3-line block ×3, first 2 shown]
	s_cmp_gt_i32 s22, 9
	s_cbranch_scc0 .LBB76_1405
; %bb.1401:
	global_load_dwordx2 v[5:6], v[0:1], off
	s_movk_i32 s0, 0x7fff
	s_waitcnt vmcnt(0)
	v_cvt_f32_f64_e32 v5, v[5:6]
	v_mov_b32_e32 v6, 0x7fc0
	v_bfe_u32 v7, v5, 16, 1
	v_cmp_o_f32_e32 vcc, v5, v5
	v_add3_u32 v5, v5, v7, s0
	v_cndmask_b32_sdwa v5, v6, v5, vcc dst_sel:DWORD dst_unused:UNUSED_PAD src0_sel:DWORD src1_sel:WORD_1
	s_mov_b64 s[0:1], 0
	s_branch .LBB76_1406
.LBB76_1402:
	s_mov_b64 s[0:1], -1
                                        ; implicit-def: $vgpr5
	s_branch .LBB76_1424
.LBB76_1403:
	s_mov_b64 s[0:1], -1
                                        ; implicit-def: $vgpr5
	s_branch .LBB76_1412
.LBB76_1404:
	s_mov_b64 s[0:1], -1
                                        ; implicit-def: $vgpr5
	s_branch .LBB76_1409
.LBB76_1405:
	s_mov_b64 s[0:1], -1
                                        ; implicit-def: $vgpr5
.LBB76_1406:
	s_andn2_b64 vcc, exec, s[0:1]
	s_cbranch_vccnz .LBB76_1408
; %bb.1407:
	global_load_dword v5, v[0:1], off
	s_movk_i32 s0, 0x7fff
	v_mov_b32_e32 v6, 0x7fc0
	s_waitcnt vmcnt(0)
	v_bfe_u32 v7, v5, 16, 1
	v_cmp_o_f32_e32 vcc, v5, v5
	v_add3_u32 v5, v5, v7, s0
	v_cndmask_b32_sdwa v5, v6, v5, vcc dst_sel:DWORD dst_unused:UNUSED_PAD src0_sel:DWORD src1_sel:WORD_1
.LBB76_1408:
	s_mov_b64 s[0:1], 0
.LBB76_1409:
	s_andn2_b64 vcc, exec, s[0:1]
	s_cbranch_vccnz .LBB76_1411
; %bb.1410:
	global_load_dword v5, v[0:1], off
	s_movk_i32 s0, 0x7fff
	v_mov_b32_e32 v7, 0x7fc0
	s_waitcnt vmcnt(0)
	v_cvt_f32_f16_e32 v6, v5
	v_cmp_o_f16_e32 vcc, v5, v5
	v_bfe_u32 v5, v6, 16, 1
	v_add3_u32 v5, v6, v5, s0
	v_cndmask_b32_sdwa v5, v7, v5, vcc dst_sel:DWORD dst_unused:UNUSED_PAD src0_sel:DWORD src1_sel:WORD_1
.LBB76_1411:
	s_mov_b64 s[0:1], 0
.LBB76_1412:
	s_andn2_b64 vcc, exec, s[0:1]
	s_cbranch_vccnz .LBB76_1423
; %bb.1413:
	s_cmp_lt_i32 s22, 6
	s_cbranch_scc1 .LBB76_1416
; %bb.1414:
	s_cmp_gt_i32 s22, 6
	s_cbranch_scc0 .LBB76_1417
; %bb.1415:
	global_load_dwordx2 v[5:6], v[0:1], off
	s_movk_i32 s0, 0x7fff
	s_waitcnt vmcnt(0)
	v_cvt_f32_f64_e32 v5, v[5:6]
	v_mov_b32_e32 v6, 0x7fc0
	v_bfe_u32 v7, v5, 16, 1
	v_cmp_o_f32_e32 vcc, v5, v5
	v_add3_u32 v5, v5, v7, s0
	v_cndmask_b32_sdwa v5, v6, v5, vcc dst_sel:DWORD dst_unused:UNUSED_PAD src0_sel:DWORD src1_sel:WORD_1
	s_mov_b64 s[0:1], 0
	s_branch .LBB76_1418
.LBB76_1416:
	s_mov_b64 s[0:1], -1
                                        ; implicit-def: $vgpr5
	s_branch .LBB76_1421
.LBB76_1417:
	s_mov_b64 s[0:1], -1
                                        ; implicit-def: $vgpr5
.LBB76_1418:
	s_andn2_b64 vcc, exec, s[0:1]
	s_cbranch_vccnz .LBB76_1420
; %bb.1419:
	global_load_dword v5, v[0:1], off
	s_movk_i32 s0, 0x7fff
	v_mov_b32_e32 v6, 0x7fc0
	s_waitcnt vmcnt(0)
	v_bfe_u32 v7, v5, 16, 1
	v_cmp_o_f32_e32 vcc, v5, v5
	v_add3_u32 v5, v5, v7, s0
	v_cndmask_b32_sdwa v5, v6, v5, vcc dst_sel:DWORD dst_unused:UNUSED_PAD src0_sel:DWORD src1_sel:WORD_1
.LBB76_1420:
	s_mov_b64 s[0:1], 0
.LBB76_1421:
	s_andn2_b64 vcc, exec, s[0:1]
	s_cbranch_vccnz .LBB76_1423
; %bb.1422:
	global_load_ushort v5, v[0:1], off
	s_movk_i32 s0, 0x7fff
	v_mov_b32_e32 v7, 0x7fc0
	s_waitcnt vmcnt(0)
	v_cvt_f32_f16_e32 v6, v5
	v_cmp_o_f16_e32 vcc, v5, v5
	v_bfe_u32 v5, v6, 16, 1
	v_add3_u32 v5, v6, v5, s0
	v_cndmask_b32_sdwa v5, v7, v5, vcc dst_sel:DWORD dst_unused:UNUSED_PAD src0_sel:DWORD src1_sel:WORD_1
.LBB76_1423:
	s_mov_b64 s[0:1], 0
.LBB76_1424:
	s_andn2_b64 vcc, exec, s[0:1]
	s_cbranch_vccnz .LBB76_1444
; %bb.1425:
	s_cmp_lt_i32 s22, 2
	s_cbranch_scc1 .LBB76_1429
; %bb.1426:
	s_cmp_lt_i32 s22, 3
	s_cbranch_scc1 .LBB76_1430
; %bb.1427:
	s_cmp_gt_i32 s22, 3
	s_cbranch_scc0 .LBB76_1431
; %bb.1428:
	global_load_dwordx2 v[5:6], v[0:1], off
	s_movk_i32 s0, 0x7fff
	s_waitcnt vmcnt(0)
	v_xor_b32_e32 v11, v5, v6
	v_ffbh_i32_e32 v7, v6
	v_ashrrev_i32_e32 v11, 31, v11
	v_add_u32_e32 v7, -1, v7
	v_add_u32_e32 v11, 32, v11
	v_min_u32_e32 v7, v7, v11
	v_lshlrev_b64 v[5:6], v7, v[5:6]
	v_min_u32_e32 v5, 1, v5
	v_or_b32_e32 v5, v6, v5
	v_cvt_f32_i32_e32 v5, v5
	v_sub_u32_e32 v6, 32, v7
	v_ldexp_f32 v5, v5, v6
	v_bfe_u32 v6, v5, 16, 1
	v_add3_u32 v5, v5, v6, s0
	v_lshrrev_b32_e32 v5, 16, v5
	s_mov_b64 s[0:1], 0
	s_branch .LBB76_1432
.LBB76_1429:
	s_mov_b64 s[0:1], -1
                                        ; implicit-def: $vgpr5
	s_branch .LBB76_1438
.LBB76_1430:
	s_mov_b64 s[0:1], -1
                                        ; implicit-def: $vgpr5
	s_branch .LBB76_1435
.LBB76_1431:
	s_mov_b64 s[0:1], -1
                                        ; implicit-def: $vgpr5
.LBB76_1432:
	s_andn2_b64 vcc, exec, s[0:1]
	s_cbranch_vccnz .LBB76_1434
; %bb.1433:
	global_load_dword v5, v[0:1], off
	s_movk_i32 s0, 0x7fff
	s_waitcnt vmcnt(0)
	v_cvt_f32_i32_e32 v5, v5
	v_bfe_u32 v6, v5, 16, 1
	v_add3_u32 v5, v5, v6, s0
	v_lshrrev_b32_e32 v5, 16, v5
.LBB76_1434:
	s_mov_b64 s[0:1], 0
.LBB76_1435:
	s_andn2_b64 vcc, exec, s[0:1]
	s_cbranch_vccnz .LBB76_1437
; %bb.1436:
	global_load_sshort v5, v[0:1], off
	s_movk_i32 s0, 0x7fff
	s_waitcnt vmcnt(0)
	v_cvt_f32_i32_e32 v5, v5
	v_bfe_u32 v6, v5, 16, 1
	v_add3_u32 v5, v5, v6, s0
	v_lshrrev_b32_e32 v5, 16, v5
.LBB76_1437:
	s_mov_b64 s[0:1], 0
.LBB76_1438:
	s_andn2_b64 vcc, exec, s[0:1]
	s_cbranch_vccnz .LBB76_1444
; %bb.1439:
	s_cmp_gt_i32 s22, 0
	s_cbranch_scc0 .LBB76_1441
; %bb.1440:
	global_load_sbyte v5, v[0:1], off
	s_movk_i32 s0, 0x7fff
	s_waitcnt vmcnt(0)
	v_cvt_f32_i32_e32 v5, v5
	v_bfe_u32 v6, v5, 16, 1
	v_add3_u32 v5, v5, v6, s0
	v_lshrrev_b32_e32 v5, 16, v5
	s_mov_b64 s[0:1], 0
	s_branch .LBB76_1442
.LBB76_1441:
	s_mov_b64 s[0:1], -1
                                        ; implicit-def: $vgpr5
.LBB76_1442:
	s_andn2_b64 vcc, exec, s[0:1]
	s_cbranch_vccnz .LBB76_1444
; %bb.1443:
	global_load_ubyte v0, v[0:1], off
	s_movk_i32 s0, 0x7fff
	s_waitcnt vmcnt(0)
	v_cvt_f32_ubyte0_e32 v0, v0
	v_bfe_u32 v1, v0, 16, 1
	v_add3_u32 v0, v0, v1, s0
	v_lshrrev_b32_e32 v5, 16, v0
.LBB76_1444:
.LBB76_1445:
	s_waitcnt vmcnt(0)
	v_lshlrev_b32_e32 v5, 16, v5
	v_cmp_gt_f32_e32 vcc, 0.5, v5
	v_mov_b32_e32 v7, 0
	v_mov_b32_e32 v6, 1.0
	s_and_saveexec_b64 s[16:17], vcc
	s_cbranch_execz .LBB76_1451
; %bb.1446:
	v_mul_f32_e32 v0, 0x40490fdb, v5
	s_brev_b32 s0, 18
	v_and_b32_e32 v1, 0x7fffffff, v0
	v_cmp_nlt_f32_e64 s[0:1], |v0|, s0
                                        ; implicit-def: $vgpr6
                                        ; implicit-def: $vgpr7
	s_and_saveexec_b64 s[2:3], s[0:1]
	s_xor_b64 s[20:21], exec, s[2:3]
	s_cbranch_execz .LBB76_1448
; %bb.1447:
	v_and_b32_e32 v6, 0x7fffff, v1
	v_or_b32_e32 v21, 0x800000, v6
	s_mov_b32 s0, 0xfe5163ab
	v_mad_u64_u32 v[6:7], s[0:1], v21, s0, 0
	v_mov_b32_e32 v12, 0
	s_mov_b32 s0, 0x3c439041
	v_mov_b32_e32 v11, v7
	v_mad_u64_u32 v[15:16], s[0:1], v21, s0, v[11:12]
	s_mov_b32 s0, 0xdb629599
	v_lshrrev_b32_e32 v7, 23, v1
	v_mov_b32_e32 v11, v16
	v_mad_u64_u32 v[16:17], s[0:1], v21, s0, v[11:12]
	s_mov_b32 s0, 0xf534ddc0
	v_add_u32_e32 v7, 0xffffff88, v7
	v_mov_b32_e32 v11, v17
	v_mad_u64_u32 v[17:18], s[0:1], v21, s0, v[11:12]
	s_mov_b32 s0, 0xfc2757d1
	v_not_b32_e32 v20, 63
	v_mov_b32_e32 v11, v18
	v_mad_u64_u32 v[18:19], s[0:1], v21, s0, v[11:12]
	v_cmp_lt_u32_e32 vcc, 63, v7
	v_cndmask_b32_e32 v11, 0, v20, vcc
	v_add_u32_e32 v7, v11, v7
	v_mov_b32_e32 v11, v19
	s_mov_b32 s0, 0x4e441529
	v_mad_u64_u32 v[19:20], s[0:1], v21, s0, v[11:12]
	v_not_b32_e32 v22, 31
	v_cmp_lt_u32_e64 s[0:1], 31, v7
	v_cndmask_b32_e64 v11, 0, v22, s[0:1]
	v_add_u32_e32 v7, v11, v7
	v_mov_b32_e32 v11, v20
	s_mov_b32 s2, 0xa2f9836e
	v_mad_u64_u32 v[11:12], s[2:3], v21, s2, v[11:12]
	v_cmp_lt_u32_e64 s[2:3], 31, v7
	v_cndmask_b32_e64 v20, 0, v22, s[2:3]
	v_add_u32_e32 v7, v20, v7
	v_cndmask_b32_e32 v20, v19, v17, vcc
	v_cndmask_b32_e32 v11, v11, v18, vcc
	;; [unrolled: 1-line block ×3, first 2 shown]
	v_cndmask_b32_e64 v21, v11, v20, s[0:1]
	v_cndmask_b32_e64 v11, v12, v11, s[0:1]
	v_cndmask_b32_e32 v12, v18, v16, vcc
	v_cndmask_b32_e64 v18, v20, v12, s[0:1]
	v_sub_u32_e32 v20, 32, v7
	v_cmp_eq_u32_e64 s[4:5], 0, v7
	v_cndmask_b32_e32 v7, v17, v15, vcc
	v_cndmask_b32_e64 v11, v11, v21, s[2:3]
	v_cndmask_b32_e64 v19, v21, v18, s[2:3]
	;; [unrolled: 1-line block ×3, first 2 shown]
	v_alignbit_b32 v21, v11, v19, v20
	v_cndmask_b32_e64 v15, v18, v12, s[2:3]
	v_cndmask_b32_e64 v11, v21, v11, s[4:5]
	v_alignbit_b32 v17, v19, v15, v20
	v_cndmask_b32_e32 v6, v16, v6, vcc
	v_cndmask_b32_e64 v17, v17, v19, s[4:5]
	v_bfe_u32 v21, v11, 29, 1
	v_cndmask_b32_e64 v6, v7, v6, s[0:1]
	v_alignbit_b32 v18, v11, v17, 30
	v_sub_u32_e32 v22, 0, v21
	v_cndmask_b32_e64 v6, v12, v6, s[2:3]
	v_xor_b32_e32 v18, v18, v22
	v_alignbit_b32 v7, v15, v6, v20
	v_cndmask_b32_e64 v7, v7, v15, s[4:5]
	v_ffbh_u32_e32 v15, v18
	v_alignbit_b32 v12, v17, v7, 30
	v_min_u32_e32 v15, 32, v15
	v_alignbit_b32 v6, v7, v6, 30
	v_xor_b32_e32 v12, v12, v22
	v_sub_u32_e32 v16, 31, v15
	v_xor_b32_e32 v6, v6, v22
	v_alignbit_b32 v17, v18, v12, v16
	v_alignbit_b32 v6, v12, v6, v16
	;; [unrolled: 1-line block ×3, first 2 shown]
	v_ffbh_u32_e32 v12, v7
	v_min_u32_e32 v12, 32, v12
	v_lshrrev_b32_e32 v19, 29, v11
	v_not_b32_e32 v16, v12
	v_alignbit_b32 v6, v7, v6, v16
	v_lshlrev_b32_e32 v7, 31, v19
	v_or_b32_e32 v16, 0x33000000, v7
	v_add_lshl_u32 v12, v12, v15, 23
	v_lshrrev_b32_e32 v6, 9, v6
	v_sub_u32_e32 v12, v16, v12
	v_or_b32_e32 v7, 0.5, v7
	v_lshlrev_b32_e32 v15, 23, v15
	v_or_b32_e32 v6, v12, v6
	v_lshrrev_b32_e32 v12, 9, v17
	v_sub_u32_e32 v7, v7, v15
	v_or_b32_e32 v7, v12, v7
	s_mov_b32 s0, 0x3fc90fda
	v_mul_f32_e32 v12, 0x3fc90fda, v7
	v_fma_f32 v15, v7, s0, -v12
	v_fmac_f32_e32 v15, 0x33a22168, v7
	v_fmac_f32_e32 v15, 0x3fc90fda, v6
	v_lshrrev_b32_e32 v6, 30, v11
	v_add_f32_e32 v7, v12, v15
	v_add_u32_e32 v6, v21, v6
.LBB76_1448:
	s_andn2_saveexec_b64 s[0:1], s[20:21]
	s_cbranch_execz .LBB76_1450
; %bb.1449:
	s_mov_b32 s2, 0x3f22f983
	v_mul_f32_e64 v6, |v0|, s2
	v_rndne_f32_e32 v11, v6
	s_mov_b32 s2, 0xbfc90fda
	v_cvt_i32_f32_e32 v6, v11
	v_fma_f32 v7, v11, s2, |v0|
	v_fmac_f32_e32 v7, 0xb3a22168, v11
	v_fmac_f32_e32 v7, 0xa7c234c4, v11
.LBB76_1450:
	s_or_b64 exec, exec, s[0:1]
	v_mul_f32_e32 v11, v7, v7
	v_mov_b32_e32 v12, 0x3c0881c4
	v_fmac_f32_e32 v12, 0xb94c1982, v11
	v_mov_b32_e32 v15, 0xbe2aaa9d
	v_fmac_f32_e32 v15, v11, v12
	v_mul_f32_e32 v12, v11, v15
	v_fmac_f32_e32 v7, v7, v12
	v_mov_b32_e32 v12, 0xbab64f3b
	v_fmac_f32_e32 v12, 0x37d75334, v11
	v_mov_b32_e32 v15, 0x3d2aabf7
	;; [unrolled: 2-line block ×3, first 2 shown]
	v_fmac_f32_e32 v12, v11, v15
	v_fma_f32 v11, v11, v12, 1.0
	v_and_b32_e32 v12, 1, v6
	v_lshlrev_b32_e32 v6, 30, v6
	v_cmp_eq_u32_e32 vcc, 0, v12
	v_and_b32_e32 v6, 0x80000000, v6
	v_xor_b32_e32 v1, v1, v0
	v_cndmask_b32_e32 v7, v11, v7, vcc
	v_xor_b32_e32 v1, v1, v6
	s_movk_i32 s0, 0x1f8
	v_xor_b32_e32 v1, v1, v7
	v_mov_b32_e32 v6, 0x7fc00000
	v_cmp_class_f32_e64 vcc, v0, s0
	v_cndmask_b32_e32 v0, v6, v1, vcc
	v_mul_f32_e32 v0, v0, v0
	s_mov_b32 s2, 0xc11de9e7
	v_div_scale_f32 v1, s[0:1], v0, v0, s2
	v_div_scale_f32 v6, vcc, s2, v0, s2
	v_sub_f32_e32 v5, 1.0, v5
	v_rcp_f32_e32 v7, v1
	v_fma_f32 v11, -v1, v7, 1.0
	v_fmac_f32_e32 v7, v11, v7
	v_mul_f32_e32 v11, v6, v7
	v_fma_f32 v12, -v1, v11, v6
	v_fmac_f32_e32 v11, v12, v7
	v_fma_f32 v1, -v1, v11, v6
	v_div_fmas_f32 v1, v1, v7, v11
	v_mov_b32_e32 v6, -1.0
	v_div_fixup_f32 v0, v1, v0, s2
	v_add_f32_e32 v7, 0, v0
.LBB76_1451:
	s_or_b64 exec, exec, s[16:17]
	v_add_u32_e32 v0, s13, v9
	v_ashrrev_i32_e32 v1, 31, v0
	v_mov_b32_e32 v9, s11
	v_add_co_u32_e32 v0, vcc, s10, v0
	s_cmp_lt_i32 s22, 11
	v_addc_co_u32_e32 v1, vcc, v9, v1, vcc
	s_cbranch_scc1 .LBB76_1458
; %bb.1452:
	s_cmp_gt_i32 s22, 25
	s_mov_b64 s[2:3], 0
	s_cbranch_scc0 .LBB76_1459
; %bb.1453:
	s_cmp_gt_i32 s22, 28
	s_cbranch_scc0 .LBB76_1460
; %bb.1454:
	s_cmp_gt_i32 s22, 43
	;; [unrolled: 3-line block ×3, first 2 shown]
	s_cbranch_scc0 .LBB76_1463
; %bb.1456:
	s_cmp_eq_u32 s22, 46
	s_mov_b64 s[10:11], 0
	s_cbranch_scc0 .LBB76_1464
; %bb.1457:
	global_load_dword v9, v[0:1], off
	s_mov_b64 s[0:1], 0
	s_mov_b64 s[4:5], -1
	s_branch .LBB76_1465
.LBB76_1458:
	s_mov_b64 s[0:1], -1
	s_mov_b64 s[4:5], 0
                                        ; implicit-def: $vgpr9
	s_branch .LBB76_1531
.LBB76_1459:
	s_mov_b64 s[10:11], -1
	s_mov_b64 s[4:5], 0
	s_mov_b64 s[0:1], 0
                                        ; implicit-def: $vgpr9
	s_branch .LBB76_1494
.LBB76_1460:
	s_mov_b64 s[10:11], -1
	s_mov_b64 s[4:5], 0
	s_mov_b64 s[0:1], 0
                                        ; implicit-def: $vgpr9
	s_branch .LBB76_1475
.LBB76_1461:
	s_mov_b64 s[10:11], -1
	s_mov_b64 s[4:5], 0
	s_mov_b64 s[0:1], 0
                                        ; implicit-def: $vgpr9
	s_branch .LBB76_1470
.LBB76_1462:
	s_trap 2
	s_or_b64 s[18:19], s[18:19], exec
	s_cbranch_execz .LBB76_1395
	s_branch .LBB76_1396
.LBB76_1463:
	s_mov_b64 s[10:11], -1
	s_mov_b64 s[4:5], 0
	s_mov_b64 s[0:1], 0
                                        ; implicit-def: $vgpr9
	s_branch .LBB76_1465
.LBB76_1464:
	s_mov_b64 s[0:1], -1
                                        ; implicit-def: $vgpr9
	s_mov_b64 s[4:5], 0
.LBB76_1465:
	s_and_b64 vcc, exec, s[10:11]
	s_cbranch_vccz .LBB76_1469
; %bb.1466:
	s_cmp_eq_u32 s22, 44
	s_cbranch_scc0 .LBB76_1468
; %bb.1467:
	global_load_ubyte v9, v[0:1], off
	s_movk_i32 s4, 0xff
	v_mov_b32_e32 v11, 0x7f800001
	v_mov_b32_e32 v12, 0x400000
	;; [unrolled: 1-line block ×3, first 2 shown]
	s_mov_b64 s[0:1], 0
	s_waitcnt vmcnt(0)
	v_lshlrev_b32_e32 v16, 23, v9
	v_cmp_ne_u32_e32 vcc, s4, v9
	v_cndmask_b32_e32 v11, v11, v16, vcc
	v_cmp_ne_u32_e32 vcc, 0, v9
	v_cndmask_b32_e32 v9, v12, v11, vcc
	v_add_u32_e32 v11, 0x7fff, v9
	v_cmp_o_f32_e32 vcc, v9, v9
	v_cndmask_b32_sdwa v9, v15, v11, vcc dst_sel:DWORD dst_unused:UNUSED_PAD src0_sel:DWORD src1_sel:WORD_1
	s_mov_b64 s[4:5], -1
	s_branch .LBB76_1469
.LBB76_1468:
	s_mov_b64 s[0:1], -1
                                        ; implicit-def: $vgpr9
.LBB76_1469:
	s_mov_b64 s[10:11], 0
.LBB76_1470:
	s_and_b64 vcc, exec, s[10:11]
	s_cbranch_vccz .LBB76_1474
; %bb.1471:
	s_cmp_eq_u32 s22, 29
	s_cbranch_scc0 .LBB76_1473
; %bb.1472:
	global_load_dwordx2 v[11:12], v[0:1], off
	s_movk_i32 s4, 0x7fff
	s_mov_b64 s[0:1], 0
	s_mov_b64 s[10:11], 0
	s_waitcnt vmcnt(0)
	v_ffbh_u32_e32 v9, v12
	v_min_u32_e32 v9, 32, v9
	v_lshlrev_b64 v[11:12], v9, v[11:12]
	v_sub_u32_e32 v9, 32, v9
	v_min_u32_e32 v11, 1, v11
	v_or_b32_e32 v11, v12, v11
	v_cvt_f32_u32_e32 v11, v11
	v_ldexp_f32 v9, v11, v9
	v_bfe_u32 v11, v9, 16, 1
	v_add3_u32 v9, v9, v11, s4
	v_lshrrev_b32_e32 v9, 16, v9
	s_mov_b64 s[4:5], -1
	s_branch .LBB76_1475
.LBB76_1473:
	s_mov_b64 s[0:1], -1
                                        ; implicit-def: $vgpr9
.LBB76_1474:
	s_mov_b64 s[10:11], 0
.LBB76_1475:
	s_and_b64 vcc, exec, s[10:11]
	s_cbranch_vccz .LBB76_1493
; %bb.1476:
	s_cmp_lt_i32 s22, 27
	s_cbranch_scc1 .LBB76_1479
; %bb.1477:
	s_cmp_gt_i32 s22, 27
	s_cbranch_scc0 .LBB76_1480
; %bb.1478:
	global_load_dword v9, v[0:1], off
	s_movk_i32 s4, 0x7fff
	s_waitcnt vmcnt(0)
	v_cvt_f32_u32_e32 v9, v9
	v_bfe_u32 v11, v9, 16, 1
	v_add3_u32 v9, v9, v11, s4
	v_lshrrev_b32_e32 v9, 16, v9
	s_mov_b64 s[4:5], 0
	s_branch .LBB76_1481
.LBB76_1479:
	s_mov_b64 s[4:5], -1
                                        ; implicit-def: $vgpr9
	s_branch .LBB76_1484
.LBB76_1480:
	s_mov_b64 s[4:5], -1
                                        ; implicit-def: $vgpr9
.LBB76_1481:
	s_andn2_b64 vcc, exec, s[4:5]
	s_cbranch_vccnz .LBB76_1483
; %bb.1482:
	global_load_ushort v9, v[0:1], off
	s_movk_i32 s4, 0x7fff
	s_waitcnt vmcnt(0)
	v_cvt_f32_u32_e32 v9, v9
	v_bfe_u32 v11, v9, 16, 1
	v_add3_u32 v9, v9, v11, s4
	v_lshrrev_b32_e32 v9, 16, v9
.LBB76_1483:
	s_mov_b64 s[4:5], 0
.LBB76_1484:
	s_andn2_b64 vcc, exec, s[4:5]
	s_cbranch_vccnz .LBB76_1492
; %bb.1485:
	global_load_ubyte v9, v[0:1], off
	s_movk_i32 s4, 0x7f
	s_waitcnt vmcnt(0)
	v_cmp_lt_i16_e32 vcc, s4, v9
	s_mov_b64 s[4:5], 0
	s_and_saveexec_b64 s[10:11], vcc
	s_xor_b64 s[10:11], exec, s[10:11]
	s_cbranch_execz .LBB76_1506
; %bb.1486:
	s_movk_i32 s4, 0x80
	v_cmp_eq_u16_e32 vcc, s4, v9
	s_mov_b64 s[4:5], -1
	s_and_saveexec_b64 s[16:17], vcc
; %bb.1487:
	s_xor_b64 s[4:5], exec, -1
; %bb.1488:
	s_or_b64 exec, exec, s[16:17]
	s_and_b64 s[4:5], s[4:5], exec
	s_or_saveexec_b64 s[10:11], s[10:11]
	v_mov_b32_e32 v11, 0x7f800001
	s_xor_b64 exec, exec, s[10:11]
	s_cbranch_execnz .LBB76_1507
.LBB76_1489:
	s_or_b64 exec, exec, s[10:11]
	s_and_saveexec_b64 s[10:11], s[4:5]
	s_cbranch_execz .LBB76_1491
.LBB76_1490:
	v_lshlrev_b32_e32 v11, 24, v9
	v_and_b32_e32 v9, 0xffff, v9
	v_and_b32_e32 v12, 7, v9
	v_ffbh_u32_e32 v16, v12
	v_min_u32_e32 v16, 32, v16
	v_subrev_u32_e32 v17, 28, v16
	v_bfe_u32 v15, v9, 3, 4
	v_lshlrev_b32_e32 v9, v17, v9
	v_sub_u32_e32 v16, 29, v16
	v_and_b32_e32 v9, 7, v9
	v_cmp_eq_u32_e32 vcc, 0, v15
	v_cndmask_b32_e32 v15, v15, v16, vcc
	v_cndmask_b32_e32 v9, v12, v9, vcc
	v_mov_b32_e32 v12, 0x3b800000
	v_lshlrev_b32_e32 v9, 20, v9
	v_and_b32_e32 v11, 0x80000000, v11
	v_lshl_add_u32 v12, v15, 23, v12
	v_or3_b32 v11, v11, v12, v9
.LBB76_1491:
	s_or_b64 exec, exec, s[10:11]
	v_bfe_u32 v9, v11, 16, 1
	s_movk_i32 s4, 0x7fff
	v_add3_u32 v9, v11, v9, s4
	v_cmp_o_f32_e32 vcc, v11, v11
	v_mov_b32_e32 v11, 0x7fc0
	v_cndmask_b32_sdwa v9, v11, v9, vcc dst_sel:DWORD dst_unused:UNUSED_PAD src0_sel:DWORD src1_sel:WORD_1
.LBB76_1492:
	s_mov_b64 s[4:5], -1
.LBB76_1493:
	s_mov_b64 s[10:11], 0
.LBB76_1494:
	s_and_b64 vcc, exec, s[10:11]
	s_cbranch_vccz .LBB76_1527
; %bb.1495:
	s_cmp_gt_i32 s22, 22
	s_cbranch_scc0 .LBB76_1505
; %bb.1496:
	s_cmp_lt_i32 s22, 24
	s_cbranch_scc1 .LBB76_1508
; %bb.1497:
	s_cmp_gt_i32 s22, 24
	s_cbranch_scc0 .LBB76_1509
; %bb.1498:
	global_load_ubyte v9, v[0:1], off
	s_movk_i32 s2, 0x7f
	s_waitcnt vmcnt(0)
	v_cmp_lt_i16_e32 vcc, s2, v9
	s_mov_b64 s[2:3], 0
	s_and_saveexec_b64 s[4:5], vcc
	s_xor_b64 s[4:5], exec, s[4:5]
	s_cbranch_execz .LBB76_1521
; %bb.1499:
	s_movk_i32 s2, 0x80
	v_cmp_eq_u16_e32 vcc, s2, v9
	s_mov_b64 s[2:3], -1
	s_and_saveexec_b64 s[10:11], vcc
; %bb.1500:
	s_xor_b64 s[2:3], exec, -1
; %bb.1501:
	s_or_b64 exec, exec, s[10:11]
	s_and_b64 s[2:3], s[2:3], exec
	s_or_saveexec_b64 s[4:5], s[4:5]
	v_mov_b32_e32 v11, 0x7f800001
	s_xor_b64 exec, exec, s[4:5]
	s_cbranch_execnz .LBB76_1522
.LBB76_1502:
	s_or_b64 exec, exec, s[4:5]
	s_and_saveexec_b64 s[4:5], s[2:3]
	s_cbranch_execz .LBB76_1504
.LBB76_1503:
	v_lshlrev_b32_e32 v11, 24, v9
	v_and_b32_e32 v9, 0xffff, v9
	v_and_b32_e32 v12, 3, v9
	v_ffbh_u32_e32 v16, v12
	v_min_u32_e32 v16, 32, v16
	v_subrev_u32_e32 v17, 29, v16
	v_bfe_u32 v15, v9, 2, 5
	v_lshlrev_b32_e32 v9, v17, v9
	v_sub_u32_e32 v16, 30, v16
	v_and_b32_e32 v9, 3, v9
	v_cmp_eq_u32_e32 vcc, 0, v15
	v_cndmask_b32_e32 v15, v15, v16, vcc
	v_cndmask_b32_e32 v9, v12, v9, vcc
	v_mov_b32_e32 v12, 0x37800000
	v_lshlrev_b32_e32 v9, 21, v9
	v_and_b32_e32 v11, 0x80000000, v11
	v_lshl_add_u32 v12, v15, 23, v12
	v_or3_b32 v11, v11, v12, v9
.LBB76_1504:
	s_or_b64 exec, exec, s[4:5]
	v_bfe_u32 v9, v11, 16, 1
	s_movk_i32 s2, 0x7fff
	v_add3_u32 v9, v11, v9, s2
	v_cmp_o_f32_e32 vcc, v11, v11
	v_mov_b32_e32 v11, 0x7fc0
	v_cndmask_b32_sdwa v9, v11, v9, vcc dst_sel:DWORD dst_unused:UNUSED_PAD src0_sel:DWORD src1_sel:WORD_1
	s_mov_b64 s[2:3], 0
	s_branch .LBB76_1510
.LBB76_1505:
	s_mov_b64 s[2:3], -1
                                        ; implicit-def: $vgpr9
	s_branch .LBB76_1516
.LBB76_1506:
	s_or_saveexec_b64 s[10:11], s[10:11]
	v_mov_b32_e32 v11, 0x7f800001
	s_xor_b64 exec, exec, s[10:11]
	s_cbranch_execz .LBB76_1489
.LBB76_1507:
	v_cmp_ne_u16_e32 vcc, 0, v9
	s_andn2_b64 s[4:5], s[4:5], exec
	s_and_b64 s[16:17], vcc, exec
	v_mov_b32_e32 v11, 0
	s_or_b64 s[4:5], s[4:5], s[16:17]
	s_or_b64 exec, exec, s[10:11]
	s_and_saveexec_b64 s[10:11], s[4:5]
	s_cbranch_execnz .LBB76_1490
	s_branch .LBB76_1491
.LBB76_1508:
	s_mov_b64 s[2:3], -1
                                        ; implicit-def: $vgpr9
	s_branch .LBB76_1513
.LBB76_1509:
	s_mov_b64 s[2:3], -1
                                        ; implicit-def: $vgpr9
.LBB76_1510:
	s_and_b64 vcc, exec, s[2:3]
	s_cbranch_vccz .LBB76_1512
; %bb.1511:
	global_load_ubyte v9, v[0:1], off
	s_mov_b32 s2, 0x7f800000
	s_brev_b32 s3, 1
	s_movk_i32 s4, 0x7fff
	s_waitcnt vmcnt(0)
	v_lshlrev_b32_e32 v9, 24, v9
	v_and_b32_e32 v11, 0x7f000000, v9
	v_ffbh_u32_e32 v12, v11
	v_min_u32_e32 v12, 32, v12
	v_sub_u32_e64 v12, v12, 4 clamp
	v_lshlrev_b32_e32 v16, v12, v11
	v_lshlrev_b32_e32 v12, 23, v12
	v_lshrrev_b32_e32 v16, 4, v16
	v_add_u32_e32 v15, 0x1000000, v11
	v_sub_u32_e32 v12, v16, v12
	v_ashrrev_i32_e32 v15, 8, v15
	v_add_u32_e32 v12, 0x3c000000, v12
	v_and_or_b32 v12, v15, s2, v12
	v_cmp_ne_u32_e32 vcc, 0, v11
	v_cndmask_b32_e32 v11, 0, v12, vcc
	v_and_or_b32 v9, v9, s3, v11
	v_bfe_u32 v11, v11, 16, 1
	v_add3_u32 v11, v9, v11, s4
	v_cmp_o_f32_e32 vcc, v9, v9
	v_mov_b32_e32 v9, 0x7fc0
	v_cndmask_b32_sdwa v9, v9, v11, vcc dst_sel:DWORD dst_unused:UNUSED_PAD src0_sel:DWORD src1_sel:WORD_1
.LBB76_1512:
	s_mov_b64 s[2:3], 0
.LBB76_1513:
	s_andn2_b64 vcc, exec, s[2:3]
	s_cbranch_vccnz .LBB76_1515
; %bb.1514:
	global_load_ubyte v9, v[0:1], off
	s_movk_i32 s2, 0x7f00
	s_brev_b32 s3, 16
	s_brev_b32 s4, 1
	s_movk_i32 s5, 0x7fff
	s_waitcnt vmcnt(0)
	v_lshlrev_b16_e32 v11, 8, v9
	v_lshlrev_b32_e32 v9, 25, v9
	v_lshrrev_b32_e32 v12, 4, v9
	v_and_or_b32 v15, v11, s2, 0.5
	v_or_b32_e32 v12, 0x70000000, v12
	v_add_f32_e32 v15, -0.5, v15
	v_mul_f32_e32 v12, 0x7800000, v12
	v_cmp_gt_u32_e32 vcc, s3, v9
	v_bfe_i32 v11, v11, 0, 16
	v_cndmask_b32_e32 v9, v12, v15, vcc
	v_and_or_b32 v11, v11, s4, v9
	v_bfe_u32 v9, v9, 16, 1
	v_add3_u32 v9, v11, v9, s5
	v_cmp_o_f32_e32 vcc, v11, v11
	v_mov_b32_e32 v11, 0x7fc0
	v_cndmask_b32_sdwa v9, v11, v9, vcc dst_sel:DWORD dst_unused:UNUSED_PAD src0_sel:DWORD src1_sel:WORD_1
.LBB76_1515:
	s_mov_b64 s[2:3], 0
	s_mov_b64 s[4:5], -1
.LBB76_1516:
	s_andn2_b64 vcc, exec, s[2:3]
	s_mov_b64 s[2:3], 0
	s_cbranch_vccnz .LBB76_1527
; %bb.1517:
	s_cmp_gt_i32 s22, 14
	s_cbranch_scc0 .LBB76_1520
; %bb.1518:
	s_cmp_eq_u32 s22, 15
	s_cbranch_scc0 .LBB76_1523
; %bb.1519:
	global_load_ushort v9, v[0:1], off
	s_mov_b64 s[0:1], 0
	s_mov_b64 s[4:5], -1
	s_branch .LBB76_1524
.LBB76_1520:
	s_mov_b64 s[10:11], -1
                                        ; implicit-def: $vgpr9
	s_branch .LBB76_1525
.LBB76_1521:
	s_or_saveexec_b64 s[4:5], s[4:5]
	v_mov_b32_e32 v11, 0x7f800001
	s_xor_b64 exec, exec, s[4:5]
	s_cbranch_execz .LBB76_1502
.LBB76_1522:
	v_cmp_ne_u16_e32 vcc, 0, v9
	s_andn2_b64 s[2:3], s[2:3], exec
	s_and_b64 s[10:11], vcc, exec
	v_mov_b32_e32 v11, 0
	s_or_b64 s[2:3], s[2:3], s[10:11]
	s_or_b64 exec, exec, s[4:5]
	s_and_saveexec_b64 s[4:5], s[2:3]
	s_cbranch_execnz .LBB76_1503
	s_branch .LBB76_1504
.LBB76_1523:
	s_mov_b64 s[0:1], -1
                                        ; implicit-def: $vgpr9
.LBB76_1524:
	s_mov_b64 s[10:11], 0
.LBB76_1525:
	s_and_b64 vcc, exec, s[10:11]
	s_cbranch_vccz .LBB76_1527
; %bb.1526:
	s_cmp_lg_u32 s22, 11
	s_mov_b64 s[2:3], -1
	s_cselect_b64 s[0:1], -1, 0
.LBB76_1527:
	s_and_b64 vcc, exec, s[0:1]
	s_cbranch_vccnz .LBB76_2066
; %bb.1528:
	s_andn2_b64 vcc, exec, s[2:3]
	s_cbranch_vccnz .LBB76_1530
.LBB76_1529:
	global_load_ubyte v9, v[0:1], off
	s_mov_b64 s[4:5], -1
	s_waitcnt vmcnt(0)
	v_cmp_ne_u16_e32 vcc, 0, v9
	v_cndmask_b32_e64 v9, 0, 1.0, vcc
	v_lshrrev_b32_e32 v9, 16, v9
.LBB76_1530:
	s_mov_b64 s[0:1], 0
.LBB76_1531:
	s_and_b64 vcc, exec, s[0:1]
	s_cbranch_vccz .LBB76_1580
; %bb.1532:
	s_cmp_lt_i32 s22, 5
	s_cbranch_scc1 .LBB76_1537
; %bb.1533:
	s_cmp_lt_i32 s22, 8
	s_cbranch_scc1 .LBB76_1538
	;; [unrolled: 3-line block ×3, first 2 shown]
; %bb.1535:
	s_cmp_gt_i32 s22, 9
	s_cbranch_scc0 .LBB76_1540
; %bb.1536:
	global_load_dwordx2 v[11:12], v[0:1], off
	s_movk_i32 s0, 0x7fff
	s_waitcnt vmcnt(0)
	v_cvt_f32_f64_e32 v9, v[11:12]
	v_mov_b32_e32 v11, 0x7fc0
	v_bfe_u32 v12, v9, 16, 1
	v_cmp_o_f32_e32 vcc, v9, v9
	v_add3_u32 v9, v9, v12, s0
	v_cndmask_b32_sdwa v9, v11, v9, vcc dst_sel:DWORD dst_unused:UNUSED_PAD src0_sel:DWORD src1_sel:WORD_1
	s_mov_b64 s[0:1], 0
	s_branch .LBB76_1541
.LBB76_1537:
	s_mov_b64 s[0:1], -1
                                        ; implicit-def: $vgpr9
	s_branch .LBB76_1559
.LBB76_1538:
	s_mov_b64 s[0:1], -1
                                        ; implicit-def: $vgpr9
	s_branch .LBB76_1547
.LBB76_1539:
	s_mov_b64 s[0:1], -1
                                        ; implicit-def: $vgpr9
	s_branch .LBB76_1544
.LBB76_1540:
	s_mov_b64 s[0:1], -1
                                        ; implicit-def: $vgpr9
.LBB76_1541:
	s_andn2_b64 vcc, exec, s[0:1]
	s_cbranch_vccnz .LBB76_1543
; %bb.1542:
	global_load_dword v9, v[0:1], off
	s_movk_i32 s0, 0x7fff
	v_mov_b32_e32 v11, 0x7fc0
	s_waitcnt vmcnt(0)
	v_bfe_u32 v12, v9, 16, 1
	v_cmp_o_f32_e32 vcc, v9, v9
	v_add3_u32 v9, v9, v12, s0
	v_cndmask_b32_sdwa v9, v11, v9, vcc dst_sel:DWORD dst_unused:UNUSED_PAD src0_sel:DWORD src1_sel:WORD_1
.LBB76_1543:
	s_mov_b64 s[0:1], 0
.LBB76_1544:
	s_andn2_b64 vcc, exec, s[0:1]
	s_cbranch_vccnz .LBB76_1546
; %bb.1545:
	global_load_dword v9, v[0:1], off
	s_movk_i32 s0, 0x7fff
	v_mov_b32_e32 v12, 0x7fc0
	s_waitcnt vmcnt(0)
	v_cvt_f32_f16_e32 v11, v9
	v_cmp_o_f16_e32 vcc, v9, v9
	v_bfe_u32 v9, v11, 16, 1
	v_add3_u32 v9, v11, v9, s0
	v_cndmask_b32_sdwa v9, v12, v9, vcc dst_sel:DWORD dst_unused:UNUSED_PAD src0_sel:DWORD src1_sel:WORD_1
.LBB76_1546:
	s_mov_b64 s[0:1], 0
.LBB76_1547:
	s_andn2_b64 vcc, exec, s[0:1]
	s_cbranch_vccnz .LBB76_1558
; %bb.1548:
	s_cmp_lt_i32 s22, 6
	s_cbranch_scc1 .LBB76_1551
; %bb.1549:
	s_cmp_gt_i32 s22, 6
	s_cbranch_scc0 .LBB76_1552
; %bb.1550:
	global_load_dwordx2 v[11:12], v[0:1], off
	s_movk_i32 s0, 0x7fff
	s_waitcnt vmcnt(0)
	v_cvt_f32_f64_e32 v9, v[11:12]
	v_mov_b32_e32 v11, 0x7fc0
	v_bfe_u32 v12, v9, 16, 1
	v_cmp_o_f32_e32 vcc, v9, v9
	v_add3_u32 v9, v9, v12, s0
	v_cndmask_b32_sdwa v9, v11, v9, vcc dst_sel:DWORD dst_unused:UNUSED_PAD src0_sel:DWORD src1_sel:WORD_1
	s_mov_b64 s[0:1], 0
	s_branch .LBB76_1553
.LBB76_1551:
	s_mov_b64 s[0:1], -1
                                        ; implicit-def: $vgpr9
	s_branch .LBB76_1556
.LBB76_1552:
	s_mov_b64 s[0:1], -1
                                        ; implicit-def: $vgpr9
.LBB76_1553:
	s_andn2_b64 vcc, exec, s[0:1]
	s_cbranch_vccnz .LBB76_1555
; %bb.1554:
	global_load_dword v9, v[0:1], off
	s_movk_i32 s0, 0x7fff
	v_mov_b32_e32 v11, 0x7fc0
	s_waitcnt vmcnt(0)
	v_bfe_u32 v12, v9, 16, 1
	v_cmp_o_f32_e32 vcc, v9, v9
	v_add3_u32 v9, v9, v12, s0
	v_cndmask_b32_sdwa v9, v11, v9, vcc dst_sel:DWORD dst_unused:UNUSED_PAD src0_sel:DWORD src1_sel:WORD_1
.LBB76_1555:
	s_mov_b64 s[0:1], 0
.LBB76_1556:
	s_andn2_b64 vcc, exec, s[0:1]
	s_cbranch_vccnz .LBB76_1558
; %bb.1557:
	global_load_ushort v9, v[0:1], off
	s_movk_i32 s0, 0x7fff
	v_mov_b32_e32 v12, 0x7fc0
	s_waitcnt vmcnt(0)
	v_cvt_f32_f16_e32 v11, v9
	v_cmp_o_f16_e32 vcc, v9, v9
	v_bfe_u32 v9, v11, 16, 1
	v_add3_u32 v9, v11, v9, s0
	v_cndmask_b32_sdwa v9, v12, v9, vcc dst_sel:DWORD dst_unused:UNUSED_PAD src0_sel:DWORD src1_sel:WORD_1
.LBB76_1558:
	s_mov_b64 s[0:1], 0
.LBB76_1559:
	s_andn2_b64 vcc, exec, s[0:1]
	s_cbranch_vccnz .LBB76_1579
; %bb.1560:
	s_cmp_lt_i32 s22, 2
	s_cbranch_scc1 .LBB76_1564
; %bb.1561:
	s_cmp_lt_i32 s22, 3
	s_cbranch_scc1 .LBB76_1565
; %bb.1562:
	s_cmp_gt_i32 s22, 3
	s_cbranch_scc0 .LBB76_1566
; %bb.1563:
	global_load_dwordx2 v[11:12], v[0:1], off
	s_movk_i32 s0, 0x7fff
	s_waitcnt vmcnt(0)
	v_xor_b32_e32 v15, v11, v12
	v_ffbh_i32_e32 v9, v12
	v_ashrrev_i32_e32 v15, 31, v15
	v_add_u32_e32 v9, -1, v9
	v_add_u32_e32 v15, 32, v15
	v_min_u32_e32 v9, v9, v15
	v_lshlrev_b64 v[11:12], v9, v[11:12]
	v_sub_u32_e32 v9, 32, v9
	v_min_u32_e32 v11, 1, v11
	v_or_b32_e32 v11, v12, v11
	v_cvt_f32_i32_e32 v11, v11
	v_ldexp_f32 v9, v11, v9
	v_bfe_u32 v11, v9, 16, 1
	v_add3_u32 v9, v9, v11, s0
	v_lshrrev_b32_e32 v9, 16, v9
	s_mov_b64 s[0:1], 0
	s_branch .LBB76_1567
.LBB76_1564:
	s_mov_b64 s[0:1], -1
                                        ; implicit-def: $vgpr9
	s_branch .LBB76_1573
.LBB76_1565:
	s_mov_b64 s[0:1], -1
                                        ; implicit-def: $vgpr9
	s_branch .LBB76_1570
.LBB76_1566:
	s_mov_b64 s[0:1], -1
                                        ; implicit-def: $vgpr9
.LBB76_1567:
	s_andn2_b64 vcc, exec, s[0:1]
	s_cbranch_vccnz .LBB76_1569
; %bb.1568:
	global_load_dword v9, v[0:1], off
	s_movk_i32 s0, 0x7fff
	s_waitcnt vmcnt(0)
	v_cvt_f32_i32_e32 v9, v9
	v_bfe_u32 v11, v9, 16, 1
	v_add3_u32 v9, v9, v11, s0
	v_lshrrev_b32_e32 v9, 16, v9
.LBB76_1569:
	s_mov_b64 s[0:1], 0
.LBB76_1570:
	s_andn2_b64 vcc, exec, s[0:1]
	s_cbranch_vccnz .LBB76_1572
; %bb.1571:
	global_load_sshort v9, v[0:1], off
	s_movk_i32 s0, 0x7fff
	s_waitcnt vmcnt(0)
	v_cvt_f32_i32_e32 v9, v9
	v_bfe_u32 v11, v9, 16, 1
	v_add3_u32 v9, v9, v11, s0
	v_lshrrev_b32_e32 v9, 16, v9
.LBB76_1572:
	s_mov_b64 s[0:1], 0
.LBB76_1573:
	s_andn2_b64 vcc, exec, s[0:1]
	s_cbranch_vccnz .LBB76_1579
; %bb.1574:
	s_cmp_gt_i32 s22, 0
	s_cbranch_scc0 .LBB76_1576
; %bb.1575:
	global_load_sbyte v9, v[0:1], off
	s_movk_i32 s0, 0x7fff
	s_waitcnt vmcnt(0)
	v_cvt_f32_i32_e32 v9, v9
	v_bfe_u32 v11, v9, 16, 1
	v_add3_u32 v9, v9, v11, s0
	v_lshrrev_b32_e32 v9, 16, v9
	s_mov_b64 s[0:1], 0
	s_branch .LBB76_1577
.LBB76_1576:
	s_mov_b64 s[0:1], -1
                                        ; implicit-def: $vgpr9
.LBB76_1577:
	s_andn2_b64 vcc, exec, s[0:1]
	s_cbranch_vccnz .LBB76_1579
; %bb.1578:
	global_load_ubyte v0, v[0:1], off
	s_movk_i32 s0, 0x7fff
	s_waitcnt vmcnt(0)
	v_cvt_f32_ubyte0_e32 v0, v0
	v_bfe_u32 v1, v0, 16, 1
	v_add3_u32 v0, v0, v1, s0
	v_lshrrev_b32_e32 v9, 16, v0
.LBB76_1579:
	s_mov_b64 s[4:5], -1
.LBB76_1580:
	s_andn2_b64 vcc, exec, s[4:5]
	s_cbranch_vccnz .LBB76_2020
; %bb.1581:
	s_waitcnt vmcnt(0)
	v_lshlrev_b32_e32 v9, 16, v9
	v_cmp_gt_f32_e32 vcc, 0.5, v9
	v_mov_b32_e32 v12, 0
	v_mov_b32_e32 v11, 1.0
	s_and_saveexec_b64 s[10:11], vcc
	s_cbranch_execz .LBB76_1587
; %bb.1582:
	v_mul_f32_e32 v0, 0x40490fdb, v9
	s_brev_b32 s0, 18
	v_and_b32_e32 v1, 0x7fffffff, v0
	v_cmp_nlt_f32_e64 s[0:1], |v0|, s0
                                        ; implicit-def: $vgpr11
                                        ; implicit-def: $vgpr12
	s_and_saveexec_b64 s[2:3], s[0:1]
	s_xor_b64 s[16:17], exec, s[2:3]
	s_cbranch_execz .LBB76_1584
; %bb.1583:
	v_and_b32_e32 v11, 0x7fffff, v1
	v_or_b32_e32 v23, 0x800000, v11
	s_mov_b32 s0, 0xfe5163ab
	v_mad_u64_u32 v[11:12], s[0:1], v23, s0, 0
	v_mov_b32_e32 v16, 0
	s_mov_b32 s0, 0x3c439041
	v_mov_b32_e32 v15, v12
	v_mad_u64_u32 v[17:18], s[0:1], v23, s0, v[15:16]
	s_mov_b32 s0, 0xdb629599
	v_lshrrev_b32_e32 v12, 23, v1
	v_mov_b32_e32 v15, v18
	v_mad_u64_u32 v[18:19], s[0:1], v23, s0, v[15:16]
	s_mov_b32 s0, 0xf534ddc0
	v_add_u32_e32 v12, 0xffffff88, v12
	v_mov_b32_e32 v15, v19
	v_mad_u64_u32 v[19:20], s[0:1], v23, s0, v[15:16]
	s_mov_b32 s0, 0xfc2757d1
	v_not_b32_e32 v22, 63
	v_mov_b32_e32 v15, v20
	v_mad_u64_u32 v[20:21], s[0:1], v23, s0, v[15:16]
	v_cmp_lt_u32_e32 vcc, 63, v12
	v_cndmask_b32_e32 v15, 0, v22, vcc
	v_add_u32_e32 v12, v15, v12
	v_mov_b32_e32 v15, v21
	s_mov_b32 s0, 0x4e441529
	v_mad_u64_u32 v[21:22], s[0:1], v23, s0, v[15:16]
	v_not_b32_e32 v24, 31
	v_cmp_lt_u32_e64 s[0:1], 31, v12
	v_cndmask_b32_e64 v15, 0, v24, s[0:1]
	v_add_u32_e32 v12, v15, v12
	v_mov_b32_e32 v15, v22
	s_mov_b32 s2, 0xa2f9836e
	v_mad_u64_u32 v[15:16], s[2:3], v23, s2, v[15:16]
	v_cmp_lt_u32_e64 s[2:3], 31, v12
	v_cndmask_b32_e32 v17, v19, v17, vcc
	v_cndmask_b32_e32 v19, v21, v19, vcc
	;; [unrolled: 1-line block ×4, first 2 shown]
	v_cndmask_b32_e64 v22, 0, v24, s[2:3]
	v_cndmask_b32_e64 v21, v15, v19, s[0:1]
	;; [unrolled: 1-line block ×3, first 2 shown]
	v_cndmask_b32_e32 v16, v20, v18, vcc
	v_add_u32_e32 v12, v22, v12
	v_cndmask_b32_e64 v19, v19, v16, s[0:1]
	v_cndmask_b32_e64 v15, v15, v21, s[2:3]
	v_cndmask_b32_e64 v20, v21, v19, s[2:3]
	v_sub_u32_e32 v21, 32, v12
	v_cmp_eq_u32_e64 s[4:5], 0, v12
	v_cndmask_b32_e64 v12, v16, v17, s[0:1]
	v_alignbit_b32 v22, v15, v20, v21
	v_cndmask_b32_e64 v16, v19, v12, s[2:3]
	v_cndmask_b32_e64 v15, v22, v15, s[4:5]
	v_alignbit_b32 v19, v20, v16, v21
	v_cndmask_b32_e32 v11, v18, v11, vcc
	v_cndmask_b32_e64 v19, v19, v20, s[4:5]
	v_bfe_u32 v18, v15, 29, 1
	v_cndmask_b32_e64 v11, v17, v11, s[0:1]
	v_alignbit_b32 v20, v15, v19, 30
	v_sub_u32_e32 v23, 0, v18
	v_cndmask_b32_e64 v11, v12, v11, s[2:3]
	v_xor_b32_e32 v20, v20, v23
	v_alignbit_b32 v12, v16, v11, v21
	v_cndmask_b32_e64 v12, v12, v16, s[4:5]
	v_ffbh_u32_e32 v17, v20
	v_alignbit_b32 v16, v19, v12, 30
	v_min_u32_e32 v17, 32, v17
	v_alignbit_b32 v11, v12, v11, 30
	v_xor_b32_e32 v16, v16, v23
	v_sub_u32_e32 v19, 31, v17
	v_xor_b32_e32 v11, v11, v23
	v_alignbit_b32 v20, v20, v16, v19
	v_alignbit_b32 v11, v16, v11, v19
	v_alignbit_b32 v12, v20, v11, 9
	v_ffbh_u32_e32 v16, v12
	v_min_u32_e32 v16, 32, v16
	v_lshrrev_b32_e32 v22, 29, v15
	v_not_b32_e32 v19, v16
	v_alignbit_b32 v11, v12, v11, v19
	v_lshlrev_b32_e32 v12, 31, v22
	v_or_b32_e32 v19, 0x33000000, v12
	v_add_lshl_u32 v16, v16, v17, 23
	v_lshrrev_b32_e32 v11, 9, v11
	v_sub_u32_e32 v16, v19, v16
	v_or_b32_e32 v12, 0.5, v12
	v_lshlrev_b32_e32 v17, 23, v17
	v_or_b32_e32 v11, v16, v11
	v_lshrrev_b32_e32 v16, 9, v20
	v_sub_u32_e32 v12, v12, v17
	v_or_b32_e32 v12, v16, v12
	s_mov_b32 s0, 0x3fc90fda
	v_mul_f32_e32 v16, 0x3fc90fda, v12
	v_fma_f32 v17, v12, s0, -v16
	v_fmac_f32_e32 v17, 0x33a22168, v12
	v_fmac_f32_e32 v17, 0x3fc90fda, v11
	v_lshrrev_b32_e32 v11, 30, v15
	v_add_f32_e32 v12, v16, v17
	v_add_u32_e32 v11, v18, v11
.LBB76_1584:
	s_andn2_saveexec_b64 s[0:1], s[16:17]
	s_cbranch_execz .LBB76_1586
; %bb.1585:
	s_mov_b32 s2, 0x3f22f983
	v_mul_f32_e64 v11, |v0|, s2
	v_rndne_f32_e32 v15, v11
	s_mov_b32 s2, 0xbfc90fda
	v_cvt_i32_f32_e32 v11, v15
	v_fma_f32 v12, v15, s2, |v0|
	v_fmac_f32_e32 v12, 0xb3a22168, v15
	v_fmac_f32_e32 v12, 0xa7c234c4, v15
.LBB76_1586:
	s_or_b64 exec, exec, s[0:1]
	v_mul_f32_e32 v15, v12, v12
	v_mov_b32_e32 v16, 0x3c0881c4
	v_fmac_f32_e32 v16, 0xb94c1982, v15
	v_mov_b32_e32 v17, 0xbe2aaa9d
	v_fmac_f32_e32 v17, v15, v16
	v_mul_f32_e32 v16, v15, v17
	v_fmac_f32_e32 v12, v12, v16
	v_mov_b32_e32 v16, 0xbab64f3b
	v_fmac_f32_e32 v16, 0x37d75334, v15
	v_mov_b32_e32 v17, 0x3d2aabf7
	;; [unrolled: 2-line block ×3, first 2 shown]
	v_fmac_f32_e32 v16, v15, v17
	v_fma_f32 v15, v15, v16, 1.0
	v_and_b32_e32 v16, 1, v11
	v_lshlrev_b32_e32 v11, 30, v11
	v_cmp_eq_u32_e32 vcc, 0, v16
	v_and_b32_e32 v11, 0x80000000, v11
	v_xor_b32_e32 v1, v1, v0
	v_cndmask_b32_e32 v12, v15, v12, vcc
	v_xor_b32_e32 v1, v1, v11
	s_movk_i32 s0, 0x1f8
	v_xor_b32_e32 v1, v1, v12
	v_mov_b32_e32 v11, 0x7fc00000
	v_cmp_class_f32_e64 vcc, v0, s0
	v_cndmask_b32_e32 v0, v11, v1, vcc
	v_mul_f32_e32 v0, v0, v0
	s_mov_b32 s2, 0xc11de9e7
	v_div_scale_f32 v1, s[0:1], v0, v0, s2
	v_div_scale_f32 v11, vcc, s2, v0, s2
	v_sub_f32_e32 v9, 1.0, v9
	v_rcp_f32_e32 v12, v1
	v_fma_f32 v15, -v1, v12, 1.0
	v_fmac_f32_e32 v12, v15, v12
	v_mul_f32_e32 v15, v11, v12
	v_fma_f32 v16, -v1, v15, v11
	v_fmac_f32_e32 v15, v16, v12
	v_fma_f32 v1, -v1, v15, v11
	v_div_fmas_f32 v1, v1, v12, v15
	v_mov_b32_e32 v11, -1.0
	v_div_fixup_f32 v0, v1, v0, s2
	v_add_f32_e32 v12, 0, v0
.LBB76_1587:
	s_or_b64 exec, exec, s[10:11]
	v_mul_f32_e32 v0, v10, v10
	v_div_scale_f32 v1, s[0:1], v0, v0, 1.0
	v_mul_lo_u32 v2, s12, v2
	s_and_b32 s20, s33, 0xff
	s_cmp_lt_i32 s20, 11
	v_rcp_f32_e32 v15, v1
	v_fma_f32 v16, -v1, v15, 1.0
	v_fmac_f32_e32 v15, v16, v15
	v_div_scale_f32 v16, vcc, 1.0, v0, 1.0
	v_mul_f32_e32 v17, v16, v15
	v_fma_f32 v18, -v1, v17, v16
	v_fmac_f32_e32 v17, v18, v15
	v_fma_f32 v1, -v1, v17, v16
	v_div_fmas_f32 v1, v1, v15, v17
	v_div_fixup_f32 v0, v1, v0, 1.0
	v_add_f32_e32 v1, 1.0, v10
	v_mul_f32_e32 v10, v1, v1
	v_add_f32_e32 v0, v14, v0
	v_div_scale_f32 v14, s[0:1], v10, v10, 1.0
	v_add_f32_e32 v1, 1.0, v1
	v_rcp_f32_e32 v15, v14
	v_fma_f32 v16, -v14, v15, 1.0
	v_fmac_f32_e32 v15, v16, v15
	v_div_scale_f32 v16, vcc, 1.0, v10, 1.0
	v_mul_f32_e32 v17, v16, v15
	v_fma_f32 v18, -v14, v17, v16
	v_fmac_f32_e32 v17, v18, v15
	v_fma_f32 v14, -v14, v17, v16
	v_div_fmas_f32 v14, v14, v15, v17
	v_div_fixup_f32 v10, v14, v10, 1.0
	v_add_f32_e32 v0, v0, v10
	v_mul_f32_e32 v10, v1, v1
	v_div_scale_f32 v14, s[0:1], v10, v10, 1.0
	v_add_f32_e32 v1, 1.0, v1
	v_rcp_f32_e32 v15, v14
	v_fma_f32 v16, -v14, v15, 1.0
	v_fmac_f32_e32 v15, v16, v15
	v_div_scale_f32 v16, vcc, 1.0, v10, 1.0
	v_mul_f32_e32 v17, v16, v15
	v_fma_f32 v18, -v14, v17, v16
	v_fmac_f32_e32 v17, v18, v15
	v_fma_f32 v14, -v14, v17, v16
	v_div_fmas_f32 v14, v14, v15, v17
	v_div_fixup_f32 v10, v14, v10, 1.0
	v_add_f32_e32 v0, v0, v10
	v_mul_f32_e32 v10, v1, v1
	v_div_scale_f32 v14, s[0:1], v10, v10, 1.0
	v_add_f32_e32 v1, 1.0, v1
	v_rcp_f32_e32 v15, v14
	v_fma_f32 v16, -v14, v15, 1.0
	v_fmac_f32_e32 v15, v16, v15
	v_div_scale_f32 v16, vcc, 1.0, v10, 1.0
	v_mul_f32_e32 v17, v16, v15
	v_fma_f32 v18, -v14, v17, v16
	v_fmac_f32_e32 v17, v18, v15
	v_fma_f32 v14, -v14, v17, v16
	v_div_fmas_f32 v14, v14, v15, v17
	v_div_fixup_f32 v10, v14, v10, 1.0
	v_add_f32_e32 v0, v0, v10
	v_mul_f32_e32 v10, v1, v1
	v_div_scale_f32 v14, s[0:1], v10, v10, 1.0
	v_add_f32_e32 v1, 1.0, v1
	v_rcp_f32_e32 v15, v14
	v_fma_f32 v16, -v14, v15, 1.0
	v_fmac_f32_e32 v15, v16, v15
	v_div_scale_f32 v16, vcc, 1.0, v10, 1.0
	v_mul_f32_e32 v17, v16, v15
	v_fma_f32 v18, -v14, v17, v16
	v_fmac_f32_e32 v17, v18, v15
	v_fma_f32 v14, -v14, v17, v16
	v_div_fmas_f32 v14, v14, v15, v17
	v_div_fixup_f32 v10, v14, v10, 1.0
	v_add_f32_e32 v0, v0, v10
	v_mul_f32_e32 v10, v1, v1
	v_div_scale_f32 v14, s[0:1], v10, v10, 1.0
	v_add_f32_e32 v1, 1.0, v1
	v_rcp_f32_e32 v15, v14
	v_fma_f32 v16, -v14, v15, 1.0
	v_fmac_f32_e32 v15, v16, v15
	v_div_scale_f32 v16, vcc, 1.0, v10, 1.0
	v_mul_f32_e32 v17, v16, v15
	v_fma_f32 v18, -v14, v17, v16
	v_fmac_f32_e32 v17, v18, v15
	v_fma_f32 v14, -v14, v17, v16
	v_div_fmas_f32 v14, v14, v15, v17
	v_div_fixup_f32 v10, v14, v10, 1.0
	v_add_f32_e32 v0, v0, v10
	v_mul_f32_e32 v10, v1, v1
	v_div_scale_f32 v14, s[0:1], v10, v10, 1.0
	v_rcp_f32_e32 v15, v14
	v_fma_f32 v16, -v14, v15, 1.0
	v_fmac_f32_e32 v15, v16, v15
	v_div_scale_f32 v16, vcc, 1.0, v10, 1.0
	v_mul_f32_e32 v17, v16, v15
	v_fma_f32 v18, -v14, v17, v16
	v_fmac_f32_e32 v17, v18, v15
	v_fma_f32 v14, -v14, v17, v16
	v_div_fmas_f32 v14, v14, v15, v17
	v_div_fixup_f32 v10, v14, v10, 1.0
	v_add_f32_e32 v14, v1, v1
	v_div_scale_f32 v15, s[0:1], v14, v14, 1.0
	s_mov_b32 s0, 0x3e2aaaab
	v_rcp_f32_e32 v16, v15
	v_fma_f32 v17, -v15, v16, 1.0
	v_fmac_f32_e32 v16, v17, v16
	v_div_scale_f32 v17, vcc, 1.0, v14, 1.0
	v_mul_f32_e32 v18, v17, v16
	v_fma_f32 v19, -v15, v18, v17
	v_fmac_f32_e32 v18, v19, v16
	v_fma_f32 v15, -v15, v18, v17
	v_div_fmas_f32 v15, v15, v16, v18
	v_div_fixup_f32 v14, v15, v14, 1.0
	v_mov_b32_e32 v15, 0x3d088889
	v_fmac_f32_e32 v15, 0xbcc30c31, v10
	v_add_f32_e32 v14, 1.0, v14
	v_fma_f32 v15, -v10, v15, s0
	v_fmac_f32_e32 v14, v10, v15
	v_div_scale_f32 v10, s[0:1], v1, v1, v14
	s_movk_i32 s0, 0x7fff
	v_rcp_f32_e32 v15, v10
	v_fma_f32 v16, -v10, v15, 1.0
	v_fmac_f32_e32 v15, v16, v15
	v_div_scale_f32 v16, vcc, v14, v1, v14
	v_mul_f32_e32 v17, v16, v15
	v_fma_f32 v18, -v10, v17, v16
	v_fmac_f32_e32 v17, v18, v15
	v_fma_f32 v10, -v10, v17, v16
	v_div_fmas_f32 v10, v10, v15, v17
	v_div_fixup_f32 v1, v10, v1, v14
	v_add_f32_e32 v0, v0, v1
	v_mul_f32_e32 v0, v4, v0
	v_bfe_u32 v1, v0, 16, 1
	v_add3_u32 v1, v0, v1, s0
	v_cmp_o_f32_e32 vcc, v0, v0
	v_mov_b32_e32 v0, 0x7fc0
	v_cndmask_b32_sdwa v4, v0, v1, vcc dst_sel:DWORD dst_unused:UNUSED_PAD src0_sel:DWORD src1_sel:WORD_1
	v_ashrrev_i32_e32 v1, 31, v2
	v_add_co_u32_e32 v0, vcc, s8, v2
	v_mov_b32_e32 v10, s9
	v_addc_co_u32_e32 v1, vcc, v10, v1, vcc
	s_cbranch_scc1 .LBB76_1665
; %bb.1588:
	s_and_b32 s13, 0xffff, s20
	s_mov_b64 s[10:11], -1
	s_mov_b64 s[2:3], 0
	s_cmp_gt_i32 s13, 25
	s_mov_b64 s[4:5], 0
	s_mov_b64 s[0:1], 0
	s_cbranch_scc0 .LBB76_1621
; %bb.1589:
	s_cmp_gt_i32 s13, 28
	s_cbranch_scc0 .LBB76_1604
; %bb.1590:
	s_cmp_gt_i32 s13, 43
	;; [unrolled: 3-line block ×3, first 2 shown]
	s_cbranch_scc0 .LBB76_1594
; %bb.1592:
	s_mov_b64 s[0:1], -1
	s_mov_b64 s[10:11], 0
	s_cmp_eq_u32 s13, 46
	s_cbranch_scc0 .LBB76_1594
; %bb.1593:
	v_and_b32_e32 v10, 0xffff, v4
	global_store_dword v[0:1], v10, off
	s_mov_b64 s[0:1], 0
	s_mov_b64 s[4:5], -1
.LBB76_1594:
	s_and_b64 vcc, exec, s[10:11]
	s_cbranch_vccz .LBB76_1599
; %bb.1595:
	s_cmp_eq_u32 s13, 44
	s_mov_b64 s[0:1], -1
	s_cbranch_scc0 .LBB76_1599
; %bb.1596:
	v_and_b32_e32 v14, 0xffff, v4
	v_bfe_u32 v10, v14, 7, 8
	s_movk_i32 s0, 0xff
	v_cmp_ne_u32_e32 vcc, s0, v10
	v_mov_b32_e32 v15, 0xff
	s_and_saveexec_b64 s[4:5], vcc
	s_cbranch_execz .LBB76_1598
; %bb.1597:
	v_lshlrev_b32_e32 v16, 16, v14
	s_mov_b32 s0, 0x3f0000
	v_lshrrev_b32_e32 v15, 7, v14
	v_and_b32_e32 v14, 64, v14
	v_and_or_b32 v10, v16, s0, v10
	v_cmp_ne_u32_e32 vcc, 0, v14
	v_cmp_ne_u32_e64 s[0:1], 0, v10
	s_and_b64 s[0:1], vcc, s[0:1]
	v_cndmask_b32_e64 v10, 0, 1, s[0:1]
	v_add_u32_e32 v15, v15, v10
.LBB76_1598:
	s_or_b64 exec, exec, s[4:5]
	s_mov_b64 s[0:1], 0
	s_mov_b64 s[4:5], -1
	global_store_byte v[0:1], v15, off
.LBB76_1599:
	s_mov_b64 s[10:11], 0
.LBB76_1600:
	s_and_b64 vcc, exec, s[10:11]
	s_cbranch_vccz .LBB76_1603
; %bb.1601:
	s_cmp_eq_u32 s13, 29
	s_mov_b64 s[0:1], -1
	s_cbranch_scc0 .LBB76_1603
; %bb.1602:
	v_lshlrev_b32_e32 v10, 16, v4
	v_trunc_f32_e32 v10, v10
	v_mul_f32_e32 v14, 0x2f800000, v10
	v_floor_f32_e32 v14, v14
	v_fmac_f32_e32 v10, 0xcf800000, v14
	v_cvt_u32_f32_e32 v15, v14
	v_cvt_u32_f32_e32 v14, v10
	s_mov_b64 s[0:1], 0
	s_mov_b64 s[4:5], -1
	global_store_dwordx2 v[0:1], v[14:15], off
.LBB76_1603:
	s_mov_b64 s[10:11], 0
.LBB76_1604:
	s_and_b64 vcc, exec, s[10:11]
	s_cbranch_vccz .LBB76_1620
; %bb.1605:
	s_cmp_lt_i32 s13, 27
	s_mov_b64 s[4:5], -1
	s_cbranch_scc1 .LBB76_1611
; %bb.1606:
	s_cmp_gt_i32 s13, 27
	s_cbranch_scc0 .LBB76_1608
; %bb.1607:
	v_lshlrev_b32_e32 v10, 16, v4
	v_cvt_u32_f32_e32 v10, v10
	s_mov_b64 s[4:5], 0
	global_store_dword v[0:1], v10, off
.LBB76_1608:
	s_andn2_b64 vcc, exec, s[4:5]
	s_cbranch_vccnz .LBB76_1610
; %bb.1609:
	v_lshlrev_b32_e32 v10, 16, v4
	v_cvt_u32_f32_e32 v10, v10
	global_store_short v[0:1], v10, off
.LBB76_1610:
	s_mov_b64 s[4:5], 0
.LBB76_1611:
	s_andn2_b64 vcc, exec, s[4:5]
	s_cbranch_vccnz .LBB76_1619
; %bb.1612:
	v_lshlrev_b32_e32 v15, 16, v4
	v_and_b32_e32 v14, 0x7fffffff, v15
	s_mov_b32 s4, 0x43800000
	v_cmp_gt_u32_e32 vcc, s4, v14
	v_mov_b32_e32 v16, 0x80
	s_and_saveexec_b64 s[4:5], vcc
	s_cbranch_execz .LBB76_1618
; %bb.1613:
	s_mov_b32 s10, 0x3bffffff
	v_and_b32_e32 v10, 0xffff, v4
	v_cmp_lt_u32_e32 vcc, s10, v14
	s_mov_b64 s[10:11], 0
                                        ; implicit-def: $vgpr14
	s_and_saveexec_b64 s[16:17], vcc
	s_xor_b64 s[16:17], exec, s[16:17]
	s_cbranch_execz .LBB76_2067
; %bb.1614:
	v_bfe_u32 v14, v10, 4, 1
	s_mov_b32 s21, 0x487ffff
	v_add3_u32 v14, v15, v14, s21
	s_mov_b64 s[10:11], exec
	v_lshrrev_b32_e32 v14, 20, v14
                                        ; implicit-def: $vgpr15
	s_andn2_saveexec_b64 s[16:17], s[16:17]
	s_cbranch_execnz .LBB76_2068
.LBB76_1615:
	s_or_b64 exec, exec, s[16:17]
	v_mov_b32_e32 v16, 0
	s_and_saveexec_b64 s[16:17], s[10:11]
.LBB76_1616:
	v_lshrrev_b32_e32 v10, 8, v10
	s_movk_i32 s10, 0x80
	v_and_or_b32 v16, v10, s10, v14
.LBB76_1617:
	s_or_b64 exec, exec, s[16:17]
.LBB76_1618:
	s_or_b64 exec, exec, s[4:5]
	global_store_byte v[0:1], v16, off
.LBB76_1619:
	s_mov_b64 s[4:5], -1
.LBB76_1620:
	s_mov_b64 s[10:11], 0
.LBB76_1621:
	s_and_b64 vcc, exec, s[10:11]
	s_cbranch_vccz .LBB76_1661
; %bb.1622:
	s_cmp_gt_i32 s13, 22
	s_mov_b64 s[2:3], -1
	s_cbranch_scc0 .LBB76_1654
; %bb.1623:
	s_cmp_lt_i32 s13, 24
	s_cbranch_scc1 .LBB76_1643
; %bb.1624:
	s_cmp_gt_i32 s13, 24
	s_cbranch_scc0 .LBB76_1632
; %bb.1625:
	v_lshlrev_b32_e32 v15, 16, v4
	v_and_b32_e32 v14, 0x7fffffff, v15
	s_mov_b32 s2, 0x47800000
	v_cmp_gt_u32_e32 vcc, s2, v14
	v_mov_b32_e32 v16, 0x80
	s_and_saveexec_b64 s[2:3], vcc
	s_cbranch_execz .LBB76_1631
; %bb.1626:
	s_mov_b32 s4, 0x37ffffff
	v_and_b32_e32 v10, 0xffff, v4
	v_cmp_lt_u32_e32 vcc, s4, v14
	s_mov_b64 s[4:5], 0
                                        ; implicit-def: $vgpr14
	s_and_saveexec_b64 s[10:11], vcc
	s_xor_b64 s[10:11], exec, s[10:11]
	s_cbranch_execz .LBB76_2070
; %bb.1627:
	v_bfe_u32 v14, v10, 5, 1
	s_mov_b32 s16, 0x88fffff
	v_add3_u32 v14, v15, v14, s16
	s_mov_b64 s[4:5], exec
	v_lshrrev_b32_e32 v14, 21, v14
                                        ; implicit-def: $vgpr15
	s_andn2_saveexec_b64 s[10:11], s[10:11]
	s_cbranch_execnz .LBB76_2071
.LBB76_1628:
	s_or_b64 exec, exec, s[10:11]
	v_mov_b32_e32 v16, 0
	s_and_saveexec_b64 s[10:11], s[4:5]
.LBB76_1629:
	v_lshrrev_b32_e32 v10, 8, v10
	s_movk_i32 s4, 0x80
	v_and_or_b32 v16, v10, s4, v14
.LBB76_1630:
	s_or_b64 exec, exec, s[10:11]
.LBB76_1631:
	s_or_b64 exec, exec, s[2:3]
	s_mov_b64 s[2:3], 0
	global_store_byte v[0:1], v16, off
.LBB76_1632:
	s_and_b64 vcc, exec, s[2:3]
	s_cbranch_vccz .LBB76_1642
; %bb.1633:
	v_lshlrev_b32_e32 v15, 16, v4
	v_and_b32_e32 v16, 0x7fffffff, v15
	s_mov_b32 s2, 0x43f00000
	v_and_b32_e32 v10, 0xffff, v4
	v_cmp_gt_u32_e32 vcc, s2, v16
                                        ; implicit-def: $vgpr14
	s_and_saveexec_b64 s[2:3], vcc
	s_xor_b64 s[2:3], exec, s[2:3]
	s_cbranch_execz .LBB76_1639
; %bb.1634:
	s_mov_b32 s4, 0x3c7fffff
	v_cmp_lt_u32_e32 vcc, s4, v16
                                        ; implicit-def: $vgpr14
	s_and_saveexec_b64 s[4:5], vcc
	s_xor_b64 s[4:5], exec, s[4:5]
; %bb.1635:
	v_bfe_u32 v14, v10, 4, 1
	s_mov_b32 s10, 0x407ffff
	v_add3_u32 v14, v15, v14, s10
	v_lshrrev_b32_e32 v15, 20, v14
	v_and_b32_e32 v14, 0xff00000, v14
	s_mov_b32 s10, 0x7f00000
	v_mov_b32_e32 v16, 0x7e
	v_cmp_ne_u32_e32 vcc, s10, v14
	v_cndmask_b32_e32 v14, v16, v15, vcc
                                        ; implicit-def: $vgpr15
; %bb.1636:
	s_andn2_saveexec_b64 s[4:5], s[4:5]
; %bb.1637:
	s_mov_b32 s10, 0x46800000
	v_add_f32_e64 v14, |v15|, s10
; %bb.1638:
	s_or_b64 exec, exec, s[4:5]
                                        ; implicit-def: $vgpr16
.LBB76_1639:
	s_andn2_saveexec_b64 s[2:3], s[2:3]
; %bb.1640:
	s_mov_b32 s4, 0x7f800000
	v_mov_b32_e32 v14, 0x7e
	v_mov_b32_e32 v15, 0x7f
	v_cmp_lt_u32_e32 vcc, s4, v16
	v_cndmask_b32_e32 v14, v14, v15, vcc
; %bb.1641:
	s_or_b64 exec, exec, s[2:3]
	v_lshrrev_b32_e32 v10, 8, v10
	s_movk_i32 s2, 0x80
	v_and_or_b32 v10, v10, s2, v14
	global_store_byte v[0:1], v10, off
.LBB76_1642:
	s_mov_b64 s[2:3], 0
.LBB76_1643:
	s_andn2_b64 vcc, exec, s[2:3]
	s_cbranch_vccnz .LBB76_1653
; %bb.1644:
	v_lshlrev_b32_e32 v15, 16, v4
	v_and_b32_e32 v16, 0x7fffffff, v15
	s_mov_b32 s2, 0x47800000
	v_and_b32_e32 v10, 0xffff, v4
	v_cmp_gt_u32_e32 vcc, s2, v16
                                        ; implicit-def: $vgpr14
	s_and_saveexec_b64 s[2:3], vcc
	s_xor_b64 s[2:3], exec, s[2:3]
	s_cbranch_execz .LBB76_1650
; %bb.1645:
	s_mov_b32 s4, 0x387fffff
	v_cmp_lt_u32_e32 vcc, s4, v16
                                        ; implicit-def: $vgpr14
	s_and_saveexec_b64 s[4:5], vcc
	s_xor_b64 s[4:5], exec, s[4:5]
; %bb.1646:
	v_bfe_u32 v14, v10, 5, 1
	s_mov_b32 s10, 0x80fffff
	v_add3_u32 v14, v15, v14, s10
	v_lshrrev_b32_e32 v14, 21, v14
                                        ; implicit-def: $vgpr15
; %bb.1647:
	s_andn2_saveexec_b64 s[4:5], s[4:5]
; %bb.1648:
	s_mov_b32 s10, 0x43000000
	v_add_f32_e64 v14, |v15|, s10
; %bb.1649:
	s_or_b64 exec, exec, s[4:5]
                                        ; implicit-def: $vgpr16
.LBB76_1650:
	s_andn2_saveexec_b64 s[2:3], s[2:3]
; %bb.1651:
	s_mov_b32 s4, 0x7f800000
	v_mov_b32_e32 v14, 0x7c
	v_mov_b32_e32 v15, 0x7f
	v_cmp_lt_u32_e32 vcc, s4, v16
	v_cndmask_b32_e32 v14, v14, v15, vcc
; %bb.1652:
	s_or_b64 exec, exec, s[2:3]
	v_lshrrev_b32_e32 v10, 8, v10
	s_movk_i32 s2, 0x80
	v_and_or_b32 v10, v10, s2, v14
	global_store_byte v[0:1], v10, off
.LBB76_1653:
	s_mov_b64 s[2:3], 0
	s_mov_b64 s[4:5], -1
.LBB76_1654:
	s_andn2_b64 vcc, exec, s[2:3]
	s_mov_b64 s[2:3], 0
	s_cbranch_vccnz .LBB76_1661
; %bb.1655:
	s_cmp_gt_i32 s13, 14
	s_mov_b64 s[10:11], -1
	s_cbranch_scc0 .LBB76_1659
; %bb.1656:
	s_cmp_eq_u32 s13, 15
	s_mov_b64 s[0:1], -1
	s_cbranch_scc0 .LBB76_1658
; %bb.1657:
	global_store_short v[0:1], v4, off
	s_mov_b64 s[0:1], 0
	s_mov_b64 s[4:5], -1
.LBB76_1658:
	s_mov_b64 s[10:11], 0
.LBB76_1659:
	s_and_b64 vcc, exec, s[10:11]
	s_cbranch_vccz .LBB76_1661
; %bb.1660:
	s_cmp_lg_u32 s13, 11
	s_mov_b64 s[2:3], -1
	s_cselect_b64 s[0:1], -1, 0
.LBB76_1661:
	s_and_b64 vcc, exec, s[0:1]
	s_cbranch_vccnz .LBB76_2069
; %bb.1662:
	s_andn2_b64 vcc, exec, s[2:3]
	s_cbranch_vccnz .LBB76_1664
.LBB76_1663:
	v_and_b32_e32 v10, 0x7fff, v4
	v_cmp_ne_u16_e32 vcc, 0, v10
	v_cndmask_b32_e64 v10, 0, 1, vcc
	s_mov_b64 s[4:5], -1
	global_store_byte v[0:1], v10, off
.LBB76_1664:
	s_mov_b64 s[0:1], 0
	s_branch .LBB76_1666
.LBB76_1665:
	s_mov_b64 s[0:1], -1
	s_mov_b64 s[4:5], 0
.LBB76_1666:
	s_and_b64 vcc, exec, s[0:1]
	s_cbranch_vccz .LBB76_1705
; %bb.1667:
	s_and_b32 s2, 0xffff, s20
	s_cmp_lt_i32 s2, 5
	s_mov_b64 s[0:1], -1
	s_cbranch_scc1 .LBB76_1688
; %bb.1668:
	s_cmp_lt_i32 s2, 8
	s_cbranch_scc1 .LBB76_1678
; %bb.1669:
	s_cmp_lt_i32 s2, 9
	s_cbranch_scc1 .LBB76_1675
; %bb.1670:
	s_cmp_gt_i32 s2, 9
	s_cbranch_scc0 .LBB76_1672
; %bb.1671:
	v_lshlrev_b32_e32 v10, 16, v4
	v_cvt_f64_f32_e32 v[14:15], v10
	v_mov_b32_e32 v16, 0
	v_mov_b32_e32 v17, v16
	s_mov_b64 s[0:1], 0
	global_store_dwordx4 v[0:1], v[14:17], off
.LBB76_1672:
	s_andn2_b64 vcc, exec, s[0:1]
	s_cbranch_vccnz .LBB76_1674
; %bb.1673:
	v_lshlrev_b32_e32 v14, 16, v4
	v_mov_b32_e32 v15, 0
	global_store_dwordx2 v[0:1], v[14:15], off
.LBB76_1674:
	s_mov_b64 s[0:1], 0
.LBB76_1675:
	s_andn2_b64 vcc, exec, s[0:1]
	s_cbranch_vccnz .LBB76_1677
; %bb.1676:
	v_lshlrev_b32_e32 v10, 16, v4
	v_cvt_f16_f32_e32 v10, v10
	global_store_dword v[0:1], v10, off
.LBB76_1677:
	s_mov_b64 s[0:1], 0
.LBB76_1678:
	s_andn2_b64 vcc, exec, s[0:1]
	s_cbranch_vccnz .LBB76_1687
; %bb.1679:
	s_cmp_lt_i32 s2, 6
	s_mov_b64 s[0:1], -1
	s_cbranch_scc1 .LBB76_1685
; %bb.1680:
	s_cmp_gt_i32 s2, 6
	s_cbranch_scc0 .LBB76_1682
; %bb.1681:
	v_lshlrev_b32_e32 v10, 16, v4
	v_cvt_f64_f32_e32 v[14:15], v10
	s_mov_b64 s[0:1], 0
	global_store_dwordx2 v[0:1], v[14:15], off
.LBB76_1682:
	s_andn2_b64 vcc, exec, s[0:1]
	s_cbranch_vccnz .LBB76_1684
; %bb.1683:
	v_lshlrev_b32_e32 v10, 16, v4
	global_store_dword v[0:1], v10, off
.LBB76_1684:
	s_mov_b64 s[0:1], 0
.LBB76_1685:
	s_andn2_b64 vcc, exec, s[0:1]
	s_cbranch_vccnz .LBB76_1687
; %bb.1686:
	v_lshlrev_b32_e32 v10, 16, v4
	v_cvt_f16_f32_e32 v10, v10
	global_store_short v[0:1], v10, off
.LBB76_1687:
	s_mov_b64 s[0:1], 0
.LBB76_1688:
	s_andn2_b64 vcc, exec, s[0:1]
	s_cbranch_vccnz .LBB76_1704
; %bb.1689:
	s_cmp_lt_i32 s2, 2
	s_mov_b64 s[0:1], -1
	s_cbranch_scc1 .LBB76_1699
; %bb.1690:
	s_cmp_lt_i32 s2, 3
	s_cbranch_scc1 .LBB76_1696
; %bb.1691:
	s_cmp_gt_i32 s2, 3
	s_cbranch_scc0 .LBB76_1693
; %bb.1692:
	v_lshlrev_b32_e32 v10, 16, v4
	v_trunc_f32_e32 v10, v10
	s_mov_b32 s0, 0x2f800000
	v_mul_f32_e64 v14, |v10|, s0
	v_floor_f32_e32 v14, v14
	s_mov_b32 s0, 0xcf800000
	v_cvt_u32_f32_e32 v15, v14
	v_fma_f32 v14, v14, s0, |v10|
	v_cvt_u32_f32_e32 v14, v14
	v_ashrrev_i32_e32 v10, 31, v10
	v_xor_b32_e32 v15, v15, v10
	s_mov_b64 s[0:1], 0
	v_xor_b32_e32 v14, v14, v10
	v_sub_co_u32_e32 v14, vcc, v14, v10
	v_subb_co_u32_e32 v15, vcc, v15, v10, vcc
	global_store_dwordx2 v[0:1], v[14:15], off
.LBB76_1693:
	s_andn2_b64 vcc, exec, s[0:1]
	s_cbranch_vccnz .LBB76_1695
; %bb.1694:
	v_lshlrev_b32_e32 v10, 16, v4
	v_cvt_i32_f32_e32 v10, v10
	global_store_dword v[0:1], v10, off
.LBB76_1695:
	s_mov_b64 s[0:1], 0
.LBB76_1696:
	s_andn2_b64 vcc, exec, s[0:1]
	s_cbranch_vccnz .LBB76_1698
; %bb.1697:
	v_lshlrev_b32_e32 v10, 16, v4
	v_cvt_i32_f32_e32 v10, v10
	global_store_short v[0:1], v10, off
.LBB76_1698:
	s_mov_b64 s[0:1], 0
.LBB76_1699:
	s_andn2_b64 vcc, exec, s[0:1]
	s_cbranch_vccnz .LBB76_1704
; %bb.1700:
	s_mov_b64 s[0:1], -1
	s_cmp_gt_i32 s2, 0
	v_lshlrev_b32_e32 v4, 16, v4
	s_cbranch_scc0 .LBB76_1702
; %bb.1701:
	v_cvt_i32_f32_e32 v10, v4
	s_mov_b64 s[0:1], 0
	global_store_byte v[0:1], v10, off
.LBB76_1702:
	s_andn2_b64 vcc, exec, s[0:1]
	s_cbranch_vccnz .LBB76_1704
; %bb.1703:
	v_trunc_f32_e32 v4, v4
	s_mov_b32 s0, 0x2f800000
	v_mul_f32_e64 v10, |v4|, s0
	v_floor_f32_e32 v10, v10
	s_mov_b32 s0, 0xcf800000
	v_fma_f32 v10, v10, s0, |v4|
	v_cvt_u32_f32_e32 v10, v10
	v_ashrrev_i32_e32 v4, 31, v4
	v_xor_b32_e32 v10, v10, v4
	v_sub_u32_e32 v4, v10, v4
	global_store_byte v[0:1], v4, off
.LBB76_1704:
	s_mov_b64 s[4:5], -1
.LBB76_1705:
	s_andn2_b64 vcc, exec, s[4:5]
	s_cbranch_vccnz .LBB76_2020
; %bb.1706:
	v_mul_f32_e32 v0, v8, v8
	v_div_scale_f32 v1, s[0:1], v0, v0, 1.0
	s_lshl_b32 s16, s12, 7
	v_add_u32_e32 v2, s16, v2
	s_cmp_lt_i32 s20, 11
	v_rcp_f32_e32 v4, v1
	v_fma_f32 v10, -v1, v4, 1.0
	v_fmac_f32_e32 v4, v10, v4
	v_div_scale_f32 v10, vcc, 1.0, v0, 1.0
	v_mul_f32_e32 v14, v10, v4
	v_fma_f32 v15, -v1, v14, v10
	v_fmac_f32_e32 v14, v15, v4
	v_fma_f32 v1, -v1, v14, v10
	v_div_fmas_f32 v1, v1, v4, v14
	v_div_fixup_f32 v0, v1, v0, 1.0
	v_add_f32_e32 v1, 1.0, v8
	v_mul_f32_e32 v4, v1, v1
	v_div_scale_f32 v8, s[0:1], v4, v4, 1.0
	v_add_f32_e32 v0, v13, v0
	v_add_f32_e32 v1, 1.0, v1
	v_rcp_f32_e32 v10, v8
	v_fma_f32 v13, -v8, v10, 1.0
	v_fmac_f32_e32 v10, v13, v10
	v_div_scale_f32 v13, vcc, 1.0, v4, 1.0
	v_mul_f32_e32 v14, v13, v10
	v_fma_f32 v15, -v8, v14, v13
	v_fmac_f32_e32 v14, v15, v10
	v_fma_f32 v8, -v8, v14, v13
	v_div_fmas_f32 v8, v8, v10, v14
	v_div_fixup_f32 v4, v8, v4, 1.0
	v_add_f32_e32 v0, v0, v4
	v_mul_f32_e32 v4, v1, v1
	v_div_scale_f32 v8, s[0:1], v4, v4, 1.0
	v_add_f32_e32 v1, 1.0, v1
	v_rcp_f32_e32 v10, v8
	v_fma_f32 v13, -v8, v10, 1.0
	v_fmac_f32_e32 v10, v13, v10
	v_div_scale_f32 v13, vcc, 1.0, v4, 1.0
	v_mul_f32_e32 v14, v13, v10
	v_fma_f32 v15, -v8, v14, v13
	v_fmac_f32_e32 v14, v15, v10
	v_fma_f32 v8, -v8, v14, v13
	v_div_fmas_f32 v8, v8, v10, v14
	v_div_fixup_f32 v4, v8, v4, 1.0
	v_add_f32_e32 v0, v0, v4
	v_mul_f32_e32 v4, v1, v1
	v_div_scale_f32 v8, s[0:1], v4, v4, 1.0
	;; [unrolled: 14-line block ×5, first 2 shown]
	v_rcp_f32_e32 v10, v8
	v_fma_f32 v13, -v8, v10, 1.0
	v_fmac_f32_e32 v10, v13, v10
	v_div_scale_f32 v13, vcc, 1.0, v4, 1.0
	v_mul_f32_e32 v14, v13, v10
	v_fma_f32 v15, -v8, v14, v13
	v_fmac_f32_e32 v14, v15, v10
	v_fma_f32 v8, -v8, v14, v13
	v_div_fmas_f32 v8, v8, v10, v14
	v_div_fixup_f32 v4, v8, v4, 1.0
	v_add_f32_e32 v8, v1, v1
	v_div_scale_f32 v10, s[0:1], v8, v8, 1.0
	s_mov_b32 s0, 0x3e2aaaab
	v_rcp_f32_e32 v13, v10
	v_fma_f32 v14, -v10, v13, 1.0
	v_fmac_f32_e32 v13, v14, v13
	v_div_scale_f32 v14, vcc, 1.0, v8, 1.0
	v_mul_f32_e32 v15, v14, v13
	v_fma_f32 v16, -v10, v15, v14
	v_fmac_f32_e32 v15, v16, v13
	v_fma_f32 v10, -v10, v15, v14
	v_div_fmas_f32 v10, v10, v13, v15
	v_div_fixup_f32 v8, v10, v8, 1.0
	v_mov_b32_e32 v10, 0x3d088889
	v_fmac_f32_e32 v10, 0xbcc30c31, v4
	v_add_f32_e32 v8, 1.0, v8
	v_fma_f32 v10, -v4, v10, s0
	v_fmac_f32_e32 v8, v4, v10
	v_div_scale_f32 v4, s[0:1], v1, v1, v8
	s_movk_i32 s0, 0x7fff
	v_rcp_f32_e32 v10, v4
	v_fma_f32 v13, -v4, v10, 1.0
	v_fmac_f32_e32 v10, v13, v10
	v_div_scale_f32 v13, vcc, v8, v1, v8
	v_mul_f32_e32 v14, v13, v10
	v_fma_f32 v15, -v4, v14, v13
	v_fmac_f32_e32 v14, v15, v10
	v_fma_f32 v4, -v4, v14, v13
	v_div_fmas_f32 v4, v4, v10, v14
	v_div_fixup_f32 v1, v4, v1, v8
	v_add_f32_e32 v0, v0, v1
	v_mul_f32_e32 v0, v3, v0
	v_bfe_u32 v1, v0, 16, 1
	v_add3_u32 v1, v0, v1, s0
	v_lshrrev_b32_e32 v1, 16, v1
	v_cmp_o_f32_e32 vcc, v0, v0
	v_mov_b32_e32 v0, 0x7fc0
	v_cndmask_b32_e32 v3, v0, v1, vcc
	v_ashrrev_i32_e32 v1, 31, v2
	v_add_co_u32_e32 v0, vcc, s8, v2
	v_mov_b32_e32 v4, s9
	v_addc_co_u32_e32 v1, vcc, v4, v1, vcc
	s_cbranch_scc1 .LBB76_1784
; %bb.1707:
	s_and_b32 s17, 0xffff, s20
	s_mov_b64 s[10:11], -1
	s_mov_b64 s[2:3], 0
	s_cmp_gt_i32 s17, 25
	s_mov_b64 s[4:5], 0
	s_mov_b64 s[0:1], 0
	s_cbranch_scc0 .LBB76_1740
; %bb.1708:
	s_cmp_gt_i32 s17, 28
	s_cbranch_scc0 .LBB76_1723
; %bb.1709:
	s_cmp_gt_i32 s17, 43
	;; [unrolled: 3-line block ×3, first 2 shown]
	s_cbranch_scc0 .LBB76_1713
; %bb.1711:
	s_mov_b64 s[0:1], -1
	s_mov_b64 s[10:11], 0
	s_cmp_eq_u32 s17, 46
	s_cbranch_scc0 .LBB76_1713
; %bb.1712:
	v_and_b32_e32 v4, 0xffff, v3
	global_store_dword v[0:1], v4, off
	s_mov_b64 s[0:1], 0
	s_mov_b64 s[4:5], -1
.LBB76_1713:
	s_and_b64 vcc, exec, s[10:11]
	s_cbranch_vccz .LBB76_1718
; %bb.1714:
	s_cmp_eq_u32 s17, 44
	s_mov_b64 s[0:1], -1
	s_cbranch_scc0 .LBB76_1718
; %bb.1715:
	v_and_b32_e32 v8, 0xffff, v3
	v_bfe_u32 v4, v8, 7, 8
	s_movk_i32 s0, 0xff
	v_cmp_ne_u32_e32 vcc, s0, v4
	v_mov_b32_e32 v10, 0xff
	s_and_saveexec_b64 s[4:5], vcc
	s_cbranch_execz .LBB76_1717
; %bb.1716:
	v_lshlrev_b32_e32 v13, 16, v8
	s_mov_b32 s0, 0x3f0000
	v_lshrrev_b32_e32 v10, 7, v8
	v_and_b32_e32 v8, 64, v8
	v_and_or_b32 v4, v13, s0, v4
	v_cmp_ne_u32_e32 vcc, 0, v8
	v_cmp_ne_u32_e64 s[0:1], 0, v4
	s_and_b64 s[0:1], vcc, s[0:1]
	v_cndmask_b32_e64 v4, 0, 1, s[0:1]
	v_add_u32_e32 v10, v10, v4
.LBB76_1717:
	s_or_b64 exec, exec, s[4:5]
	s_mov_b64 s[0:1], 0
	s_mov_b64 s[4:5], -1
	global_store_byte v[0:1], v10, off
.LBB76_1718:
	s_mov_b64 s[10:11], 0
.LBB76_1719:
	s_and_b64 vcc, exec, s[10:11]
	s_cbranch_vccz .LBB76_1722
; %bb.1720:
	s_cmp_eq_u32 s17, 29
	s_mov_b64 s[0:1], -1
	s_cbranch_scc0 .LBB76_1722
; %bb.1721:
	v_lshlrev_b32_e32 v4, 16, v3
	v_trunc_f32_e32 v4, v4
	v_mul_f32_e32 v8, 0x2f800000, v4
	v_floor_f32_e32 v8, v8
	v_fmac_f32_e32 v4, 0xcf800000, v8
	v_cvt_u32_f32_e32 v14, v8
	v_cvt_u32_f32_e32 v13, v4
	s_mov_b64 s[0:1], 0
	s_mov_b64 s[4:5], -1
	global_store_dwordx2 v[0:1], v[13:14], off
.LBB76_1722:
	s_mov_b64 s[10:11], 0
.LBB76_1723:
	s_and_b64 vcc, exec, s[10:11]
	s_cbranch_vccz .LBB76_1739
; %bb.1724:
	s_cmp_lt_i32 s17, 27
	s_mov_b64 s[4:5], -1
	s_cbranch_scc1 .LBB76_1730
; %bb.1725:
	s_cmp_gt_i32 s17, 27
	s_cbranch_scc0 .LBB76_1727
; %bb.1726:
	v_lshlrev_b32_e32 v4, 16, v3
	v_cvt_u32_f32_e32 v4, v4
	s_mov_b64 s[4:5], 0
	global_store_dword v[0:1], v4, off
.LBB76_1727:
	s_andn2_b64 vcc, exec, s[4:5]
	s_cbranch_vccnz .LBB76_1729
; %bb.1728:
	v_lshlrev_b32_e32 v4, 16, v3
	v_cvt_u32_f32_e32 v4, v4
	global_store_short v[0:1], v4, off
.LBB76_1729:
	s_mov_b64 s[4:5], 0
.LBB76_1730:
	s_andn2_b64 vcc, exec, s[4:5]
	s_cbranch_vccnz .LBB76_1738
; %bb.1731:
	v_lshlrev_b32_e32 v10, 16, v3
	v_and_b32_e32 v8, 0x7fffffff, v10
	s_mov_b32 s4, 0x43800000
	v_cmp_gt_u32_e32 vcc, s4, v8
	v_mov_b32_e32 v13, 0x80
	s_and_saveexec_b64 s[4:5], vcc
	s_cbranch_execz .LBB76_1737
; %bb.1732:
	s_mov_b32 s10, 0x3bffffff
	v_and_b32_e32 v4, 0xffff, v3
	v_cmp_lt_u32_e32 vcc, s10, v8
	s_mov_b64 s[10:11], 0
                                        ; implicit-def: $vgpr8
	s_and_saveexec_b64 s[12:13], vcc
	s_xor_b64 s[12:13], exec, s[12:13]
	s_cbranch_execz .LBB76_2072
; %bb.1733:
	v_bfe_u32 v8, v4, 4, 1
	s_mov_b32 s21, 0x487ffff
	v_add3_u32 v8, v10, v8, s21
	s_mov_b64 s[10:11], exec
	v_lshrrev_b32_e32 v8, 20, v8
                                        ; implicit-def: $vgpr10
	s_andn2_saveexec_b64 s[12:13], s[12:13]
	s_cbranch_execnz .LBB76_2073
.LBB76_1734:
	s_or_b64 exec, exec, s[12:13]
	v_mov_b32_e32 v13, 0
	s_and_saveexec_b64 s[12:13], s[10:11]
.LBB76_1735:
	v_lshrrev_b32_e32 v4, 8, v4
	s_movk_i32 s10, 0x80
	v_and_or_b32 v13, v4, s10, v8
.LBB76_1736:
	s_or_b64 exec, exec, s[12:13]
.LBB76_1737:
	s_or_b64 exec, exec, s[4:5]
	global_store_byte v[0:1], v13, off
.LBB76_1738:
	s_mov_b64 s[4:5], -1
.LBB76_1739:
	s_mov_b64 s[10:11], 0
.LBB76_1740:
	s_and_b64 vcc, exec, s[10:11]
	s_cbranch_vccz .LBB76_1780
; %bb.1741:
	s_cmp_gt_i32 s17, 22
	s_mov_b64 s[2:3], -1
	s_cbranch_scc0 .LBB76_1773
; %bb.1742:
	s_cmp_lt_i32 s17, 24
	s_cbranch_scc1 .LBB76_1762
; %bb.1743:
	s_cmp_gt_i32 s17, 24
	s_cbranch_scc0 .LBB76_1751
; %bb.1744:
	v_lshlrev_b32_e32 v10, 16, v3
	v_and_b32_e32 v8, 0x7fffffff, v10
	s_mov_b32 s2, 0x47800000
	v_cmp_gt_u32_e32 vcc, s2, v8
	v_mov_b32_e32 v13, 0x80
	s_and_saveexec_b64 s[2:3], vcc
	s_cbranch_execz .LBB76_1750
; %bb.1745:
	s_mov_b32 s4, 0x37ffffff
	v_and_b32_e32 v4, 0xffff, v3
	v_cmp_lt_u32_e32 vcc, s4, v8
	s_mov_b64 s[4:5], 0
                                        ; implicit-def: $vgpr8
	s_and_saveexec_b64 s[10:11], vcc
	s_xor_b64 s[10:11], exec, s[10:11]
	s_cbranch_execz .LBB76_2075
; %bb.1746:
	v_bfe_u32 v8, v4, 5, 1
	s_mov_b32 s12, 0x88fffff
	v_add3_u32 v8, v10, v8, s12
	s_mov_b64 s[4:5], exec
	v_lshrrev_b32_e32 v8, 21, v8
                                        ; implicit-def: $vgpr10
	s_andn2_saveexec_b64 s[10:11], s[10:11]
	s_cbranch_execnz .LBB76_2076
.LBB76_1747:
	s_or_b64 exec, exec, s[10:11]
	v_mov_b32_e32 v13, 0
	s_and_saveexec_b64 s[10:11], s[4:5]
.LBB76_1748:
	v_lshrrev_b32_e32 v4, 8, v4
	s_movk_i32 s4, 0x80
	v_and_or_b32 v13, v4, s4, v8
.LBB76_1749:
	s_or_b64 exec, exec, s[10:11]
.LBB76_1750:
	s_or_b64 exec, exec, s[2:3]
	s_mov_b64 s[2:3], 0
	global_store_byte v[0:1], v13, off
.LBB76_1751:
	s_and_b64 vcc, exec, s[2:3]
	s_cbranch_vccz .LBB76_1761
; %bb.1752:
	v_lshlrev_b32_e32 v10, 16, v3
	v_and_b32_e32 v13, 0x7fffffff, v10
	s_mov_b32 s2, 0x43f00000
	v_and_b32_e32 v4, 0xffff, v3
	v_cmp_gt_u32_e32 vcc, s2, v13
                                        ; implicit-def: $vgpr8
	s_and_saveexec_b64 s[2:3], vcc
	s_xor_b64 s[2:3], exec, s[2:3]
	s_cbranch_execz .LBB76_1758
; %bb.1753:
	s_mov_b32 s4, 0x3c7fffff
	v_cmp_lt_u32_e32 vcc, s4, v13
                                        ; implicit-def: $vgpr8
	s_and_saveexec_b64 s[4:5], vcc
	s_xor_b64 s[4:5], exec, s[4:5]
; %bb.1754:
	v_bfe_u32 v8, v4, 4, 1
	s_mov_b32 s10, 0x407ffff
	v_add3_u32 v8, v10, v8, s10
	v_lshrrev_b32_e32 v10, 20, v8
	v_and_b32_e32 v8, 0xff00000, v8
	s_mov_b32 s10, 0x7f00000
	v_mov_b32_e32 v13, 0x7e
	v_cmp_ne_u32_e32 vcc, s10, v8
	v_cndmask_b32_e32 v8, v13, v10, vcc
                                        ; implicit-def: $vgpr10
; %bb.1755:
	s_andn2_saveexec_b64 s[4:5], s[4:5]
; %bb.1756:
	s_mov_b32 s10, 0x46800000
	v_add_f32_e64 v8, |v10|, s10
; %bb.1757:
	s_or_b64 exec, exec, s[4:5]
                                        ; implicit-def: $vgpr13
.LBB76_1758:
	s_andn2_saveexec_b64 s[2:3], s[2:3]
; %bb.1759:
	s_mov_b32 s4, 0x7f800000
	v_mov_b32_e32 v8, 0x7e
	v_mov_b32_e32 v10, 0x7f
	v_cmp_lt_u32_e32 vcc, s4, v13
	v_cndmask_b32_e32 v8, v8, v10, vcc
; %bb.1760:
	s_or_b64 exec, exec, s[2:3]
	v_lshrrev_b32_e32 v4, 8, v4
	s_movk_i32 s2, 0x80
	v_and_or_b32 v4, v4, s2, v8
	global_store_byte v[0:1], v4, off
.LBB76_1761:
	s_mov_b64 s[2:3], 0
.LBB76_1762:
	s_andn2_b64 vcc, exec, s[2:3]
	s_cbranch_vccnz .LBB76_1772
; %bb.1763:
	v_lshlrev_b32_e32 v10, 16, v3
	v_and_b32_e32 v13, 0x7fffffff, v10
	s_mov_b32 s2, 0x47800000
	v_and_b32_e32 v4, 0xffff, v3
	v_cmp_gt_u32_e32 vcc, s2, v13
                                        ; implicit-def: $vgpr8
	s_and_saveexec_b64 s[2:3], vcc
	s_xor_b64 s[2:3], exec, s[2:3]
	s_cbranch_execz .LBB76_1769
; %bb.1764:
	s_mov_b32 s4, 0x387fffff
	v_cmp_lt_u32_e32 vcc, s4, v13
                                        ; implicit-def: $vgpr8
	s_and_saveexec_b64 s[4:5], vcc
	s_xor_b64 s[4:5], exec, s[4:5]
; %bb.1765:
	v_bfe_u32 v8, v4, 5, 1
	s_mov_b32 s10, 0x80fffff
	v_add3_u32 v8, v10, v8, s10
	v_lshrrev_b32_e32 v8, 21, v8
                                        ; implicit-def: $vgpr10
; %bb.1766:
	s_andn2_saveexec_b64 s[4:5], s[4:5]
; %bb.1767:
	s_mov_b32 s10, 0x43000000
	v_add_f32_e64 v8, |v10|, s10
; %bb.1768:
	s_or_b64 exec, exec, s[4:5]
                                        ; implicit-def: $vgpr13
.LBB76_1769:
	s_andn2_saveexec_b64 s[2:3], s[2:3]
; %bb.1770:
	s_mov_b32 s4, 0x7f800000
	v_mov_b32_e32 v8, 0x7c
	v_mov_b32_e32 v10, 0x7f
	v_cmp_lt_u32_e32 vcc, s4, v13
	v_cndmask_b32_e32 v8, v8, v10, vcc
; %bb.1771:
	s_or_b64 exec, exec, s[2:3]
	v_lshrrev_b32_e32 v4, 8, v4
	s_movk_i32 s2, 0x80
	v_and_or_b32 v4, v4, s2, v8
	global_store_byte v[0:1], v4, off
.LBB76_1772:
	s_mov_b64 s[2:3], 0
	s_mov_b64 s[4:5], -1
.LBB76_1773:
	s_andn2_b64 vcc, exec, s[2:3]
	s_mov_b64 s[2:3], 0
	s_cbranch_vccnz .LBB76_1780
; %bb.1774:
	s_cmp_gt_i32 s17, 14
	s_mov_b64 s[10:11], -1
	s_cbranch_scc0 .LBB76_1778
; %bb.1775:
	s_cmp_eq_u32 s17, 15
	s_mov_b64 s[0:1], -1
	s_cbranch_scc0 .LBB76_1777
; %bb.1776:
	global_store_short v[0:1], v3, off
	s_mov_b64 s[0:1], 0
	s_mov_b64 s[4:5], -1
.LBB76_1777:
	s_mov_b64 s[10:11], 0
.LBB76_1778:
	s_and_b64 vcc, exec, s[10:11]
	s_cbranch_vccz .LBB76_1780
; %bb.1779:
	s_cmp_lg_u32 s17, 11
	s_mov_b64 s[2:3], -1
	s_cselect_b64 s[0:1], -1, 0
.LBB76_1780:
	s_and_b64 vcc, exec, s[0:1]
	s_cbranch_vccnz .LBB76_2074
; %bb.1781:
	s_andn2_b64 vcc, exec, s[2:3]
	s_cbranch_vccnz .LBB76_1783
.LBB76_1782:
	v_and_b32_e32 v4, 0x7fff, v3
	v_cmp_ne_u16_e32 vcc, 0, v4
	v_cndmask_b32_e64 v4, 0, 1, vcc
	s_mov_b64 s[4:5], -1
	global_store_byte v[0:1], v4, off
.LBB76_1783:
	s_mov_b64 s[0:1], 0
	s_branch .LBB76_1785
.LBB76_1784:
	s_mov_b64 s[0:1], -1
	s_mov_b64 s[4:5], 0
.LBB76_1785:
	s_and_b64 vcc, exec, s[0:1]
	s_cbranch_vccz .LBB76_1824
; %bb.1786:
	s_and_b32 s2, 0xffff, s20
	s_cmp_lt_i32 s2, 5
	s_mov_b64 s[0:1], -1
	s_cbranch_scc1 .LBB76_1807
; %bb.1787:
	s_cmp_lt_i32 s2, 8
	s_cbranch_scc1 .LBB76_1797
; %bb.1788:
	s_cmp_lt_i32 s2, 9
	s_cbranch_scc1 .LBB76_1794
; %bb.1789:
	s_cmp_gt_i32 s2, 9
	s_cbranch_scc0 .LBB76_1791
; %bb.1790:
	v_lshlrev_b32_e32 v4, 16, v3
	v_cvt_f64_f32_e32 v[13:14], v4
	v_mov_b32_e32 v15, 0
	v_mov_b32_e32 v16, v15
	s_mov_b64 s[0:1], 0
	global_store_dwordx4 v[0:1], v[13:16], off
.LBB76_1791:
	s_andn2_b64 vcc, exec, s[0:1]
	s_cbranch_vccnz .LBB76_1793
; %bb.1792:
	v_lshlrev_b32_e32 v13, 16, v3
	v_mov_b32_e32 v14, 0
	global_store_dwordx2 v[0:1], v[13:14], off
.LBB76_1793:
	s_mov_b64 s[0:1], 0
.LBB76_1794:
	s_andn2_b64 vcc, exec, s[0:1]
	s_cbranch_vccnz .LBB76_1796
; %bb.1795:
	v_lshlrev_b32_e32 v4, 16, v3
	v_cvt_f16_f32_e32 v4, v4
	global_store_dword v[0:1], v4, off
.LBB76_1796:
	s_mov_b64 s[0:1], 0
.LBB76_1797:
	s_andn2_b64 vcc, exec, s[0:1]
	s_cbranch_vccnz .LBB76_1806
; %bb.1798:
	s_cmp_lt_i32 s2, 6
	s_mov_b64 s[0:1], -1
	s_cbranch_scc1 .LBB76_1804
; %bb.1799:
	s_cmp_gt_i32 s2, 6
	s_cbranch_scc0 .LBB76_1801
; %bb.1800:
	v_lshlrev_b32_e32 v4, 16, v3
	v_cvt_f64_f32_e32 v[13:14], v4
	s_mov_b64 s[0:1], 0
	global_store_dwordx2 v[0:1], v[13:14], off
.LBB76_1801:
	s_andn2_b64 vcc, exec, s[0:1]
	s_cbranch_vccnz .LBB76_1803
; %bb.1802:
	v_lshlrev_b32_e32 v4, 16, v3
	global_store_dword v[0:1], v4, off
.LBB76_1803:
	s_mov_b64 s[0:1], 0
.LBB76_1804:
	s_andn2_b64 vcc, exec, s[0:1]
	s_cbranch_vccnz .LBB76_1806
; %bb.1805:
	v_lshlrev_b32_e32 v4, 16, v3
	v_cvt_f16_f32_e32 v4, v4
	global_store_short v[0:1], v4, off
.LBB76_1806:
	s_mov_b64 s[0:1], 0
.LBB76_1807:
	s_andn2_b64 vcc, exec, s[0:1]
	s_cbranch_vccnz .LBB76_1823
; %bb.1808:
	s_cmp_lt_i32 s2, 2
	s_mov_b64 s[0:1], -1
	s_cbranch_scc1 .LBB76_1818
; %bb.1809:
	s_cmp_lt_i32 s2, 3
	s_cbranch_scc1 .LBB76_1815
; %bb.1810:
	s_cmp_gt_i32 s2, 3
	s_cbranch_scc0 .LBB76_1812
; %bb.1811:
	v_lshlrev_b32_e32 v4, 16, v3
	v_trunc_f32_e32 v4, v4
	s_mov_b32 s0, 0x2f800000
	v_mul_f32_e64 v8, |v4|, s0
	v_floor_f32_e32 v8, v8
	s_mov_b32 s0, 0xcf800000
	v_cvt_u32_f32_e32 v10, v8
	v_fma_f32 v8, v8, s0, |v4|
	v_cvt_u32_f32_e32 v8, v8
	v_ashrrev_i32_e32 v4, 31, v4
	v_xor_b32_e32 v10, v10, v4
	s_mov_b64 s[0:1], 0
	v_xor_b32_e32 v8, v8, v4
	v_sub_co_u32_e32 v13, vcc, v8, v4
	v_subb_co_u32_e32 v14, vcc, v10, v4, vcc
	global_store_dwordx2 v[0:1], v[13:14], off
.LBB76_1812:
	s_andn2_b64 vcc, exec, s[0:1]
	s_cbranch_vccnz .LBB76_1814
; %bb.1813:
	v_lshlrev_b32_e32 v4, 16, v3
	v_cvt_i32_f32_e32 v4, v4
	global_store_dword v[0:1], v4, off
.LBB76_1814:
	s_mov_b64 s[0:1], 0
.LBB76_1815:
	s_andn2_b64 vcc, exec, s[0:1]
	s_cbranch_vccnz .LBB76_1817
; %bb.1816:
	v_lshlrev_b32_e32 v4, 16, v3
	v_cvt_i32_f32_e32 v4, v4
	global_store_short v[0:1], v4, off
.LBB76_1817:
	s_mov_b64 s[0:1], 0
.LBB76_1818:
	s_andn2_b64 vcc, exec, s[0:1]
	s_cbranch_vccnz .LBB76_1823
; %bb.1819:
	s_mov_b64 s[0:1], -1
	s_cmp_gt_i32 s2, 0
	v_lshlrev_b32_e32 v3, 16, v3
	s_cbranch_scc0 .LBB76_1821
; %bb.1820:
	v_cvt_i32_f32_e32 v4, v3
	s_mov_b64 s[0:1], 0
	global_store_byte v[0:1], v4, off
.LBB76_1821:
	s_andn2_b64 vcc, exec, s[0:1]
	s_cbranch_vccnz .LBB76_1823
; %bb.1822:
	v_trunc_f32_e32 v3, v3
	s_mov_b32 s0, 0x2f800000
	v_mul_f32_e64 v4, |v3|, s0
	v_floor_f32_e32 v4, v4
	s_mov_b32 s0, 0xcf800000
	v_fma_f32 v4, v4, s0, |v3|
	v_cvt_u32_f32_e32 v4, v4
	v_ashrrev_i32_e32 v3, 31, v3
	v_xor_b32_e32 v4, v4, v3
	v_sub_u32_e32 v3, v4, v3
	global_store_byte v[0:1], v3, off
.LBB76_1823:
	s_mov_b64 s[4:5], -1
.LBB76_1824:
	s_andn2_b64 vcc, exec, s[4:5]
	s_cbranch_vccnz .LBB76_2020
; %bb.1825:
	v_mul_f32_e32 v0, v5, v5
	v_div_scale_f32 v4, s[0:1], v0, v0, 1.0
	v_add_f32_e32 v3, 1.0, v5
	v_mul_f32_e32 v1, v3, v3
	v_div_scale_f32 v8, s[0:1], v1, v1, 1.0
	v_div_scale_f32 v5, vcc, 1.0, v0, 1.0
	v_div_scale_f32 v10, s[0:1], 1.0, v1, 1.0
	v_add_f32_e32 v13, 1.0, v3
	v_mul_f32_e32 v3, v13, v13
	v_div_scale_f32 v16, s[2:3], v3, v3, 1.0
	v_add_f32_e32 v13, 1.0, v13
	v_add_f32_e32 v21, 1.0, v13
	v_rcp_f32_e32 v14, v4
	v_add_u32_e32 v2, s16, v2
	s_cmp_lt_i32 s20, 11
	v_rcp_f32_e32 v15, v8
	v_fma_f32 v17, -v4, v14, 1.0
	v_fmac_f32_e32 v14, v17, v14
	v_mul_f32_e32 v18, v5, v14
	v_fma_f32 v17, -v8, v15, 1.0
	v_fmac_f32_e32 v15, v17, v15
	v_fma_f32 v17, -v4, v18, v5
	v_fmac_f32_e32 v18, v17, v14
	v_fma_f32 v4, -v4, v18, v5
	v_mul_f32_e32 v19, v10, v15
	v_div_fmas_f32 v4, v4, v14, v18
	v_div_scale_f32 v14, s[2:3], 1.0, v3, 1.0
	v_fma_f32 v5, -v8, v19, v10
	v_fmac_f32_e32 v19, v5, v15
	v_mul_f32_e32 v5, v13, v13
	v_div_scale_f32 v17, s[4:5], v5, v5, 1.0
	v_div_scale_f32 v20, s[4:5], 1.0, v5, 1.0
	v_rcp_f32_e32 v18, v16
	v_fma_f32 v10, -v8, v19, v10
	v_mul_f32_e32 v8, v21, v21
	v_div_scale_f32 v22, s[10:11], v8, v8, 1.0
	v_fma_f32 v13, -v16, v18, 1.0
	v_fmac_f32_e32 v18, v13, v18
	s_mov_b64 vcc, s[0:1]
	v_mul_f32_e32 v13, v14, v18
	v_div_fmas_f32 v10, v10, v15, v19
	v_fma_f32 v15, -v16, v13, v14
	v_fmac_f32_e32 v13, v15, v18
	v_rcp_f32_e32 v15, v17
	v_fma_f32 v14, -v16, v13, v14
	s_mov_b64 vcc, s[2:3]
	v_div_fmas_f32 v13, v14, v18, v13
	v_div_scale_f32 v18, s[0:1], 1.0, v8, 1.0
	v_add_f32_e32 v19, 1.0, v21
	v_mul_f32_e32 v21, v19, v19
	v_fma_f32 v14, -v17, v15, 1.0
	v_div_scale_f32 v23, s[2:3], v21, v21, 1.0
	v_fmac_f32_e32 v15, v14, v15
	v_mul_f32_e32 v14, v20, v15
	v_fma_f32 v16, -v17, v14, v20
	v_fmac_f32_e32 v14, v16, v15
	v_fma_f32 v17, -v17, v14, v20
	s_mov_b64 vcc, s[4:5]
	v_div_fmas_f32 v14, v17, v15, v14
	v_div_scale_f32 v17, s[2:3], 1.0, v21, 1.0
	v_rcp_f32_e32 v16, v22
	v_add_f32_e32 v19, 1.0, v19
	v_mul_f32_e32 v20, v19, v19
	v_div_scale_f32 v24, s[4:5], v20, v20, 1.0
	v_fma_f32 v15, -v22, v16, 1.0
	v_fmac_f32_e32 v16, v15, v16
	v_mul_f32_e32 v15, v18, v16
	v_fma_f32 v25, -v22, v15, v18
	v_fmac_f32_e32 v15, v25, v16
	v_div_scale_f32 v25, s[4:5], 1.0, v20, 1.0
	v_fma_f32 v18, -v22, v15, v18
	v_rcp_f32_e32 v22, v23
	s_mov_b64 vcc, s[0:1]
	v_div_fmas_f32 v15, v18, v16, v15
	s_mov_b64 vcc, s[2:3]
	v_fma_f32 v16, -v23, v22, 1.0
	v_fmac_f32_e32 v22, v16, v22
	v_mul_f32_e32 v16, v17, v22
	v_fma_f32 v18, -v23, v16, v17
	v_fmac_f32_e32 v16, v18, v22
	v_rcp_f32_e32 v18, v24
	v_fma_f32 v17, -v23, v16, v17
	v_div_fmas_f32 v16, v17, v22, v16
	v_add_f32_e32 v22, v19, v19
	v_div_scale_f32 v23, s[0:1], v22, v22, 1.0
	v_fma_f32 v17, -v24, v18, 1.0
	v_fmac_f32_e32 v18, v17, v18
	v_mul_f32_e32 v17, v25, v18
	v_fma_f32 v26, -v24, v17, v25
	v_fmac_f32_e32 v17, v26, v18
	v_div_scale_f32 v26, s[0:1], 1.0, v22, 1.0
	v_fma_f32 v24, -v24, v17, v25
	s_mov_b64 vcc, s[4:5]
	v_div_fmas_f32 v17, v24, v18, v17
	s_mov_b64 vcc, s[0:1]
	s_mov_b32 s0, 0x3e2aaaab
	v_div_fixup_f32 v0, v4, v0, 1.0
	v_add_f32_e32 v0, v7, v0
	v_rcp_f32_e32 v25, v23
	v_div_fixup_f32 v1, v10, v1, 1.0
	v_add_f32_e32 v0, v0, v1
	v_div_fixup_f32 v1, v13, v3, 1.0
	v_fma_f32 v18, -v23, v25, 1.0
	v_fmac_f32_e32 v25, v18, v25
	v_add_f32_e32 v0, v0, v1
	v_mul_f32_e32 v18, v26, v25
	v_fma_f32 v24, -v23, v18, v26
	v_fmac_f32_e32 v18, v24, v25
	v_fma_f32 v23, -v23, v18, v26
	v_div_fmas_f32 v18, v23, v25, v18
	v_div_fixup_f32 v17, v17, v20, 1.0
	v_mov_b32_e32 v20, 0x3d088889
	v_fmac_f32_e32 v20, 0xbcc30c31, v17
	v_fma_f32 v20, -v17, v20, s0
	v_div_fixup_f32 v1, v14, v5, 1.0
	v_add_f32_e32 v0, v0, v1
	v_div_fixup_f32 v1, v15, v8, 1.0
	v_add_f32_e32 v0, v0, v1
	v_div_fixup_f32 v1, v16, v21, 1.0
	v_add_f32_e32 v0, v0, v1
	v_mov_b32_e32 v4, s9
	v_div_fixup_f32 v18, v18, v22, 1.0
	v_add_f32_e32 v18, 1.0, v18
	v_fmac_f32_e32 v18, v17, v20
	v_div_scale_f32 v17, s[0:1], v19, v19, v18
	v_div_scale_f32 v20, vcc, v18, v19, v18
	s_movk_i32 s0, 0x7fff
	v_rcp_f32_e32 v22, v17
	v_fma_f32 v23, -v17, v22, 1.0
	v_fmac_f32_e32 v22, v23, v22
	v_mul_f32_e32 v23, v20, v22
	v_fma_f32 v24, -v17, v23, v20
	v_fmac_f32_e32 v23, v24, v22
	v_fma_f32 v17, -v17, v23, v20
	v_div_fmas_f32 v17, v17, v22, v23
	v_div_fixup_f32 v1, v17, v19, v18
	v_add_f32_e32 v0, v0, v1
	v_mul_f32_e32 v0, v6, v0
	v_bfe_u32 v1, v0, 16, 1
	v_add3_u32 v1, v0, v1, s0
	v_cmp_o_f32_e32 vcc, v0, v0
	v_mov_b32_e32 v0, 0x7fc0
	v_cndmask_b32_sdwa v3, v0, v1, vcc dst_sel:DWORD dst_unused:UNUSED_PAD src0_sel:DWORD src1_sel:WORD_1
	v_ashrrev_i32_e32 v1, 31, v2
	v_add_co_u32_e32 v0, vcc, s8, v2
	v_addc_co_u32_e32 v1, vcc, v4, v1, vcc
	s_cbranch_scc1 .LBB76_1903
; %bb.1826:
	s_and_b32 s17, 0xffff, s20
	s_mov_b64 s[10:11], -1
	s_mov_b64 s[2:3], 0
	s_cmp_gt_i32 s17, 25
	s_mov_b64 s[4:5], 0
	s_mov_b64 s[0:1], 0
	s_cbranch_scc0 .LBB76_1859
; %bb.1827:
	s_cmp_gt_i32 s17, 28
	s_cbranch_scc0 .LBB76_1842
; %bb.1828:
	s_cmp_gt_i32 s17, 43
	;; [unrolled: 3-line block ×3, first 2 shown]
	s_cbranch_scc0 .LBB76_1832
; %bb.1830:
	s_mov_b64 s[0:1], -1
	s_mov_b64 s[10:11], 0
	s_cmp_eq_u32 s17, 46
	s_cbranch_scc0 .LBB76_1832
; %bb.1831:
	v_and_b32_e32 v4, 0xffff, v3
	global_store_dword v[0:1], v4, off
	s_mov_b64 s[0:1], 0
	s_mov_b64 s[4:5], -1
.LBB76_1832:
	s_and_b64 vcc, exec, s[10:11]
	s_cbranch_vccz .LBB76_1837
; %bb.1833:
	s_cmp_eq_u32 s17, 44
	s_mov_b64 s[0:1], -1
	s_cbranch_scc0 .LBB76_1837
; %bb.1834:
	v_and_b32_e32 v5, 0xffff, v3
	v_bfe_u32 v4, v5, 7, 8
	s_movk_i32 s0, 0xff
	v_cmp_ne_u32_e32 vcc, s0, v4
	v_mov_b32_e32 v6, 0xff
	s_and_saveexec_b64 s[4:5], vcc
	s_cbranch_execz .LBB76_1836
; %bb.1835:
	v_lshlrev_b32_e32 v7, 16, v5
	s_mov_b32 s0, 0x3f0000
	v_lshrrev_b32_e32 v6, 7, v5
	v_and_b32_e32 v5, 64, v5
	v_and_or_b32 v4, v7, s0, v4
	v_cmp_ne_u32_e32 vcc, 0, v5
	v_cmp_ne_u32_e64 s[0:1], 0, v4
	s_and_b64 s[0:1], vcc, s[0:1]
	v_cndmask_b32_e64 v4, 0, 1, s[0:1]
	v_add_u32_e32 v6, v6, v4
.LBB76_1836:
	s_or_b64 exec, exec, s[4:5]
	s_mov_b64 s[0:1], 0
	s_mov_b64 s[4:5], -1
	global_store_byte v[0:1], v6, off
.LBB76_1837:
	s_mov_b64 s[10:11], 0
.LBB76_1838:
	s_and_b64 vcc, exec, s[10:11]
	s_cbranch_vccz .LBB76_1841
; %bb.1839:
	s_cmp_eq_u32 s17, 29
	s_mov_b64 s[0:1], -1
	s_cbranch_scc0 .LBB76_1841
; %bb.1840:
	v_lshlrev_b32_e32 v4, 16, v3
	v_trunc_f32_e32 v4, v4
	v_mul_f32_e32 v5, 0x2f800000, v4
	v_floor_f32_e32 v6, v5
	v_fmac_f32_e32 v4, 0xcf800000, v6
	v_cvt_u32_f32_e32 v5, v6
	v_cvt_u32_f32_e32 v4, v4
	s_mov_b64 s[0:1], 0
	s_mov_b64 s[4:5], -1
	global_store_dwordx2 v[0:1], v[4:5], off
.LBB76_1841:
	s_mov_b64 s[10:11], 0
.LBB76_1842:
	s_and_b64 vcc, exec, s[10:11]
	s_cbranch_vccz .LBB76_1858
; %bb.1843:
	s_cmp_lt_i32 s17, 27
	s_mov_b64 s[4:5], -1
	s_cbranch_scc1 .LBB76_1849
; %bb.1844:
	s_cmp_gt_i32 s17, 27
	s_cbranch_scc0 .LBB76_1846
; %bb.1845:
	v_lshlrev_b32_e32 v4, 16, v3
	v_cvt_u32_f32_e32 v4, v4
	s_mov_b64 s[4:5], 0
	global_store_dword v[0:1], v4, off
.LBB76_1846:
	s_andn2_b64 vcc, exec, s[4:5]
	s_cbranch_vccnz .LBB76_1848
; %bb.1847:
	v_lshlrev_b32_e32 v4, 16, v3
	v_cvt_u32_f32_e32 v4, v4
	global_store_short v[0:1], v4, off
.LBB76_1848:
	s_mov_b64 s[4:5], 0
.LBB76_1849:
	s_andn2_b64 vcc, exec, s[4:5]
	s_cbranch_vccnz .LBB76_1857
; %bb.1850:
	v_lshlrev_b32_e32 v6, 16, v3
	v_and_b32_e32 v5, 0x7fffffff, v6
	s_mov_b32 s4, 0x43800000
	v_cmp_gt_u32_e32 vcc, s4, v5
	v_mov_b32_e32 v7, 0x80
	s_and_saveexec_b64 s[4:5], vcc
	s_cbranch_execz .LBB76_1856
; %bb.1851:
	s_mov_b32 s10, 0x3bffffff
	v_and_b32_e32 v4, 0xffff, v3
	v_cmp_lt_u32_e32 vcc, s10, v5
	s_mov_b64 s[10:11], 0
                                        ; implicit-def: $vgpr5
	s_and_saveexec_b64 s[12:13], vcc
	s_xor_b64 s[12:13], exec, s[12:13]
	s_cbranch_execz .LBB76_2077
; %bb.1852:
	v_bfe_u32 v5, v4, 4, 1
	s_mov_b32 s21, 0x487ffff
	v_add3_u32 v5, v6, v5, s21
	s_mov_b64 s[10:11], exec
	v_lshrrev_b32_e32 v5, 20, v5
                                        ; implicit-def: $vgpr6
	s_andn2_saveexec_b64 s[12:13], s[12:13]
	s_cbranch_execnz .LBB76_2078
.LBB76_1853:
	s_or_b64 exec, exec, s[12:13]
	v_mov_b32_e32 v7, 0
	s_and_saveexec_b64 s[12:13], s[10:11]
.LBB76_1854:
	v_lshrrev_b32_e32 v4, 8, v4
	s_movk_i32 s10, 0x80
	v_and_or_b32 v7, v4, s10, v5
.LBB76_1855:
	s_or_b64 exec, exec, s[12:13]
.LBB76_1856:
	s_or_b64 exec, exec, s[4:5]
	global_store_byte v[0:1], v7, off
.LBB76_1857:
	s_mov_b64 s[4:5], -1
.LBB76_1858:
	s_mov_b64 s[10:11], 0
.LBB76_1859:
	s_and_b64 vcc, exec, s[10:11]
	s_cbranch_vccz .LBB76_1899
; %bb.1860:
	s_cmp_gt_i32 s17, 22
	s_mov_b64 s[2:3], -1
	s_cbranch_scc0 .LBB76_1892
; %bb.1861:
	s_cmp_lt_i32 s17, 24
	s_cbranch_scc1 .LBB76_1881
; %bb.1862:
	s_cmp_gt_i32 s17, 24
	s_cbranch_scc0 .LBB76_1870
; %bb.1863:
	v_lshlrev_b32_e32 v6, 16, v3
	v_and_b32_e32 v5, 0x7fffffff, v6
	s_mov_b32 s2, 0x47800000
	v_cmp_gt_u32_e32 vcc, s2, v5
	v_mov_b32_e32 v7, 0x80
	s_and_saveexec_b64 s[2:3], vcc
	s_cbranch_execz .LBB76_1869
; %bb.1864:
	s_mov_b32 s4, 0x37ffffff
	v_and_b32_e32 v4, 0xffff, v3
	v_cmp_lt_u32_e32 vcc, s4, v5
	s_mov_b64 s[4:5], 0
                                        ; implicit-def: $vgpr5
	s_and_saveexec_b64 s[10:11], vcc
	s_xor_b64 s[10:11], exec, s[10:11]
	s_cbranch_execz .LBB76_2080
; %bb.1865:
	v_bfe_u32 v5, v4, 5, 1
	s_mov_b32 s12, 0x88fffff
	v_add3_u32 v5, v6, v5, s12
	s_mov_b64 s[4:5], exec
	v_lshrrev_b32_e32 v5, 21, v5
                                        ; implicit-def: $vgpr6
	s_andn2_saveexec_b64 s[10:11], s[10:11]
	s_cbranch_execnz .LBB76_2081
.LBB76_1866:
	s_or_b64 exec, exec, s[10:11]
	v_mov_b32_e32 v7, 0
	s_and_saveexec_b64 s[10:11], s[4:5]
.LBB76_1867:
	v_lshrrev_b32_e32 v4, 8, v4
	s_movk_i32 s4, 0x80
	v_and_or_b32 v7, v4, s4, v5
.LBB76_1868:
	s_or_b64 exec, exec, s[10:11]
.LBB76_1869:
	s_or_b64 exec, exec, s[2:3]
	s_mov_b64 s[2:3], 0
	global_store_byte v[0:1], v7, off
.LBB76_1870:
	s_and_b64 vcc, exec, s[2:3]
	s_cbranch_vccz .LBB76_1880
; %bb.1871:
	v_lshlrev_b32_e32 v6, 16, v3
	v_and_b32_e32 v7, 0x7fffffff, v6
	s_mov_b32 s2, 0x43f00000
	v_and_b32_e32 v4, 0xffff, v3
	v_cmp_gt_u32_e32 vcc, s2, v7
                                        ; implicit-def: $vgpr5
	s_and_saveexec_b64 s[2:3], vcc
	s_xor_b64 s[2:3], exec, s[2:3]
	s_cbranch_execz .LBB76_1877
; %bb.1872:
	s_mov_b32 s4, 0x3c7fffff
	v_cmp_lt_u32_e32 vcc, s4, v7
                                        ; implicit-def: $vgpr5
	s_and_saveexec_b64 s[4:5], vcc
	s_xor_b64 s[4:5], exec, s[4:5]
; %bb.1873:
	v_bfe_u32 v5, v4, 4, 1
	s_mov_b32 s10, 0x407ffff
	v_add3_u32 v5, v6, v5, s10
	v_lshrrev_b32_e32 v6, 20, v5
	v_and_b32_e32 v5, 0xff00000, v5
	s_mov_b32 s10, 0x7f00000
	v_mov_b32_e32 v7, 0x7e
	v_cmp_ne_u32_e32 vcc, s10, v5
	v_cndmask_b32_e32 v5, v7, v6, vcc
                                        ; implicit-def: $vgpr6
; %bb.1874:
	s_andn2_saveexec_b64 s[4:5], s[4:5]
; %bb.1875:
	s_mov_b32 s10, 0x46800000
	v_add_f32_e64 v5, |v6|, s10
; %bb.1876:
	s_or_b64 exec, exec, s[4:5]
                                        ; implicit-def: $vgpr7
.LBB76_1877:
	s_andn2_saveexec_b64 s[2:3], s[2:3]
; %bb.1878:
	s_mov_b32 s4, 0x7f800000
	v_mov_b32_e32 v5, 0x7e
	v_mov_b32_e32 v6, 0x7f
	v_cmp_lt_u32_e32 vcc, s4, v7
	v_cndmask_b32_e32 v5, v5, v6, vcc
; %bb.1879:
	s_or_b64 exec, exec, s[2:3]
	v_lshrrev_b32_e32 v4, 8, v4
	s_movk_i32 s2, 0x80
	v_and_or_b32 v4, v4, s2, v5
	global_store_byte v[0:1], v4, off
.LBB76_1880:
	s_mov_b64 s[2:3], 0
.LBB76_1881:
	s_andn2_b64 vcc, exec, s[2:3]
	s_cbranch_vccnz .LBB76_1891
; %bb.1882:
	v_lshlrev_b32_e32 v6, 16, v3
	v_and_b32_e32 v7, 0x7fffffff, v6
	s_mov_b32 s2, 0x47800000
	v_and_b32_e32 v4, 0xffff, v3
	v_cmp_gt_u32_e32 vcc, s2, v7
                                        ; implicit-def: $vgpr5
	s_and_saveexec_b64 s[2:3], vcc
	s_xor_b64 s[2:3], exec, s[2:3]
	s_cbranch_execz .LBB76_1888
; %bb.1883:
	s_mov_b32 s4, 0x387fffff
	v_cmp_lt_u32_e32 vcc, s4, v7
                                        ; implicit-def: $vgpr5
	s_and_saveexec_b64 s[4:5], vcc
	s_xor_b64 s[4:5], exec, s[4:5]
; %bb.1884:
	v_bfe_u32 v5, v4, 5, 1
	s_mov_b32 s10, 0x80fffff
	v_add3_u32 v5, v6, v5, s10
	v_lshrrev_b32_e32 v5, 21, v5
                                        ; implicit-def: $vgpr6
; %bb.1885:
	s_andn2_saveexec_b64 s[4:5], s[4:5]
; %bb.1886:
	s_mov_b32 s10, 0x43000000
	v_add_f32_e64 v5, |v6|, s10
; %bb.1887:
	s_or_b64 exec, exec, s[4:5]
                                        ; implicit-def: $vgpr7
.LBB76_1888:
	s_andn2_saveexec_b64 s[2:3], s[2:3]
; %bb.1889:
	s_mov_b32 s4, 0x7f800000
	v_mov_b32_e32 v5, 0x7c
	v_mov_b32_e32 v6, 0x7f
	v_cmp_lt_u32_e32 vcc, s4, v7
	v_cndmask_b32_e32 v5, v5, v6, vcc
; %bb.1890:
	s_or_b64 exec, exec, s[2:3]
	v_lshrrev_b32_e32 v4, 8, v4
	s_movk_i32 s2, 0x80
	v_and_or_b32 v4, v4, s2, v5
	global_store_byte v[0:1], v4, off
.LBB76_1891:
	s_mov_b64 s[2:3], 0
	s_mov_b64 s[4:5], -1
.LBB76_1892:
	s_andn2_b64 vcc, exec, s[2:3]
	s_mov_b64 s[2:3], 0
	s_cbranch_vccnz .LBB76_1899
; %bb.1893:
	s_cmp_gt_i32 s17, 14
	s_mov_b64 s[10:11], -1
	s_cbranch_scc0 .LBB76_1897
; %bb.1894:
	s_cmp_eq_u32 s17, 15
	s_mov_b64 s[0:1], -1
	s_cbranch_scc0 .LBB76_1896
; %bb.1895:
	global_store_short v[0:1], v3, off
	s_mov_b64 s[0:1], 0
	s_mov_b64 s[4:5], -1
.LBB76_1896:
	s_mov_b64 s[10:11], 0
.LBB76_1897:
	s_and_b64 vcc, exec, s[10:11]
	s_cbranch_vccz .LBB76_1899
; %bb.1898:
	s_cmp_lg_u32 s17, 11
	s_mov_b64 s[2:3], -1
	s_cselect_b64 s[0:1], -1, 0
.LBB76_1899:
	s_and_b64 vcc, exec, s[0:1]
	s_cbranch_vccnz .LBB76_2079
; %bb.1900:
	s_andn2_b64 vcc, exec, s[2:3]
	s_cbranch_vccnz .LBB76_1902
.LBB76_1901:
	v_and_b32_e32 v4, 0x7fff, v3
	v_cmp_ne_u16_e32 vcc, 0, v4
	v_cndmask_b32_e64 v4, 0, 1, vcc
	s_mov_b64 s[4:5], -1
	global_store_byte v[0:1], v4, off
.LBB76_1902:
	s_mov_b64 s[0:1], 0
	s_branch .LBB76_1904
.LBB76_1903:
	s_mov_b64 s[0:1], -1
	s_mov_b64 s[4:5], 0
.LBB76_1904:
	s_and_b64 vcc, exec, s[0:1]
	s_cbranch_vccz .LBB76_1943
; %bb.1905:
	s_and_b32 s2, 0xffff, s20
	s_cmp_lt_i32 s2, 5
	s_mov_b64 s[0:1], -1
	s_cbranch_scc1 .LBB76_1926
; %bb.1906:
	s_cmp_lt_i32 s2, 8
	s_cbranch_scc1 .LBB76_1916
; %bb.1907:
	s_cmp_lt_i32 s2, 9
	s_cbranch_scc1 .LBB76_1913
; %bb.1908:
	s_cmp_gt_i32 s2, 9
	s_cbranch_scc0 .LBB76_1910
; %bb.1909:
	v_lshlrev_b32_e32 v4, 16, v3
	v_cvt_f64_f32_e32 v[4:5], v4
	v_mov_b32_e32 v6, 0
	v_mov_b32_e32 v7, v6
	s_mov_b64 s[0:1], 0
	global_store_dwordx4 v[0:1], v[4:7], off
.LBB76_1910:
	s_andn2_b64 vcc, exec, s[0:1]
	s_cbranch_vccnz .LBB76_1912
; %bb.1911:
	v_lshlrev_b32_e32 v4, 16, v3
	v_mov_b32_e32 v5, 0
	global_store_dwordx2 v[0:1], v[4:5], off
.LBB76_1912:
	s_mov_b64 s[0:1], 0
.LBB76_1913:
	s_andn2_b64 vcc, exec, s[0:1]
	s_cbranch_vccnz .LBB76_1915
; %bb.1914:
	v_lshlrev_b32_e32 v4, 16, v3
	v_cvt_f16_f32_e32 v4, v4
	global_store_dword v[0:1], v4, off
.LBB76_1915:
	s_mov_b64 s[0:1], 0
.LBB76_1916:
	s_andn2_b64 vcc, exec, s[0:1]
	s_cbranch_vccnz .LBB76_1925
; %bb.1917:
	s_cmp_lt_i32 s2, 6
	s_mov_b64 s[0:1], -1
	s_cbranch_scc1 .LBB76_1923
; %bb.1918:
	s_cmp_gt_i32 s2, 6
	s_cbranch_scc0 .LBB76_1920
; %bb.1919:
	v_lshlrev_b32_e32 v4, 16, v3
	v_cvt_f64_f32_e32 v[4:5], v4
	s_mov_b64 s[0:1], 0
	global_store_dwordx2 v[0:1], v[4:5], off
.LBB76_1920:
	s_andn2_b64 vcc, exec, s[0:1]
	s_cbranch_vccnz .LBB76_1922
; %bb.1921:
	v_lshlrev_b32_e32 v4, 16, v3
	global_store_dword v[0:1], v4, off
.LBB76_1922:
	s_mov_b64 s[0:1], 0
.LBB76_1923:
	s_andn2_b64 vcc, exec, s[0:1]
	s_cbranch_vccnz .LBB76_1925
; %bb.1924:
	v_lshlrev_b32_e32 v4, 16, v3
	v_cvt_f16_f32_e32 v4, v4
	global_store_short v[0:1], v4, off
.LBB76_1925:
	s_mov_b64 s[0:1], 0
.LBB76_1926:
	s_andn2_b64 vcc, exec, s[0:1]
	s_cbranch_vccnz .LBB76_1942
; %bb.1927:
	s_cmp_lt_i32 s2, 2
	s_mov_b64 s[0:1], -1
	s_cbranch_scc1 .LBB76_1937
; %bb.1928:
	s_cmp_lt_i32 s2, 3
	s_cbranch_scc1 .LBB76_1934
; %bb.1929:
	s_cmp_gt_i32 s2, 3
	s_cbranch_scc0 .LBB76_1931
; %bb.1930:
	v_lshlrev_b32_e32 v4, 16, v3
	v_trunc_f32_e32 v4, v4
	s_mov_b32 s0, 0x2f800000
	v_mul_f32_e64 v5, |v4|, s0
	v_floor_f32_e32 v5, v5
	s_mov_b32 s0, 0xcf800000
	v_cvt_u32_f32_e32 v6, v5
	v_fma_f32 v5, v5, s0, |v4|
	v_cvt_u32_f32_e32 v5, v5
	v_ashrrev_i32_e32 v7, 31, v4
	v_xor_b32_e32 v6, v6, v7
	s_mov_b64 s[0:1], 0
	v_xor_b32_e32 v4, v5, v7
	v_sub_co_u32_e32 v4, vcc, v4, v7
	v_subb_co_u32_e32 v5, vcc, v6, v7, vcc
	global_store_dwordx2 v[0:1], v[4:5], off
.LBB76_1931:
	s_andn2_b64 vcc, exec, s[0:1]
	s_cbranch_vccnz .LBB76_1933
; %bb.1932:
	v_lshlrev_b32_e32 v4, 16, v3
	v_cvt_i32_f32_e32 v4, v4
	global_store_dword v[0:1], v4, off
.LBB76_1933:
	s_mov_b64 s[0:1], 0
.LBB76_1934:
	s_andn2_b64 vcc, exec, s[0:1]
	s_cbranch_vccnz .LBB76_1936
; %bb.1935:
	v_lshlrev_b32_e32 v4, 16, v3
	v_cvt_i32_f32_e32 v4, v4
	global_store_short v[0:1], v4, off
.LBB76_1936:
	s_mov_b64 s[0:1], 0
.LBB76_1937:
	s_andn2_b64 vcc, exec, s[0:1]
	s_cbranch_vccnz .LBB76_1942
; %bb.1938:
	s_mov_b64 s[0:1], -1
	s_cmp_gt_i32 s2, 0
	v_lshlrev_b32_e32 v3, 16, v3
	s_cbranch_scc0 .LBB76_1940
; %bb.1939:
	v_cvt_i32_f32_e32 v4, v3
	s_mov_b64 s[0:1], 0
	global_store_byte v[0:1], v4, off
.LBB76_1940:
	s_andn2_b64 vcc, exec, s[0:1]
	s_cbranch_vccnz .LBB76_1942
; %bb.1941:
	v_trunc_f32_e32 v3, v3
	s_mov_b32 s0, 0x2f800000
	v_mul_f32_e64 v4, |v3|, s0
	v_floor_f32_e32 v4, v4
	s_mov_b32 s0, 0xcf800000
	v_fma_f32 v4, v4, s0, |v3|
	v_cvt_u32_f32_e32 v4, v4
	v_ashrrev_i32_e32 v3, 31, v3
	v_xor_b32_e32 v4, v4, v3
	v_sub_u32_e32 v3, v4, v3
	global_store_byte v[0:1], v3, off
.LBB76_1942:
	s_mov_b64 s[4:5], -1
.LBB76_1943:
	s_andn2_b64 vcc, exec, s[4:5]
	s_cbranch_vccnz .LBB76_2020
; %bb.1944:
	v_mul_f32_e32 v0, v9, v9
	v_div_scale_f32 v4, s[0:1], v0, v0, 1.0
	v_add_f32_e32 v3, 1.0, v9
	v_mul_f32_e32 v1, v3, v3
	v_div_scale_f32 v6, s[0:1], v1, v1, 1.0
	v_div_scale_f32 v5, vcc, 1.0, v0, 1.0
	v_div_scale_f32 v7, s[0:1], 1.0, v1, 1.0
	v_add_f32_e32 v8, 1.0, v3
	v_mul_f32_e32 v3, v8, v8
	v_div_scale_f32 v13, s[2:3], v3, v3, 1.0
	v_add_f32_e32 v8, 1.0, v8
	v_add_f32_e32 v18, 1.0, v8
	v_rcp_f32_e32 v9, v4
	s_cmp_lt_i32 s20, 11
	v_rcp_f32_e32 v10, v6
	v_fma_f32 v14, -v4, v9, 1.0
	v_fmac_f32_e32 v9, v14, v9
	v_mul_f32_e32 v15, v5, v9
	v_fma_f32 v14, -v6, v10, 1.0
	v_fmac_f32_e32 v10, v14, v10
	v_fma_f32 v14, -v4, v15, v5
	v_fmac_f32_e32 v15, v14, v9
	v_fma_f32 v4, -v4, v15, v5
	v_mul_f32_e32 v16, v7, v10
	v_div_fmas_f32 v4, v4, v9, v15
	v_div_scale_f32 v9, s[2:3], 1.0, v3, 1.0
	v_fma_f32 v5, -v6, v16, v7
	v_fmac_f32_e32 v16, v5, v10
	v_mul_f32_e32 v5, v8, v8
	v_div_scale_f32 v14, s[4:5], v5, v5, 1.0
	v_div_scale_f32 v17, s[4:5], 1.0, v5, 1.0
	v_rcp_f32_e32 v15, v13
	v_fma_f32 v7, -v6, v16, v7
	v_mul_f32_e32 v6, v18, v18
	v_div_scale_f32 v19, s[10:11], v6, v6, 1.0
	v_fma_f32 v8, -v13, v15, 1.0
	v_fmac_f32_e32 v15, v8, v15
	s_mov_b64 vcc, s[0:1]
	v_mul_f32_e32 v8, v9, v15
	v_div_fmas_f32 v7, v7, v10, v16
	v_fma_f32 v10, -v13, v8, v9
	v_fmac_f32_e32 v8, v10, v15
	v_rcp_f32_e32 v10, v14
	v_fma_f32 v9, -v13, v8, v9
	s_mov_b64 vcc, s[2:3]
	v_div_fmas_f32 v8, v9, v15, v8
	v_div_scale_f32 v15, s[0:1], 1.0, v6, 1.0
	v_add_f32_e32 v16, 1.0, v18
	v_mul_f32_e32 v18, v16, v16
	v_fma_f32 v9, -v14, v10, 1.0
	v_div_scale_f32 v20, s[2:3], v18, v18, 1.0
	v_fmac_f32_e32 v10, v9, v10
	v_mul_f32_e32 v9, v17, v10
	v_fma_f32 v13, -v14, v9, v17
	v_fmac_f32_e32 v9, v13, v10
	v_fma_f32 v14, -v14, v9, v17
	s_mov_b64 vcc, s[4:5]
	v_div_fmas_f32 v9, v14, v10, v9
	v_div_scale_f32 v14, s[2:3], 1.0, v18, 1.0
	v_rcp_f32_e32 v13, v19
	v_add_f32_e32 v16, 1.0, v16
	v_mul_f32_e32 v17, v16, v16
	v_div_scale_f32 v21, s[4:5], v17, v17, 1.0
	v_fma_f32 v10, -v19, v13, 1.0
	v_fmac_f32_e32 v13, v10, v13
	v_mul_f32_e32 v10, v15, v13
	v_fma_f32 v22, -v19, v10, v15
	v_fmac_f32_e32 v10, v22, v13
	v_div_scale_f32 v22, s[4:5], 1.0, v17, 1.0
	v_fma_f32 v15, -v19, v10, v15
	v_rcp_f32_e32 v19, v20
	s_mov_b64 vcc, s[0:1]
	v_div_fmas_f32 v10, v15, v13, v10
	s_mov_b64 vcc, s[2:3]
	v_fma_f32 v13, -v20, v19, 1.0
	v_fmac_f32_e32 v19, v13, v19
	v_mul_f32_e32 v13, v14, v19
	v_fma_f32 v15, -v20, v13, v14
	v_fmac_f32_e32 v13, v15, v19
	v_rcp_f32_e32 v15, v21
	v_fma_f32 v14, -v20, v13, v14
	v_div_fmas_f32 v13, v14, v19, v13
	v_add_f32_e32 v19, v16, v16
	v_div_scale_f32 v20, s[0:1], v19, v19, 1.0
	v_fma_f32 v14, -v21, v15, 1.0
	v_fmac_f32_e32 v15, v14, v15
	v_mul_f32_e32 v14, v22, v15
	v_fma_f32 v23, -v21, v14, v22
	v_fmac_f32_e32 v14, v23, v15
	v_div_scale_f32 v23, s[0:1], 1.0, v19, 1.0
	v_fma_f32 v21, -v21, v14, v22
	s_mov_b64 vcc, s[4:5]
	v_div_fmas_f32 v14, v21, v15, v14
	s_mov_b64 vcc, s[0:1]
	s_mov_b32 s0, 0x3e2aaaab
	v_div_fixup_f32 v0, v4, v0, 1.0
	v_add_f32_e32 v0, v12, v0
	v_rcp_f32_e32 v22, v20
	v_div_fixup_f32 v1, v7, v1, 1.0
	v_add_f32_e32 v0, v0, v1
	v_div_fixup_f32 v1, v8, v3, 1.0
	v_fma_f32 v15, -v20, v22, 1.0
	v_fmac_f32_e32 v22, v15, v22
	v_add_f32_e32 v0, v0, v1
	v_mul_f32_e32 v15, v23, v22
	v_fma_f32 v21, -v20, v15, v23
	v_fmac_f32_e32 v15, v21, v22
	v_fma_f32 v20, -v20, v15, v23
	v_div_fmas_f32 v15, v20, v22, v15
	v_div_fixup_f32 v14, v14, v17, 1.0
	v_mov_b32_e32 v17, 0x3d088889
	v_fmac_f32_e32 v17, 0xbcc30c31, v14
	v_fma_f32 v17, -v14, v17, s0
	v_div_fixup_f32 v1, v9, v5, 1.0
	v_add_f32_e32 v0, v0, v1
	v_div_fixup_f32 v1, v10, v6, 1.0
	v_add_f32_e32 v0, v0, v1
	;; [unrolled: 2-line block ×3, first 2 shown]
	v_div_fixup_f32 v15, v15, v19, 1.0
	v_add_f32_e32 v15, 1.0, v15
	v_fmac_f32_e32 v15, v14, v17
	v_div_scale_f32 v14, s[0:1], v16, v16, v15
	v_div_scale_f32 v17, vcc, v15, v16, v15
	s_movk_i32 s0, 0x7fff
	v_rcp_f32_e32 v19, v14
	v_fma_f32 v20, -v14, v19, 1.0
	v_fmac_f32_e32 v19, v20, v19
	v_mul_f32_e32 v20, v17, v19
	v_fma_f32 v21, -v14, v20, v17
	v_fmac_f32_e32 v20, v21, v19
	v_fma_f32 v14, -v14, v20, v17
	v_div_fmas_f32 v14, v14, v19, v20
	v_div_fixup_f32 v1, v14, v16, v15
	v_add_f32_e32 v0, v0, v1
	v_mul_f32_e32 v0, v11, v0
	v_bfe_u32 v1, v0, 16, 1
	v_add3_u32 v1, v0, v1, s0
	v_cmp_o_f32_e32 vcc, v0, v0
	v_mov_b32_e32 v0, 0x7fc0
	v_cndmask_b32_sdwa v3, v0, v1, vcc dst_sel:DWORD dst_unused:UNUSED_PAD src0_sel:DWORD src1_sel:WORD_1
	v_add_u32_e32 v0, s16, v2
	v_ashrrev_i32_e32 v1, 31, v0
	v_mov_b32_e32 v2, s9
	v_add_co_u32_e32 v0, vcc, s8, v0
	v_addc_co_u32_e32 v1, vcc, v2, v1, vcc
	s_cbranch_scc1 .LBB76_2065
; %bb.1945:
	s_and_b32 s12, 0xffff, s20
	s_mov_b64 s[4:5], -1
	s_mov_b64 s[2:3], 0
	s_cmp_gt_i32 s12, 25
	s_mov_b64 s[0:1], 0
	s_cbranch_scc0 .LBB76_1978
; %bb.1946:
	s_cmp_gt_i32 s12, 28
	s_cbranch_scc0 .LBB76_1962
; %bb.1947:
	s_cmp_gt_i32 s12, 43
	s_cbranch_scc0 .LBB76_1958
; %bb.1948:
	s_cmp_gt_i32 s12, 45
	s_cbranch_scc0 .LBB76_1952
; %bb.1949:
	s_cmp_eq_u32 s12, 46
	s_mov_b64 s[0:1], -1
	s_cbranch_scc0 .LBB76_1951
; %bb.1950:
	v_and_b32_e32 v2, 0xffff, v3
	global_store_dword v[0:1], v2, off
	s_mov_b64 s[0:1], 0
.LBB76_1951:
	s_mov_b64 s[4:5], 0
.LBB76_1952:
	s_and_b64 vcc, exec, s[4:5]
	s_cbranch_vccz .LBB76_1957
; %bb.1953:
	s_cmp_eq_u32 s12, 44
	s_mov_b64 s[0:1], -1
	s_cbranch_scc0 .LBB76_1957
; %bb.1954:
	v_and_b32_e32 v4, 0xffff, v3
	v_bfe_u32 v2, v4, 7, 8
	s_movk_i32 s0, 0xff
	v_cmp_ne_u32_e32 vcc, s0, v2
	v_mov_b32_e32 v5, 0xff
	s_and_saveexec_b64 s[4:5], vcc
	s_cbranch_execz .LBB76_1956
; %bb.1955:
	v_lshlrev_b32_e32 v6, 16, v4
	s_mov_b32 s0, 0x3f0000
	v_lshrrev_b32_e32 v5, 7, v4
	v_and_b32_e32 v4, 64, v4
	v_and_or_b32 v2, v6, s0, v2
	v_cmp_ne_u32_e32 vcc, 0, v4
	v_cmp_ne_u32_e64 s[0:1], 0, v2
	s_and_b64 s[0:1], vcc, s[0:1]
	v_cndmask_b32_e64 v2, 0, 1, s[0:1]
	v_add_u32_e32 v5, v5, v2
.LBB76_1956:
	s_or_b64 exec, exec, s[4:5]
	s_mov_b64 s[0:1], 0
	global_store_byte v[0:1], v5, off
.LBB76_1957:
	s_mov_b64 s[4:5], 0
.LBB76_1958:
	s_and_b64 vcc, exec, s[4:5]
	s_cbranch_vccz .LBB76_1961
; %bb.1959:
	s_cmp_eq_u32 s12, 29
	s_mov_b64 s[0:1], -1
	s_cbranch_scc0 .LBB76_1961
; %bb.1960:
	v_lshlrev_b32_e32 v2, 16, v3
	v_trunc_f32_e32 v2, v2
	v_mul_f32_e32 v4, 0x2f800000, v2
	v_floor_f32_e32 v4, v4
	v_fmac_f32_e32 v2, 0xcf800000, v4
	v_cvt_u32_f32_e32 v5, v4
	v_cvt_u32_f32_e32 v4, v2
	s_mov_b64 s[0:1], 0
	global_store_dwordx2 v[0:1], v[4:5], off
.LBB76_1961:
	s_mov_b64 s[4:5], 0
.LBB76_1962:
	s_and_b64 vcc, exec, s[4:5]
	s_cbranch_vccz .LBB76_1977
; %bb.1963:
	s_cmp_lt_i32 s12, 27
	s_mov_b64 s[4:5], -1
	s_cbranch_scc1 .LBB76_1969
; %bb.1964:
	s_cmp_gt_i32 s12, 27
	s_cbranch_scc0 .LBB76_1966
; %bb.1965:
	v_lshlrev_b32_e32 v2, 16, v3
	v_cvt_u32_f32_e32 v2, v2
	s_mov_b64 s[4:5], 0
	global_store_dword v[0:1], v2, off
.LBB76_1966:
	s_andn2_b64 vcc, exec, s[4:5]
	s_cbranch_vccnz .LBB76_1968
; %bb.1967:
	v_lshlrev_b32_e32 v2, 16, v3
	v_cvt_u32_f32_e32 v2, v2
	global_store_short v[0:1], v2, off
.LBB76_1968:
	s_mov_b64 s[4:5], 0
.LBB76_1969:
	s_andn2_b64 vcc, exec, s[4:5]
	s_cbranch_vccnz .LBB76_1977
; %bb.1970:
	v_lshlrev_b32_e32 v5, 16, v3
	v_and_b32_e32 v4, 0x7fffffff, v5
	s_mov_b32 s4, 0x43800000
	v_cmp_gt_u32_e32 vcc, s4, v4
	v_mov_b32_e32 v6, 0x80
	s_and_saveexec_b64 s[4:5], vcc
	s_cbranch_execz .LBB76_1976
; %bb.1971:
	s_mov_b32 s8, 0x3bffffff
	v_and_b32_e32 v2, 0xffff, v3
	v_cmp_lt_u32_e32 vcc, s8, v4
	s_mov_b64 s[8:9], 0
                                        ; implicit-def: $vgpr4
	s_and_saveexec_b64 s[10:11], vcc
	s_xor_b64 s[10:11], exec, s[10:11]
	s_cbranch_execz .LBB76_2082
; %bb.1972:
	v_bfe_u32 v4, v2, 4, 1
	s_mov_b32 s13, 0x487ffff
	v_add3_u32 v4, v5, v4, s13
	s_mov_b64 s[8:9], exec
	v_lshrrev_b32_e32 v4, 20, v4
                                        ; implicit-def: $vgpr5
	s_andn2_saveexec_b64 s[10:11], s[10:11]
	s_cbranch_execnz .LBB76_2083
.LBB76_1973:
	s_or_b64 exec, exec, s[10:11]
	v_mov_b32_e32 v6, 0
	s_and_saveexec_b64 s[10:11], s[8:9]
.LBB76_1974:
	v_lshrrev_b32_e32 v2, 8, v2
	s_movk_i32 s8, 0x80
	v_and_or_b32 v6, v2, s8, v4
.LBB76_1975:
	s_or_b64 exec, exec, s[10:11]
.LBB76_1976:
	s_or_b64 exec, exec, s[4:5]
	global_store_byte v[0:1], v6, off
.LBB76_1977:
	s_mov_b64 s[4:5], 0
.LBB76_1978:
	s_and_b64 vcc, exec, s[4:5]
	s_cbranch_vccz .LBB76_2018
; %bb.1979:
	s_cmp_gt_i32 s12, 22
	s_mov_b64 s[2:3], -1
	s_cbranch_scc0 .LBB76_2011
; %bb.1980:
	s_cmp_lt_i32 s12, 24
	s_cbranch_scc1 .LBB76_2000
; %bb.1981:
	s_cmp_gt_i32 s12, 24
	s_cbranch_scc0 .LBB76_1989
; %bb.1982:
	v_lshlrev_b32_e32 v5, 16, v3
	v_and_b32_e32 v4, 0x7fffffff, v5
	s_mov_b32 s2, 0x47800000
	v_cmp_gt_u32_e32 vcc, s2, v4
	v_mov_b32_e32 v6, 0x80
	s_and_saveexec_b64 s[2:3], vcc
	s_cbranch_execz .LBB76_1988
; %bb.1983:
	s_mov_b32 s4, 0x37ffffff
	v_and_b32_e32 v2, 0xffff, v3
	v_cmp_lt_u32_e32 vcc, s4, v4
	s_mov_b64 s[4:5], 0
                                        ; implicit-def: $vgpr4
	s_and_saveexec_b64 s[8:9], vcc
	s_xor_b64 s[8:9], exec, s[8:9]
	s_cbranch_execz .LBB76_2085
; %bb.1984:
	v_bfe_u32 v4, v2, 5, 1
	s_mov_b32 s10, 0x88fffff
	v_add3_u32 v4, v5, v4, s10
	s_mov_b64 s[4:5], exec
	v_lshrrev_b32_e32 v4, 21, v4
                                        ; implicit-def: $vgpr5
	s_andn2_saveexec_b64 s[8:9], s[8:9]
	s_cbranch_execnz .LBB76_2086
.LBB76_1985:
	s_or_b64 exec, exec, s[8:9]
	v_mov_b32_e32 v6, 0
	s_and_saveexec_b64 s[8:9], s[4:5]
.LBB76_1986:
	v_lshrrev_b32_e32 v2, 8, v2
	s_movk_i32 s4, 0x80
	v_and_or_b32 v6, v2, s4, v4
.LBB76_1987:
	s_or_b64 exec, exec, s[8:9]
.LBB76_1988:
	s_or_b64 exec, exec, s[2:3]
	s_mov_b64 s[2:3], 0
	global_store_byte v[0:1], v6, off
.LBB76_1989:
	s_and_b64 vcc, exec, s[2:3]
	s_cbranch_vccz .LBB76_1999
; %bb.1990:
	v_lshlrev_b32_e32 v5, 16, v3
	v_and_b32_e32 v6, 0x7fffffff, v5
	s_mov_b32 s2, 0x43f00000
	v_and_b32_e32 v2, 0xffff, v3
	v_cmp_gt_u32_e32 vcc, s2, v6
                                        ; implicit-def: $vgpr4
	s_and_saveexec_b64 s[2:3], vcc
	s_xor_b64 s[2:3], exec, s[2:3]
	s_cbranch_execz .LBB76_1996
; %bb.1991:
	s_mov_b32 s4, 0x3c7fffff
	v_cmp_lt_u32_e32 vcc, s4, v6
                                        ; implicit-def: $vgpr4
	s_and_saveexec_b64 s[4:5], vcc
	s_xor_b64 s[4:5], exec, s[4:5]
; %bb.1992:
	v_bfe_u32 v4, v2, 4, 1
	s_mov_b32 s8, 0x407ffff
	v_add3_u32 v4, v5, v4, s8
	v_lshrrev_b32_e32 v5, 20, v4
	v_and_b32_e32 v4, 0xff00000, v4
	s_mov_b32 s8, 0x7f00000
	v_mov_b32_e32 v6, 0x7e
	v_cmp_ne_u32_e32 vcc, s8, v4
	v_cndmask_b32_e32 v4, v6, v5, vcc
                                        ; implicit-def: $vgpr5
; %bb.1993:
	s_andn2_saveexec_b64 s[4:5], s[4:5]
; %bb.1994:
	s_mov_b32 s8, 0x46800000
	v_add_f32_e64 v4, |v5|, s8
; %bb.1995:
	s_or_b64 exec, exec, s[4:5]
                                        ; implicit-def: $vgpr6
.LBB76_1996:
	s_andn2_saveexec_b64 s[2:3], s[2:3]
; %bb.1997:
	s_mov_b32 s4, 0x7f800000
	v_mov_b32_e32 v4, 0x7e
	v_mov_b32_e32 v5, 0x7f
	v_cmp_lt_u32_e32 vcc, s4, v6
	v_cndmask_b32_e32 v4, v4, v5, vcc
; %bb.1998:
	s_or_b64 exec, exec, s[2:3]
	v_lshrrev_b32_e32 v2, 8, v2
	s_movk_i32 s2, 0x80
	v_and_or_b32 v2, v2, s2, v4
	global_store_byte v[0:1], v2, off
.LBB76_1999:
	s_mov_b64 s[2:3], 0
.LBB76_2000:
	s_andn2_b64 vcc, exec, s[2:3]
	s_cbranch_vccnz .LBB76_2010
; %bb.2001:
	v_lshlrev_b32_e32 v5, 16, v3
	v_and_b32_e32 v6, 0x7fffffff, v5
	s_mov_b32 s2, 0x47800000
	v_and_b32_e32 v2, 0xffff, v3
	v_cmp_gt_u32_e32 vcc, s2, v6
                                        ; implicit-def: $vgpr4
	s_and_saveexec_b64 s[2:3], vcc
	s_xor_b64 s[2:3], exec, s[2:3]
	s_cbranch_execz .LBB76_2007
; %bb.2002:
	s_mov_b32 s4, 0x387fffff
	v_cmp_lt_u32_e32 vcc, s4, v6
                                        ; implicit-def: $vgpr4
	s_and_saveexec_b64 s[4:5], vcc
	s_xor_b64 s[4:5], exec, s[4:5]
; %bb.2003:
	v_bfe_u32 v4, v2, 5, 1
	s_mov_b32 s8, 0x80fffff
	v_add3_u32 v4, v5, v4, s8
	v_lshrrev_b32_e32 v4, 21, v4
                                        ; implicit-def: $vgpr5
; %bb.2004:
	s_andn2_saveexec_b64 s[4:5], s[4:5]
; %bb.2005:
	s_mov_b32 s8, 0x43000000
	v_add_f32_e64 v4, |v5|, s8
; %bb.2006:
	s_or_b64 exec, exec, s[4:5]
                                        ; implicit-def: $vgpr6
.LBB76_2007:
	s_andn2_saveexec_b64 s[2:3], s[2:3]
; %bb.2008:
	s_mov_b32 s4, 0x7f800000
	v_mov_b32_e32 v4, 0x7c
	v_mov_b32_e32 v5, 0x7f
	v_cmp_lt_u32_e32 vcc, s4, v6
	v_cndmask_b32_e32 v4, v4, v5, vcc
; %bb.2009:
	s_or_b64 exec, exec, s[2:3]
	v_lshrrev_b32_e32 v2, 8, v2
	s_movk_i32 s2, 0x80
	v_and_or_b32 v2, v2, s2, v4
	global_store_byte v[0:1], v2, off
.LBB76_2010:
	s_mov_b64 s[2:3], 0
.LBB76_2011:
	s_andn2_b64 vcc, exec, s[2:3]
	s_mov_b64 s[2:3], 0
	s_cbranch_vccnz .LBB76_2018
; %bb.2012:
	s_cmp_gt_i32 s12, 14
	s_mov_b64 s[4:5], -1
	s_cbranch_scc0 .LBB76_2016
; %bb.2013:
	s_cmp_eq_u32 s12, 15
	s_mov_b64 s[0:1], -1
	s_cbranch_scc0 .LBB76_2015
; %bb.2014:
	global_store_short v[0:1], v3, off
	s_mov_b64 s[0:1], 0
.LBB76_2015:
	s_mov_b64 s[4:5], 0
.LBB76_2016:
	s_and_b64 vcc, exec, s[4:5]
	s_cbranch_vccz .LBB76_2018
; %bb.2017:
	s_cmp_lg_u32 s12, 11
	s_mov_b64 s[2:3], -1
	s_cselect_b64 s[0:1], -1, 0
.LBB76_2018:
	s_and_b64 vcc, exec, s[0:1]
	s_cbranch_vccnz .LBB76_2084
.LBB76_2019:
	s_mov_b64 s[0:1], 0
	s_branch .LBB76_2021
.LBB76_2020:
	s_mov_b64 s[0:1], 0
	s_mov_b64 s[2:3], 0
                                        ; implicit-def: $sgpr20
                                        ; implicit-def: $vgpr0_vgpr1
                                        ; implicit-def: $vgpr3
.LBB76_2021:
	s_and_b64 s[16:17], s[2:3], exec
	s_andn2_b64 s[2:3], s[6:7], exec
	s_and_b64 s[4:5], s[18:19], exec
	s_and_b64 s[0:1], s[0:1], exec
	s_or_b64 s[6:7], s[2:3], s[4:5]
.LBB76_2022:
	s_or_b64 exec, exec, s[14:15]
	s_and_saveexec_b64 s[2:3], s[6:7]
	s_cbranch_execz .LBB76_2025
; %bb.2023:
	; divergent unreachable
	s_or_b64 exec, exec, s[2:3]
	s_and_saveexec_b64 s[2:3], s[16:17]
	s_xor_b64 s[2:3], exec, s[2:3]
	s_cbranch_execnz .LBB76_2026
.LBB76_2024:
	s_or_b64 exec, exec, s[2:3]
	s_and_saveexec_b64 s[2:3], s[0:1]
	s_cbranch_execnz .LBB76_2027
	s_branch .LBB76_2064
.LBB76_2025:
	s_or_b64 exec, exec, s[2:3]
	s_and_saveexec_b64 s[2:3], s[16:17]
	s_xor_b64 s[2:3], exec, s[2:3]
	s_cbranch_execz .LBB76_2024
.LBB76_2026:
	s_waitcnt vmcnt(0)
	v_and_b32_e32 v2, 0x7fff, v3
	v_cmp_ne_u16_e32 vcc, 0, v2
	v_cndmask_b32_e64 v2, 0, 1, vcc
	global_store_byte v[0:1], v2, off
	s_or_b64 exec, exec, s[2:3]
	s_and_saveexec_b64 s[2:3], s[0:1]
	s_cbranch_execz .LBB76_2064
.LBB76_2027:
	s_sext_i32_i16 s2, s20
	s_cmp_lt_i32 s2, 5
	s_mov_b64 s[0:1], -1
	s_cbranch_scc1 .LBB76_2048
; %bb.2028:
	s_cmp_lt_i32 s2, 8
	s_cbranch_scc1 .LBB76_2038
; %bb.2029:
	s_cmp_lt_i32 s2, 9
	s_cbranch_scc1 .LBB76_2035
; %bb.2030:
	s_cmp_gt_i32 s2, 9
	s_cbranch_scc0 .LBB76_2032
; %bb.2031:
	s_waitcnt vmcnt(0)
	v_lshlrev_b32_e32 v2, 16, v3
	v_cvt_f64_f32_e32 v[4:5], v2
	v_mov_b32_e32 v6, 0
	v_mov_b32_e32 v7, v6
	s_mov_b64 s[0:1], 0
	global_store_dwordx4 v[0:1], v[4:7], off
.LBB76_2032:
	s_andn2_b64 vcc, exec, s[0:1]
	s_cbranch_vccnz .LBB76_2034
; %bb.2033:
	s_waitcnt vmcnt(0)
	v_lshlrev_b32_e32 v4, 16, v3
	v_mov_b32_e32 v5, 0
	global_store_dwordx2 v[0:1], v[4:5], off
.LBB76_2034:
	s_mov_b64 s[0:1], 0
.LBB76_2035:
	s_andn2_b64 vcc, exec, s[0:1]
	s_cbranch_vccnz .LBB76_2037
; %bb.2036:
	s_waitcnt vmcnt(0)
	v_lshlrev_b32_e32 v2, 16, v3
	v_cvt_f16_f32_e32 v2, v2
	global_store_dword v[0:1], v2, off
.LBB76_2037:
	s_mov_b64 s[0:1], 0
.LBB76_2038:
	s_andn2_b64 vcc, exec, s[0:1]
	s_cbranch_vccnz .LBB76_2047
; %bb.2039:
	s_sext_i32_i16 s2, s20
	s_cmp_lt_i32 s2, 6
	s_mov_b64 s[0:1], -1
	s_cbranch_scc1 .LBB76_2045
; %bb.2040:
	s_cmp_gt_i32 s2, 6
	s_cbranch_scc0 .LBB76_2042
; %bb.2041:
	s_waitcnt vmcnt(0)
	v_lshlrev_b32_e32 v2, 16, v3
	v_cvt_f64_f32_e32 v[4:5], v2
	s_mov_b64 s[0:1], 0
	global_store_dwordx2 v[0:1], v[4:5], off
.LBB76_2042:
	s_andn2_b64 vcc, exec, s[0:1]
	s_cbranch_vccnz .LBB76_2044
; %bb.2043:
	s_waitcnt vmcnt(0)
	v_lshlrev_b32_e32 v2, 16, v3
	global_store_dword v[0:1], v2, off
.LBB76_2044:
	s_mov_b64 s[0:1], 0
.LBB76_2045:
	s_andn2_b64 vcc, exec, s[0:1]
	s_cbranch_vccnz .LBB76_2047
; %bb.2046:
	s_waitcnt vmcnt(0)
	v_lshlrev_b32_e32 v2, 16, v3
	v_cvt_f16_f32_e32 v2, v2
	global_store_short v[0:1], v2, off
.LBB76_2047:
	s_mov_b64 s[0:1], 0
.LBB76_2048:
	s_andn2_b64 vcc, exec, s[0:1]
	s_cbranch_vccnz .LBB76_2064
; %bb.2049:
	s_sext_i32_i16 s2, s20
	s_cmp_lt_i32 s2, 2
	s_mov_b64 s[0:1], -1
	s_cbranch_scc1 .LBB76_2059
; %bb.2050:
	s_cmp_lt_i32 s2, 3
	s_cbranch_scc1 .LBB76_2056
; %bb.2051:
	s_cmp_gt_i32 s2, 3
	s_cbranch_scc0 .LBB76_2053
; %bb.2052:
	s_waitcnt vmcnt(0)
	v_lshlrev_b32_e32 v2, 16, v3
	v_trunc_f32_e32 v2, v2
	s_mov_b32 s0, 0x2f800000
	v_mul_f32_e64 v4, |v2|, s0
	v_floor_f32_e32 v4, v4
	s_mov_b32 s0, 0xcf800000
	v_cvt_u32_f32_e32 v5, v4
	v_fma_f32 v4, v4, s0, |v2|
	v_cvt_u32_f32_e32 v4, v4
	v_ashrrev_i32_e32 v2, 31, v2
	v_xor_b32_e32 v5, v5, v2
	s_mov_b64 s[0:1], 0
	v_xor_b32_e32 v4, v4, v2
	v_sub_co_u32_e32 v4, vcc, v4, v2
	v_subb_co_u32_e32 v5, vcc, v5, v2, vcc
	global_store_dwordx2 v[0:1], v[4:5], off
.LBB76_2053:
	s_andn2_b64 vcc, exec, s[0:1]
	s_cbranch_vccnz .LBB76_2055
; %bb.2054:
	s_waitcnt vmcnt(0)
	v_lshlrev_b32_e32 v2, 16, v3
	v_cvt_i32_f32_e32 v2, v2
	global_store_dword v[0:1], v2, off
.LBB76_2055:
	s_mov_b64 s[0:1], 0
.LBB76_2056:
	s_andn2_b64 vcc, exec, s[0:1]
	s_cbranch_vccnz .LBB76_2058
; %bb.2057:
	s_waitcnt vmcnt(0)
	v_lshlrev_b32_e32 v2, 16, v3
	v_cvt_i32_f32_e32 v2, v2
	global_store_short v[0:1], v2, off
.LBB76_2058:
	s_mov_b64 s[0:1], 0
.LBB76_2059:
	s_andn2_b64 vcc, exec, s[0:1]
	s_cbranch_vccnz .LBB76_2064
; %bb.2060:
	s_sext_i32_i16 s2, s20
	s_mov_b64 s[0:1], -1
	s_cmp_gt_i32 s2, 0
	s_waitcnt vmcnt(0)
	v_lshlrev_b32_e32 v2, 16, v3
	s_cbranch_scc0 .LBB76_2062
; %bb.2061:
	v_cvt_i32_f32_e32 v3, v2
	s_mov_b64 s[0:1], 0
	global_store_byte v[0:1], v3, off
.LBB76_2062:
	s_andn2_b64 vcc, exec, s[0:1]
	s_cbranch_vccnz .LBB76_2064
; %bb.2063:
	v_trunc_f32_e32 v2, v2
	s_mov_b32 s0, 0x2f800000
	v_mul_f32_e64 v3, |v2|, s0
	v_floor_f32_e32 v3, v3
	s_mov_b32 s0, 0xcf800000
	v_fma_f32 v3, v3, s0, |v2|
	v_cvt_u32_f32_e32 v3, v3
	v_ashrrev_i32_e32 v2, 31, v2
	v_xor_b32_e32 v3, v3, v2
	v_sub_u32_e32 v2, v3, v2
	global_store_byte v[0:1], v2, off
	s_endpgm
.LBB76_2064:
	s_endpgm
.LBB76_2065:
	s_mov_b64 s[2:3], 0
	s_mov_b64 s[0:1], -1
	s_branch .LBB76_2021
.LBB76_2066:
	s_trap 2
	s_or_b64 s[18:19], s[18:19], exec
	s_cbranch_execz .LBB76_1529
	s_branch .LBB76_1530
.LBB76_2067:
	s_andn2_saveexec_b64 s[16:17], s[16:17]
	s_cbranch_execz .LBB76_1615
.LBB76_2068:
	s_mov_b32 s21, 0x46000000
	v_add_f32_e64 v14, |v15|, s21
	v_and_b32_e32 v14, 0xff, v14
	v_cmp_ne_u32_e32 vcc, 0, v14
	s_andn2_b64 s[10:11], s[10:11], exec
	s_and_b64 s[22:23], vcc, exec
	s_or_b64 s[10:11], s[10:11], s[22:23]
	s_or_b64 exec, exec, s[16:17]
	v_mov_b32_e32 v16, 0
	s_and_saveexec_b64 s[16:17], s[10:11]
	s_cbranch_execnz .LBB76_1616
	s_branch .LBB76_1617
.LBB76_2069:
	s_trap 2
	s_or_b64 s[18:19], s[18:19], exec
	s_cbranch_execz .LBB76_1663
	s_branch .LBB76_1664
.LBB76_2070:
	s_andn2_saveexec_b64 s[10:11], s[10:11]
	s_cbranch_execz .LBB76_1628
.LBB76_2071:
	s_mov_b32 s16, 0x42800000
	v_add_f32_e64 v14, |v15|, s16
	v_and_b32_e32 v14, 0xff, v14
	v_cmp_ne_u32_e32 vcc, 0, v14
	s_andn2_b64 s[4:5], s[4:5], exec
	s_and_b64 s[16:17], vcc, exec
	s_or_b64 s[4:5], s[4:5], s[16:17]
	s_or_b64 exec, exec, s[10:11]
	v_mov_b32_e32 v16, 0
	s_and_saveexec_b64 s[10:11], s[4:5]
	s_cbranch_execnz .LBB76_1629
	s_branch .LBB76_1630
.LBB76_2072:
	s_andn2_saveexec_b64 s[12:13], s[12:13]
	s_cbranch_execz .LBB76_1734
.LBB76_2073:
	s_mov_b32 s21, 0x46000000
	v_add_f32_e64 v8, |v10|, s21
	v_and_b32_e32 v8, 0xff, v8
	v_cmp_ne_u32_e32 vcc, 0, v8
	s_andn2_b64 s[10:11], s[10:11], exec
	s_and_b64 s[22:23], vcc, exec
	s_or_b64 s[10:11], s[10:11], s[22:23]
	s_or_b64 exec, exec, s[12:13]
	v_mov_b32_e32 v13, 0
	s_and_saveexec_b64 s[12:13], s[10:11]
	s_cbranch_execnz .LBB76_1735
	s_branch .LBB76_1736
.LBB76_2074:
	s_trap 2
	s_or_b64 s[18:19], s[18:19], exec
	s_cbranch_execz .LBB76_1782
	s_branch .LBB76_1783
.LBB76_2075:
	s_andn2_saveexec_b64 s[10:11], s[10:11]
	s_cbranch_execz .LBB76_1747
.LBB76_2076:
	s_mov_b32 s12, 0x42800000
	v_add_f32_e64 v8, |v10|, s12
	v_and_b32_e32 v8, 0xff, v8
	v_cmp_ne_u32_e32 vcc, 0, v8
	s_andn2_b64 s[4:5], s[4:5], exec
	s_and_b64 s[12:13], vcc, exec
	s_or_b64 s[4:5], s[4:5], s[12:13]
	s_or_b64 exec, exec, s[10:11]
	v_mov_b32_e32 v13, 0
	s_and_saveexec_b64 s[10:11], s[4:5]
	s_cbranch_execnz .LBB76_1748
	s_branch .LBB76_1749
.LBB76_2077:
	s_andn2_saveexec_b64 s[12:13], s[12:13]
	s_cbranch_execz .LBB76_1853
.LBB76_2078:
	s_mov_b32 s21, 0x46000000
	v_add_f32_e64 v5, |v6|, s21
	v_and_b32_e32 v5, 0xff, v5
	v_cmp_ne_u32_e32 vcc, 0, v5
	s_andn2_b64 s[10:11], s[10:11], exec
	s_and_b64 s[22:23], vcc, exec
	s_or_b64 s[10:11], s[10:11], s[22:23]
	s_or_b64 exec, exec, s[12:13]
	v_mov_b32_e32 v7, 0
	s_and_saveexec_b64 s[12:13], s[10:11]
	s_cbranch_execnz .LBB76_1854
	s_branch .LBB76_1855
.LBB76_2079:
	s_trap 2
	s_or_b64 s[18:19], s[18:19], exec
	s_cbranch_execz .LBB76_1901
	s_branch .LBB76_1902
.LBB76_2080:
	s_andn2_saveexec_b64 s[10:11], s[10:11]
	s_cbranch_execz .LBB76_1866
.LBB76_2081:
	s_mov_b32 s12, 0x42800000
	v_add_f32_e64 v5, |v6|, s12
	v_and_b32_e32 v5, 0xff, v5
	v_cmp_ne_u32_e32 vcc, 0, v5
	s_andn2_b64 s[4:5], s[4:5], exec
	s_and_b64 s[12:13], vcc, exec
	s_or_b64 s[4:5], s[4:5], s[12:13]
	s_or_b64 exec, exec, s[10:11]
	v_mov_b32_e32 v7, 0
	s_and_saveexec_b64 s[10:11], s[4:5]
	s_cbranch_execnz .LBB76_1867
	s_branch .LBB76_1868
.LBB76_2082:
	s_andn2_saveexec_b64 s[10:11], s[10:11]
	s_cbranch_execz .LBB76_1973
.LBB76_2083:
	s_mov_b32 s13, 0x46000000
	v_add_f32_e64 v4, |v5|, s13
	v_and_b32_e32 v4, 0xff, v4
	v_cmp_ne_u32_e32 vcc, 0, v4
	s_andn2_b64 s[8:9], s[8:9], exec
	s_and_b64 s[16:17], vcc, exec
	s_or_b64 s[8:9], s[8:9], s[16:17]
	s_or_b64 exec, exec, s[10:11]
	v_mov_b32_e32 v6, 0
	s_and_saveexec_b64 s[10:11], s[8:9]
	s_cbranch_execnz .LBB76_1974
	s_branch .LBB76_1975
.LBB76_2084:
	s_mov_b64 s[2:3], 0
	s_or_b64 s[18:19], s[18:19], exec
	s_trap 2
	s_branch .LBB76_2019
.LBB76_2085:
	s_andn2_saveexec_b64 s[8:9], s[8:9]
	s_cbranch_execz .LBB76_1985
.LBB76_2086:
	s_mov_b32 s10, 0x42800000
	v_add_f32_e64 v4, |v5|, s10
	v_and_b32_e32 v4, 0xff, v4
	v_cmp_ne_u32_e32 vcc, 0, v4
	s_andn2_b64 s[4:5], s[4:5], exec
	s_and_b64 s[10:11], vcc, exec
	s_or_b64 s[4:5], s[4:5], s[10:11]
	s_or_b64 exec, exec, s[8:9]
	v_mov_b32_e32 v6, 0
	s_and_saveexec_b64 s[8:9], s[4:5]
	s_cbranch_execnz .LBB76_1986
	s_branch .LBB76_1987
	.section	.rodata,"a",@progbits
	.p2align	6, 0x0
	.amdhsa_kernel _ZN2at6native32elementwise_kernel_manual_unrollILi128ELi4EZNS0_15gpu_kernel_implIZZZNS0_20trigamma_kernel_cudaERNS_18TensorIteratorBaseEENKUlvE_clEvENKUlvE2_clEvEUlN3c108BFloat16EE_EEvS4_RKT_EUlibE_EEviT1_
		.amdhsa_group_segment_fixed_size 0
		.amdhsa_private_segment_fixed_size 0
		.amdhsa_kernarg_size 40
		.amdhsa_user_sgpr_count 6
		.amdhsa_user_sgpr_private_segment_buffer 1
		.amdhsa_user_sgpr_dispatch_ptr 0
		.amdhsa_user_sgpr_queue_ptr 0
		.amdhsa_user_sgpr_kernarg_segment_ptr 1
		.amdhsa_user_sgpr_dispatch_id 0
		.amdhsa_user_sgpr_flat_scratch_init 0
		.amdhsa_user_sgpr_private_segment_size 0
		.amdhsa_uses_dynamic_stack 0
		.amdhsa_system_sgpr_private_segment_wavefront_offset 0
		.amdhsa_system_sgpr_workgroup_id_x 1
		.amdhsa_system_sgpr_workgroup_id_y 0
		.amdhsa_system_sgpr_workgroup_id_z 0
		.amdhsa_system_sgpr_workgroup_info 0
		.amdhsa_system_vgpr_workitem_id 0
		.amdhsa_next_free_vgpr 27
		.amdhsa_next_free_sgpr 44
		.amdhsa_reserve_vcc 1
		.amdhsa_reserve_flat_scratch 0
		.amdhsa_float_round_mode_32 0
		.amdhsa_float_round_mode_16_64 0
		.amdhsa_float_denorm_mode_32 3
		.amdhsa_float_denorm_mode_16_64 3
		.amdhsa_dx10_clamp 1
		.amdhsa_ieee_mode 1
		.amdhsa_fp16_overflow 0
		.amdhsa_exception_fp_ieee_invalid_op 0
		.amdhsa_exception_fp_denorm_src 0
		.amdhsa_exception_fp_ieee_div_zero 0
		.amdhsa_exception_fp_ieee_overflow 0
		.amdhsa_exception_fp_ieee_underflow 0
		.amdhsa_exception_fp_ieee_inexact 0
		.amdhsa_exception_int_div_zero 0
	.end_amdhsa_kernel
	.section	.text._ZN2at6native32elementwise_kernel_manual_unrollILi128ELi4EZNS0_15gpu_kernel_implIZZZNS0_20trigamma_kernel_cudaERNS_18TensorIteratorBaseEENKUlvE_clEvENKUlvE2_clEvEUlN3c108BFloat16EE_EEvS4_RKT_EUlibE_EEviT1_,"axG",@progbits,_ZN2at6native32elementwise_kernel_manual_unrollILi128ELi4EZNS0_15gpu_kernel_implIZZZNS0_20trigamma_kernel_cudaERNS_18TensorIteratorBaseEENKUlvE_clEvENKUlvE2_clEvEUlN3c108BFloat16EE_EEvS4_RKT_EUlibE_EEviT1_,comdat
.Lfunc_end76:
	.size	_ZN2at6native32elementwise_kernel_manual_unrollILi128ELi4EZNS0_15gpu_kernel_implIZZZNS0_20trigamma_kernel_cudaERNS_18TensorIteratorBaseEENKUlvE_clEvENKUlvE2_clEvEUlN3c108BFloat16EE_EEvS4_RKT_EUlibE_EEviT1_, .Lfunc_end76-_ZN2at6native32elementwise_kernel_manual_unrollILi128ELi4EZNS0_15gpu_kernel_implIZZZNS0_20trigamma_kernel_cudaERNS_18TensorIteratorBaseEENKUlvE_clEvENKUlvE2_clEvEUlN3c108BFloat16EE_EEvS4_RKT_EUlibE_EEviT1_
                                        ; -- End function
	.set _ZN2at6native32elementwise_kernel_manual_unrollILi128ELi4EZNS0_15gpu_kernel_implIZZZNS0_20trigamma_kernel_cudaERNS_18TensorIteratorBaseEENKUlvE_clEvENKUlvE2_clEvEUlN3c108BFloat16EE_EEvS4_RKT_EUlibE_EEviT1_.num_vgpr, 27
	.set _ZN2at6native32elementwise_kernel_manual_unrollILi128ELi4EZNS0_15gpu_kernel_implIZZZNS0_20trigamma_kernel_cudaERNS_18TensorIteratorBaseEENKUlvE_clEvENKUlvE2_clEvEUlN3c108BFloat16EE_EEvS4_RKT_EUlibE_EEviT1_.num_agpr, 0
	.set _ZN2at6native32elementwise_kernel_manual_unrollILi128ELi4EZNS0_15gpu_kernel_implIZZZNS0_20trigamma_kernel_cudaERNS_18TensorIteratorBaseEENKUlvE_clEvENKUlvE2_clEvEUlN3c108BFloat16EE_EEvS4_RKT_EUlibE_EEviT1_.numbered_sgpr, 44
	.set _ZN2at6native32elementwise_kernel_manual_unrollILi128ELi4EZNS0_15gpu_kernel_implIZZZNS0_20trigamma_kernel_cudaERNS_18TensorIteratorBaseEENKUlvE_clEvENKUlvE2_clEvEUlN3c108BFloat16EE_EEvS4_RKT_EUlibE_EEviT1_.num_named_barrier, 0
	.set _ZN2at6native32elementwise_kernel_manual_unrollILi128ELi4EZNS0_15gpu_kernel_implIZZZNS0_20trigamma_kernel_cudaERNS_18TensorIteratorBaseEENKUlvE_clEvENKUlvE2_clEvEUlN3c108BFloat16EE_EEvS4_RKT_EUlibE_EEviT1_.private_seg_size, 0
	.set _ZN2at6native32elementwise_kernel_manual_unrollILi128ELi4EZNS0_15gpu_kernel_implIZZZNS0_20trigamma_kernel_cudaERNS_18TensorIteratorBaseEENKUlvE_clEvENKUlvE2_clEvEUlN3c108BFloat16EE_EEvS4_RKT_EUlibE_EEviT1_.uses_vcc, 1
	.set _ZN2at6native32elementwise_kernel_manual_unrollILi128ELi4EZNS0_15gpu_kernel_implIZZZNS0_20trigamma_kernel_cudaERNS_18TensorIteratorBaseEENKUlvE_clEvENKUlvE2_clEvEUlN3c108BFloat16EE_EEvS4_RKT_EUlibE_EEviT1_.uses_flat_scratch, 0
	.set _ZN2at6native32elementwise_kernel_manual_unrollILi128ELi4EZNS0_15gpu_kernel_implIZZZNS0_20trigamma_kernel_cudaERNS_18TensorIteratorBaseEENKUlvE_clEvENKUlvE2_clEvEUlN3c108BFloat16EE_EEvS4_RKT_EUlibE_EEviT1_.has_dyn_sized_stack, 0
	.set _ZN2at6native32elementwise_kernel_manual_unrollILi128ELi4EZNS0_15gpu_kernel_implIZZZNS0_20trigamma_kernel_cudaERNS_18TensorIteratorBaseEENKUlvE_clEvENKUlvE2_clEvEUlN3c108BFloat16EE_EEvS4_RKT_EUlibE_EEviT1_.has_recursion, 0
	.set _ZN2at6native32elementwise_kernel_manual_unrollILi128ELi4EZNS0_15gpu_kernel_implIZZZNS0_20trigamma_kernel_cudaERNS_18TensorIteratorBaseEENKUlvE_clEvENKUlvE2_clEvEUlN3c108BFloat16EE_EEvS4_RKT_EUlibE_EEviT1_.has_indirect_call, 0
	.section	.AMDGPU.csdata,"",@progbits
; Kernel info:
; codeLenInByte = 52024
; TotalNumSgprs: 48
; NumVgprs: 27
; ScratchSize: 0
; MemoryBound: 0
; FloatMode: 240
; IeeeMode: 1
; LDSByteSize: 0 bytes/workgroup (compile time only)
; SGPRBlocks: 5
; VGPRBlocks: 6
; NumSGPRsForWavesPerEU: 48
; NumVGPRsForWavesPerEU: 27
; Occupancy: 9
; WaveLimiterHint : 0
; COMPUTE_PGM_RSRC2:SCRATCH_EN: 0
; COMPUTE_PGM_RSRC2:USER_SGPR: 6
; COMPUTE_PGM_RSRC2:TRAP_HANDLER: 0
; COMPUTE_PGM_RSRC2:TGID_X_EN: 1
; COMPUTE_PGM_RSRC2:TGID_Y_EN: 0
; COMPUTE_PGM_RSRC2:TGID_Z_EN: 0
; COMPUTE_PGM_RSRC2:TIDIG_COMP_CNT: 0
	.section	.text._ZN2at6native32elementwise_kernel_manual_unrollILi128ELi4EZNS0_15gpu_kernel_implIZZZNS0_20trigamma_kernel_cudaERNS_18TensorIteratorBaseEENKUlvE_clEvENKUlvE2_clEvEUlN3c108BFloat16EE_EEvS4_RKT_EUlibE0_EEviT1_,"axG",@progbits,_ZN2at6native32elementwise_kernel_manual_unrollILi128ELi4EZNS0_15gpu_kernel_implIZZZNS0_20trigamma_kernel_cudaERNS_18TensorIteratorBaseEENKUlvE_clEvENKUlvE2_clEvEUlN3c108BFloat16EE_EEvS4_RKT_EUlibE0_EEviT1_,comdat
	.globl	_ZN2at6native32elementwise_kernel_manual_unrollILi128ELi4EZNS0_15gpu_kernel_implIZZZNS0_20trigamma_kernel_cudaERNS_18TensorIteratorBaseEENKUlvE_clEvENKUlvE2_clEvEUlN3c108BFloat16EE_EEvS4_RKT_EUlibE0_EEviT1_ ; -- Begin function _ZN2at6native32elementwise_kernel_manual_unrollILi128ELi4EZNS0_15gpu_kernel_implIZZZNS0_20trigamma_kernel_cudaERNS_18TensorIteratorBaseEENKUlvE_clEvENKUlvE2_clEvEUlN3c108BFloat16EE_EEvS4_RKT_EUlibE0_EEviT1_
	.p2align	8
	.type	_ZN2at6native32elementwise_kernel_manual_unrollILi128ELi4EZNS0_15gpu_kernel_implIZZZNS0_20trigamma_kernel_cudaERNS_18TensorIteratorBaseEENKUlvE_clEvENKUlvE2_clEvEUlN3c108BFloat16EE_EEvS4_RKT_EUlibE0_EEviT1_,@function
_ZN2at6native32elementwise_kernel_manual_unrollILi128ELi4EZNS0_15gpu_kernel_implIZZZNS0_20trigamma_kernel_cudaERNS_18TensorIteratorBaseEENKUlvE_clEvENKUlvE2_clEvEUlN3c108BFloat16EE_EEvS4_RKT_EUlibE0_EEviT1_: ; @_ZN2at6native32elementwise_kernel_manual_unrollILi128ELi4EZNS0_15gpu_kernel_implIZZZNS0_20trigamma_kernel_cudaERNS_18TensorIteratorBaseEENKUlvE_clEvENKUlvE2_clEvEUlN3c108BFloat16EE_EEvS4_RKT_EUlibE0_EEviT1_
; %bb.0:
	s_load_dword s70, s[4:5], 0x0
	s_load_dword s33, s[4:5], 0x8
	s_add_u32 s34, s4, 8
	s_addc_u32 s35, s5, 0
	v_lshl_or_b32 v8, s6, 9, v0
	v_or_b32_e32 v15, 0x180, v8
	s_waitcnt lgkmcnt(0)
	s_add_i32 s72, s33, -1
	s_cmp_gt_u32 s72, 1
	v_cmp_le_i32_e32 vcc, s70, v15
	s_cselect_b64 s[42:43], -1, 0
	s_mov_b64 s[40:41], 0
	s_mov_b64 s[6:7], 0
	s_and_saveexec_b64 s[0:1], vcc
	s_xor_b64 s[44:45], exec, s[0:1]
	s_cbranch_execz .LBB77_1110
; %bb.1:
	v_mov_b32_e32 v0, 0
	global_load_ushort v0, v0, s[34:35] offset:345
	s_load_dwordx4 s[36:39], s[34:35], 0x4
	s_load_dwordx2 s[46:47], s[34:35], 0x14
	s_load_dwordx4 s[28:31], s[34:35], 0xc4
	s_load_dwordx4 s[24:27], s[34:35], 0x148
	s_cmp_lg_u32 s33, 0
	s_cselect_b64 s[52:53], -1, 0
	s_add_u32 s50, s34, 0xc4
	s_addc_u32 s51, s35, 0
	s_min_u32 s75, s72, 15
	s_cmp_gt_u32 s33, 1
	s_cselect_b64 s[48:49], -1, 0
	v_cmp_gt_i32_e32 vcc, s70, v8
	s_mov_b64 s[2:3], -1
	s_mov_b64 s[62:63], 0
	s_mov_b64 s[56:57], 0
	;; [unrolled: 1-line block ×3, first 2 shown]
	s_waitcnt vmcnt(0)
	v_readfirstlane_b32 s73, v0
	s_and_b32 s0, 0xffff, s73
	s_lshr_b32 s74, s0, 8
	s_and_saveexec_b64 s[58:59], vcc
	s_cbranch_execz .LBB77_272
; %bb.2:
	s_andn2_b64 vcc, exec, s[42:43]
	s_cbranch_vccnz .LBB77_7
; %bb.3:
	s_andn2_b64 vcc, exec, s[52:53]
	s_cbranch_vccnz .LBB77_8
; %bb.4:
	s_add_i32 s57, s75, 1
	s_cmp_eq_u32 s72, 2
	s_cbranch_scc1 .LBB77_9
; %bb.5:
	s_and_b32 s56, s57, 28
	v_mov_b32_e32 v2, 0
	s_mov_b32 s60, 0
	s_mov_b64 s[6:7], s[34:35]
	s_mov_b64 s[54:55], s[50:51]
	v_mov_b32_e32 v0, 0
	v_mov_b32_e32 v1, v8
.LBB77_6:                               ; =>This Inner Loop Header: Depth=1
	s_load_dwordx8 s[16:23], s[6:7], 0x4
	s_load_dwordx4 s[0:3], s[6:7], 0x24
	s_load_dwordx8 s[8:15], s[54:55], 0x0
	s_add_u32 s6, s6, 48
	s_addc_u32 s7, s7, 0
	s_waitcnt lgkmcnt(0)
	v_mul_hi_u32 v3, s17, v1
	s_add_i32 s60, s60, 4
	s_add_u32 s54, s54, 32
	s_addc_u32 s55, s55, 0
	v_add_u32_e32 v3, v1, v3
	v_lshrrev_b32_e32 v3, s18, v3
	v_mul_lo_u32 v4, v3, s16
	v_mul_hi_u32 v5, s20, v3
	s_cmp_lg_u32 s56, s60
	v_sub_u32_e32 v1, v1, v4
	v_add_u32_e32 v4, v3, v5
	v_mul_lo_u32 v5, v1, s8
	v_mul_lo_u32 v6, v1, s9
	v_lshrrev_b32_e32 v1, s21, v4
	v_mul_lo_u32 v4, v1, s19
	v_mul_hi_u32 v7, s23, v1
	v_sub_u32_e32 v3, v3, v4
	v_add_u32_e32 v4, v1, v7
	v_lshrrev_b32_e32 v4, s0, v4
	v_mul_hi_u32 v9, s2, v4
	v_mul_lo_u32 v10, v4, s22
	v_mul_lo_u32 v7, v3, s10
	;; [unrolled: 1-line block ×3, first 2 shown]
	v_sub_u32_e32 v10, v1, v10
	v_add_u32_e32 v1, v4, v9
	v_lshrrev_b32_e32 v1, s3, v1
	v_mul_lo_u32 v9, v1, s1
	v_mul_lo_u32 v11, v10, s12
	;; [unrolled: 1-line block ×3, first 2 shown]
	v_add3_u32 v0, v5, v0, v7
	v_sub_u32_e32 v4, v4, v9
	v_mul_lo_u32 v9, v4, s14
	v_mul_lo_u32 v4, v4, s15
	v_add3_u32 v2, v6, v2, v3
	v_add3_u32 v0, v11, v0, v9
	;; [unrolled: 1-line block ×3, first 2 shown]
	s_cbranch_scc1 .LBB77_6
	s_branch .LBB77_10
.LBB77_7:
                                        ; implicit-def: $vgpr0
                                        ; implicit-def: $vgpr2
	s_branch .LBB77_14
.LBB77_8:
	v_mov_b32_e32 v0, 0
	v_mov_b32_e32 v2, 0
	s_branch .LBB77_13
.LBB77_9:
	s_mov_b32 s56, 0
	v_mov_b32_e32 v0, 0
	v_mov_b32_e32 v2, 0
	v_mov_b32_e32 v1, v8
.LBB77_10:
	s_and_b32 s6, s57, 3
	s_cmp_eq_u32 s6, 0
	s_cbranch_scc1 .LBB77_13
; %bb.11:
	s_lshl_b32 s0, s56, 3
	s_add_u32 s0, s34, s0
	s_addc_u32 s1, s35, 0
	s_add_u32 s0, s0, 0xc4
	s_addc_u32 s1, s1, 0
	s_mul_i32 s2, s56, 12
	s_add_u32 s2, s34, s2
	s_addc_u32 s3, s35, 0
.LBB77_12:                              ; =>This Inner Loop Header: Depth=1
	s_load_dwordx2 s[8:9], s[2:3], 0x4
	s_load_dword s7, s[2:3], 0xc
	s_load_dwordx2 s[10:11], s[0:1], 0x0
	s_add_u32 s2, s2, 12
	s_addc_u32 s3, s3, 0
	s_waitcnt lgkmcnt(0)
	v_mul_hi_u32 v3, s9, v1
	s_add_u32 s0, s0, 8
	s_addc_u32 s1, s1, 0
	s_add_i32 s6, s6, -1
	v_add_u32_e32 v3, v1, v3
	v_lshrrev_b32_e32 v4, s7, v3
	v_mul_lo_u32 v3, v4, s8
	s_cmp_lg_u32 s6, 0
	v_sub_u32_e32 v3, v1, v3
	v_mad_u64_u32 v[0:1], s[8:9], v3, s10, v[0:1]
	v_mad_u64_u32 v[2:3], s[8:9], v3, s11, v[2:3]
	v_mov_b32_e32 v1, v4
	s_cbranch_scc1 .LBB77_12
.LBB77_13:
	s_cbranch_execnz .LBB77_16
.LBB77_14:
	s_waitcnt lgkmcnt(0)
	v_mul_hi_u32 v0, s37, v8
	s_andn2_b64 vcc, exec, s[48:49]
	v_add_u32_e32 v0, v8, v0
	v_lshrrev_b32_e32 v1, s38, v0
	v_mul_lo_u32 v0, v1, s36
	v_sub_u32_e32 v2, v8, v0
	v_mul_lo_u32 v0, v2, s28
	v_mul_lo_u32 v2, v2, s29
	s_cbranch_vccnz .LBB77_16
; %bb.15:
	v_mul_hi_u32 v3, s46, v1
	v_add_u32_e32 v3, v1, v3
	v_lshrrev_b32_e32 v3, s47, v3
	v_mul_lo_u32 v3, v3, s39
	v_sub_u32_e32 v3, v1, v3
	v_mad_u64_u32 v[0:1], s[0:1], v3, s30, v[0:1]
	v_mad_u64_u32 v[2:3], s[0:1], v3, s31, v[2:3]
.LBB77_16:
	s_waitcnt lgkmcnt(0)
	v_mov_b32_e32 v3, s27
	s_and_b32 s10, 0xffff, s74
	v_add_co_u32_e32 v1, vcc, s26, v2
	s_cmp_lt_i32 s10, 11
	v_addc_co_u32_e32 v2, vcc, 0, v3, vcc
	s_cbranch_scc1 .LBB77_23
; %bb.17:
	s_cmp_gt_i32 s10, 25
	s_cbranch_scc0 .LBB77_38
; %bb.18:
	s_cmp_gt_i32 s10, 28
	s_cbranch_scc0 .LBB77_41
	;; [unrolled: 3-line block ×4, first 2 shown]
; %bb.21:
	s_cmp_eq_u32 s10, 46
	s_mov_b64 s[2:3], 0
	s_cbranch_scc0 .LBB77_47
; %bb.22:
	global_load_dword v3, v[1:2], off
	s_mov_b64 s[0:1], -1
	s_mov_b64 s[8:9], 0
	s_branch .LBB77_49
.LBB77_23:
	s_mov_b64 s[8:9], 0
                                        ; implicit-def: $vgpr3
	s_mov_b64 s[0:1], 0
	s_cbranch_execnz .LBB77_222
.LBB77_24:
	s_andn2_b64 vcc, exec, s[0:1]
	s_cbranch_vccnz .LBB77_269
.LBB77_25:
	s_waitcnt vmcnt(0)
	v_lshlrev_b32_e32 v1, 16, v3
	v_cmp_gt_f32_e32 vcc, 0.5, v1
	v_mov_b32_e32 v3, 0
	v_mov_b32_e32 v2, 1.0
	s_and_saveexec_b64 s[10:11], vcc
	s_cbranch_execz .LBB77_31
; %bb.26:
	v_mul_f32_e32 v2, 0x40490fdb, v1
	s_brev_b32 s0, 18
	v_and_b32_e32 v3, 0x7fffffff, v2
	v_cmp_nlt_f32_e64 s[0:1], |v2|, s0
                                        ; implicit-def: $vgpr4
                                        ; implicit-def: $vgpr5
	s_and_saveexec_b64 s[2:3], s[0:1]
	s_xor_b64 s[12:13], exec, s[2:3]
	s_cbranch_execz .LBB77_28
; %bb.27:
	v_and_b32_e32 v4, 0x7fffff, v3
	v_or_b32_e32 v7, 0x800000, v4
	s_mov_b32 s0, 0xfe5163ab
	v_mad_u64_u32 v[4:5], s[0:1], v7, s0, 0
	v_mov_b32_e32 v6, 0
	s_mov_b32 s0, 0x3c439041
	v_mad_u64_u32 v[9:10], s[0:1], v7, s0, v[5:6]
	s_mov_b32 s0, 0xdb629599
	v_not_b32_e32 v14, 63
	v_mov_b32_e32 v5, v10
	v_mad_u64_u32 v[10:11], s[0:1], v7, s0, v[5:6]
	s_mov_b32 s0, 0xf534ddc0
	v_not_b32_e32 v16, 31
	v_mov_b32_e32 v5, v11
	v_mad_u64_u32 v[11:12], s[0:1], v7, s0, v[5:6]
	v_lshrrev_b32_e32 v5, 23, v3
	v_add_u32_e32 v15, 0xffffff88, v5
	v_mov_b32_e32 v5, v12
	s_mov_b32 s0, 0xfc2757d1
	v_mad_u64_u32 v[12:13], s[0:1], v7, s0, v[5:6]
	v_cmp_lt_u32_e32 vcc, 63, v15
	v_cndmask_b32_e32 v5, 0, v14, vcc
	v_add_u32_e32 v15, v5, v15
	v_mov_b32_e32 v5, v13
	s_mov_b32 s0, 0x4e441529
	v_mad_u64_u32 v[13:14], s[0:1], v7, s0, v[5:6]
	v_cmp_lt_u32_e64 s[0:1], 31, v15
	v_cndmask_b32_e64 v5, 0, v16, s[0:1]
	v_add_u32_e32 v15, v5, v15
	v_mov_b32_e32 v5, v14
	s_mov_b32 s2, 0xa2f9836e
	v_mad_u64_u32 v[5:6], s[2:3], v7, s2, v[5:6]
	v_cmp_lt_u32_e64 s[2:3], 31, v15
	v_cndmask_b32_e64 v7, 0, v16, s[2:3]
	v_cndmask_b32_e32 v14, v13, v11, vcc
	v_cndmask_b32_e32 v5, v5, v12, vcc
	;; [unrolled: 1-line block ×3, first 2 shown]
	v_add_u32_e32 v7, v7, v15
	v_cndmask_b32_e64 v15, v5, v14, s[0:1]
	v_cndmask_b32_e64 v5, v6, v5, s[0:1]
	v_cndmask_b32_e32 v6, v12, v10, vcc
	v_cndmask_b32_e64 v12, v14, v6, s[0:1]
	v_cndmask_b32_e64 v5, v5, v15, s[2:3]
	v_cndmask_b32_e64 v13, v15, v12, s[2:3]
	v_sub_u32_e32 v14, 32, v7
	v_alignbit_b32 v15, v5, v13, v14
	v_cmp_eq_u32_e64 s[6:7], 0, v7
	v_cndmask_b32_e64 v7, v15, v5, s[6:7]
	v_cndmask_b32_e32 v5, v11, v9, vcc
	v_cndmask_b32_e64 v6, v6, v5, s[0:1]
	v_cndmask_b32_e64 v9, v12, v6, s[2:3]
	v_alignbit_b32 v11, v13, v9, v14
	v_cndmask_b32_e32 v4, v10, v4, vcc
	v_cndmask_b32_e64 v11, v11, v13, s[6:7]
	v_bfe_u32 v15, v7, 29, 1
	v_cndmask_b32_e64 v4, v5, v4, s[0:1]
	v_alignbit_b32 v12, v7, v11, 30
	v_sub_u32_e32 v16, 0, v15
	v_cndmask_b32_e64 v4, v6, v4, s[2:3]
	v_xor_b32_e32 v12, v12, v16
	v_alignbit_b32 v5, v9, v4, v14
	v_cndmask_b32_e64 v5, v5, v9, s[6:7]
	v_ffbh_u32_e32 v9, v12
	v_alignbit_b32 v6, v11, v5, 30
	v_min_u32_e32 v9, 32, v9
	v_alignbit_b32 v4, v5, v4, 30
	v_xor_b32_e32 v6, v6, v16
	v_sub_u32_e32 v10, 31, v9
	v_xor_b32_e32 v4, v4, v16
	v_alignbit_b32 v11, v12, v6, v10
	v_alignbit_b32 v4, v6, v4, v10
	;; [unrolled: 1-line block ×3, first 2 shown]
	v_ffbh_u32_e32 v6, v5
	v_min_u32_e32 v6, 32, v6
	v_lshrrev_b32_e32 v13, 29, v7
	v_not_b32_e32 v10, v6
	v_alignbit_b32 v4, v5, v4, v10
	v_lshlrev_b32_e32 v5, 31, v13
	v_or_b32_e32 v10, 0x33000000, v5
	v_add_lshl_u32 v6, v6, v9, 23
	v_lshrrev_b32_e32 v4, 9, v4
	v_sub_u32_e32 v6, v10, v6
	v_or_b32_e32 v5, 0.5, v5
	v_lshlrev_b32_e32 v9, 23, v9
	v_or_b32_e32 v4, v6, v4
	v_lshrrev_b32_e32 v6, 9, v11
	v_sub_u32_e32 v5, v5, v9
	v_or_b32_e32 v5, v6, v5
	s_mov_b32 s0, 0x3fc90fda
	v_mul_f32_e32 v6, 0x3fc90fda, v5
	v_fma_f32 v9, v5, s0, -v6
	v_fmac_f32_e32 v9, 0x33a22168, v5
	v_fmac_f32_e32 v9, 0x3fc90fda, v4
	v_lshrrev_b32_e32 v4, 30, v7
	v_add_f32_e32 v5, v6, v9
	v_add_u32_e32 v4, v15, v4
.LBB77_28:
	s_andn2_saveexec_b64 s[0:1], s[12:13]
	s_cbranch_execz .LBB77_30
; %bb.29:
	s_mov_b32 s2, 0x3f22f983
	v_mul_f32_e64 v4, |v2|, s2
	v_rndne_f32_e32 v6, v4
	s_mov_b32 s2, 0xbfc90fda
	v_cvt_i32_f32_e32 v4, v6
	v_fma_f32 v5, v6, s2, |v2|
	v_fmac_f32_e32 v5, 0xb3a22168, v6
	v_fmac_f32_e32 v5, 0xa7c234c4, v6
.LBB77_30:
	s_or_b64 exec, exec, s[0:1]
	v_mul_f32_e32 v6, v5, v5
	v_mov_b32_e32 v7, 0x3c0881c4
	v_fmac_f32_e32 v7, 0xb94c1982, v6
	v_mov_b32_e32 v9, 0xbe2aaa9d
	v_fmac_f32_e32 v9, v6, v7
	v_mul_f32_e32 v7, v6, v9
	v_fmac_f32_e32 v5, v5, v7
	v_mov_b32_e32 v7, 0xbab64f3b
	v_fmac_f32_e32 v7, 0x37d75334, v6
	v_mov_b32_e32 v9, 0x3d2aabf7
	;; [unrolled: 2-line block ×3, first 2 shown]
	v_fmac_f32_e32 v7, v6, v9
	v_fma_f32 v6, v6, v7, 1.0
	v_and_b32_e32 v7, 1, v4
	v_lshlrev_b32_e32 v4, 30, v4
	v_cmp_eq_u32_e32 vcc, 0, v7
	v_and_b32_e32 v4, 0x80000000, v4
	v_xor_b32_e32 v3, v3, v2
	v_cndmask_b32_e32 v5, v6, v5, vcc
	v_xor_b32_e32 v3, v3, v4
	s_movk_i32 s0, 0x1f8
	v_xor_b32_e32 v3, v3, v5
	v_mov_b32_e32 v4, 0x7fc00000
	v_cmp_class_f32_e64 vcc, v2, s0
	v_cndmask_b32_e32 v2, v4, v3, vcc
	v_mul_f32_e32 v2, v2, v2
	s_mov_b32 s2, 0xc11de9e7
	v_div_scale_f32 v3, s[0:1], v2, v2, s2
	v_div_scale_f32 v4, vcc, s2, v2, s2
	v_sub_f32_e32 v1, 1.0, v1
	v_rcp_f32_e32 v5, v3
	v_fma_f32 v6, -v3, v5, 1.0
	v_fmac_f32_e32 v5, v6, v5
	v_mul_f32_e32 v6, v4, v5
	v_fma_f32 v7, -v3, v6, v4
	v_fmac_f32_e32 v6, v7, v5
	v_fma_f32 v3, -v3, v6, v4
	v_div_fmas_f32 v3, v3, v5, v6
	v_div_fixup_f32 v2, v3, v2, s2
	v_add_f32_e32 v3, 0, v2
	v_mov_b32_e32 v2, -1.0
.LBB77_31:
	s_or_b64 exec, exec, s[10:11]
	v_mul_f32_e32 v4, v1, v1
	v_div_scale_f32 v6, s[0:1], v4, v4, 1.0
	v_add_f32_e32 v5, 1.0, v1
	v_mul_f32_e32 v1, v5, v5
	v_div_scale_f32 v9, s[0:1], v1, v1, 1.0
	v_div_scale_f32 v7, vcc, 1.0, v4, 1.0
	v_add_f32_e32 v10, 1.0, v5
	v_div_scale_f32 v11, s[0:1], 1.0, v1, 1.0
	v_mul_f32_e32 v5, v10, v10
	v_div_scale_f32 v12, s[2:3], v5, v5, 1.0
	v_div_scale_f32 v15, s[2:3], 1.0, v5, 1.0
	v_rcp_f32_e32 v13, v6
	v_add_f32_e32 v10, 1.0, v10
	s_and_b32 s12, s73, 0xff
	s_cmp_lt_i32 s12, 11
	v_rcp_f32_e32 v14, v9
	v_fma_f32 v16, -v6, v13, 1.0
	v_fmac_f32_e32 v13, v16, v13
	v_mul_f32_e32 v17, v7, v13
	v_fma_f32 v18, -v6, v17, v7
	v_fma_f32 v16, -v9, v14, 1.0
	v_fmac_f32_e32 v17, v18, v13
	v_fma_f32 v6, -v6, v17, v7
	v_fmac_f32_e32 v14, v16, v14
	v_div_fmas_f32 v6, v6, v13, v17
	v_mul_f32_e32 v13, v11, v14
	v_fma_f32 v7, -v9, v13, v11
	v_rcp_f32_e32 v16, v12
	v_fmac_f32_e32 v13, v7, v14
	v_mul_f32_e32 v7, v10, v10
	v_div_scale_f32 v17, s[6:7], v7, v7, 1.0
	v_fma_f32 v9, -v9, v13, v11
	v_fma_f32 v11, -v12, v16, 1.0
	v_fmac_f32_e32 v16, v11, v16
	s_mov_b64 vcc, s[0:1]
	v_mul_f32_e32 v11, v15, v16
	v_div_fmas_f32 v9, v9, v14, v13
	v_fma_f32 v13, -v12, v11, v15
	v_fmac_f32_e32 v11, v13, v16
	v_div_scale_f32 v13, s[0:1], 1.0, v7, 1.0
	v_add_f32_e32 v14, 1.0, v10
	v_mul_f32_e32 v10, v14, v14
	v_div_scale_f32 v18, s[6:7], v10, v10, 1.0
	v_fma_f32 v12, -v12, v11, v15
	s_mov_b64 vcc, s[2:3]
	v_div_fmas_f32 v11, v12, v16, v11
	v_div_scale_f32 v12, s[2:3], 1.0, v10, 1.0
	v_rcp_f32_e32 v15, v17
	v_add_f32_e32 v14, 1.0, v14
	v_mul_f32_e32 v19, v14, v14
	v_div_scale_f32 v20, s[6:7], v19, v19, 1.0
	v_fma_f32 v16, -v17, v15, 1.0
	v_fmac_f32_e32 v15, v16, v15
	v_mul_f32_e32 v16, v13, v15
	v_fma_f32 v21, -v17, v16, v13
	v_fmac_f32_e32 v16, v21, v15
	v_rcp_f32_e32 v21, v18
	v_fma_f32 v13, -v17, v16, v13
	s_mov_b64 vcc, s[0:1]
	v_div_fmas_f32 v13, v13, v15, v16
	v_fma_f32 v15, -v18, v21, 1.0
	v_fmac_f32_e32 v21, v15, v21
	v_mul_f32_e32 v15, v12, v21
	v_fma_f32 v16, -v18, v15, v12
	v_fmac_f32_e32 v15, v16, v21
	v_div_scale_f32 v16, s[0:1], 1.0, v19, 1.0
	v_add_f32_e32 v14, 1.0, v14
	v_mul_f32_e32 v22, v14, v14
	v_div_scale_f32 v23, s[6:7], v22, v22, 1.0
	v_rcp_f32_e32 v17, v20
	v_fma_f32 v12, -v18, v15, v12
	s_mov_b64 vcc, s[2:3]
	v_div_scale_f32 v18, s[2:3], 1.0, v22, 1.0
	v_div_fmas_f32 v12, v12, v21, v15
	v_add_f32_e32 v21, v14, v14
	v_div_scale_f32 v24, s[6:7], v21, v21, 1.0
	v_fma_f32 v15, -v20, v17, 1.0
	v_fmac_f32_e32 v17, v15, v17
	v_mul_f32_e32 v15, v16, v17
	v_fma_f32 v25, -v20, v15, v16
	v_fmac_f32_e32 v15, v25, v17
	v_div_scale_f32 v25, s[6:7], 1.0, v21, 1.0
	v_rcp_f32_e32 v26, v23
	v_fma_f32 v16, -v20, v15, v16
	s_mov_b64 vcc, s[0:1]
	v_div_fmas_f32 v15, v16, v17, v15
	v_fma_f32 v16, -v23, v26, 1.0
	v_fmac_f32_e32 v26, v16, v26
	v_mul_f32_e32 v16, v18, v26
	v_fma_f32 v17, -v23, v16, v18
	v_fmac_f32_e32 v16, v17, v26
	v_rcp_f32_e32 v17, v24
	v_fma_f32 v18, -v23, v16, v18
	s_mov_b64 vcc, s[2:3]
	v_div_fmas_f32 v16, v18, v26, v16
	v_fma_f32 v18, -v24, v17, 1.0
	v_fmac_f32_e32 v17, v18, v17
	v_mul_f32_e32 v18, v25, v17
	v_fma_f32 v20, -v24, v18, v25
	v_fmac_f32_e32 v18, v20, v17
	v_fma_f32 v20, -v24, v18, v25
	s_mov_b64 vcc, s[6:7]
	v_div_fmas_f32 v17, v20, v17, v18
	v_mov_b32_e32 v18, 0x3d088889
	s_mov_b32 s0, 0x3e2aaaab
	v_div_fixup_f32 v4, v6, v4, 1.0
	v_add_f32_e32 v3, v3, v4
	v_div_fixup_f32 v1, v9, v1, 1.0
	v_add_f32_e32 v1, v3, v1
	v_div_fixup_f32 v3, v11, v5, 1.0
	v_div_fixup_f32 v16, v16, v22, 1.0
	v_fmac_f32_e32 v18, 0xbcc30c31, v16
	v_fma_f32 v18, -v16, v18, s0
	v_add_f32_e32 v1, v1, v3
	v_div_fixup_f32 v3, v13, v7, 1.0
	v_add_f32_e32 v1, v1, v3
	v_div_fixup_f32 v3, v12, v10, 1.0
	;; [unrolled: 2-line block ×3, first 2 shown]
	v_add_f32_e32 v17, 1.0, v17
	v_fmac_f32_e32 v17, v16, v18
	v_div_scale_f32 v16, s[0:1], v14, v14, v17
	v_div_scale_f32 v18, vcc, v17, v14, v17
	v_div_fixup_f32 v3, v15, v19, 1.0
	v_add_f32_e32 v1, v1, v3
	s_movk_i32 s0, 0x7fff
	v_rcp_f32_e32 v20, v16
	v_fma_f32 v21, -v16, v20, 1.0
	v_fmac_f32_e32 v20, v21, v20
	v_mul_f32_e32 v21, v18, v20
	v_fma_f32 v22, -v16, v21, v18
	v_fmac_f32_e32 v21, v22, v20
	v_fma_f32 v16, -v16, v21, v18
	v_div_fmas_f32 v16, v16, v20, v21
	v_div_fixup_f32 v3, v16, v14, v17
	v_add_f32_e32 v1, v1, v3
	v_mul_f32_e32 v1, v2, v1
	v_bfe_u32 v2, v1, 16, 1
	v_add3_u32 v2, v1, v2, s0
	v_cmp_o_f32_e32 vcc, v1, v1
	v_mov_b32_e32 v1, 0x7fc0
	v_cndmask_b32_sdwa v2, v1, v2, vcc dst_sel:DWORD dst_unused:UNUSED_PAD src0_sel:DWORD src1_sel:WORD_1
	v_mov_b32_e32 v1, s25
	v_add_co_u32_e32 v0, vcc, s24, v0
	v_addc_co_u32_e32 v1, vcc, 0, v1, vcc
	s_cbranch_scc1 .LBB77_39
; %bb.32:
	s_and_b32 s13, 0xffff, s12
	s_cmp_gt_i32 s13, 25
	s_cbranch_scc0 .LBB77_42
; %bb.33:
	s_cmp_gt_i32 s13, 28
	s_cbranch_scc0 .LBB77_44
; %bb.34:
	;; [unrolled: 3-line block ×4, first 2 shown]
	s_mov_b64 s[6:7], 0
	s_mov_b64 s[0:1], -1
	s_cmp_eq_u32 s13, 46
	s_mov_b64 s[2:3], 0
	s_cbranch_scc0 .LBB77_53
; %bb.37:
	v_and_b32_e32 v3, 0xffff, v2
	global_store_dword v[0:1], v3, off
	s_mov_b64 s[2:3], -1
	s_mov_b64 s[0:1], 0
	s_branch .LBB77_53
.LBB77_38:
	s_mov_b64 s[8:9], 0
	s_mov_b64 s[0:1], 0
                                        ; implicit-def: $vgpr3
	s_cbranch_execnz .LBB77_187
	s_branch .LBB77_221
.LBB77_39:
	s_mov_b64 s[0:1], 0
	s_mov_b64 s[2:3], 0
	s_cbranch_execnz .LBB77_122
.LBB77_40:
	s_andn2_b64 vcc, exec, s[2:3]
	s_cbranch_vccnz .LBB77_270
	s_branch .LBB77_160
.LBB77_41:
	s_mov_b64 s[2:3], -1
	s_mov_b64 s[8:9], 0
	s_mov_b64 s[0:1], 0
                                        ; implicit-def: $vgpr3
	s_branch .LBB77_168
.LBB77_42:
	s_mov_b64 s[6:7], -1
	s_mov_b64 s[0:1], 0
	s_mov_b64 s[2:3], 0
	s_branch .LBB77_80
.LBB77_43:
	s_mov_b64 s[2:3], -1
	s_mov_b64 s[8:9], 0
	s_mov_b64 s[0:1], 0
                                        ; implicit-def: $vgpr3
	s_branch .LBB77_163
.LBB77_44:
	s_mov_b64 s[6:7], -1
	s_mov_b64 s[0:1], 0
	s_mov_b64 s[2:3], 0
	s_branch .LBB77_63
.LBB77_45:
	s_mov_b64 s[2:3], -1
	s_mov_b64 s[8:9], 0
	s_branch .LBB77_48
.LBB77_46:
	s_mov_b64 s[6:7], -1
	s_mov_b64 s[0:1], 0
	s_mov_b64 s[2:3], 0
	s_branch .LBB77_59
.LBB77_47:
	s_mov_b64 s[8:9], -1
.LBB77_48:
	s_mov_b64 s[0:1], 0
                                        ; implicit-def: $vgpr3
.LBB77_49:
	s_and_b64 vcc, exec, s[2:3]
	s_cbranch_vccz .LBB77_162
; %bb.50:
	s_cmp_eq_u32 s10, 44
	s_cbranch_scc0 .LBB77_161
; %bb.51:
	global_load_ubyte v3, v[1:2], off
	s_movk_i32 s2, 0xff
	v_mov_b32_e32 v4, 0x7f800001
	v_mov_b32_e32 v5, 0x400000
	;; [unrolled: 1-line block ×3, first 2 shown]
	s_mov_b64 s[0:1], -1
	s_mov_b64 s[8:9], 0
	s_waitcnt vmcnt(0)
	v_lshlrev_b32_e32 v7, 23, v3
	v_cmp_ne_u32_e32 vcc, s2, v3
	v_cndmask_b32_e32 v4, v4, v7, vcc
	v_cmp_ne_u32_e32 vcc, 0, v3
	v_cndmask_b32_e32 v3, v5, v4, vcc
	v_add_u32_e32 v4, 0x7fff, v3
	v_cmp_o_f32_e32 vcc, v3, v3
	v_cndmask_b32_sdwa v3, v6, v4, vcc dst_sel:DWORD dst_unused:UNUSED_PAD src0_sel:DWORD src1_sel:WORD_1
	s_branch .LBB77_162
.LBB77_52:
	s_mov_b64 s[6:7], -1
	s_mov_b64 s[0:1], 0
	s_mov_b64 s[2:3], 0
.LBB77_53:
	s_and_b64 vcc, exec, s[6:7]
	s_cbranch_vccz .LBB77_58
; %bb.54:
	s_cmp_eq_u32 s13, 44
	s_mov_b64 s[0:1], -1
	s_cbranch_scc0 .LBB77_58
; %bb.55:
	v_and_b32_e32 v4, 0xffff, v2
	v_bfe_u32 v3, v4, 7, 8
	s_movk_i32 s0, 0xff
	v_cmp_ne_u32_e32 vcc, s0, v3
	v_mov_b32_e32 v5, 0xff
	s_and_saveexec_b64 s[2:3], vcc
	s_cbranch_execz .LBB77_57
; %bb.56:
	v_lshlrev_b32_e32 v6, 16, v4
	s_mov_b32 s0, 0x3f0000
	v_lshrrev_b32_e32 v5, 7, v4
	v_and_b32_e32 v4, 64, v4
	v_and_or_b32 v3, v6, s0, v3
	v_cmp_ne_u32_e32 vcc, 0, v4
	v_cmp_ne_u32_e64 s[0:1], 0, v3
	s_and_b64 s[0:1], vcc, s[0:1]
	v_cndmask_b32_e64 v3, 0, 1, s[0:1]
	v_add_u32_e32 v5, v5, v3
.LBB77_57:
	s_or_b64 exec, exec, s[2:3]
	s_mov_b64 s[2:3], -1
	s_mov_b64 s[0:1], 0
	global_store_byte v[0:1], v5, off
.LBB77_58:
	s_mov_b64 s[6:7], 0
.LBB77_59:
	s_and_b64 vcc, exec, s[6:7]
	s_cbranch_vccz .LBB77_62
; %bb.60:
	s_cmp_eq_u32 s13, 29
	s_mov_b64 s[0:1], -1
	s_cbranch_scc0 .LBB77_62
; %bb.61:
	v_lshlrev_b32_e32 v3, 16, v2
	v_trunc_f32_e32 v3, v3
	v_mul_f32_e32 v4, 0x2f800000, v3
	v_floor_f32_e32 v5, v4
	v_fmac_f32_e32 v3, 0xcf800000, v5
	v_cvt_u32_f32_e32 v4, v5
	v_cvt_u32_f32_e32 v3, v3
	s_mov_b64 s[2:3], -1
	s_mov_b64 s[0:1], 0
	s_mov_b64 s[6:7], 0
	global_store_dwordx2 v[0:1], v[3:4], off
	s_branch .LBB77_63
.LBB77_62:
	s_mov_b64 s[6:7], 0
.LBB77_63:
	s_and_b64 vcc, exec, s[6:7]
	s_cbranch_vccz .LBB77_79
; %bb.64:
	s_cmp_lt_i32 s13, 27
	s_mov_b64 s[2:3], -1
	s_cbranch_scc1 .LBB77_70
; %bb.65:
	s_cmp_gt_i32 s13, 27
	s_cbranch_scc0 .LBB77_67
; %bb.66:
	v_lshlrev_b32_e32 v3, 16, v2
	v_cvt_u32_f32_e32 v3, v3
	s_mov_b64 s[2:3], 0
	global_store_dword v[0:1], v3, off
.LBB77_67:
	s_andn2_b64 vcc, exec, s[2:3]
	s_cbranch_vccnz .LBB77_69
; %bb.68:
	v_lshlrev_b32_e32 v3, 16, v2
	v_cvt_u32_f32_e32 v3, v3
	global_store_short v[0:1], v3, off
.LBB77_69:
	s_mov_b64 s[2:3], 0
.LBB77_70:
	s_andn2_b64 vcc, exec, s[2:3]
	s_cbranch_vccnz .LBB77_78
; %bb.71:
	v_lshlrev_b32_e32 v5, 16, v2
	v_and_b32_e32 v4, 0x7fffffff, v5
	s_mov_b32 s2, 0x43800000
	v_cmp_gt_u32_e32 vcc, s2, v4
	v_mov_b32_e32 v6, 0x80
	s_and_saveexec_b64 s[2:3], vcc
	s_cbranch_execz .LBB77_77
; %bb.72:
	s_mov_b32 s6, 0x3bffffff
	v_and_b32_e32 v3, 0xffff, v2
	v_cmp_lt_u32_e32 vcc, s6, v4
	s_mov_b64 s[6:7], 0
                                        ; implicit-def: $vgpr4
	s_and_saveexec_b64 s[10:11], vcc
	s_xor_b64 s[10:11], exec, s[10:11]
	s_cbranch_execz .LBB77_319
; %bb.73:
	v_bfe_u32 v4, v3, 4, 1
	s_mov_b32 s14, 0x487ffff
	v_add3_u32 v4, v5, v4, s14
	s_mov_b64 s[6:7], exec
	v_lshrrev_b32_e32 v4, 20, v4
                                        ; implicit-def: $vgpr5
	s_andn2_saveexec_b64 s[10:11], s[10:11]
	s_cbranch_execnz .LBB77_320
.LBB77_74:
	s_or_b64 exec, exec, s[10:11]
	v_mov_b32_e32 v6, 0
	s_and_saveexec_b64 s[10:11], s[6:7]
.LBB77_75:
	v_lshrrev_b32_e32 v3, 8, v3
	s_movk_i32 s6, 0x80
	v_and_or_b32 v6, v3, s6, v4
.LBB77_76:
	s_or_b64 exec, exec, s[10:11]
.LBB77_77:
	s_or_b64 exec, exec, s[2:3]
	global_store_byte v[0:1], v6, off
.LBB77_78:
	s_mov_b64 s[2:3], -1
.LBB77_79:
	s_mov_b64 s[6:7], 0
.LBB77_80:
	s_and_b64 vcc, exec, s[6:7]
	s_cbranch_vccz .LBB77_121
; %bb.81:
	s_cmp_gt_i32 s13, 22
	s_mov_b64 s[6:7], -1
	s_cbranch_scc0 .LBB77_113
; %bb.82:
	s_cmp_lt_i32 s13, 24
	s_mov_b64 s[2:3], -1
	s_cbranch_scc1 .LBB77_102
; %bb.83:
	s_cmp_gt_i32 s13, 24
	s_cbranch_scc0 .LBB77_91
; %bb.84:
	v_lshlrev_b32_e32 v5, 16, v2
	v_and_b32_e32 v4, 0x7fffffff, v5
	s_mov_b32 s2, 0x47800000
	v_cmp_gt_u32_e32 vcc, s2, v4
	v_mov_b32_e32 v6, 0x80
	s_and_saveexec_b64 s[2:3], vcc
	s_cbranch_execz .LBB77_90
; %bb.85:
	s_mov_b32 s6, 0x37ffffff
	v_and_b32_e32 v3, 0xffff, v2
	v_cmp_lt_u32_e32 vcc, s6, v4
	s_mov_b64 s[6:7], 0
                                        ; implicit-def: $vgpr4
	s_and_saveexec_b64 s[10:11], vcc
	s_xor_b64 s[10:11], exec, s[10:11]
	s_cbranch_execz .LBB77_323
; %bb.86:
	v_bfe_u32 v4, v3, 5, 1
	s_mov_b32 s14, 0x88fffff
	v_add3_u32 v4, v5, v4, s14
	s_mov_b64 s[6:7], exec
	v_lshrrev_b32_e32 v4, 21, v4
                                        ; implicit-def: $vgpr5
	s_andn2_saveexec_b64 s[10:11], s[10:11]
	s_cbranch_execnz .LBB77_324
.LBB77_87:
	s_or_b64 exec, exec, s[10:11]
	v_mov_b32_e32 v6, 0
	s_and_saveexec_b64 s[10:11], s[6:7]
.LBB77_88:
	v_lshrrev_b32_e32 v3, 8, v3
	s_movk_i32 s6, 0x80
	v_and_or_b32 v6, v3, s6, v4
.LBB77_89:
	s_or_b64 exec, exec, s[10:11]
.LBB77_90:
	s_or_b64 exec, exec, s[2:3]
	s_mov_b64 s[2:3], 0
	global_store_byte v[0:1], v6, off
.LBB77_91:
	s_and_b64 vcc, exec, s[2:3]
	s_cbranch_vccz .LBB77_101
; %bb.92:
	v_lshlrev_b32_e32 v5, 16, v2
	v_and_b32_e32 v6, 0x7fffffff, v5
	s_mov_b32 s2, 0x43f00000
	v_and_b32_e32 v3, 0xffff, v2
	v_cmp_gt_u32_e32 vcc, s2, v6
                                        ; implicit-def: $vgpr4
	s_and_saveexec_b64 s[2:3], vcc
	s_xor_b64 s[2:3], exec, s[2:3]
	s_cbranch_execz .LBB77_98
; %bb.93:
	s_mov_b32 s6, 0x3c7fffff
	v_cmp_lt_u32_e32 vcc, s6, v6
                                        ; implicit-def: $vgpr4
	s_and_saveexec_b64 s[6:7], vcc
	s_xor_b64 s[6:7], exec, s[6:7]
; %bb.94:
	v_bfe_u32 v4, v3, 4, 1
	s_mov_b32 s10, 0x407ffff
	v_add3_u32 v4, v5, v4, s10
	v_lshrrev_b32_e32 v5, 20, v4
	v_and_b32_e32 v4, 0xff00000, v4
	s_mov_b32 s10, 0x7f00000
	v_mov_b32_e32 v6, 0x7e
	v_cmp_ne_u32_e32 vcc, s10, v4
	v_cndmask_b32_e32 v4, v6, v5, vcc
                                        ; implicit-def: $vgpr5
; %bb.95:
	s_andn2_saveexec_b64 s[6:7], s[6:7]
; %bb.96:
	s_mov_b32 s10, 0x46800000
	v_add_f32_e64 v4, |v5|, s10
; %bb.97:
	s_or_b64 exec, exec, s[6:7]
                                        ; implicit-def: $vgpr6
.LBB77_98:
	s_andn2_saveexec_b64 s[2:3], s[2:3]
; %bb.99:
	s_mov_b32 s6, 0x7f800000
	v_mov_b32_e32 v4, 0x7e
	v_mov_b32_e32 v5, 0x7f
	v_cmp_lt_u32_e32 vcc, s6, v6
	v_cndmask_b32_e32 v4, v4, v5, vcc
; %bb.100:
	s_or_b64 exec, exec, s[2:3]
	v_lshrrev_b32_e32 v3, 8, v3
	s_movk_i32 s2, 0x80
	v_and_or_b32 v3, v3, s2, v4
	global_store_byte v[0:1], v3, off
.LBB77_101:
	s_mov_b64 s[2:3], 0
.LBB77_102:
	s_andn2_b64 vcc, exec, s[2:3]
	s_cbranch_vccnz .LBB77_112
; %bb.103:
	v_lshlrev_b32_e32 v5, 16, v2
	v_and_b32_e32 v6, 0x7fffffff, v5
	s_mov_b32 s2, 0x47800000
	v_and_b32_e32 v3, 0xffff, v2
	v_cmp_gt_u32_e32 vcc, s2, v6
                                        ; implicit-def: $vgpr4
	s_and_saveexec_b64 s[2:3], vcc
	s_xor_b64 s[2:3], exec, s[2:3]
	s_cbranch_execz .LBB77_109
; %bb.104:
	s_mov_b32 s6, 0x387fffff
	v_cmp_lt_u32_e32 vcc, s6, v6
                                        ; implicit-def: $vgpr4
	s_and_saveexec_b64 s[6:7], vcc
	s_xor_b64 s[6:7], exec, s[6:7]
; %bb.105:
	v_bfe_u32 v4, v3, 5, 1
	s_mov_b32 s10, 0x80fffff
	v_add3_u32 v4, v5, v4, s10
	v_lshrrev_b32_e32 v4, 21, v4
                                        ; implicit-def: $vgpr5
; %bb.106:
	s_andn2_saveexec_b64 s[6:7], s[6:7]
; %bb.107:
	s_mov_b32 s10, 0x43000000
	v_add_f32_e64 v4, |v5|, s10
; %bb.108:
	s_or_b64 exec, exec, s[6:7]
                                        ; implicit-def: $vgpr6
.LBB77_109:
	s_andn2_saveexec_b64 s[2:3], s[2:3]
; %bb.110:
	s_mov_b32 s6, 0x7f800000
	v_mov_b32_e32 v4, 0x7c
	v_mov_b32_e32 v5, 0x7f
	v_cmp_lt_u32_e32 vcc, s6, v6
	v_cndmask_b32_e32 v4, v4, v5, vcc
; %bb.111:
	s_or_b64 exec, exec, s[2:3]
	v_lshrrev_b32_e32 v3, 8, v3
	s_movk_i32 s2, 0x80
	v_and_or_b32 v3, v3, s2, v4
	global_store_byte v[0:1], v3, off
.LBB77_112:
	s_mov_b64 s[6:7], 0
	s_mov_b64 s[2:3], -1
.LBB77_113:
	s_andn2_b64 vcc, exec, s[6:7]
	s_cbranch_vccnz .LBB77_121
; %bb.114:
	s_cmp_gt_i32 s13, 14
	s_mov_b64 s[6:7], -1
	s_cbranch_scc0 .LBB77_118
; %bb.115:
	s_cmp_eq_u32 s13, 15
	s_mov_b64 s[0:1], -1
	s_cbranch_scc0 .LBB77_117
; %bb.116:
	global_store_short v[0:1], v2, off
	s_mov_b64 s[2:3], -1
	s_mov_b64 s[0:1], 0
.LBB77_117:
	s_mov_b64 s[6:7], 0
.LBB77_118:
	s_and_b64 vcc, exec, s[6:7]
	s_cbranch_vccz .LBB77_121
; %bb.119:
	s_cmp_eq_u32 s13, 11
	s_mov_b64 s[0:1], -1
	s_cbranch_scc0 .LBB77_121
; %bb.120:
	v_and_b32_e32 v3, 0x7fff, v2
	v_cmp_ne_u16_e32 vcc, 0, v3
	v_cndmask_b32_e64 v3, 0, 1, vcc
	s_mov_b64 s[2:3], -1
	s_mov_b64 s[0:1], 0
	global_store_byte v[0:1], v3, off
.LBB77_121:
	s_branch .LBB77_40
.LBB77_122:
	s_and_b32 s6, 0xffff, s12
	s_cmp_lt_i32 s6, 5
	s_mov_b64 s[2:3], -1
	s_cbranch_scc1 .LBB77_143
; %bb.123:
	s_cmp_lt_i32 s6, 8
	s_cbranch_scc1 .LBB77_133
; %bb.124:
	s_cmp_lt_i32 s6, 9
	s_cbranch_scc1 .LBB77_130
; %bb.125:
	s_cmp_gt_i32 s6, 9
	s_cbranch_scc0 .LBB77_127
; %bb.126:
	v_lshlrev_b32_e32 v3, 16, v2
	v_cvt_f64_f32_e32 v[3:4], v3
	v_mov_b32_e32 v5, 0
	v_mov_b32_e32 v6, v5
	s_mov_b64 s[2:3], 0
	global_store_dwordx4 v[0:1], v[3:6], off
.LBB77_127:
	s_andn2_b64 vcc, exec, s[2:3]
	s_cbranch_vccnz .LBB77_129
; %bb.128:
	v_lshlrev_b32_e32 v3, 16, v2
	v_mov_b32_e32 v4, 0
	global_store_dwordx2 v[0:1], v[3:4], off
.LBB77_129:
	s_mov_b64 s[2:3], 0
.LBB77_130:
	s_andn2_b64 vcc, exec, s[2:3]
	s_cbranch_vccnz .LBB77_132
; %bb.131:
	v_lshlrev_b32_e32 v3, 16, v2
	v_cvt_f16_f32_e32 v3, v3
	global_store_dword v[0:1], v3, off
.LBB77_132:
	s_mov_b64 s[2:3], 0
.LBB77_133:
	s_andn2_b64 vcc, exec, s[2:3]
	s_cbranch_vccnz .LBB77_142
; %bb.134:
	s_cmp_lt_i32 s6, 6
	s_mov_b64 s[2:3], -1
	s_cbranch_scc1 .LBB77_140
; %bb.135:
	s_cmp_gt_i32 s6, 6
	s_cbranch_scc0 .LBB77_137
; %bb.136:
	v_lshlrev_b32_e32 v3, 16, v2
	v_cvt_f64_f32_e32 v[3:4], v3
	s_mov_b64 s[2:3], 0
	global_store_dwordx2 v[0:1], v[3:4], off
.LBB77_137:
	s_andn2_b64 vcc, exec, s[2:3]
	s_cbranch_vccnz .LBB77_139
; %bb.138:
	v_lshlrev_b32_e32 v3, 16, v2
	global_store_dword v[0:1], v3, off
.LBB77_139:
	s_mov_b64 s[2:3], 0
.LBB77_140:
	s_andn2_b64 vcc, exec, s[2:3]
	s_cbranch_vccnz .LBB77_142
; %bb.141:
	v_lshlrev_b32_e32 v3, 16, v2
	v_cvt_f16_f32_e32 v3, v3
	global_store_short v[0:1], v3, off
.LBB77_142:
	s_mov_b64 s[2:3], 0
.LBB77_143:
	s_andn2_b64 vcc, exec, s[2:3]
	s_cbranch_vccnz .LBB77_159
; %bb.144:
	s_cmp_lt_i32 s6, 2
	s_mov_b64 s[2:3], -1
	s_cbranch_scc1 .LBB77_154
; %bb.145:
	s_cmp_lt_i32 s6, 3
	s_cbranch_scc1 .LBB77_151
; %bb.146:
	s_cmp_gt_i32 s6, 3
	s_cbranch_scc0 .LBB77_148
; %bb.147:
	v_lshlrev_b32_e32 v3, 16, v2
	v_trunc_f32_e32 v3, v3
	s_mov_b32 s2, 0x2f800000
	v_mul_f32_e64 v4, |v3|, s2
	v_floor_f32_e32 v4, v4
	s_mov_b32 s2, 0xcf800000
	v_cvt_u32_f32_e32 v5, v4
	v_fma_f32 v4, v4, s2, |v3|
	v_cvt_u32_f32_e32 v4, v4
	v_ashrrev_i32_e32 v6, 31, v3
	v_xor_b32_e32 v5, v5, v6
	s_mov_b64 s[2:3], 0
	v_xor_b32_e32 v3, v4, v6
	v_sub_co_u32_e32 v3, vcc, v3, v6
	v_subb_co_u32_e32 v4, vcc, v5, v6, vcc
	global_store_dwordx2 v[0:1], v[3:4], off
.LBB77_148:
	s_andn2_b64 vcc, exec, s[2:3]
	s_cbranch_vccnz .LBB77_150
; %bb.149:
	v_lshlrev_b32_e32 v3, 16, v2
	v_cvt_i32_f32_e32 v3, v3
	global_store_dword v[0:1], v3, off
.LBB77_150:
	s_mov_b64 s[2:3], 0
.LBB77_151:
	s_andn2_b64 vcc, exec, s[2:3]
	s_cbranch_vccnz .LBB77_153
; %bb.152:
	v_lshlrev_b32_e32 v3, 16, v2
	v_cvt_i32_f32_e32 v3, v3
	global_store_short v[0:1], v3, off
.LBB77_153:
	s_mov_b64 s[2:3], 0
.LBB77_154:
	s_andn2_b64 vcc, exec, s[2:3]
	s_cbranch_vccnz .LBB77_159
; %bb.155:
	s_cmp_gt_i32 s6, 0
	s_mov_b64 s[2:3], -1
	s_cbranch_scc0 .LBB77_157
; %bb.156:
	v_lshlrev_b32_e32 v3, 16, v2
	v_cvt_i32_f32_e32 v3, v3
	s_mov_b64 s[2:3], 0
	global_store_byte v[0:1], v3, off
.LBB77_157:
	s_andn2_b64 vcc, exec, s[2:3]
	s_cbranch_vccnz .LBB77_159
; %bb.158:
	v_lshlrev_b32_e32 v2, 16, v2
	v_trunc_f32_e32 v2, v2
	s_mov_b32 s2, 0x2f800000
	v_mul_f32_e64 v3, |v2|, s2
	v_floor_f32_e32 v3, v3
	s_mov_b32 s2, 0xcf800000
	v_fma_f32 v3, v3, s2, |v2|
	v_cvt_u32_f32_e32 v3, v3
	v_ashrrev_i32_e32 v2, 31, v2
	v_xor_b32_e32 v3, v3, v2
	v_sub_u32_e32 v2, v3, v2
	global_store_byte v[0:1], v2, off
.LBB77_159:
.LBB77_160:
	v_add_u32_e32 v8, 0x80, v8
	s_mov_b64 s[2:3], -1
	s_branch .LBB77_271
.LBB77_161:
	s_mov_b64 s[8:9], -1
                                        ; implicit-def: $vgpr3
.LBB77_162:
	s_mov_b64 s[2:3], 0
.LBB77_163:
	s_and_b64 vcc, exec, s[2:3]
	s_cbranch_vccz .LBB77_167
; %bb.164:
	s_cmp_eq_u32 s10, 29
	s_cbranch_scc0 .LBB77_166
; %bb.165:
	global_load_dwordx2 v[3:4], v[1:2], off
	s_movk_i32 s2, 0x7fff
	s_mov_b64 s[0:1], -1
	s_mov_b64 s[8:9], 0
	s_waitcnt vmcnt(0)
	v_ffbh_u32_e32 v5, v4
	v_min_u32_e32 v5, 32, v5
	v_lshlrev_b64 v[3:4], v5, v[3:4]
	v_min_u32_e32 v3, 1, v3
	v_or_b32_e32 v3, v4, v3
	v_cvt_f32_u32_e32 v3, v3
	v_sub_u32_e32 v4, 32, v5
	v_ldexp_f32 v3, v3, v4
	v_bfe_u32 v4, v3, 16, 1
	v_add3_u32 v3, v3, v4, s2
	v_lshrrev_b32_e32 v3, 16, v3
	s_branch .LBB77_167
.LBB77_166:
	s_mov_b64 s[8:9], -1
                                        ; implicit-def: $vgpr3
.LBB77_167:
	s_mov_b64 s[2:3], 0
.LBB77_168:
	s_and_b64 vcc, exec, s[2:3]
	s_cbranch_vccz .LBB77_186
; %bb.169:
	s_cmp_lt_i32 s10, 27
	s_cbranch_scc1 .LBB77_172
; %bb.170:
	s_cmp_gt_i32 s10, 27
	s_cbranch_scc0 .LBB77_173
; %bb.171:
	global_load_dword v3, v[1:2], off
	s_movk_i32 s0, 0x7fff
	s_waitcnt vmcnt(0)
	v_cvt_f32_u32_e32 v3, v3
	v_bfe_u32 v4, v3, 16, 1
	v_add3_u32 v3, v3, v4, s0
	v_lshrrev_b32_e32 v3, 16, v3
	s_mov_b64 s[0:1], 0
	s_branch .LBB77_174
.LBB77_172:
	s_mov_b64 s[0:1], -1
                                        ; implicit-def: $vgpr3
	s_branch .LBB77_177
.LBB77_173:
	s_mov_b64 s[0:1], -1
                                        ; implicit-def: $vgpr3
.LBB77_174:
	s_andn2_b64 vcc, exec, s[0:1]
	s_cbranch_vccnz .LBB77_176
; %bb.175:
	global_load_ushort v3, v[1:2], off
	s_movk_i32 s0, 0x7fff
	s_waitcnt vmcnt(0)
	v_cvt_f32_u32_e32 v3, v3
	v_bfe_u32 v4, v3, 16, 1
	v_add3_u32 v3, v3, v4, s0
	v_lshrrev_b32_e32 v3, 16, v3
.LBB77_176:
	s_mov_b64 s[0:1], 0
.LBB77_177:
	s_andn2_b64 vcc, exec, s[0:1]
	s_cbranch_vccnz .LBB77_185
; %bb.178:
	global_load_ubyte v3, v[1:2], off
	s_movk_i32 s0, 0x7f
	s_waitcnt vmcnt(0)
	v_cmp_lt_i16_e32 vcc, s0, v3
	s_mov_b64 s[0:1], 0
	s_and_saveexec_b64 s[2:3], vcc
	s_xor_b64 s[2:3], exec, s[2:3]
	s_cbranch_execz .LBB77_198
; %bb.179:
	s_movk_i32 s0, 0x80
	v_cmp_eq_u16_e32 vcc, s0, v3
	s_mov_b64 s[0:1], -1
	s_and_saveexec_b64 s[6:7], vcc
; %bb.180:
	s_xor_b64 s[0:1], exec, -1
; %bb.181:
	s_or_b64 exec, exec, s[6:7]
	s_and_b64 s[0:1], s[0:1], exec
	s_or_saveexec_b64 s[2:3], s[2:3]
	v_mov_b32_e32 v4, 0x7f800001
	s_xor_b64 exec, exec, s[2:3]
	s_cbranch_execnz .LBB77_199
.LBB77_182:
	s_or_b64 exec, exec, s[2:3]
	s_and_saveexec_b64 s[2:3], s[0:1]
	s_cbranch_execz .LBB77_184
.LBB77_183:
	v_lshlrev_b32_e32 v4, 24, v3
	v_and_b32_e32 v3, 0xffff, v3
	v_and_b32_e32 v5, 7, v3
	v_ffbh_u32_e32 v7, v5
	v_min_u32_e32 v7, 32, v7
	v_subrev_u32_e32 v9, 28, v7
	v_bfe_u32 v6, v3, 3, 4
	v_lshlrev_b32_e32 v3, v9, v3
	v_sub_u32_e32 v7, 29, v7
	v_and_b32_e32 v3, 7, v3
	v_cmp_eq_u32_e32 vcc, 0, v6
	v_cndmask_b32_e32 v6, v6, v7, vcc
	v_cndmask_b32_e32 v3, v5, v3, vcc
	v_mov_b32_e32 v5, 0x3b800000
	v_lshlrev_b32_e32 v3, 20, v3
	v_and_b32_e32 v4, 0x80000000, v4
	v_lshl_add_u32 v5, v6, 23, v5
	v_or3_b32 v4, v4, v5, v3
.LBB77_184:
	s_or_b64 exec, exec, s[2:3]
	v_bfe_u32 v3, v4, 16, 1
	s_movk_i32 s0, 0x7fff
	v_add3_u32 v3, v4, v3, s0
	v_cmp_o_f32_e32 vcc, v4, v4
	v_mov_b32_e32 v4, 0x7fc0
	v_cndmask_b32_sdwa v3, v4, v3, vcc dst_sel:DWORD dst_unused:UNUSED_PAD src0_sel:DWORD src1_sel:WORD_1
.LBB77_185:
	s_mov_b64 s[0:1], -1
.LBB77_186:
	s_branch .LBB77_221
.LBB77_187:
	s_cmp_gt_i32 s10, 22
	s_cbranch_scc0 .LBB77_197
; %bb.188:
	s_cmp_lt_i32 s10, 24
	s_cbranch_scc1 .LBB77_200
; %bb.189:
	s_cmp_gt_i32 s10, 24
	s_cbranch_scc0 .LBB77_201
; %bb.190:
	global_load_ubyte v3, v[1:2], off
	s_movk_i32 s0, 0x7f
	s_waitcnt vmcnt(0)
	v_cmp_lt_i16_e32 vcc, s0, v3
	s_mov_b64 s[0:1], 0
	s_and_saveexec_b64 s[2:3], vcc
	s_xor_b64 s[2:3], exec, s[2:3]
	s_cbranch_execz .LBB77_213
; %bb.191:
	s_movk_i32 s0, 0x80
	v_cmp_eq_u16_e32 vcc, s0, v3
	s_mov_b64 s[0:1], -1
	s_and_saveexec_b64 s[6:7], vcc
; %bb.192:
	s_xor_b64 s[0:1], exec, -1
; %bb.193:
	s_or_b64 exec, exec, s[6:7]
	s_and_b64 s[0:1], s[0:1], exec
	s_or_saveexec_b64 s[2:3], s[2:3]
	v_mov_b32_e32 v4, 0x7f800001
	s_xor_b64 exec, exec, s[2:3]
	s_cbranch_execnz .LBB77_214
.LBB77_194:
	s_or_b64 exec, exec, s[2:3]
	s_and_saveexec_b64 s[2:3], s[0:1]
	s_cbranch_execz .LBB77_196
.LBB77_195:
	v_lshlrev_b32_e32 v4, 24, v3
	v_and_b32_e32 v3, 0xffff, v3
	v_and_b32_e32 v5, 3, v3
	v_ffbh_u32_e32 v7, v5
	v_min_u32_e32 v7, 32, v7
	v_subrev_u32_e32 v9, 29, v7
	v_bfe_u32 v6, v3, 2, 5
	v_lshlrev_b32_e32 v3, v9, v3
	v_sub_u32_e32 v7, 30, v7
	v_and_b32_e32 v3, 3, v3
	v_cmp_eq_u32_e32 vcc, 0, v6
	v_cndmask_b32_e32 v6, v6, v7, vcc
	v_cndmask_b32_e32 v3, v5, v3, vcc
	v_mov_b32_e32 v5, 0x37800000
	v_lshlrev_b32_e32 v3, 21, v3
	v_and_b32_e32 v4, 0x80000000, v4
	v_lshl_add_u32 v5, v6, 23, v5
	v_or3_b32 v4, v4, v5, v3
.LBB77_196:
	s_or_b64 exec, exec, s[2:3]
	v_bfe_u32 v3, v4, 16, 1
	s_movk_i32 s0, 0x7fff
	v_add3_u32 v3, v4, v3, s0
	v_cmp_o_f32_e32 vcc, v4, v4
	v_mov_b32_e32 v4, 0x7fc0
	v_cndmask_b32_sdwa v3, v4, v3, vcc dst_sel:DWORD dst_unused:UNUSED_PAD src0_sel:DWORD src1_sel:WORD_1
	s_mov_b64 s[0:1], 0
	s_branch .LBB77_202
.LBB77_197:
	s_mov_b64 s[2:3], -1
                                        ; implicit-def: $vgpr3
	s_branch .LBB77_208
.LBB77_198:
	s_or_saveexec_b64 s[2:3], s[2:3]
	v_mov_b32_e32 v4, 0x7f800001
	s_xor_b64 exec, exec, s[2:3]
	s_cbranch_execz .LBB77_182
.LBB77_199:
	v_cmp_ne_u16_e32 vcc, 0, v3
	s_andn2_b64 s[0:1], s[0:1], exec
	s_and_b64 s[6:7], vcc, exec
	v_mov_b32_e32 v4, 0
	s_or_b64 s[0:1], s[0:1], s[6:7]
	s_or_b64 exec, exec, s[2:3]
	s_and_saveexec_b64 s[2:3], s[0:1]
	s_cbranch_execnz .LBB77_183
	s_branch .LBB77_184
.LBB77_200:
	s_mov_b64 s[0:1], -1
                                        ; implicit-def: $vgpr3
	s_branch .LBB77_205
.LBB77_201:
	s_mov_b64 s[0:1], -1
                                        ; implicit-def: $vgpr3
.LBB77_202:
	s_and_b64 vcc, exec, s[0:1]
	s_cbranch_vccz .LBB77_204
; %bb.203:
	global_load_ubyte v3, v[1:2], off
	s_mov_b32 s0, 0x7f800000
	s_brev_b32 s1, 1
	s_movk_i32 s2, 0x7fff
	s_waitcnt vmcnt(0)
	v_lshlrev_b32_e32 v3, 24, v3
	v_and_b32_e32 v4, 0x7f000000, v3
	v_ffbh_u32_e32 v5, v4
	v_min_u32_e32 v5, 32, v5
	v_sub_u32_e64 v5, v5, 4 clamp
	v_lshlrev_b32_e32 v7, v5, v4
	v_lshlrev_b32_e32 v5, 23, v5
	v_lshrrev_b32_e32 v7, 4, v7
	v_add_u32_e32 v6, 0x1000000, v4
	v_sub_u32_e32 v5, v7, v5
	v_ashrrev_i32_e32 v6, 8, v6
	v_add_u32_e32 v5, 0x3c000000, v5
	v_and_or_b32 v5, v6, s0, v5
	v_cmp_ne_u32_e32 vcc, 0, v4
	v_cndmask_b32_e32 v4, 0, v5, vcc
	v_and_or_b32 v3, v3, s1, v4
	v_bfe_u32 v4, v4, 16, 1
	v_add3_u32 v4, v3, v4, s2
	v_cmp_o_f32_e32 vcc, v3, v3
	v_mov_b32_e32 v3, 0x7fc0
	v_cndmask_b32_sdwa v3, v3, v4, vcc dst_sel:DWORD dst_unused:UNUSED_PAD src0_sel:DWORD src1_sel:WORD_1
.LBB77_204:
	s_mov_b64 s[0:1], 0
.LBB77_205:
	s_andn2_b64 vcc, exec, s[0:1]
	s_cbranch_vccnz .LBB77_207
; %bb.206:
	global_load_ubyte v3, v[1:2], off
	s_movk_i32 s0, 0x7f00
	s_brev_b32 s1, 16
	s_brev_b32 s2, 1
	s_movk_i32 s3, 0x7fff
	s_waitcnt vmcnt(0)
	v_lshlrev_b16_e32 v4, 8, v3
	v_lshlrev_b32_e32 v3, 25, v3
	v_lshrrev_b32_e32 v5, 4, v3
	v_and_or_b32 v6, v4, s0, 0.5
	v_or_b32_e32 v5, 0x70000000, v5
	v_add_f32_e32 v6, -0.5, v6
	v_mul_f32_e32 v5, 0x7800000, v5
	v_cmp_gt_u32_e32 vcc, s1, v3
	v_bfe_i32 v4, v4, 0, 16
	v_cndmask_b32_e32 v3, v5, v6, vcc
	v_and_or_b32 v4, v4, s2, v3
	v_bfe_u32 v3, v3, 16, 1
	v_add3_u32 v3, v4, v3, s3
	v_cmp_o_f32_e32 vcc, v4, v4
	v_mov_b32_e32 v4, 0x7fc0
	v_cndmask_b32_sdwa v3, v4, v3, vcc dst_sel:DWORD dst_unused:UNUSED_PAD src0_sel:DWORD src1_sel:WORD_1
.LBB77_207:
	s_mov_b64 s[2:3], 0
	s_mov_b64 s[0:1], -1
.LBB77_208:
	s_andn2_b64 vcc, exec, s[2:3]
	s_cbranch_vccnz .LBB77_221
; %bb.209:
	s_cmp_gt_i32 s10, 14
	s_cbranch_scc0 .LBB77_212
; %bb.210:
	s_cmp_eq_u32 s10, 15
	s_cbranch_scc0 .LBB77_215
; %bb.211:
	global_load_ushort v3, v[1:2], off
	s_mov_b64 s[0:1], -1
	s_mov_b64 s[8:9], 0
	s_branch .LBB77_216
.LBB77_212:
	s_mov_b64 s[2:3], -1
                                        ; implicit-def: $vgpr3
	s_branch .LBB77_217
.LBB77_213:
	s_or_saveexec_b64 s[2:3], s[2:3]
	v_mov_b32_e32 v4, 0x7f800001
	s_xor_b64 exec, exec, s[2:3]
	s_cbranch_execz .LBB77_194
.LBB77_214:
	v_cmp_ne_u16_e32 vcc, 0, v3
	s_andn2_b64 s[0:1], s[0:1], exec
	s_and_b64 s[6:7], vcc, exec
	v_mov_b32_e32 v4, 0
	s_or_b64 s[0:1], s[0:1], s[6:7]
	s_or_b64 exec, exec, s[2:3]
	s_and_saveexec_b64 s[2:3], s[0:1]
	s_cbranch_execnz .LBB77_195
	s_branch .LBB77_196
.LBB77_215:
	s_mov_b64 s[8:9], -1
                                        ; implicit-def: $vgpr3
.LBB77_216:
	s_mov_b64 s[2:3], 0
.LBB77_217:
	s_and_b64 vcc, exec, s[2:3]
	s_cbranch_vccz .LBB77_221
; %bb.218:
	s_cmp_eq_u32 s10, 11
	s_cbranch_scc0 .LBB77_220
; %bb.219:
	global_load_ubyte v3, v[1:2], off
	s_mov_b64 s[0:1], -1
	s_mov_b64 s[8:9], 0
	s_waitcnt vmcnt(0)
	v_cmp_ne_u16_e32 vcc, 0, v3
	v_cndmask_b32_e64 v3, 0, 1.0, vcc
	v_lshrrev_b32_e32 v3, 16, v3
	s_branch .LBB77_221
.LBB77_220:
	s_mov_b64 s[8:9], -1
                                        ; implicit-def: $vgpr3
.LBB77_221:
	s_branch .LBB77_24
.LBB77_222:
	s_cmp_lt_i32 s10, 5
	s_cbranch_scc1 .LBB77_227
; %bb.223:
	s_cmp_lt_i32 s10, 8
	s_cbranch_scc1 .LBB77_228
; %bb.224:
	;; [unrolled: 3-line block ×3, first 2 shown]
	s_cmp_gt_i32 s10, 9
	s_cbranch_scc0 .LBB77_230
; %bb.226:
	global_load_dwordx2 v[3:4], v[1:2], off
	s_movk_i32 s0, 0x7fff
	s_waitcnt vmcnt(0)
	v_cvt_f32_f64_e32 v3, v[3:4]
	v_mov_b32_e32 v4, 0x7fc0
	v_bfe_u32 v5, v3, 16, 1
	v_cmp_o_f32_e32 vcc, v3, v3
	v_add3_u32 v3, v3, v5, s0
	v_cndmask_b32_sdwa v3, v4, v3, vcc dst_sel:DWORD dst_unused:UNUSED_PAD src0_sel:DWORD src1_sel:WORD_1
	s_mov_b64 s[0:1], 0
	s_branch .LBB77_231
.LBB77_227:
                                        ; implicit-def: $vgpr3
	s_branch .LBB77_249
.LBB77_228:
	s_mov_b64 s[0:1], -1
                                        ; implicit-def: $vgpr3
	s_branch .LBB77_237
.LBB77_229:
	s_mov_b64 s[0:1], -1
                                        ; implicit-def: $vgpr3
	s_branch .LBB77_234
.LBB77_230:
	s_mov_b64 s[0:1], -1
                                        ; implicit-def: $vgpr3
.LBB77_231:
	s_andn2_b64 vcc, exec, s[0:1]
	s_cbranch_vccnz .LBB77_233
; %bb.232:
	global_load_dword v3, v[1:2], off
	s_movk_i32 s0, 0x7fff
	v_mov_b32_e32 v4, 0x7fc0
	s_waitcnt vmcnt(0)
	v_bfe_u32 v5, v3, 16, 1
	v_cmp_o_f32_e32 vcc, v3, v3
	v_add3_u32 v3, v3, v5, s0
	v_cndmask_b32_sdwa v3, v4, v3, vcc dst_sel:DWORD dst_unused:UNUSED_PAD src0_sel:DWORD src1_sel:WORD_1
.LBB77_233:
	s_mov_b64 s[0:1], 0
.LBB77_234:
	s_andn2_b64 vcc, exec, s[0:1]
	s_cbranch_vccnz .LBB77_236
; %bb.235:
	global_load_dword v3, v[1:2], off
	s_movk_i32 s0, 0x7fff
	v_mov_b32_e32 v5, 0x7fc0
	s_waitcnt vmcnt(0)
	v_cvt_f32_f16_e32 v4, v3
	v_cmp_o_f16_e32 vcc, v3, v3
	v_bfe_u32 v3, v4, 16, 1
	v_add3_u32 v3, v4, v3, s0
	v_cndmask_b32_sdwa v3, v5, v3, vcc dst_sel:DWORD dst_unused:UNUSED_PAD src0_sel:DWORD src1_sel:WORD_1
.LBB77_236:
	s_mov_b64 s[0:1], 0
.LBB77_237:
	s_andn2_b64 vcc, exec, s[0:1]
	s_cbranch_vccnz .LBB77_248
; %bb.238:
	s_cmp_lt_i32 s10, 6
	s_cbranch_scc1 .LBB77_241
; %bb.239:
	s_cmp_gt_i32 s10, 6
	s_cbranch_scc0 .LBB77_242
; %bb.240:
	global_load_dwordx2 v[3:4], v[1:2], off
	s_movk_i32 s0, 0x7fff
	s_waitcnt vmcnt(0)
	v_cvt_f32_f64_e32 v3, v[3:4]
	v_mov_b32_e32 v4, 0x7fc0
	v_bfe_u32 v5, v3, 16, 1
	v_cmp_o_f32_e32 vcc, v3, v3
	v_add3_u32 v3, v3, v5, s0
	v_cndmask_b32_sdwa v3, v4, v3, vcc dst_sel:DWORD dst_unused:UNUSED_PAD src0_sel:DWORD src1_sel:WORD_1
	s_mov_b64 s[0:1], 0
	s_branch .LBB77_243
.LBB77_241:
	s_mov_b64 s[0:1], -1
                                        ; implicit-def: $vgpr3
	s_branch .LBB77_246
.LBB77_242:
	s_mov_b64 s[0:1], -1
                                        ; implicit-def: $vgpr3
.LBB77_243:
	s_andn2_b64 vcc, exec, s[0:1]
	s_cbranch_vccnz .LBB77_245
; %bb.244:
	global_load_dword v3, v[1:2], off
	s_movk_i32 s0, 0x7fff
	v_mov_b32_e32 v4, 0x7fc0
	s_waitcnt vmcnt(0)
	v_bfe_u32 v5, v3, 16, 1
	v_cmp_o_f32_e32 vcc, v3, v3
	v_add3_u32 v3, v3, v5, s0
	v_cndmask_b32_sdwa v3, v4, v3, vcc dst_sel:DWORD dst_unused:UNUSED_PAD src0_sel:DWORD src1_sel:WORD_1
.LBB77_245:
	s_mov_b64 s[0:1], 0
.LBB77_246:
	s_andn2_b64 vcc, exec, s[0:1]
	s_cbranch_vccnz .LBB77_248
; %bb.247:
	global_load_ushort v3, v[1:2], off
	s_movk_i32 s0, 0x7fff
	v_mov_b32_e32 v5, 0x7fc0
	s_waitcnt vmcnt(0)
	v_cvt_f32_f16_e32 v4, v3
	v_cmp_o_f16_e32 vcc, v3, v3
	v_bfe_u32 v3, v4, 16, 1
	v_add3_u32 v3, v4, v3, s0
	v_cndmask_b32_sdwa v3, v5, v3, vcc dst_sel:DWORD dst_unused:UNUSED_PAD src0_sel:DWORD src1_sel:WORD_1
.LBB77_248:
	s_cbranch_execnz .LBB77_268
.LBB77_249:
	s_cmp_lt_i32 s10, 2
	s_cbranch_scc1 .LBB77_253
; %bb.250:
	s_cmp_lt_i32 s10, 3
	s_cbranch_scc1 .LBB77_254
; %bb.251:
	s_cmp_gt_i32 s10, 3
	s_cbranch_scc0 .LBB77_255
; %bb.252:
	global_load_dwordx2 v[3:4], v[1:2], off
	s_movk_i32 s0, 0x7fff
	s_waitcnt vmcnt(0)
	v_xor_b32_e32 v6, v3, v4
	v_ffbh_i32_e32 v5, v4
	v_ashrrev_i32_e32 v6, 31, v6
	v_add_u32_e32 v5, -1, v5
	v_add_u32_e32 v6, 32, v6
	v_min_u32_e32 v5, v5, v6
	v_lshlrev_b64 v[3:4], v5, v[3:4]
	v_min_u32_e32 v3, 1, v3
	v_or_b32_e32 v3, v4, v3
	v_cvt_f32_i32_e32 v3, v3
	v_sub_u32_e32 v4, 32, v5
	v_ldexp_f32 v3, v3, v4
	v_bfe_u32 v4, v3, 16, 1
	v_add3_u32 v3, v3, v4, s0
	v_lshrrev_b32_e32 v3, 16, v3
	s_mov_b64 s[0:1], 0
	s_branch .LBB77_256
.LBB77_253:
	s_mov_b64 s[0:1], -1
                                        ; implicit-def: $vgpr3
	s_branch .LBB77_262
.LBB77_254:
	s_mov_b64 s[0:1], -1
                                        ; implicit-def: $vgpr3
	s_branch .LBB77_259
.LBB77_255:
	s_mov_b64 s[0:1], -1
                                        ; implicit-def: $vgpr3
.LBB77_256:
	s_andn2_b64 vcc, exec, s[0:1]
	s_cbranch_vccnz .LBB77_258
; %bb.257:
	global_load_dword v3, v[1:2], off
	s_movk_i32 s0, 0x7fff
	s_waitcnt vmcnt(0)
	v_cvt_f32_i32_e32 v3, v3
	v_bfe_u32 v4, v3, 16, 1
	v_add3_u32 v3, v3, v4, s0
	v_lshrrev_b32_e32 v3, 16, v3
.LBB77_258:
	s_mov_b64 s[0:1], 0
.LBB77_259:
	s_andn2_b64 vcc, exec, s[0:1]
	s_cbranch_vccnz .LBB77_261
; %bb.260:
	global_load_sshort v3, v[1:2], off
	s_movk_i32 s0, 0x7fff
	s_waitcnt vmcnt(0)
	v_cvt_f32_i32_e32 v3, v3
	v_bfe_u32 v4, v3, 16, 1
	v_add3_u32 v3, v3, v4, s0
	v_lshrrev_b32_e32 v3, 16, v3
.LBB77_261:
	s_mov_b64 s[0:1], 0
.LBB77_262:
	s_andn2_b64 vcc, exec, s[0:1]
	s_cbranch_vccnz .LBB77_268
; %bb.263:
	s_cmp_gt_i32 s10, 0
	s_cbranch_scc0 .LBB77_265
; %bb.264:
	global_load_sbyte v3, v[1:2], off
	s_movk_i32 s0, 0x7fff
	s_waitcnt vmcnt(0)
	v_cvt_f32_i32_e32 v3, v3
	v_bfe_u32 v4, v3, 16, 1
	v_add3_u32 v3, v3, v4, s0
	v_lshrrev_b32_e32 v3, 16, v3
	s_mov_b64 s[0:1], 0
	s_branch .LBB77_266
.LBB77_265:
	s_mov_b64 s[0:1], -1
                                        ; implicit-def: $vgpr3
.LBB77_266:
	s_andn2_b64 vcc, exec, s[0:1]
	s_cbranch_vccnz .LBB77_268
; %bb.267:
	global_load_ubyte v1, v[1:2], off
	s_movk_i32 s0, 0x7fff
	s_waitcnt vmcnt(0)
	v_cvt_f32_ubyte0_e32 v1, v1
	v_bfe_u32 v2, v1, 16, 1
	v_add3_u32 v1, v1, v2, s0
	v_lshrrev_b32_e32 v3, 16, v1
.LBB77_268:
	s_branch .LBB77_25
.LBB77_269:
	s_mov_b64 s[0:1], 0
.LBB77_270:
	s_mov_b64 s[2:3], 0
                                        ; implicit-def: $vgpr8
.LBB77_271:
	s_and_b64 s[54:55], s[0:1], exec
	s_and_b64 s[56:57], s[8:9], exec
	s_orn2_b64 s[2:3], s[2:3], exec
.LBB77_272:
	s_or_b64 exec, exec, s[58:59]
	s_mov_b64 s[6:7], 0
	s_mov_b64 s[0:1], 0
                                        ; implicit-def: $vgpr1_vgpr2
                                        ; implicit-def: $vgpr0
                                        ; implicit-def: $vgpr4
	s_and_saveexec_b64 s[58:59], s[2:3]
	s_cbranch_execz .LBB77_279
; %bb.273:
	v_cmp_gt_i32_e32 vcc, s70, v8
	s_mov_b64 s[0:1], -1
	s_mov_b64 s[60:61], s[56:57]
	s_mov_b64 s[62:63], s[54:55]
	s_and_saveexec_b64 s[64:65], vcc
	s_cbranch_execz .LBB77_554
; %bb.274:
	s_andn2_b64 vcc, exec, s[42:43]
	s_cbranch_vccnz .LBB77_282
; %bb.275:
	s_andn2_b64 vcc, exec, s[52:53]
	s_cbranch_vccnz .LBB77_283
; %bb.276:
	s_add_i32 s63, s75, 1
	s_cmp_eq_u32 s72, 2
	s_cbranch_scc1 .LBB77_284
; %bb.277:
	s_and_b32 s62, s63, 28
	v_mov_b32_e32 v2, 0
	s_mov_b32 s66, 0
	s_mov_b64 s[6:7], s[34:35]
	s_mov_b64 s[60:61], s[50:51]
	v_mov_b32_e32 v0, 0
	v_mov_b32_e32 v1, v8
.LBB77_278:                             ; =>This Inner Loop Header: Depth=1
	s_load_dwordx8 s[16:23], s[6:7], 0x4
	s_load_dwordx4 s[0:3], s[6:7], 0x24
	s_load_dwordx8 s[8:15], s[60:61], 0x0
	s_add_u32 s6, s6, 48
	s_addc_u32 s7, s7, 0
	s_waitcnt vmcnt(0) lgkmcnt(0)
	v_mul_hi_u32 v3, s17, v1
	s_add_i32 s66, s66, 4
	s_add_u32 s60, s60, 32
	s_addc_u32 s61, s61, 0
	v_add_u32_e32 v3, v1, v3
	v_lshrrev_b32_e32 v3, s18, v3
	v_mul_lo_u32 v4, v3, s16
	v_mul_hi_u32 v5, s20, v3
	s_cmp_eq_u32 s62, s66
	v_sub_u32_e32 v1, v1, v4
	v_add_u32_e32 v4, v3, v5
	v_mul_lo_u32 v5, v1, s8
	v_mul_lo_u32 v6, v1, s9
	v_lshrrev_b32_e32 v1, s21, v4
	v_mul_lo_u32 v4, v1, s19
	v_mul_hi_u32 v7, s23, v1
	v_sub_u32_e32 v3, v3, v4
	v_add_u32_e32 v4, v1, v7
	v_lshrrev_b32_e32 v4, s0, v4
	v_mul_hi_u32 v9, s2, v4
	v_mul_lo_u32 v10, v4, s22
	v_mul_lo_u32 v7, v3, s10
	;; [unrolled: 1-line block ×3, first 2 shown]
	v_sub_u32_e32 v10, v1, v10
	v_add_u32_e32 v1, v4, v9
	v_lshrrev_b32_e32 v1, s3, v1
	v_mul_lo_u32 v9, v1, s1
	v_mul_lo_u32 v11, v10, s12
	;; [unrolled: 1-line block ×3, first 2 shown]
	v_add3_u32 v0, v5, v0, v7
	v_sub_u32_e32 v4, v4, v9
	v_mul_lo_u32 v9, v4, s14
	v_mul_lo_u32 v4, v4, s15
	v_add3_u32 v2, v6, v2, v3
	v_add3_u32 v0, v11, v0, v9
	;; [unrolled: 1-line block ×3, first 2 shown]
	s_cbranch_scc0 .LBB77_278
	s_branch .LBB77_285
.LBB77_279:
	s_or_b64 exec, exec, s[58:59]
	s_mov_b64 s[8:9], 0
	s_and_saveexec_b64 s[2:3], s[56:57]
	s_cbranch_execnz .LBB77_936
.LBB77_280:
	s_or_b64 exec, exec, s[2:3]
	s_and_saveexec_b64 s[2:3], s[62:63]
	s_xor_b64 s[2:3], exec, s[2:3]
	s_cbranch_execz .LBB77_937
.LBB77_281:
	global_load_ubyte v3, v[1:2], off
	s_or_b64 s[0:1], s[0:1], exec
	s_waitcnt vmcnt(0)
	v_cmp_ne_u16_e32 vcc, 0, v3
	v_cndmask_b32_e64 v3, 0, 1.0, vcc
	v_lshrrev_b32_e32 v4, 16, v3
	s_or_b64 exec, exec, s[2:3]
	s_and_saveexec_b64 s[2:3], s[6:7]
	s_cbranch_execz .LBB77_983
	s_branch .LBB77_938
.LBB77_282:
                                        ; implicit-def: $vgpr0
                                        ; implicit-def: $vgpr2
	s_andn2_b64 vcc, exec, s[0:1]
	s_cbranch_vccz .LBB77_289
	s_branch .LBB77_291
.LBB77_283:
	v_mov_b32_e32 v0, 0
	v_mov_b32_e32 v2, 0
	s_branch .LBB77_288
.LBB77_284:
	s_mov_b32 s62, 0
	v_mov_b32_e32 v0, 0
	v_mov_b32_e32 v2, 0
	;; [unrolled: 1-line block ×3, first 2 shown]
.LBB77_285:
	s_and_b32 s6, s63, 3
	s_cmp_eq_u32 s6, 0
	s_cbranch_scc1 .LBB77_288
; %bb.286:
	s_lshl_b32 s0, s62, 3
	s_add_u32 s0, s34, s0
	s_addc_u32 s1, s35, 0
	s_add_u32 s0, s0, 0xc4
	s_addc_u32 s1, s1, 0
	s_mul_i32 s2, s62, 12
	s_add_u32 s2, s34, s2
	s_addc_u32 s3, s35, 0
.LBB77_287:                             ; =>This Inner Loop Header: Depth=1
	s_load_dwordx2 s[8:9], s[2:3], 0x4
	s_load_dword s7, s[2:3], 0xc
	s_load_dwordx2 s[10:11], s[0:1], 0x0
	s_add_u32 s2, s2, 12
	s_addc_u32 s3, s3, 0
	s_waitcnt vmcnt(0) lgkmcnt(0)
	v_mul_hi_u32 v3, s9, v1
	s_add_u32 s0, s0, 8
	s_addc_u32 s1, s1, 0
	s_add_i32 s6, s6, -1
	v_add_u32_e32 v3, v1, v3
	v_lshrrev_b32_e32 v4, s7, v3
	v_mul_lo_u32 v3, v4, s8
	s_cmp_lg_u32 s6, 0
	v_sub_u32_e32 v3, v1, v3
	v_mad_u64_u32 v[0:1], s[8:9], v3, s10, v[0:1]
	v_mad_u64_u32 v[2:3], s[8:9], v3, s11, v[2:3]
	v_mov_b32_e32 v1, v4
	s_cbranch_scc1 .LBB77_287
.LBB77_288:
	s_cbranch_execnz .LBB77_291
.LBB77_289:
	s_waitcnt lgkmcnt(0)
	v_mul_hi_u32 v0, s37, v8
	s_andn2_b64 vcc, exec, s[48:49]
	v_add_u32_e32 v0, v8, v0
	v_lshrrev_b32_e32 v1, s38, v0
	v_mul_lo_u32 v0, v1, s36
	v_sub_u32_e32 v2, v8, v0
	v_mul_lo_u32 v0, v2, s28
	v_mul_lo_u32 v2, v2, s29
	s_cbranch_vccnz .LBB77_291
; %bb.290:
	s_waitcnt vmcnt(0)
	v_mul_hi_u32 v3, s46, v1
	v_add_u32_e32 v3, v1, v3
	v_lshrrev_b32_e32 v3, s47, v3
	v_mul_lo_u32 v3, v3, s39
	v_sub_u32_e32 v3, v1, v3
	v_mad_u64_u32 v[0:1], s[0:1], v3, s30, v[0:1]
	v_mad_u64_u32 v[2:3], s[0:1], v3, s31, v[2:3]
.LBB77_291:
	s_waitcnt vmcnt(0) lgkmcnt(0)
	v_mov_b32_e32 v3, s27
	s_and_b32 s10, 0xffff, s74
	v_add_co_u32_e32 v1, vcc, s26, v2
	s_cmp_lt_i32 s10, 11
	v_addc_co_u32_e32 v2, vcc, 0, v3, vcc
	s_cbranch_scc1 .LBB77_298
; %bb.292:
	s_cmp_gt_i32 s10, 25
	s_cbranch_scc0 .LBB77_313
; %bb.293:
	s_cmp_gt_i32 s10, 28
	s_cbranch_scc0 .LBB77_315
	;; [unrolled: 3-line block ×4, first 2 shown]
; %bb.296:
	s_cmp_eq_u32 s10, 46
	s_mov_b64 s[2:3], 0
	s_cbranch_scc0 .LBB77_325
; %bb.297:
	global_load_dword v3, v[1:2], off
	s_mov_b64 s[0:1], -1
	s_mov_b64 s[8:9], 0
	s_branch .LBB77_326
.LBB77_298:
	s_mov_b64 s[0:1], 0
                                        ; implicit-def: $vgpr3
	s_mov_b64 s[8:9], s[56:57]
	s_cbranch_execnz .LBB77_503
.LBB77_299:
	s_andn2_b64 vcc, exec, s[0:1]
	s_cbranch_vccnz .LBB77_551
.LBB77_300:
	s_waitcnt vmcnt(0)
	v_lshlrev_b32_e32 v1, 16, v3
	v_cmp_gt_f32_e32 vcc, 0.5, v1
	v_mov_b32_e32 v3, 0
	v_mov_b32_e32 v2, 1.0
	s_and_saveexec_b64 s[10:11], vcc
	s_cbranch_execz .LBB77_306
; %bb.301:
	v_mul_f32_e32 v2, 0x40490fdb, v1
	s_brev_b32 s0, 18
	v_and_b32_e32 v3, 0x7fffffff, v2
	v_cmp_nlt_f32_e64 s[0:1], |v2|, s0
                                        ; implicit-def: $vgpr4
                                        ; implicit-def: $vgpr5
	s_and_saveexec_b64 s[2:3], s[0:1]
	s_xor_b64 s[12:13], exec, s[2:3]
	s_cbranch_execz .LBB77_303
; %bb.302:
	v_and_b32_e32 v4, 0x7fffff, v3
	v_or_b32_e32 v7, 0x800000, v4
	s_mov_b32 s0, 0xfe5163ab
	v_mad_u64_u32 v[4:5], s[0:1], v7, s0, 0
	v_mov_b32_e32 v6, 0
	s_mov_b32 s0, 0x3c439041
	v_mad_u64_u32 v[9:10], s[0:1], v7, s0, v[5:6]
	s_mov_b32 s0, 0xdb629599
	v_not_b32_e32 v14, 63
	v_mov_b32_e32 v5, v10
	v_mad_u64_u32 v[10:11], s[0:1], v7, s0, v[5:6]
	s_mov_b32 s0, 0xf534ddc0
	v_not_b32_e32 v16, 31
	v_mov_b32_e32 v5, v11
	v_mad_u64_u32 v[11:12], s[0:1], v7, s0, v[5:6]
	v_lshrrev_b32_e32 v5, 23, v3
	v_add_u32_e32 v15, 0xffffff88, v5
	v_mov_b32_e32 v5, v12
	s_mov_b32 s0, 0xfc2757d1
	v_mad_u64_u32 v[12:13], s[0:1], v7, s0, v[5:6]
	v_cmp_lt_u32_e32 vcc, 63, v15
	v_cndmask_b32_e32 v5, 0, v14, vcc
	v_add_u32_e32 v15, v5, v15
	v_mov_b32_e32 v5, v13
	s_mov_b32 s0, 0x4e441529
	v_mad_u64_u32 v[13:14], s[0:1], v7, s0, v[5:6]
	v_cmp_lt_u32_e64 s[0:1], 31, v15
	v_cndmask_b32_e64 v5, 0, v16, s[0:1]
	v_add_u32_e32 v15, v5, v15
	v_mov_b32_e32 v5, v14
	s_mov_b32 s2, 0xa2f9836e
	v_mad_u64_u32 v[5:6], s[2:3], v7, s2, v[5:6]
	v_cmp_lt_u32_e64 s[2:3], 31, v15
	v_cndmask_b32_e64 v7, 0, v16, s[2:3]
	v_cndmask_b32_e32 v14, v13, v11, vcc
	v_cndmask_b32_e32 v5, v5, v12, vcc
	;; [unrolled: 1-line block ×3, first 2 shown]
	v_add_u32_e32 v7, v7, v15
	v_cndmask_b32_e64 v15, v5, v14, s[0:1]
	v_cndmask_b32_e64 v5, v6, v5, s[0:1]
	v_cndmask_b32_e32 v6, v12, v10, vcc
	v_cndmask_b32_e64 v12, v14, v6, s[0:1]
	v_cndmask_b32_e64 v5, v5, v15, s[2:3]
	;; [unrolled: 1-line block ×3, first 2 shown]
	v_sub_u32_e32 v14, 32, v7
	v_alignbit_b32 v15, v5, v13, v14
	v_cmp_eq_u32_e64 s[6:7], 0, v7
	v_cndmask_b32_e64 v7, v15, v5, s[6:7]
	v_cndmask_b32_e32 v5, v11, v9, vcc
	v_cndmask_b32_e64 v6, v6, v5, s[0:1]
	v_cndmask_b32_e64 v9, v12, v6, s[2:3]
	v_alignbit_b32 v11, v13, v9, v14
	v_cndmask_b32_e32 v4, v10, v4, vcc
	v_cndmask_b32_e64 v11, v11, v13, s[6:7]
	v_bfe_u32 v15, v7, 29, 1
	v_cndmask_b32_e64 v4, v5, v4, s[0:1]
	v_alignbit_b32 v12, v7, v11, 30
	v_sub_u32_e32 v16, 0, v15
	v_cndmask_b32_e64 v4, v6, v4, s[2:3]
	v_xor_b32_e32 v12, v12, v16
	v_alignbit_b32 v5, v9, v4, v14
	v_cndmask_b32_e64 v5, v5, v9, s[6:7]
	v_ffbh_u32_e32 v9, v12
	v_alignbit_b32 v6, v11, v5, 30
	v_min_u32_e32 v9, 32, v9
	v_alignbit_b32 v4, v5, v4, 30
	v_xor_b32_e32 v6, v6, v16
	v_sub_u32_e32 v10, 31, v9
	v_xor_b32_e32 v4, v4, v16
	v_alignbit_b32 v11, v12, v6, v10
	v_alignbit_b32 v4, v6, v4, v10
	;; [unrolled: 1-line block ×3, first 2 shown]
	v_ffbh_u32_e32 v6, v5
	v_min_u32_e32 v6, 32, v6
	v_lshrrev_b32_e32 v13, 29, v7
	v_not_b32_e32 v10, v6
	v_alignbit_b32 v4, v5, v4, v10
	v_lshlrev_b32_e32 v5, 31, v13
	v_or_b32_e32 v10, 0x33000000, v5
	v_add_lshl_u32 v6, v6, v9, 23
	v_lshrrev_b32_e32 v4, 9, v4
	v_sub_u32_e32 v6, v10, v6
	v_or_b32_e32 v5, 0.5, v5
	v_lshlrev_b32_e32 v9, 23, v9
	v_or_b32_e32 v4, v6, v4
	v_lshrrev_b32_e32 v6, 9, v11
	v_sub_u32_e32 v5, v5, v9
	v_or_b32_e32 v5, v6, v5
	s_mov_b32 s0, 0x3fc90fda
	v_mul_f32_e32 v6, 0x3fc90fda, v5
	v_fma_f32 v9, v5, s0, -v6
	v_fmac_f32_e32 v9, 0x33a22168, v5
	v_fmac_f32_e32 v9, 0x3fc90fda, v4
	v_lshrrev_b32_e32 v4, 30, v7
	v_add_f32_e32 v5, v6, v9
	v_add_u32_e32 v4, v15, v4
.LBB77_303:
	s_andn2_saveexec_b64 s[0:1], s[12:13]
	s_cbranch_execz .LBB77_305
; %bb.304:
	s_mov_b32 s2, 0x3f22f983
	v_mul_f32_e64 v4, |v2|, s2
	v_rndne_f32_e32 v6, v4
	s_mov_b32 s2, 0xbfc90fda
	v_cvt_i32_f32_e32 v4, v6
	v_fma_f32 v5, v6, s2, |v2|
	v_fmac_f32_e32 v5, 0xb3a22168, v6
	v_fmac_f32_e32 v5, 0xa7c234c4, v6
.LBB77_305:
	s_or_b64 exec, exec, s[0:1]
	v_mul_f32_e32 v6, v5, v5
	v_mov_b32_e32 v7, 0x3c0881c4
	v_fmac_f32_e32 v7, 0xb94c1982, v6
	v_mov_b32_e32 v9, 0xbe2aaa9d
	v_fmac_f32_e32 v9, v6, v7
	v_mul_f32_e32 v7, v6, v9
	v_fmac_f32_e32 v5, v5, v7
	v_mov_b32_e32 v7, 0xbab64f3b
	v_fmac_f32_e32 v7, 0x37d75334, v6
	v_mov_b32_e32 v9, 0x3d2aabf7
	;; [unrolled: 2-line block ×3, first 2 shown]
	v_fmac_f32_e32 v7, v6, v9
	v_fma_f32 v6, v6, v7, 1.0
	v_and_b32_e32 v7, 1, v4
	v_lshlrev_b32_e32 v4, 30, v4
	v_cmp_eq_u32_e32 vcc, 0, v7
	v_and_b32_e32 v4, 0x80000000, v4
	v_xor_b32_e32 v3, v3, v2
	v_cndmask_b32_e32 v5, v6, v5, vcc
	v_xor_b32_e32 v3, v3, v4
	s_movk_i32 s0, 0x1f8
	v_xor_b32_e32 v3, v3, v5
	v_mov_b32_e32 v4, 0x7fc00000
	v_cmp_class_f32_e64 vcc, v2, s0
	v_cndmask_b32_e32 v2, v4, v3, vcc
	v_mul_f32_e32 v2, v2, v2
	s_mov_b32 s2, 0xc11de9e7
	v_div_scale_f32 v3, s[0:1], v2, v2, s2
	v_div_scale_f32 v4, vcc, s2, v2, s2
	v_sub_f32_e32 v1, 1.0, v1
	v_rcp_f32_e32 v5, v3
	v_fma_f32 v6, -v3, v5, 1.0
	v_fmac_f32_e32 v5, v6, v5
	v_mul_f32_e32 v6, v4, v5
	v_fma_f32 v7, -v3, v6, v4
	v_fmac_f32_e32 v6, v7, v5
	v_fma_f32 v3, -v3, v6, v4
	v_div_fmas_f32 v3, v3, v5, v6
	v_div_fixup_f32 v2, v3, v2, s2
	v_add_f32_e32 v3, 0, v2
	v_mov_b32_e32 v2, -1.0
.LBB77_306:
	s_or_b64 exec, exec, s[10:11]
	v_mul_f32_e32 v4, v1, v1
	v_div_scale_f32 v6, s[0:1], v4, v4, 1.0
	v_add_f32_e32 v5, 1.0, v1
	v_mul_f32_e32 v1, v5, v5
	v_div_scale_f32 v9, s[0:1], v1, v1, 1.0
	v_div_scale_f32 v7, vcc, 1.0, v4, 1.0
	v_add_f32_e32 v10, 1.0, v5
	v_div_scale_f32 v11, s[0:1], 1.0, v1, 1.0
	v_mul_f32_e32 v5, v10, v10
	v_div_scale_f32 v12, s[2:3], v5, v5, 1.0
	v_div_scale_f32 v15, s[2:3], 1.0, v5, 1.0
	v_rcp_f32_e32 v13, v6
	v_add_f32_e32 v10, 1.0, v10
	s_and_b32 s12, s73, 0xff
	s_cmp_lt_i32 s12, 11
	v_rcp_f32_e32 v14, v9
	v_fma_f32 v16, -v6, v13, 1.0
	v_fmac_f32_e32 v13, v16, v13
	v_mul_f32_e32 v17, v7, v13
	v_fma_f32 v18, -v6, v17, v7
	v_fma_f32 v16, -v9, v14, 1.0
	v_fmac_f32_e32 v17, v18, v13
	v_fma_f32 v6, -v6, v17, v7
	v_fmac_f32_e32 v14, v16, v14
	v_div_fmas_f32 v6, v6, v13, v17
	v_mul_f32_e32 v13, v11, v14
	v_fma_f32 v7, -v9, v13, v11
	v_rcp_f32_e32 v16, v12
	v_fmac_f32_e32 v13, v7, v14
	v_mul_f32_e32 v7, v10, v10
	v_div_scale_f32 v17, s[6:7], v7, v7, 1.0
	v_fma_f32 v9, -v9, v13, v11
	v_fma_f32 v11, -v12, v16, 1.0
	v_fmac_f32_e32 v16, v11, v16
	s_mov_b64 vcc, s[0:1]
	v_mul_f32_e32 v11, v15, v16
	v_div_fmas_f32 v9, v9, v14, v13
	v_fma_f32 v13, -v12, v11, v15
	v_fmac_f32_e32 v11, v13, v16
	v_div_scale_f32 v13, s[0:1], 1.0, v7, 1.0
	v_add_f32_e32 v14, 1.0, v10
	v_mul_f32_e32 v10, v14, v14
	v_div_scale_f32 v18, s[6:7], v10, v10, 1.0
	v_fma_f32 v12, -v12, v11, v15
	s_mov_b64 vcc, s[2:3]
	v_div_fmas_f32 v11, v12, v16, v11
	v_div_scale_f32 v12, s[2:3], 1.0, v10, 1.0
	v_rcp_f32_e32 v15, v17
	v_add_f32_e32 v14, 1.0, v14
	v_mul_f32_e32 v19, v14, v14
	v_div_scale_f32 v20, s[6:7], v19, v19, 1.0
	v_fma_f32 v16, -v17, v15, 1.0
	v_fmac_f32_e32 v15, v16, v15
	v_mul_f32_e32 v16, v13, v15
	v_fma_f32 v21, -v17, v16, v13
	v_fmac_f32_e32 v16, v21, v15
	v_rcp_f32_e32 v21, v18
	v_fma_f32 v13, -v17, v16, v13
	s_mov_b64 vcc, s[0:1]
	v_div_fmas_f32 v13, v13, v15, v16
	v_fma_f32 v15, -v18, v21, 1.0
	v_fmac_f32_e32 v21, v15, v21
	v_mul_f32_e32 v15, v12, v21
	v_fma_f32 v16, -v18, v15, v12
	v_fmac_f32_e32 v15, v16, v21
	v_div_scale_f32 v16, s[0:1], 1.0, v19, 1.0
	v_add_f32_e32 v14, 1.0, v14
	v_mul_f32_e32 v22, v14, v14
	v_div_scale_f32 v23, s[6:7], v22, v22, 1.0
	v_rcp_f32_e32 v17, v20
	v_fma_f32 v12, -v18, v15, v12
	s_mov_b64 vcc, s[2:3]
	v_div_scale_f32 v18, s[2:3], 1.0, v22, 1.0
	v_div_fmas_f32 v12, v12, v21, v15
	v_add_f32_e32 v21, v14, v14
	v_div_scale_f32 v24, s[6:7], v21, v21, 1.0
	v_fma_f32 v15, -v20, v17, 1.0
	v_fmac_f32_e32 v17, v15, v17
	v_mul_f32_e32 v15, v16, v17
	v_fma_f32 v25, -v20, v15, v16
	v_fmac_f32_e32 v15, v25, v17
	v_div_scale_f32 v25, s[6:7], 1.0, v21, 1.0
	v_rcp_f32_e32 v26, v23
	v_fma_f32 v16, -v20, v15, v16
	s_mov_b64 vcc, s[0:1]
	v_div_fmas_f32 v15, v16, v17, v15
	v_fma_f32 v16, -v23, v26, 1.0
	v_fmac_f32_e32 v26, v16, v26
	v_mul_f32_e32 v16, v18, v26
	v_fma_f32 v17, -v23, v16, v18
	v_fmac_f32_e32 v16, v17, v26
	v_rcp_f32_e32 v17, v24
	v_fma_f32 v18, -v23, v16, v18
	s_mov_b64 vcc, s[2:3]
	v_div_fmas_f32 v16, v18, v26, v16
	v_fma_f32 v18, -v24, v17, 1.0
	v_fmac_f32_e32 v17, v18, v17
	v_mul_f32_e32 v18, v25, v17
	v_fma_f32 v20, -v24, v18, v25
	v_fmac_f32_e32 v18, v20, v17
	v_fma_f32 v20, -v24, v18, v25
	s_mov_b64 vcc, s[6:7]
	v_div_fmas_f32 v17, v20, v17, v18
	v_mov_b32_e32 v18, 0x3d088889
	s_mov_b32 s0, 0x3e2aaaab
	v_div_fixup_f32 v4, v6, v4, 1.0
	v_add_f32_e32 v3, v3, v4
	v_div_fixup_f32 v1, v9, v1, 1.0
	v_add_f32_e32 v1, v3, v1
	v_div_fixup_f32 v3, v11, v5, 1.0
	v_div_fixup_f32 v16, v16, v22, 1.0
	v_fmac_f32_e32 v18, 0xbcc30c31, v16
	v_fma_f32 v18, -v16, v18, s0
	v_add_f32_e32 v1, v1, v3
	v_div_fixup_f32 v3, v13, v7, 1.0
	v_add_f32_e32 v1, v1, v3
	v_div_fixup_f32 v3, v12, v10, 1.0
	;; [unrolled: 2-line block ×3, first 2 shown]
	v_add_f32_e32 v17, 1.0, v17
	v_fmac_f32_e32 v17, v16, v18
	v_div_scale_f32 v16, s[0:1], v14, v14, v17
	v_div_scale_f32 v18, vcc, v17, v14, v17
	v_div_fixup_f32 v3, v15, v19, 1.0
	v_add_f32_e32 v1, v1, v3
	s_movk_i32 s0, 0x7fff
	v_rcp_f32_e32 v20, v16
	v_fma_f32 v21, -v16, v20, 1.0
	v_fmac_f32_e32 v20, v21, v20
	v_mul_f32_e32 v21, v18, v20
	v_fma_f32 v22, -v16, v21, v18
	v_fmac_f32_e32 v21, v22, v20
	v_fma_f32 v16, -v16, v21, v18
	v_div_fmas_f32 v16, v16, v20, v21
	v_div_fixup_f32 v3, v16, v14, v17
	v_add_f32_e32 v1, v1, v3
	v_mul_f32_e32 v1, v2, v1
	v_bfe_u32 v2, v1, 16, 1
	v_add3_u32 v2, v1, v2, s0
	v_cmp_o_f32_e32 vcc, v1, v1
	v_mov_b32_e32 v1, 0x7fc0
	v_cndmask_b32_sdwa v2, v1, v2, vcc dst_sel:DWORD dst_unused:UNUSED_PAD src0_sel:DWORD src1_sel:WORD_1
	v_mov_b32_e32 v1, s25
	v_add_co_u32_e32 v0, vcc, s24, v0
	v_addc_co_u32_e32 v1, vcc, 0, v1, vcc
	s_cbranch_scc1 .LBB77_314
; %bb.307:
	s_and_b32 s13, 0xffff, s12
	s_cmp_gt_i32 s13, 25
	s_cbranch_scc0 .LBB77_316
; %bb.308:
	s_cmp_gt_i32 s13, 28
	s_cbranch_scc0 .LBB77_318
; %bb.309:
	;; [unrolled: 3-line block ×4, first 2 shown]
	s_mov_b64 s[6:7], 0
	s_mov_b64 s[0:1], -1
	s_cmp_eq_u32 s13, 46
	s_mov_b64 s[2:3], 0
	s_cbranch_scc0 .LBB77_330
; %bb.312:
	v_and_b32_e32 v3, 0xffff, v2
	global_store_dword v[0:1], v3, off
	s_mov_b64 s[2:3], -1
	s_mov_b64 s[0:1], 0
	s_branch .LBB77_330
.LBB77_313:
	s_mov_b64 s[2:3], -1
	s_mov_b64 s[0:1], 0
	s_mov_b64 s[8:9], s[56:57]
                                        ; implicit-def: $vgpr3
	s_branch .LBB77_467
.LBB77_314:
	s_mov_b64 s[6:7], -1
	s_mov_b64 s[2:3], 0
	s_mov_b64 s[0:1], s[54:55]
	s_branch .LBB77_399
.LBB77_315:
	s_mov_b64 s[2:3], -1
	s_mov_b64 s[0:1], 0
	s_mov_b64 s[8:9], s[56:57]
                                        ; implicit-def: $vgpr3
	s_branch .LBB77_448
.LBB77_316:
	s_mov_b64 s[6:7], -1
	s_mov_b64 s[2:3], 0
	s_mov_b64 s[0:1], s[54:55]
	s_branch .LBB77_357
.LBB77_317:
	s_mov_b64 s[2:3], -1
	s_mov_b64 s[0:1], 0
	s_mov_b64 s[8:9], s[56:57]
                                        ; implicit-def: $vgpr3
	s_branch .LBB77_443
.LBB77_318:
	s_mov_b64 s[6:7], -1
	s_mov_b64 s[2:3], 0
	s_mov_b64 s[0:1], s[54:55]
	s_branch .LBB77_340
.LBB77_319:
	s_andn2_saveexec_b64 s[10:11], s[10:11]
	s_cbranch_execz .LBB77_74
.LBB77_320:
	s_mov_b32 s14, 0x46000000
	v_add_f32_e64 v4, |v5|, s14
	v_and_b32_e32 v4, 0xff, v4
	v_cmp_ne_u32_e32 vcc, 0, v4
	s_andn2_b64 s[6:7], s[6:7], exec
	s_and_b64 s[14:15], vcc, exec
	s_or_b64 s[6:7], s[6:7], s[14:15]
	s_or_b64 exec, exec, s[10:11]
	v_mov_b32_e32 v6, 0
	s_and_saveexec_b64 s[10:11], s[6:7]
	s_cbranch_execnz .LBB77_75
	s_branch .LBB77_76
.LBB77_321:
	s_mov_b64 s[2:3], -1
	s_mov_b64 s[0:1], 0
	s_mov_b64 s[8:9], s[56:57]
                                        ; implicit-def: $vgpr3
	s_branch .LBB77_326
.LBB77_322:
	s_mov_b64 s[6:7], -1
	s_mov_b64 s[2:3], 0
	s_mov_b64 s[0:1], s[54:55]
	s_branch .LBB77_336
.LBB77_323:
	s_andn2_saveexec_b64 s[10:11], s[10:11]
	s_cbranch_execz .LBB77_87
.LBB77_324:
	s_mov_b32 s14, 0x42800000
	v_add_f32_e64 v4, |v5|, s14
	v_and_b32_e32 v4, 0xff, v4
	v_cmp_ne_u32_e32 vcc, 0, v4
	s_andn2_b64 s[6:7], s[6:7], exec
	s_and_b64 s[14:15], vcc, exec
	s_or_b64 s[6:7], s[6:7], s[14:15]
	s_or_b64 exec, exec, s[10:11]
	v_mov_b32_e32 v6, 0
	s_and_saveexec_b64 s[10:11], s[6:7]
	s_cbranch_execnz .LBB77_88
	s_branch .LBB77_89
.LBB77_325:
	s_mov_b64 s[8:9], -1
                                        ; implicit-def: $vgpr3
	s_mov_b64 s[0:1], 0
.LBB77_326:
	s_and_b64 vcc, exec, s[2:3]
	s_cbranch_vccz .LBB77_442
; %bb.327:
	s_cmp_eq_u32 s10, 44
	s_cbranch_scc0 .LBB77_441
; %bb.328:
	global_load_ubyte v3, v[1:2], off
	s_movk_i32 s2, 0xff
	v_mov_b32_e32 v4, 0x7f800001
	v_mov_b32_e32 v5, 0x400000
	;; [unrolled: 1-line block ×3, first 2 shown]
	s_mov_b64 s[0:1], -1
	s_mov_b64 s[8:9], 0
	s_waitcnt vmcnt(0)
	v_lshlrev_b32_e32 v7, 23, v3
	v_cmp_ne_u32_e32 vcc, s2, v3
	v_cndmask_b32_e32 v4, v4, v7, vcc
	v_cmp_ne_u32_e32 vcc, 0, v3
	v_cndmask_b32_e32 v3, v5, v4, vcc
	v_add_u32_e32 v4, 0x7fff, v3
	v_cmp_o_f32_e32 vcc, v3, v3
	v_cndmask_b32_sdwa v3, v6, v4, vcc dst_sel:DWORD dst_unused:UNUSED_PAD src0_sel:DWORD src1_sel:WORD_1
	s_branch .LBB77_442
.LBB77_329:
	s_mov_b64 s[6:7], -1
	s_mov_b64 s[2:3], 0
	s_mov_b64 s[0:1], s[54:55]
.LBB77_330:
	s_and_b64 vcc, exec, s[6:7]
	s_cbranch_vccz .LBB77_335
; %bb.331:
	s_cmp_eq_u32 s13, 44
	s_mov_b64 s[0:1], -1
	s_cbranch_scc0 .LBB77_335
; %bb.332:
	v_and_b32_e32 v4, 0xffff, v2
	v_bfe_u32 v3, v4, 7, 8
	s_movk_i32 s0, 0xff
	v_cmp_ne_u32_e32 vcc, s0, v3
	v_mov_b32_e32 v5, 0xff
	s_and_saveexec_b64 s[2:3], vcc
	s_cbranch_execz .LBB77_334
; %bb.333:
	v_lshlrev_b32_e32 v6, 16, v4
	s_mov_b32 s0, 0x3f0000
	v_lshrrev_b32_e32 v5, 7, v4
	v_and_b32_e32 v4, 64, v4
	v_and_or_b32 v3, v6, s0, v3
	v_cmp_ne_u32_e32 vcc, 0, v4
	v_cmp_ne_u32_e64 s[0:1], 0, v3
	s_and_b64 s[0:1], vcc, s[0:1]
	v_cndmask_b32_e64 v3, 0, 1, s[0:1]
	v_add_u32_e32 v5, v5, v3
.LBB77_334:
	s_or_b64 exec, exec, s[2:3]
	s_mov_b64 s[2:3], -1
	s_mov_b64 s[0:1], 0
	global_store_byte v[0:1], v5, off
.LBB77_335:
	s_mov_b64 s[6:7], 0
.LBB77_336:
	s_and_b64 vcc, exec, s[6:7]
	s_cbranch_vccz .LBB77_339
; %bb.337:
	s_cmp_eq_u32 s13, 29
	s_mov_b64 s[0:1], -1
	s_cbranch_scc0 .LBB77_339
; %bb.338:
	v_lshlrev_b32_e32 v3, 16, v2
	v_trunc_f32_e32 v3, v3
	v_mul_f32_e32 v4, 0x2f800000, v3
	v_floor_f32_e32 v5, v4
	v_fmac_f32_e32 v3, 0xcf800000, v5
	v_cvt_u32_f32_e32 v4, v5
	v_cvt_u32_f32_e32 v3, v3
	s_mov_b64 s[2:3], -1
	s_mov_b64 s[0:1], 0
	s_mov_b64 s[6:7], 0
	global_store_dwordx2 v[0:1], v[3:4], off
	s_branch .LBB77_340
.LBB77_339:
	s_mov_b64 s[6:7], 0
.LBB77_340:
	s_and_b64 vcc, exec, s[6:7]
	s_cbranch_vccz .LBB77_356
; %bb.341:
	s_cmp_lt_i32 s13, 27
	s_mov_b64 s[2:3], -1
	s_cbranch_scc1 .LBB77_347
; %bb.342:
	s_cmp_gt_i32 s13, 27
	s_cbranch_scc0 .LBB77_344
; %bb.343:
	v_lshlrev_b32_e32 v3, 16, v2
	v_cvt_u32_f32_e32 v3, v3
	s_mov_b64 s[2:3], 0
	global_store_dword v[0:1], v3, off
.LBB77_344:
	s_andn2_b64 vcc, exec, s[2:3]
	s_cbranch_vccnz .LBB77_346
; %bb.345:
	v_lshlrev_b32_e32 v3, 16, v2
	v_cvt_u32_f32_e32 v3, v3
	global_store_short v[0:1], v3, off
.LBB77_346:
	s_mov_b64 s[2:3], 0
.LBB77_347:
	s_andn2_b64 vcc, exec, s[2:3]
	s_cbranch_vccnz .LBB77_355
; %bb.348:
	v_lshlrev_b32_e32 v5, 16, v2
	v_and_b32_e32 v4, 0x7fffffff, v5
	s_mov_b32 s2, 0x43800000
	v_cmp_gt_u32_e32 vcc, s2, v4
	v_mov_b32_e32 v6, 0x80
	s_and_saveexec_b64 s[2:3], vcc
	s_cbranch_execz .LBB77_354
; %bb.349:
	s_mov_b32 s6, 0x3bffffff
	v_and_b32_e32 v3, 0xffff, v2
	v_cmp_lt_u32_e32 vcc, s6, v4
	s_mov_b64 s[6:7], 0
                                        ; implicit-def: $vgpr4
	s_and_saveexec_b64 s[10:11], vcc
	s_xor_b64 s[10:11], exec, s[10:11]
	s_cbranch_execz .LBB77_582
; %bb.350:
	v_bfe_u32 v4, v3, 4, 1
	s_mov_b32 s14, 0x487ffff
	v_add3_u32 v4, v5, v4, s14
	s_mov_b64 s[6:7], exec
	v_lshrrev_b32_e32 v4, 20, v4
                                        ; implicit-def: $vgpr5
	s_andn2_saveexec_b64 s[10:11], s[10:11]
	s_cbranch_execnz .LBB77_583
.LBB77_351:
	s_or_b64 exec, exec, s[10:11]
	v_mov_b32_e32 v6, 0
	s_and_saveexec_b64 s[10:11], s[6:7]
.LBB77_352:
	v_lshrrev_b32_e32 v3, 8, v3
	s_movk_i32 s6, 0x80
	v_and_or_b32 v6, v3, s6, v4
.LBB77_353:
	s_or_b64 exec, exec, s[10:11]
.LBB77_354:
	s_or_b64 exec, exec, s[2:3]
	global_store_byte v[0:1], v6, off
.LBB77_355:
	s_mov_b64 s[2:3], -1
.LBB77_356:
	s_mov_b64 s[6:7], 0
.LBB77_357:
	s_and_b64 vcc, exec, s[6:7]
	s_cbranch_vccz .LBB77_398
; %bb.358:
	s_cmp_gt_i32 s13, 22
	s_mov_b64 s[6:7], -1
	s_cbranch_scc0 .LBB77_390
; %bb.359:
	s_cmp_lt_i32 s13, 24
	s_mov_b64 s[2:3], -1
	s_cbranch_scc1 .LBB77_379
; %bb.360:
	s_cmp_gt_i32 s13, 24
	s_cbranch_scc0 .LBB77_368
; %bb.361:
	v_lshlrev_b32_e32 v5, 16, v2
	v_and_b32_e32 v4, 0x7fffffff, v5
	s_mov_b32 s2, 0x47800000
	v_cmp_gt_u32_e32 vcc, s2, v4
	v_mov_b32_e32 v6, 0x80
	s_and_saveexec_b64 s[2:3], vcc
	s_cbranch_execz .LBB77_367
; %bb.362:
	s_mov_b32 s6, 0x37ffffff
	v_and_b32_e32 v3, 0xffff, v2
	v_cmp_lt_u32_e32 vcc, s6, v4
	s_mov_b64 s[6:7], 0
                                        ; implicit-def: $vgpr4
	s_and_saveexec_b64 s[10:11], vcc
	s_xor_b64 s[10:11], exec, s[10:11]
	s_cbranch_execz .LBB77_585
; %bb.363:
	v_bfe_u32 v4, v3, 5, 1
	s_mov_b32 s14, 0x88fffff
	v_add3_u32 v4, v5, v4, s14
	s_mov_b64 s[6:7], exec
	v_lshrrev_b32_e32 v4, 21, v4
                                        ; implicit-def: $vgpr5
	s_andn2_saveexec_b64 s[10:11], s[10:11]
	s_cbranch_execnz .LBB77_586
.LBB77_364:
	s_or_b64 exec, exec, s[10:11]
	v_mov_b32_e32 v6, 0
	s_and_saveexec_b64 s[10:11], s[6:7]
.LBB77_365:
	v_lshrrev_b32_e32 v3, 8, v3
	s_movk_i32 s6, 0x80
	v_and_or_b32 v6, v3, s6, v4
.LBB77_366:
	s_or_b64 exec, exec, s[10:11]
.LBB77_367:
	s_or_b64 exec, exec, s[2:3]
	s_mov_b64 s[2:3], 0
	global_store_byte v[0:1], v6, off
.LBB77_368:
	s_and_b64 vcc, exec, s[2:3]
	s_cbranch_vccz .LBB77_378
; %bb.369:
	v_lshlrev_b32_e32 v5, 16, v2
	v_and_b32_e32 v6, 0x7fffffff, v5
	s_mov_b32 s2, 0x43f00000
	v_and_b32_e32 v3, 0xffff, v2
	v_cmp_gt_u32_e32 vcc, s2, v6
                                        ; implicit-def: $vgpr4
	s_and_saveexec_b64 s[2:3], vcc
	s_xor_b64 s[2:3], exec, s[2:3]
	s_cbranch_execz .LBB77_375
; %bb.370:
	s_mov_b32 s6, 0x3c7fffff
	v_cmp_lt_u32_e32 vcc, s6, v6
                                        ; implicit-def: $vgpr4
	s_and_saveexec_b64 s[6:7], vcc
	s_xor_b64 s[6:7], exec, s[6:7]
; %bb.371:
	v_bfe_u32 v4, v3, 4, 1
	s_mov_b32 s10, 0x407ffff
	v_add3_u32 v4, v5, v4, s10
	v_lshrrev_b32_e32 v5, 20, v4
	v_and_b32_e32 v4, 0xff00000, v4
	s_mov_b32 s10, 0x7f00000
	v_mov_b32_e32 v6, 0x7e
	v_cmp_ne_u32_e32 vcc, s10, v4
	v_cndmask_b32_e32 v4, v6, v5, vcc
                                        ; implicit-def: $vgpr5
; %bb.372:
	s_andn2_saveexec_b64 s[6:7], s[6:7]
; %bb.373:
	s_mov_b32 s10, 0x46800000
	v_add_f32_e64 v4, |v5|, s10
; %bb.374:
	s_or_b64 exec, exec, s[6:7]
                                        ; implicit-def: $vgpr6
.LBB77_375:
	s_andn2_saveexec_b64 s[2:3], s[2:3]
; %bb.376:
	s_mov_b32 s6, 0x7f800000
	v_mov_b32_e32 v4, 0x7e
	v_mov_b32_e32 v5, 0x7f
	v_cmp_lt_u32_e32 vcc, s6, v6
	v_cndmask_b32_e32 v4, v4, v5, vcc
; %bb.377:
	s_or_b64 exec, exec, s[2:3]
	v_lshrrev_b32_e32 v3, 8, v3
	s_movk_i32 s2, 0x80
	v_and_or_b32 v3, v3, s2, v4
	global_store_byte v[0:1], v3, off
.LBB77_378:
	s_mov_b64 s[2:3], 0
.LBB77_379:
	s_andn2_b64 vcc, exec, s[2:3]
	s_cbranch_vccnz .LBB77_389
; %bb.380:
	v_lshlrev_b32_e32 v5, 16, v2
	v_and_b32_e32 v6, 0x7fffffff, v5
	s_mov_b32 s2, 0x47800000
	v_and_b32_e32 v3, 0xffff, v2
	v_cmp_gt_u32_e32 vcc, s2, v6
                                        ; implicit-def: $vgpr4
	s_and_saveexec_b64 s[2:3], vcc
	s_xor_b64 s[2:3], exec, s[2:3]
	s_cbranch_execz .LBB77_386
; %bb.381:
	s_mov_b32 s6, 0x387fffff
	v_cmp_lt_u32_e32 vcc, s6, v6
                                        ; implicit-def: $vgpr4
	s_and_saveexec_b64 s[6:7], vcc
	s_xor_b64 s[6:7], exec, s[6:7]
; %bb.382:
	v_bfe_u32 v4, v3, 5, 1
	s_mov_b32 s10, 0x80fffff
	v_add3_u32 v4, v5, v4, s10
	v_lshrrev_b32_e32 v4, 21, v4
                                        ; implicit-def: $vgpr5
; %bb.383:
	s_andn2_saveexec_b64 s[6:7], s[6:7]
; %bb.384:
	s_mov_b32 s10, 0x43000000
	v_add_f32_e64 v4, |v5|, s10
; %bb.385:
	s_or_b64 exec, exec, s[6:7]
                                        ; implicit-def: $vgpr6
.LBB77_386:
	s_andn2_saveexec_b64 s[2:3], s[2:3]
; %bb.387:
	s_mov_b32 s6, 0x7f800000
	v_mov_b32_e32 v4, 0x7c
	v_mov_b32_e32 v5, 0x7f
	v_cmp_lt_u32_e32 vcc, s6, v6
	v_cndmask_b32_e32 v4, v4, v5, vcc
; %bb.388:
	s_or_b64 exec, exec, s[2:3]
	v_lshrrev_b32_e32 v3, 8, v3
	s_movk_i32 s2, 0x80
	v_and_or_b32 v3, v3, s2, v4
	global_store_byte v[0:1], v3, off
.LBB77_389:
	s_mov_b64 s[6:7], 0
	s_mov_b64 s[2:3], -1
.LBB77_390:
	s_andn2_b64 vcc, exec, s[6:7]
	s_cbranch_vccnz .LBB77_398
; %bb.391:
	s_cmp_gt_i32 s13, 14
	s_mov_b64 s[6:7], -1
	s_cbranch_scc0 .LBB77_395
; %bb.392:
	s_cmp_eq_u32 s13, 15
	s_mov_b64 s[0:1], -1
	s_cbranch_scc0 .LBB77_394
; %bb.393:
	global_store_short v[0:1], v2, off
	s_mov_b64 s[2:3], -1
	s_mov_b64 s[0:1], 0
.LBB77_394:
	s_mov_b64 s[6:7], 0
.LBB77_395:
	s_and_b64 vcc, exec, s[6:7]
	s_cbranch_vccz .LBB77_398
; %bb.396:
	s_cmp_eq_u32 s13, 11
	s_mov_b64 s[0:1], -1
	s_cbranch_scc0 .LBB77_398
; %bb.397:
	v_and_b32_e32 v3, 0x7fff, v2
	v_cmp_ne_u16_e32 vcc, 0, v3
	v_cndmask_b32_e64 v3, 0, 1, vcc
	s_mov_b64 s[2:3], -1
	s_mov_b64 s[0:1], 0
	global_store_byte v[0:1], v3, off
.LBB77_398:
	s_mov_b64 s[6:7], 0
.LBB77_399:
	s_and_b64 vcc, exec, s[6:7]
	s_cbranch_vccz .LBB77_438
; %bb.400:
	s_and_b32 s6, 0xffff, s12
	s_cmp_lt_i32 s6, 5
	s_mov_b64 s[2:3], -1
	s_cbranch_scc1 .LBB77_421
; %bb.401:
	s_cmp_lt_i32 s6, 8
	s_cbranch_scc1 .LBB77_411
; %bb.402:
	s_cmp_lt_i32 s6, 9
	s_cbranch_scc1 .LBB77_408
; %bb.403:
	s_cmp_gt_i32 s6, 9
	s_cbranch_scc0 .LBB77_405
; %bb.404:
	v_lshlrev_b32_e32 v3, 16, v2
	v_cvt_f64_f32_e32 v[3:4], v3
	v_mov_b32_e32 v5, 0
	v_mov_b32_e32 v6, v5
	s_mov_b64 s[2:3], 0
	global_store_dwordx4 v[0:1], v[3:6], off
.LBB77_405:
	s_andn2_b64 vcc, exec, s[2:3]
	s_cbranch_vccnz .LBB77_407
; %bb.406:
	v_lshlrev_b32_e32 v3, 16, v2
	v_mov_b32_e32 v4, 0
	global_store_dwordx2 v[0:1], v[3:4], off
.LBB77_407:
	s_mov_b64 s[2:3], 0
.LBB77_408:
	s_andn2_b64 vcc, exec, s[2:3]
	s_cbranch_vccnz .LBB77_410
; %bb.409:
	v_lshlrev_b32_e32 v3, 16, v2
	v_cvt_f16_f32_e32 v3, v3
	global_store_dword v[0:1], v3, off
.LBB77_410:
	s_mov_b64 s[2:3], 0
.LBB77_411:
	s_andn2_b64 vcc, exec, s[2:3]
	s_cbranch_vccnz .LBB77_420
; %bb.412:
	s_cmp_lt_i32 s6, 6
	s_mov_b64 s[2:3], -1
	s_cbranch_scc1 .LBB77_418
; %bb.413:
	s_cmp_gt_i32 s6, 6
	s_cbranch_scc0 .LBB77_415
; %bb.414:
	v_lshlrev_b32_e32 v3, 16, v2
	v_cvt_f64_f32_e32 v[3:4], v3
	s_mov_b64 s[2:3], 0
	global_store_dwordx2 v[0:1], v[3:4], off
.LBB77_415:
	s_andn2_b64 vcc, exec, s[2:3]
	s_cbranch_vccnz .LBB77_417
; %bb.416:
	v_lshlrev_b32_e32 v3, 16, v2
	global_store_dword v[0:1], v3, off
.LBB77_417:
	s_mov_b64 s[2:3], 0
.LBB77_418:
	s_andn2_b64 vcc, exec, s[2:3]
	s_cbranch_vccnz .LBB77_420
; %bb.419:
	v_lshlrev_b32_e32 v3, 16, v2
	v_cvt_f16_f32_e32 v3, v3
	global_store_short v[0:1], v3, off
.LBB77_420:
	s_mov_b64 s[2:3], 0
.LBB77_421:
	s_andn2_b64 vcc, exec, s[2:3]
	s_cbranch_vccnz .LBB77_437
; %bb.422:
	s_cmp_lt_i32 s6, 2
	s_mov_b64 s[2:3], -1
	s_cbranch_scc1 .LBB77_432
; %bb.423:
	s_cmp_lt_i32 s6, 3
	s_cbranch_scc1 .LBB77_429
; %bb.424:
	s_cmp_gt_i32 s6, 3
	s_cbranch_scc0 .LBB77_426
; %bb.425:
	v_lshlrev_b32_e32 v3, 16, v2
	v_trunc_f32_e32 v3, v3
	s_mov_b32 s2, 0x2f800000
	v_mul_f32_e64 v4, |v3|, s2
	v_floor_f32_e32 v4, v4
	s_mov_b32 s2, 0xcf800000
	v_cvt_u32_f32_e32 v5, v4
	v_fma_f32 v4, v4, s2, |v3|
	v_cvt_u32_f32_e32 v4, v4
	v_ashrrev_i32_e32 v6, 31, v3
	v_xor_b32_e32 v5, v5, v6
	s_mov_b64 s[2:3], 0
	v_xor_b32_e32 v3, v4, v6
	v_sub_co_u32_e32 v3, vcc, v3, v6
	v_subb_co_u32_e32 v4, vcc, v5, v6, vcc
	global_store_dwordx2 v[0:1], v[3:4], off
.LBB77_426:
	s_andn2_b64 vcc, exec, s[2:3]
	s_cbranch_vccnz .LBB77_428
; %bb.427:
	v_lshlrev_b32_e32 v3, 16, v2
	v_cvt_i32_f32_e32 v3, v3
	global_store_dword v[0:1], v3, off
.LBB77_428:
	s_mov_b64 s[2:3], 0
.LBB77_429:
	s_andn2_b64 vcc, exec, s[2:3]
	s_cbranch_vccnz .LBB77_431
; %bb.430:
	v_lshlrev_b32_e32 v3, 16, v2
	v_cvt_i32_f32_e32 v3, v3
	global_store_short v[0:1], v3, off
.LBB77_431:
	s_mov_b64 s[2:3], 0
.LBB77_432:
	s_andn2_b64 vcc, exec, s[2:3]
	s_cbranch_vccnz .LBB77_437
; %bb.433:
	s_mov_b64 s[2:3], -1
	s_cmp_gt_i32 s6, 0
	v_lshlrev_b32_e32 v2, 16, v2
	s_cbranch_scc0 .LBB77_435
; %bb.434:
	v_cvt_i32_f32_e32 v3, v2
	s_mov_b64 s[2:3], 0
	global_store_byte v[0:1], v3, off
.LBB77_435:
	s_andn2_b64 vcc, exec, s[2:3]
	s_cbranch_vccnz .LBB77_437
; %bb.436:
	v_trunc_f32_e32 v2, v2
	s_mov_b32 s2, 0x2f800000
	v_mul_f32_e64 v3, |v2|, s2
	v_floor_f32_e32 v3, v3
	s_mov_b32 s2, 0xcf800000
	v_fma_f32 v3, v3, s2, |v2|
	v_cvt_u32_f32_e32 v3, v3
	v_ashrrev_i32_e32 v2, 31, v2
	v_xor_b32_e32 v3, v3, v2
	v_sub_u32_e32 v2, v3, v2
	global_store_byte v[0:1], v2, off
.LBB77_437:
	s_mov_b64 s[2:3], -1
.LBB77_438:
	s_andn2_b64 vcc, exec, s[2:3]
	s_cbranch_vccnz .LBB77_440
; %bb.439:
	v_add_u32_e32 v8, 0x80, v8
	s_mov_b64 s[2:3], -1
	s_branch .LBB77_553
.LBB77_440:
	s_mov_b64 s[2:3], 0
	s_branch .LBB77_552
.LBB77_441:
	s_mov_b64 s[8:9], -1
                                        ; implicit-def: $vgpr3
.LBB77_442:
	s_mov_b64 s[2:3], 0
.LBB77_443:
	s_and_b64 vcc, exec, s[2:3]
	s_cbranch_vccz .LBB77_447
; %bb.444:
	s_cmp_eq_u32 s10, 29
	s_cbranch_scc0 .LBB77_446
; %bb.445:
	global_load_dwordx2 v[3:4], v[1:2], off
	s_movk_i32 s2, 0x7fff
	s_mov_b64 s[0:1], -1
	s_mov_b64 s[8:9], 0
	s_waitcnt vmcnt(0)
	v_ffbh_u32_e32 v5, v4
	v_min_u32_e32 v5, 32, v5
	v_lshlrev_b64 v[3:4], v5, v[3:4]
	v_min_u32_e32 v3, 1, v3
	v_or_b32_e32 v3, v4, v3
	v_cvt_f32_u32_e32 v3, v3
	v_sub_u32_e32 v4, 32, v5
	v_ldexp_f32 v3, v3, v4
	v_bfe_u32 v4, v3, 16, 1
	v_add3_u32 v3, v3, v4, s2
	v_lshrrev_b32_e32 v3, 16, v3
	s_branch .LBB77_447
.LBB77_446:
	s_mov_b64 s[8:9], -1
                                        ; implicit-def: $vgpr3
.LBB77_447:
	s_mov_b64 s[2:3], 0
.LBB77_448:
	s_and_b64 vcc, exec, s[2:3]
	s_cbranch_vccz .LBB77_466
; %bb.449:
	s_cmp_lt_i32 s10, 27
	s_cbranch_scc1 .LBB77_452
; %bb.450:
	s_cmp_gt_i32 s10, 27
	s_cbranch_scc0 .LBB77_453
; %bb.451:
	global_load_dword v3, v[1:2], off
	s_movk_i32 s0, 0x7fff
	s_waitcnt vmcnt(0)
	v_cvt_f32_u32_e32 v3, v3
	v_bfe_u32 v4, v3, 16, 1
	v_add3_u32 v3, v3, v4, s0
	v_lshrrev_b32_e32 v3, 16, v3
	s_mov_b64 s[0:1], 0
	s_branch .LBB77_454
.LBB77_452:
	s_mov_b64 s[0:1], -1
                                        ; implicit-def: $vgpr3
	s_branch .LBB77_457
.LBB77_453:
	s_mov_b64 s[0:1], -1
                                        ; implicit-def: $vgpr3
.LBB77_454:
	s_andn2_b64 vcc, exec, s[0:1]
	s_cbranch_vccnz .LBB77_456
; %bb.455:
	global_load_ushort v3, v[1:2], off
	s_movk_i32 s0, 0x7fff
	s_waitcnt vmcnt(0)
	v_cvt_f32_u32_e32 v3, v3
	v_bfe_u32 v4, v3, 16, 1
	v_add3_u32 v3, v3, v4, s0
	v_lshrrev_b32_e32 v3, 16, v3
.LBB77_456:
	s_mov_b64 s[0:1], 0
.LBB77_457:
	s_andn2_b64 vcc, exec, s[0:1]
	s_cbranch_vccnz .LBB77_465
; %bb.458:
	global_load_ubyte v3, v[1:2], off
	s_movk_i32 s0, 0x7f
	s_waitcnt vmcnt(0)
	v_cmp_lt_i16_e32 vcc, s0, v3
	s_mov_b64 s[0:1], 0
	s_and_saveexec_b64 s[2:3], vcc
	s_xor_b64 s[2:3], exec, s[2:3]
	s_cbranch_execz .LBB77_479
; %bb.459:
	s_movk_i32 s0, 0x80
	v_cmp_eq_u16_e32 vcc, s0, v3
	s_mov_b64 s[0:1], -1
	s_and_saveexec_b64 s[6:7], vcc
; %bb.460:
	s_xor_b64 s[0:1], exec, -1
; %bb.461:
	s_or_b64 exec, exec, s[6:7]
	s_and_b64 s[0:1], s[0:1], exec
	s_or_saveexec_b64 s[2:3], s[2:3]
	v_mov_b32_e32 v4, 0x7f800001
	s_xor_b64 exec, exec, s[2:3]
	s_cbranch_execnz .LBB77_480
.LBB77_462:
	s_or_b64 exec, exec, s[2:3]
	s_and_saveexec_b64 s[2:3], s[0:1]
	s_cbranch_execz .LBB77_464
.LBB77_463:
	v_lshlrev_b32_e32 v4, 24, v3
	v_and_b32_e32 v3, 0xffff, v3
	v_and_b32_e32 v5, 7, v3
	v_ffbh_u32_e32 v7, v5
	v_min_u32_e32 v7, 32, v7
	v_subrev_u32_e32 v9, 28, v7
	v_bfe_u32 v6, v3, 3, 4
	v_lshlrev_b32_e32 v3, v9, v3
	v_sub_u32_e32 v7, 29, v7
	v_and_b32_e32 v3, 7, v3
	v_cmp_eq_u32_e32 vcc, 0, v6
	v_cndmask_b32_e32 v6, v6, v7, vcc
	v_cndmask_b32_e32 v3, v5, v3, vcc
	v_mov_b32_e32 v5, 0x3b800000
	v_lshlrev_b32_e32 v3, 20, v3
	v_and_b32_e32 v4, 0x80000000, v4
	v_lshl_add_u32 v5, v6, 23, v5
	v_or3_b32 v4, v4, v5, v3
.LBB77_464:
	s_or_b64 exec, exec, s[2:3]
	v_bfe_u32 v3, v4, 16, 1
	s_movk_i32 s0, 0x7fff
	v_add3_u32 v3, v4, v3, s0
	v_cmp_o_f32_e32 vcc, v4, v4
	v_mov_b32_e32 v4, 0x7fc0
	v_cndmask_b32_sdwa v3, v4, v3, vcc dst_sel:DWORD dst_unused:UNUSED_PAD src0_sel:DWORD src1_sel:WORD_1
.LBB77_465:
	s_mov_b64 s[0:1], -1
.LBB77_466:
	s_mov_b64 s[2:3], 0
.LBB77_467:
	s_and_b64 vcc, exec, s[2:3]
	s_cbranch_vccz .LBB77_502
; %bb.468:
	s_cmp_gt_i32 s10, 22
	s_cbranch_scc0 .LBB77_478
; %bb.469:
	s_cmp_lt_i32 s10, 24
	s_cbranch_scc1 .LBB77_481
; %bb.470:
	s_cmp_gt_i32 s10, 24
	s_cbranch_scc0 .LBB77_482
; %bb.471:
	global_load_ubyte v3, v[1:2], off
	s_movk_i32 s0, 0x7f
	s_waitcnt vmcnt(0)
	v_cmp_lt_i16_e32 vcc, s0, v3
	s_mov_b64 s[0:1], 0
	s_and_saveexec_b64 s[2:3], vcc
	s_xor_b64 s[2:3], exec, s[2:3]
	s_cbranch_execz .LBB77_494
; %bb.472:
	s_movk_i32 s0, 0x80
	v_cmp_eq_u16_e32 vcc, s0, v3
	s_mov_b64 s[0:1], -1
	s_and_saveexec_b64 s[6:7], vcc
; %bb.473:
	s_xor_b64 s[0:1], exec, -1
; %bb.474:
	s_or_b64 exec, exec, s[6:7]
	s_and_b64 s[0:1], s[0:1], exec
	s_or_saveexec_b64 s[2:3], s[2:3]
	v_mov_b32_e32 v4, 0x7f800001
	s_xor_b64 exec, exec, s[2:3]
	s_cbranch_execnz .LBB77_495
.LBB77_475:
	s_or_b64 exec, exec, s[2:3]
	s_and_saveexec_b64 s[2:3], s[0:1]
	s_cbranch_execz .LBB77_477
.LBB77_476:
	v_lshlrev_b32_e32 v4, 24, v3
	v_and_b32_e32 v3, 0xffff, v3
	v_and_b32_e32 v5, 3, v3
	v_ffbh_u32_e32 v7, v5
	v_min_u32_e32 v7, 32, v7
	v_subrev_u32_e32 v9, 29, v7
	v_bfe_u32 v6, v3, 2, 5
	v_lshlrev_b32_e32 v3, v9, v3
	v_sub_u32_e32 v7, 30, v7
	v_and_b32_e32 v3, 3, v3
	v_cmp_eq_u32_e32 vcc, 0, v6
	v_cndmask_b32_e32 v6, v6, v7, vcc
	v_cndmask_b32_e32 v3, v5, v3, vcc
	v_mov_b32_e32 v5, 0x37800000
	v_lshlrev_b32_e32 v3, 21, v3
	v_and_b32_e32 v4, 0x80000000, v4
	v_lshl_add_u32 v5, v6, 23, v5
	v_or3_b32 v4, v4, v5, v3
.LBB77_477:
	s_or_b64 exec, exec, s[2:3]
	v_bfe_u32 v3, v4, 16, 1
	s_movk_i32 s0, 0x7fff
	v_add3_u32 v3, v4, v3, s0
	v_cmp_o_f32_e32 vcc, v4, v4
	v_mov_b32_e32 v4, 0x7fc0
	v_cndmask_b32_sdwa v3, v4, v3, vcc dst_sel:DWORD dst_unused:UNUSED_PAD src0_sel:DWORD src1_sel:WORD_1
	s_mov_b64 s[0:1], 0
	s_branch .LBB77_483
.LBB77_478:
	s_mov_b64 s[2:3], -1
                                        ; implicit-def: $vgpr3
	s_branch .LBB77_489
.LBB77_479:
	s_or_saveexec_b64 s[2:3], s[2:3]
	v_mov_b32_e32 v4, 0x7f800001
	s_xor_b64 exec, exec, s[2:3]
	s_cbranch_execz .LBB77_462
.LBB77_480:
	v_cmp_ne_u16_e32 vcc, 0, v3
	s_andn2_b64 s[0:1], s[0:1], exec
	s_and_b64 s[6:7], vcc, exec
	v_mov_b32_e32 v4, 0
	s_or_b64 s[0:1], s[0:1], s[6:7]
	s_or_b64 exec, exec, s[2:3]
	s_and_saveexec_b64 s[2:3], s[0:1]
	s_cbranch_execnz .LBB77_463
	s_branch .LBB77_464
.LBB77_481:
	s_mov_b64 s[0:1], -1
                                        ; implicit-def: $vgpr3
	s_branch .LBB77_486
.LBB77_482:
	s_mov_b64 s[0:1], -1
                                        ; implicit-def: $vgpr3
.LBB77_483:
	s_and_b64 vcc, exec, s[0:1]
	s_cbranch_vccz .LBB77_485
; %bb.484:
	global_load_ubyte v3, v[1:2], off
	s_mov_b32 s0, 0x7f800000
	s_brev_b32 s1, 1
	s_movk_i32 s2, 0x7fff
	s_waitcnt vmcnt(0)
	v_lshlrev_b32_e32 v3, 24, v3
	v_and_b32_e32 v4, 0x7f000000, v3
	v_ffbh_u32_e32 v5, v4
	v_min_u32_e32 v5, 32, v5
	v_sub_u32_e64 v5, v5, 4 clamp
	v_lshlrev_b32_e32 v7, v5, v4
	v_lshlrev_b32_e32 v5, 23, v5
	v_lshrrev_b32_e32 v7, 4, v7
	v_add_u32_e32 v6, 0x1000000, v4
	v_sub_u32_e32 v5, v7, v5
	v_ashrrev_i32_e32 v6, 8, v6
	v_add_u32_e32 v5, 0x3c000000, v5
	v_and_or_b32 v5, v6, s0, v5
	v_cmp_ne_u32_e32 vcc, 0, v4
	v_cndmask_b32_e32 v4, 0, v5, vcc
	v_and_or_b32 v3, v3, s1, v4
	v_bfe_u32 v4, v4, 16, 1
	v_add3_u32 v4, v3, v4, s2
	v_cmp_o_f32_e32 vcc, v3, v3
	v_mov_b32_e32 v3, 0x7fc0
	v_cndmask_b32_sdwa v3, v3, v4, vcc dst_sel:DWORD dst_unused:UNUSED_PAD src0_sel:DWORD src1_sel:WORD_1
.LBB77_485:
	s_mov_b64 s[0:1], 0
.LBB77_486:
	s_andn2_b64 vcc, exec, s[0:1]
	s_cbranch_vccnz .LBB77_488
; %bb.487:
	global_load_ubyte v3, v[1:2], off
	s_movk_i32 s0, 0x7f00
	s_brev_b32 s1, 16
	s_brev_b32 s2, 1
	s_movk_i32 s3, 0x7fff
	s_waitcnt vmcnt(0)
	v_lshlrev_b16_e32 v4, 8, v3
	v_lshlrev_b32_e32 v3, 25, v3
	v_lshrrev_b32_e32 v5, 4, v3
	v_and_or_b32 v6, v4, s0, 0.5
	v_or_b32_e32 v5, 0x70000000, v5
	v_add_f32_e32 v6, -0.5, v6
	v_mul_f32_e32 v5, 0x7800000, v5
	v_cmp_gt_u32_e32 vcc, s1, v3
	v_bfe_i32 v4, v4, 0, 16
	v_cndmask_b32_e32 v3, v5, v6, vcc
	v_and_or_b32 v4, v4, s2, v3
	v_bfe_u32 v3, v3, 16, 1
	v_add3_u32 v3, v4, v3, s3
	v_cmp_o_f32_e32 vcc, v4, v4
	v_mov_b32_e32 v4, 0x7fc0
	v_cndmask_b32_sdwa v3, v4, v3, vcc dst_sel:DWORD dst_unused:UNUSED_PAD src0_sel:DWORD src1_sel:WORD_1
.LBB77_488:
	s_mov_b64 s[2:3], 0
	s_mov_b64 s[0:1], -1
.LBB77_489:
	s_andn2_b64 vcc, exec, s[2:3]
	s_cbranch_vccnz .LBB77_502
; %bb.490:
	s_cmp_gt_i32 s10, 14
	s_cbranch_scc0 .LBB77_493
; %bb.491:
	s_cmp_eq_u32 s10, 15
	s_cbranch_scc0 .LBB77_496
; %bb.492:
	global_load_ushort v3, v[1:2], off
	s_mov_b64 s[0:1], -1
	s_mov_b64 s[8:9], 0
	s_branch .LBB77_497
.LBB77_493:
	s_mov_b64 s[2:3], -1
                                        ; implicit-def: $vgpr3
	s_branch .LBB77_498
.LBB77_494:
	s_or_saveexec_b64 s[2:3], s[2:3]
	v_mov_b32_e32 v4, 0x7f800001
	s_xor_b64 exec, exec, s[2:3]
	s_cbranch_execz .LBB77_475
.LBB77_495:
	v_cmp_ne_u16_e32 vcc, 0, v3
	s_andn2_b64 s[0:1], s[0:1], exec
	s_and_b64 s[6:7], vcc, exec
	v_mov_b32_e32 v4, 0
	s_or_b64 s[0:1], s[0:1], s[6:7]
	s_or_b64 exec, exec, s[2:3]
	s_and_saveexec_b64 s[2:3], s[0:1]
	s_cbranch_execnz .LBB77_476
	s_branch .LBB77_477
.LBB77_496:
	s_mov_b64 s[8:9], -1
                                        ; implicit-def: $vgpr3
.LBB77_497:
	s_mov_b64 s[2:3], 0
.LBB77_498:
	s_and_b64 vcc, exec, s[2:3]
	s_cbranch_vccz .LBB77_502
; %bb.499:
	s_cmp_eq_u32 s10, 11
	s_cbranch_scc0 .LBB77_501
; %bb.500:
	global_load_ubyte v3, v[1:2], off
	s_mov_b64 s[0:1], -1
	s_mov_b64 s[8:9], 0
	s_waitcnt vmcnt(0)
	v_cmp_ne_u16_e32 vcc, 0, v3
	v_cndmask_b32_e64 v3, 0, 1.0, vcc
	v_lshrrev_b32_e32 v3, 16, v3
	s_branch .LBB77_502
.LBB77_501:
	s_mov_b64 s[8:9], -1
                                        ; implicit-def: $vgpr3
.LBB77_502:
	s_branch .LBB77_299
.LBB77_503:
	s_cmp_lt_i32 s10, 5
	s_cbranch_scc1 .LBB77_508
; %bb.504:
	s_cmp_lt_i32 s10, 8
	s_cbranch_scc1 .LBB77_509
; %bb.505:
	;; [unrolled: 3-line block ×3, first 2 shown]
	s_cmp_gt_i32 s10, 9
	s_cbranch_scc0 .LBB77_511
; %bb.507:
	global_load_dwordx2 v[3:4], v[1:2], off
	s_movk_i32 s0, 0x7fff
	s_waitcnt vmcnt(0)
	v_cvt_f32_f64_e32 v3, v[3:4]
	v_mov_b32_e32 v4, 0x7fc0
	v_bfe_u32 v5, v3, 16, 1
	v_cmp_o_f32_e32 vcc, v3, v3
	v_add3_u32 v3, v3, v5, s0
	v_cndmask_b32_sdwa v3, v4, v3, vcc dst_sel:DWORD dst_unused:UNUSED_PAD src0_sel:DWORD src1_sel:WORD_1
	s_mov_b64 s[0:1], 0
	s_branch .LBB77_512
.LBB77_508:
	s_mov_b64 s[0:1], -1
                                        ; implicit-def: $vgpr3
	s_branch .LBB77_530
.LBB77_509:
	s_mov_b64 s[0:1], -1
                                        ; implicit-def: $vgpr3
	s_branch .LBB77_518
.LBB77_510:
	s_mov_b64 s[0:1], -1
                                        ; implicit-def: $vgpr3
	s_branch .LBB77_515
.LBB77_511:
	s_mov_b64 s[0:1], -1
                                        ; implicit-def: $vgpr3
.LBB77_512:
	s_andn2_b64 vcc, exec, s[0:1]
	s_cbranch_vccnz .LBB77_514
; %bb.513:
	global_load_dword v3, v[1:2], off
	s_movk_i32 s0, 0x7fff
	v_mov_b32_e32 v4, 0x7fc0
	s_waitcnt vmcnt(0)
	v_bfe_u32 v5, v3, 16, 1
	v_cmp_o_f32_e32 vcc, v3, v3
	v_add3_u32 v3, v3, v5, s0
	v_cndmask_b32_sdwa v3, v4, v3, vcc dst_sel:DWORD dst_unused:UNUSED_PAD src0_sel:DWORD src1_sel:WORD_1
.LBB77_514:
	s_mov_b64 s[0:1], 0
.LBB77_515:
	s_andn2_b64 vcc, exec, s[0:1]
	s_cbranch_vccnz .LBB77_517
; %bb.516:
	global_load_dword v3, v[1:2], off
	s_movk_i32 s0, 0x7fff
	v_mov_b32_e32 v5, 0x7fc0
	s_waitcnt vmcnt(0)
	v_cvt_f32_f16_e32 v4, v3
	v_cmp_o_f16_e32 vcc, v3, v3
	v_bfe_u32 v3, v4, 16, 1
	v_add3_u32 v3, v4, v3, s0
	v_cndmask_b32_sdwa v3, v5, v3, vcc dst_sel:DWORD dst_unused:UNUSED_PAD src0_sel:DWORD src1_sel:WORD_1
.LBB77_517:
	s_mov_b64 s[0:1], 0
.LBB77_518:
	s_andn2_b64 vcc, exec, s[0:1]
	s_cbranch_vccnz .LBB77_529
; %bb.519:
	s_cmp_lt_i32 s10, 6
	s_cbranch_scc1 .LBB77_522
; %bb.520:
	s_cmp_gt_i32 s10, 6
	s_cbranch_scc0 .LBB77_523
; %bb.521:
	global_load_dwordx2 v[3:4], v[1:2], off
	s_movk_i32 s0, 0x7fff
	s_waitcnt vmcnt(0)
	v_cvt_f32_f64_e32 v3, v[3:4]
	v_mov_b32_e32 v4, 0x7fc0
	v_bfe_u32 v5, v3, 16, 1
	v_cmp_o_f32_e32 vcc, v3, v3
	v_add3_u32 v3, v3, v5, s0
	v_cndmask_b32_sdwa v3, v4, v3, vcc dst_sel:DWORD dst_unused:UNUSED_PAD src0_sel:DWORD src1_sel:WORD_1
	s_mov_b64 s[0:1], 0
	s_branch .LBB77_524
.LBB77_522:
	s_mov_b64 s[0:1], -1
                                        ; implicit-def: $vgpr3
	s_branch .LBB77_527
.LBB77_523:
	s_mov_b64 s[0:1], -1
                                        ; implicit-def: $vgpr3
.LBB77_524:
	s_andn2_b64 vcc, exec, s[0:1]
	s_cbranch_vccnz .LBB77_526
; %bb.525:
	global_load_dword v3, v[1:2], off
	s_movk_i32 s0, 0x7fff
	v_mov_b32_e32 v4, 0x7fc0
	s_waitcnt vmcnt(0)
	v_bfe_u32 v5, v3, 16, 1
	v_cmp_o_f32_e32 vcc, v3, v3
	v_add3_u32 v3, v3, v5, s0
	v_cndmask_b32_sdwa v3, v4, v3, vcc dst_sel:DWORD dst_unused:UNUSED_PAD src0_sel:DWORD src1_sel:WORD_1
.LBB77_526:
	s_mov_b64 s[0:1], 0
.LBB77_527:
	s_andn2_b64 vcc, exec, s[0:1]
	s_cbranch_vccnz .LBB77_529
; %bb.528:
	global_load_ushort v3, v[1:2], off
	s_movk_i32 s0, 0x7fff
	v_mov_b32_e32 v5, 0x7fc0
	s_waitcnt vmcnt(0)
	v_cvt_f32_f16_e32 v4, v3
	v_cmp_o_f16_e32 vcc, v3, v3
	v_bfe_u32 v3, v4, 16, 1
	v_add3_u32 v3, v4, v3, s0
	v_cndmask_b32_sdwa v3, v5, v3, vcc dst_sel:DWORD dst_unused:UNUSED_PAD src0_sel:DWORD src1_sel:WORD_1
.LBB77_529:
	s_mov_b64 s[0:1], 0
.LBB77_530:
	s_andn2_b64 vcc, exec, s[0:1]
	s_cbranch_vccnz .LBB77_550
; %bb.531:
	s_cmp_lt_i32 s10, 2
	s_cbranch_scc1 .LBB77_535
; %bb.532:
	s_cmp_lt_i32 s10, 3
	s_cbranch_scc1 .LBB77_536
; %bb.533:
	s_cmp_gt_i32 s10, 3
	s_cbranch_scc0 .LBB77_537
; %bb.534:
	global_load_dwordx2 v[3:4], v[1:2], off
	s_movk_i32 s0, 0x7fff
	s_waitcnt vmcnt(0)
	v_xor_b32_e32 v6, v3, v4
	v_ffbh_i32_e32 v5, v4
	v_ashrrev_i32_e32 v6, 31, v6
	v_add_u32_e32 v5, -1, v5
	v_add_u32_e32 v6, 32, v6
	v_min_u32_e32 v5, v5, v6
	v_lshlrev_b64 v[3:4], v5, v[3:4]
	v_min_u32_e32 v3, 1, v3
	v_or_b32_e32 v3, v4, v3
	v_cvt_f32_i32_e32 v3, v3
	v_sub_u32_e32 v4, 32, v5
	v_ldexp_f32 v3, v3, v4
	v_bfe_u32 v4, v3, 16, 1
	v_add3_u32 v3, v3, v4, s0
	v_lshrrev_b32_e32 v3, 16, v3
	s_mov_b64 s[0:1], 0
	s_branch .LBB77_538
.LBB77_535:
	s_mov_b64 s[0:1], -1
                                        ; implicit-def: $vgpr3
	s_branch .LBB77_544
.LBB77_536:
	s_mov_b64 s[0:1], -1
                                        ; implicit-def: $vgpr3
	s_branch .LBB77_541
.LBB77_537:
	s_mov_b64 s[0:1], -1
                                        ; implicit-def: $vgpr3
.LBB77_538:
	s_andn2_b64 vcc, exec, s[0:1]
	s_cbranch_vccnz .LBB77_540
; %bb.539:
	global_load_dword v3, v[1:2], off
	s_movk_i32 s0, 0x7fff
	s_waitcnt vmcnt(0)
	v_cvt_f32_i32_e32 v3, v3
	v_bfe_u32 v4, v3, 16, 1
	v_add3_u32 v3, v3, v4, s0
	v_lshrrev_b32_e32 v3, 16, v3
.LBB77_540:
	s_mov_b64 s[0:1], 0
.LBB77_541:
	s_andn2_b64 vcc, exec, s[0:1]
	s_cbranch_vccnz .LBB77_543
; %bb.542:
	global_load_sshort v3, v[1:2], off
	s_movk_i32 s0, 0x7fff
	s_waitcnt vmcnt(0)
	v_cvt_f32_i32_e32 v3, v3
	v_bfe_u32 v4, v3, 16, 1
	v_add3_u32 v3, v3, v4, s0
	v_lshrrev_b32_e32 v3, 16, v3
.LBB77_543:
	s_mov_b64 s[0:1], 0
.LBB77_544:
	s_andn2_b64 vcc, exec, s[0:1]
	s_cbranch_vccnz .LBB77_550
; %bb.545:
	s_cmp_gt_i32 s10, 0
	s_cbranch_scc0 .LBB77_547
; %bb.546:
	global_load_sbyte v3, v[1:2], off
	s_movk_i32 s0, 0x7fff
	s_waitcnt vmcnt(0)
	v_cvt_f32_i32_e32 v3, v3
	v_bfe_u32 v4, v3, 16, 1
	v_add3_u32 v3, v3, v4, s0
	v_lshrrev_b32_e32 v3, 16, v3
	s_mov_b64 s[0:1], 0
	s_branch .LBB77_548
.LBB77_547:
	s_mov_b64 s[0:1], -1
                                        ; implicit-def: $vgpr3
.LBB77_548:
	s_andn2_b64 vcc, exec, s[0:1]
	s_cbranch_vccnz .LBB77_550
; %bb.549:
	global_load_ubyte v1, v[1:2], off
	s_movk_i32 s0, 0x7fff
	s_waitcnt vmcnt(0)
	v_cvt_f32_ubyte0_e32 v1, v1
	v_bfe_u32 v2, v1, 16, 1
	v_add3_u32 v1, v1, v2, s0
	v_lshrrev_b32_e32 v3, 16, v1
.LBB77_550:
	s_branch .LBB77_300
.LBB77_551:
	s_mov_b64 s[2:3], 0
	s_mov_b64 s[0:1], s[54:55]
.LBB77_552:
                                        ; implicit-def: $vgpr8
.LBB77_553:
	s_andn2_b64 s[6:7], s[54:55], exec
	s_and_b64 s[0:1], s[0:1], exec
	s_or_b64 s[62:63], s[6:7], s[0:1]
	s_andn2_b64 s[0:1], s[56:57], exec
	s_and_b64 s[6:7], s[8:9], exec
	s_or_b64 s[60:61], s[0:1], s[6:7]
	s_orn2_b64 s[0:1], s[2:3], exec
.LBB77_554:
	s_or_b64 exec, exec, s[64:65]
	s_mov_b64 s[2:3], 0
	s_mov_b64 s[8:9], 0
	;; [unrolled: 1-line block ×3, first 2 shown]
                                        ; implicit-def: $vgpr1_vgpr2
                                        ; implicit-def: $vgpr0
                                        ; implicit-def: $vgpr4
	s_and_saveexec_b64 s[64:65], s[0:1]
	s_cbranch_execz .LBB77_935
; %bb.555:
	v_cmp_gt_i32_e32 vcc, s70, v8
	s_mov_b64 s[2:3], -1
	s_mov_b64 s[6:7], s[60:61]
	s_mov_b64 s[68:69], s[62:63]
	s_and_saveexec_b64 s[66:67], vcc
	s_cbranch_execz .LBB77_835
; %bb.556:
	s_andn2_b64 vcc, exec, s[42:43]
	s_cbranch_vccnz .LBB77_561
; %bb.557:
	s_andn2_b64 vcc, exec, s[52:53]
	s_cbranch_vccnz .LBB77_562
; %bb.558:
	s_add_i32 s76, s75, 1
	s_cmp_eq_u32 s72, 2
	s_cbranch_scc1 .LBB77_563
; %bb.559:
	s_and_b32 s71, s76, 28
	v_mov_b32_e32 v2, 0
	s_mov_b32 s77, 0
	s_mov_b64 s[6:7], s[34:35]
	s_mov_b64 s[68:69], s[50:51]
	v_mov_b32_e32 v0, 0
	v_mov_b32_e32 v1, v8
.LBB77_560:                             ; =>This Inner Loop Header: Depth=1
	s_load_dwordx8 s[16:23], s[6:7], 0x4
	s_load_dwordx4 s[0:3], s[6:7], 0x24
	s_load_dwordx8 s[8:15], s[68:69], 0x0
	s_add_u32 s6, s6, 48
	s_addc_u32 s7, s7, 0
	s_waitcnt vmcnt(0) lgkmcnt(0)
	v_mul_hi_u32 v3, s17, v1
	s_add_i32 s77, s77, 4
	s_add_u32 s68, s68, 32
	s_addc_u32 s69, s69, 0
	v_add_u32_e32 v3, v1, v3
	v_lshrrev_b32_e32 v3, s18, v3
	v_mul_lo_u32 v4, v3, s16
	v_mul_hi_u32 v5, s20, v3
	s_cmp_eq_u32 s71, s77
	v_sub_u32_e32 v1, v1, v4
	v_add_u32_e32 v4, v3, v5
	v_mul_lo_u32 v5, v1, s8
	v_mul_lo_u32 v6, v1, s9
	v_lshrrev_b32_e32 v1, s21, v4
	v_mul_lo_u32 v4, v1, s19
	v_mul_hi_u32 v7, s23, v1
	v_sub_u32_e32 v3, v3, v4
	v_add_u32_e32 v4, v1, v7
	v_lshrrev_b32_e32 v4, s0, v4
	v_mul_hi_u32 v9, s2, v4
	v_mul_lo_u32 v10, v4, s22
	v_mul_lo_u32 v7, v3, s10
	v_mul_lo_u32 v3, v3, s11
	v_sub_u32_e32 v10, v1, v10
	v_add_u32_e32 v1, v4, v9
	v_lshrrev_b32_e32 v1, s3, v1
	v_mul_lo_u32 v9, v1, s1
	v_mul_lo_u32 v11, v10, s12
	;; [unrolled: 1-line block ×3, first 2 shown]
	v_add3_u32 v0, v5, v0, v7
	v_sub_u32_e32 v4, v4, v9
	v_mul_lo_u32 v9, v4, s14
	v_mul_lo_u32 v4, v4, s15
	v_add3_u32 v2, v6, v2, v3
	v_add3_u32 v0, v11, v0, v9
	;; [unrolled: 1-line block ×3, first 2 shown]
	s_cbranch_scc0 .LBB77_560
	s_branch .LBB77_564
.LBB77_561:
	s_mov_b64 s[0:1], -1
                                        ; implicit-def: $vgpr0
                                        ; implicit-def: $vgpr2
	s_branch .LBB77_568
.LBB77_562:
	v_mov_b32_e32 v0, 0
	v_mov_b32_e32 v2, 0
	s_branch .LBB77_567
.LBB77_563:
	s_mov_b32 s71, 0
	v_mov_b32_e32 v0, 0
	v_mov_b32_e32 v2, 0
	;; [unrolled: 1-line block ×3, first 2 shown]
.LBB77_564:
	s_and_b32 s6, s76, 3
	s_cmp_eq_u32 s6, 0
	s_cbranch_scc1 .LBB77_567
; %bb.565:
	s_lshl_b32 s0, s71, 3
	s_add_u32 s0, s34, s0
	s_addc_u32 s1, s35, 0
	s_add_u32 s0, s0, 0xc4
	s_addc_u32 s1, s1, 0
	s_mul_i32 s2, s71, 12
	s_add_u32 s2, s34, s2
	s_addc_u32 s3, s35, 0
.LBB77_566:                             ; =>This Inner Loop Header: Depth=1
	s_load_dwordx2 s[8:9], s[2:3], 0x4
	s_load_dword s7, s[2:3], 0xc
	s_load_dwordx2 s[10:11], s[0:1], 0x0
	s_add_u32 s2, s2, 12
	s_addc_u32 s3, s3, 0
	s_waitcnt vmcnt(0) lgkmcnt(0)
	v_mul_hi_u32 v3, s9, v1
	s_add_u32 s0, s0, 8
	s_addc_u32 s1, s1, 0
	s_add_i32 s6, s6, -1
	v_add_u32_e32 v3, v1, v3
	v_lshrrev_b32_e32 v4, s7, v3
	v_mul_lo_u32 v3, v4, s8
	s_cmp_lg_u32 s6, 0
	v_sub_u32_e32 v3, v1, v3
	v_mad_u64_u32 v[0:1], s[8:9], v3, s10, v[0:1]
	v_mad_u64_u32 v[2:3], s[8:9], v3, s11, v[2:3]
	v_mov_b32_e32 v1, v4
	s_cbranch_scc1 .LBB77_566
.LBB77_567:
	s_mov_b64 s[0:1], 0
.LBB77_568:
	s_andn2_b64 vcc, exec, s[0:1]
	s_cbranch_vccnz .LBB77_571
; %bb.569:
	s_waitcnt lgkmcnt(0)
	v_mul_hi_u32 v0, s37, v8
	s_andn2_b64 vcc, exec, s[48:49]
	v_add_u32_e32 v0, v8, v0
	v_lshrrev_b32_e32 v1, s38, v0
	v_mul_lo_u32 v0, v1, s36
	v_sub_u32_e32 v2, v8, v0
	v_mul_lo_u32 v0, v2, s28
	v_mul_lo_u32 v2, v2, s29
	s_cbranch_vccnz .LBB77_571
; %bb.570:
	s_waitcnt vmcnt(0)
	v_mul_hi_u32 v3, s46, v1
	v_add_u32_e32 v3, v1, v3
	v_lshrrev_b32_e32 v3, s47, v3
	v_mul_lo_u32 v3, v3, s39
	v_sub_u32_e32 v3, v1, v3
	v_mad_u64_u32 v[0:1], s[0:1], v3, s30, v[0:1]
	v_mad_u64_u32 v[2:3], s[0:1], v3, s31, v[2:3]
.LBB77_571:
	s_waitcnt vmcnt(0) lgkmcnt(0)
	v_mov_b32_e32 v3, s27
	s_and_b32 s10, 0xffff, s74
	v_add_co_u32_e32 v1, vcc, s26, v2
	s_cmp_lt_i32 s10, 11
	v_addc_co_u32_e32 v2, vcc, 0, v3, vcc
	s_cbranch_scc1 .LBB77_578
; %bb.572:
	s_cmp_gt_i32 s10, 25
	s_cbranch_scc0 .LBB77_579
; %bb.573:
	s_cmp_gt_i32 s10, 28
	s_cbranch_scc0 .LBB77_580
	;; [unrolled: 3-line block ×4, first 2 shown]
; %bb.576:
	s_cmp_eq_u32 s10, 46
	s_mov_b64 s[2:3], 0
	s_cbranch_scc0 .LBB77_587
; %bb.577:
	global_load_dword v3, v[1:2], off
	s_mov_b64 s[0:1], -1
	s_mov_b64 s[8:9], 0
	s_branch .LBB77_588
.LBB77_578:
	s_mov_b64 s[2:3], -1
	s_mov_b64 s[0:1], 0
                                        ; implicit-def: $vgpr3
	s_mov_b64 s[8:9], s[60:61]
	s_branch .LBB77_653
.LBB77_579:
	s_mov_b64 s[2:3], -1
	s_mov_b64 s[0:1], 0
	s_mov_b64 s[8:9], s[60:61]
                                        ; implicit-def: $vgpr3
	s_branch .LBB77_617
.LBB77_580:
	s_mov_b64 s[2:3], -1
	s_mov_b64 s[0:1], 0
	s_mov_b64 s[8:9], s[60:61]
                                        ; implicit-def: $vgpr3
	s_branch .LBB77_598
.LBB77_581:
	s_mov_b64 s[2:3], -1
	s_mov_b64 s[0:1], 0
	s_mov_b64 s[8:9], s[60:61]
                                        ; implicit-def: $vgpr3
	s_branch .LBB77_593
.LBB77_582:
	s_andn2_saveexec_b64 s[10:11], s[10:11]
	s_cbranch_execz .LBB77_351
.LBB77_583:
	s_mov_b32 s14, 0x46000000
	v_add_f32_e64 v4, |v5|, s14
	v_and_b32_e32 v4, 0xff, v4
	v_cmp_ne_u32_e32 vcc, 0, v4
	s_andn2_b64 s[6:7], s[6:7], exec
	s_and_b64 s[14:15], vcc, exec
	s_or_b64 s[6:7], s[6:7], s[14:15]
	s_or_b64 exec, exec, s[10:11]
	v_mov_b32_e32 v6, 0
	s_and_saveexec_b64 s[10:11], s[6:7]
	s_cbranch_execnz .LBB77_352
	s_branch .LBB77_353
.LBB77_584:
	s_mov_b64 s[2:3], -1
	s_mov_b64 s[0:1], 0
	s_mov_b64 s[8:9], s[60:61]
                                        ; implicit-def: $vgpr3
	s_branch .LBB77_588
.LBB77_585:
	s_andn2_saveexec_b64 s[10:11], s[10:11]
	s_cbranch_execz .LBB77_364
.LBB77_586:
	s_mov_b32 s14, 0x42800000
	v_add_f32_e64 v4, |v5|, s14
	v_and_b32_e32 v4, 0xff, v4
	v_cmp_ne_u32_e32 vcc, 0, v4
	s_andn2_b64 s[6:7], s[6:7], exec
	s_and_b64 s[14:15], vcc, exec
	s_or_b64 s[6:7], s[6:7], s[14:15]
	s_or_b64 exec, exec, s[10:11]
	v_mov_b32_e32 v6, 0
	s_and_saveexec_b64 s[10:11], s[6:7]
	s_cbranch_execnz .LBB77_365
	s_branch .LBB77_366
.LBB77_587:
	s_mov_b64 s[8:9], -1
                                        ; implicit-def: $vgpr3
	s_mov_b64 s[0:1], 0
.LBB77_588:
	s_and_b64 vcc, exec, s[2:3]
	s_cbranch_vccz .LBB77_592
; %bb.589:
	s_cmp_eq_u32 s10, 44
	s_cbranch_scc0 .LBB77_591
; %bb.590:
	global_load_ubyte v3, v[1:2], off
	s_movk_i32 s2, 0xff
	v_mov_b32_e32 v4, 0x7f800001
	v_mov_b32_e32 v5, 0x400000
	;; [unrolled: 1-line block ×3, first 2 shown]
	s_mov_b64 s[0:1], -1
	s_mov_b64 s[8:9], 0
	s_waitcnt vmcnt(0)
	v_lshlrev_b32_e32 v7, 23, v3
	v_cmp_ne_u32_e32 vcc, s2, v3
	v_cndmask_b32_e32 v4, v4, v7, vcc
	v_cmp_ne_u32_e32 vcc, 0, v3
	v_cndmask_b32_e32 v3, v5, v4, vcc
	v_add_u32_e32 v4, 0x7fff, v3
	v_cmp_o_f32_e32 vcc, v3, v3
	v_cndmask_b32_sdwa v3, v6, v4, vcc dst_sel:DWORD dst_unused:UNUSED_PAD src0_sel:DWORD src1_sel:WORD_1
	s_branch .LBB77_592
.LBB77_591:
	s_mov_b64 s[8:9], -1
                                        ; implicit-def: $vgpr3
.LBB77_592:
	s_mov_b64 s[2:3], 0
.LBB77_593:
	s_and_b64 vcc, exec, s[2:3]
	s_cbranch_vccz .LBB77_597
; %bb.594:
	s_cmp_eq_u32 s10, 29
	s_cbranch_scc0 .LBB77_596
; %bb.595:
	global_load_dwordx2 v[3:4], v[1:2], off
	s_movk_i32 s2, 0x7fff
	s_mov_b64 s[0:1], -1
	s_mov_b64 s[8:9], 0
	s_waitcnt vmcnt(0)
	v_ffbh_u32_e32 v5, v4
	v_min_u32_e32 v5, 32, v5
	v_lshlrev_b64 v[3:4], v5, v[3:4]
	v_min_u32_e32 v3, 1, v3
	v_or_b32_e32 v3, v4, v3
	v_cvt_f32_u32_e32 v3, v3
	v_sub_u32_e32 v4, 32, v5
	v_ldexp_f32 v3, v3, v4
	v_bfe_u32 v4, v3, 16, 1
	v_add3_u32 v3, v3, v4, s2
	v_lshrrev_b32_e32 v3, 16, v3
	s_branch .LBB77_597
.LBB77_596:
	s_mov_b64 s[8:9], -1
                                        ; implicit-def: $vgpr3
.LBB77_597:
	s_mov_b64 s[2:3], 0
.LBB77_598:
	s_and_b64 vcc, exec, s[2:3]
	s_cbranch_vccz .LBB77_616
; %bb.599:
	s_cmp_lt_i32 s10, 27
	s_cbranch_scc1 .LBB77_602
; %bb.600:
	s_cmp_gt_i32 s10, 27
	s_cbranch_scc0 .LBB77_603
; %bb.601:
	global_load_dword v3, v[1:2], off
	s_movk_i32 s0, 0x7fff
	s_waitcnt vmcnt(0)
	v_cvt_f32_u32_e32 v3, v3
	v_bfe_u32 v4, v3, 16, 1
	v_add3_u32 v3, v3, v4, s0
	v_lshrrev_b32_e32 v3, 16, v3
	s_mov_b64 s[0:1], 0
	s_branch .LBB77_604
.LBB77_602:
	s_mov_b64 s[0:1], -1
                                        ; implicit-def: $vgpr3
	s_branch .LBB77_607
.LBB77_603:
	s_mov_b64 s[0:1], -1
                                        ; implicit-def: $vgpr3
.LBB77_604:
	s_andn2_b64 vcc, exec, s[0:1]
	s_cbranch_vccnz .LBB77_606
; %bb.605:
	global_load_ushort v3, v[1:2], off
	s_movk_i32 s0, 0x7fff
	s_waitcnt vmcnt(0)
	v_cvt_f32_u32_e32 v3, v3
	v_bfe_u32 v4, v3, 16, 1
	v_add3_u32 v3, v3, v4, s0
	v_lshrrev_b32_e32 v3, 16, v3
.LBB77_606:
	s_mov_b64 s[0:1], 0
.LBB77_607:
	s_andn2_b64 vcc, exec, s[0:1]
	s_cbranch_vccnz .LBB77_615
; %bb.608:
	global_load_ubyte v3, v[1:2], off
	s_movk_i32 s0, 0x7f
	s_waitcnt vmcnt(0)
	v_cmp_lt_i16_e32 vcc, s0, v3
	s_mov_b64 s[0:1], 0
	s_and_saveexec_b64 s[2:3], vcc
	s_xor_b64 s[2:3], exec, s[2:3]
	s_cbranch_execz .LBB77_629
; %bb.609:
	s_movk_i32 s0, 0x80
	v_cmp_eq_u16_e32 vcc, s0, v3
	s_mov_b64 s[0:1], -1
	s_and_saveexec_b64 s[6:7], vcc
; %bb.610:
	s_xor_b64 s[0:1], exec, -1
; %bb.611:
	s_or_b64 exec, exec, s[6:7]
	s_and_b64 s[0:1], s[0:1], exec
	s_or_saveexec_b64 s[2:3], s[2:3]
	v_mov_b32_e32 v4, 0x7f800001
	s_xor_b64 exec, exec, s[2:3]
	s_cbranch_execnz .LBB77_630
.LBB77_612:
	s_or_b64 exec, exec, s[2:3]
	s_and_saveexec_b64 s[2:3], s[0:1]
	s_cbranch_execz .LBB77_614
.LBB77_613:
	v_lshlrev_b32_e32 v4, 24, v3
	v_and_b32_e32 v3, 0xffff, v3
	v_and_b32_e32 v5, 7, v3
	v_ffbh_u32_e32 v7, v5
	v_min_u32_e32 v7, 32, v7
	v_subrev_u32_e32 v9, 28, v7
	v_bfe_u32 v6, v3, 3, 4
	v_lshlrev_b32_e32 v3, v9, v3
	v_sub_u32_e32 v7, 29, v7
	v_and_b32_e32 v3, 7, v3
	v_cmp_eq_u32_e32 vcc, 0, v6
	v_cndmask_b32_e32 v6, v6, v7, vcc
	v_cndmask_b32_e32 v3, v5, v3, vcc
	v_mov_b32_e32 v5, 0x3b800000
	v_lshlrev_b32_e32 v3, 20, v3
	v_and_b32_e32 v4, 0x80000000, v4
	v_lshl_add_u32 v5, v6, 23, v5
	v_or3_b32 v4, v4, v5, v3
.LBB77_614:
	s_or_b64 exec, exec, s[2:3]
	v_bfe_u32 v3, v4, 16, 1
	s_movk_i32 s0, 0x7fff
	v_add3_u32 v3, v4, v3, s0
	v_cmp_o_f32_e32 vcc, v4, v4
	v_mov_b32_e32 v4, 0x7fc0
	v_cndmask_b32_sdwa v3, v4, v3, vcc dst_sel:DWORD dst_unused:UNUSED_PAD src0_sel:DWORD src1_sel:WORD_1
.LBB77_615:
	s_mov_b64 s[0:1], -1
.LBB77_616:
	s_mov_b64 s[2:3], 0
.LBB77_617:
	s_and_b64 vcc, exec, s[2:3]
	s_cbranch_vccz .LBB77_652
; %bb.618:
	s_cmp_gt_i32 s10, 22
	s_cbranch_scc0 .LBB77_628
; %bb.619:
	s_cmp_lt_i32 s10, 24
	s_cbranch_scc1 .LBB77_631
; %bb.620:
	s_cmp_gt_i32 s10, 24
	s_cbranch_scc0 .LBB77_632
; %bb.621:
	global_load_ubyte v3, v[1:2], off
	s_movk_i32 s0, 0x7f
	s_waitcnt vmcnt(0)
	v_cmp_lt_i16_e32 vcc, s0, v3
	s_mov_b64 s[0:1], 0
	s_and_saveexec_b64 s[2:3], vcc
	s_xor_b64 s[2:3], exec, s[2:3]
	s_cbranch_execz .LBB77_644
; %bb.622:
	s_movk_i32 s0, 0x80
	v_cmp_eq_u16_e32 vcc, s0, v3
	s_mov_b64 s[0:1], -1
	s_and_saveexec_b64 s[6:7], vcc
; %bb.623:
	s_xor_b64 s[0:1], exec, -1
; %bb.624:
	s_or_b64 exec, exec, s[6:7]
	s_and_b64 s[0:1], s[0:1], exec
	s_or_saveexec_b64 s[2:3], s[2:3]
	v_mov_b32_e32 v4, 0x7f800001
	s_xor_b64 exec, exec, s[2:3]
	s_cbranch_execnz .LBB77_645
.LBB77_625:
	s_or_b64 exec, exec, s[2:3]
	s_and_saveexec_b64 s[2:3], s[0:1]
	s_cbranch_execz .LBB77_627
.LBB77_626:
	v_lshlrev_b32_e32 v4, 24, v3
	v_and_b32_e32 v3, 0xffff, v3
	v_and_b32_e32 v5, 3, v3
	v_ffbh_u32_e32 v7, v5
	v_min_u32_e32 v7, 32, v7
	v_subrev_u32_e32 v9, 29, v7
	v_bfe_u32 v6, v3, 2, 5
	v_lshlrev_b32_e32 v3, v9, v3
	v_sub_u32_e32 v7, 30, v7
	v_and_b32_e32 v3, 3, v3
	v_cmp_eq_u32_e32 vcc, 0, v6
	v_cndmask_b32_e32 v6, v6, v7, vcc
	v_cndmask_b32_e32 v3, v5, v3, vcc
	v_mov_b32_e32 v5, 0x37800000
	v_lshlrev_b32_e32 v3, 21, v3
	v_and_b32_e32 v4, 0x80000000, v4
	v_lshl_add_u32 v5, v6, 23, v5
	v_or3_b32 v4, v4, v5, v3
.LBB77_627:
	s_or_b64 exec, exec, s[2:3]
	v_bfe_u32 v3, v4, 16, 1
	s_movk_i32 s0, 0x7fff
	v_add3_u32 v3, v4, v3, s0
	v_cmp_o_f32_e32 vcc, v4, v4
	v_mov_b32_e32 v4, 0x7fc0
	v_cndmask_b32_sdwa v3, v4, v3, vcc dst_sel:DWORD dst_unused:UNUSED_PAD src0_sel:DWORD src1_sel:WORD_1
	s_mov_b64 s[0:1], 0
	s_branch .LBB77_633
.LBB77_628:
	s_mov_b64 s[2:3], -1
                                        ; implicit-def: $vgpr3
	s_branch .LBB77_639
.LBB77_629:
	s_or_saveexec_b64 s[2:3], s[2:3]
	v_mov_b32_e32 v4, 0x7f800001
	s_xor_b64 exec, exec, s[2:3]
	s_cbranch_execz .LBB77_612
.LBB77_630:
	v_cmp_ne_u16_e32 vcc, 0, v3
	s_andn2_b64 s[0:1], s[0:1], exec
	s_and_b64 s[6:7], vcc, exec
	v_mov_b32_e32 v4, 0
	s_or_b64 s[0:1], s[0:1], s[6:7]
	s_or_b64 exec, exec, s[2:3]
	s_and_saveexec_b64 s[2:3], s[0:1]
	s_cbranch_execnz .LBB77_613
	s_branch .LBB77_614
.LBB77_631:
	s_mov_b64 s[0:1], -1
                                        ; implicit-def: $vgpr3
	s_branch .LBB77_636
.LBB77_632:
	s_mov_b64 s[0:1], -1
                                        ; implicit-def: $vgpr3
.LBB77_633:
	s_and_b64 vcc, exec, s[0:1]
	s_cbranch_vccz .LBB77_635
; %bb.634:
	global_load_ubyte v3, v[1:2], off
	s_mov_b32 s0, 0x7f800000
	s_brev_b32 s1, 1
	s_movk_i32 s2, 0x7fff
	s_waitcnt vmcnt(0)
	v_lshlrev_b32_e32 v3, 24, v3
	v_and_b32_e32 v4, 0x7f000000, v3
	v_ffbh_u32_e32 v5, v4
	v_min_u32_e32 v5, 32, v5
	v_sub_u32_e64 v5, v5, 4 clamp
	v_lshlrev_b32_e32 v7, v5, v4
	v_lshlrev_b32_e32 v5, 23, v5
	v_lshrrev_b32_e32 v7, 4, v7
	v_add_u32_e32 v6, 0x1000000, v4
	v_sub_u32_e32 v5, v7, v5
	v_ashrrev_i32_e32 v6, 8, v6
	v_add_u32_e32 v5, 0x3c000000, v5
	v_and_or_b32 v5, v6, s0, v5
	v_cmp_ne_u32_e32 vcc, 0, v4
	v_cndmask_b32_e32 v4, 0, v5, vcc
	v_and_or_b32 v3, v3, s1, v4
	v_bfe_u32 v4, v4, 16, 1
	v_add3_u32 v4, v3, v4, s2
	v_cmp_o_f32_e32 vcc, v3, v3
	v_mov_b32_e32 v3, 0x7fc0
	v_cndmask_b32_sdwa v3, v3, v4, vcc dst_sel:DWORD dst_unused:UNUSED_PAD src0_sel:DWORD src1_sel:WORD_1
.LBB77_635:
	s_mov_b64 s[0:1], 0
.LBB77_636:
	s_andn2_b64 vcc, exec, s[0:1]
	s_cbranch_vccnz .LBB77_638
; %bb.637:
	global_load_ubyte v3, v[1:2], off
	s_movk_i32 s0, 0x7f00
	s_brev_b32 s1, 16
	s_brev_b32 s2, 1
	s_movk_i32 s3, 0x7fff
	s_waitcnt vmcnt(0)
	v_lshlrev_b16_e32 v4, 8, v3
	v_lshlrev_b32_e32 v3, 25, v3
	v_lshrrev_b32_e32 v5, 4, v3
	v_and_or_b32 v6, v4, s0, 0.5
	v_or_b32_e32 v5, 0x70000000, v5
	v_add_f32_e32 v6, -0.5, v6
	v_mul_f32_e32 v5, 0x7800000, v5
	v_cmp_gt_u32_e32 vcc, s1, v3
	v_bfe_i32 v4, v4, 0, 16
	v_cndmask_b32_e32 v3, v5, v6, vcc
	v_and_or_b32 v4, v4, s2, v3
	v_bfe_u32 v3, v3, 16, 1
	v_add3_u32 v3, v4, v3, s3
	v_cmp_o_f32_e32 vcc, v4, v4
	v_mov_b32_e32 v4, 0x7fc0
	v_cndmask_b32_sdwa v3, v4, v3, vcc dst_sel:DWORD dst_unused:UNUSED_PAD src0_sel:DWORD src1_sel:WORD_1
.LBB77_638:
	s_mov_b64 s[2:3], 0
	s_mov_b64 s[0:1], -1
.LBB77_639:
	s_andn2_b64 vcc, exec, s[2:3]
	s_cbranch_vccnz .LBB77_652
; %bb.640:
	s_cmp_gt_i32 s10, 14
	s_cbranch_scc0 .LBB77_643
; %bb.641:
	s_cmp_eq_u32 s10, 15
	s_cbranch_scc0 .LBB77_646
; %bb.642:
	global_load_ushort v3, v[1:2], off
	s_mov_b64 s[0:1], -1
	s_mov_b64 s[8:9], 0
	s_branch .LBB77_647
.LBB77_643:
	s_mov_b64 s[2:3], -1
                                        ; implicit-def: $vgpr3
	s_branch .LBB77_648
.LBB77_644:
	s_or_saveexec_b64 s[2:3], s[2:3]
	v_mov_b32_e32 v4, 0x7f800001
	s_xor_b64 exec, exec, s[2:3]
	s_cbranch_execz .LBB77_625
.LBB77_645:
	v_cmp_ne_u16_e32 vcc, 0, v3
	s_andn2_b64 s[0:1], s[0:1], exec
	s_and_b64 s[6:7], vcc, exec
	v_mov_b32_e32 v4, 0
	s_or_b64 s[0:1], s[0:1], s[6:7]
	s_or_b64 exec, exec, s[2:3]
	s_and_saveexec_b64 s[2:3], s[0:1]
	s_cbranch_execnz .LBB77_626
	s_branch .LBB77_627
.LBB77_646:
	s_mov_b64 s[8:9], -1
                                        ; implicit-def: $vgpr3
.LBB77_647:
	s_mov_b64 s[2:3], 0
.LBB77_648:
	s_and_b64 vcc, exec, s[2:3]
	s_cbranch_vccz .LBB77_652
; %bb.649:
	s_cmp_eq_u32 s10, 11
	s_cbranch_scc0 .LBB77_651
; %bb.650:
	global_load_ubyte v3, v[1:2], off
	s_mov_b64 s[0:1], -1
	s_mov_b64 s[8:9], 0
	s_waitcnt vmcnt(0)
	v_cmp_ne_u16_e32 vcc, 0, v3
	v_cndmask_b32_e64 v3, 0, 1.0, vcc
	v_lshrrev_b32_e32 v3, 16, v3
	s_branch .LBB77_652
.LBB77_651:
	s_mov_b64 s[8:9], -1
                                        ; implicit-def: $vgpr3
.LBB77_652:
	s_mov_b64 s[2:3], 0
.LBB77_653:
	s_and_b64 vcc, exec, s[2:3]
	s_cbranch_vccz .LBB77_702
; %bb.654:
	s_cmp_lt_i32 s10, 5
	s_cbranch_scc1 .LBB77_659
; %bb.655:
	s_cmp_lt_i32 s10, 8
	s_cbranch_scc1 .LBB77_660
	;; [unrolled: 3-line block ×3, first 2 shown]
; %bb.657:
	s_cmp_gt_i32 s10, 9
	s_cbranch_scc0 .LBB77_662
; %bb.658:
	global_load_dwordx2 v[3:4], v[1:2], off
	s_movk_i32 s0, 0x7fff
	s_waitcnt vmcnt(0)
	v_cvt_f32_f64_e32 v3, v[3:4]
	v_mov_b32_e32 v4, 0x7fc0
	v_bfe_u32 v5, v3, 16, 1
	v_cmp_o_f32_e32 vcc, v3, v3
	v_add3_u32 v3, v3, v5, s0
	v_cndmask_b32_sdwa v3, v4, v3, vcc dst_sel:DWORD dst_unused:UNUSED_PAD src0_sel:DWORD src1_sel:WORD_1
	s_mov_b64 s[0:1], 0
	s_branch .LBB77_663
.LBB77_659:
	s_mov_b64 s[0:1], -1
                                        ; implicit-def: $vgpr3
	s_branch .LBB77_681
.LBB77_660:
	s_mov_b64 s[0:1], -1
                                        ; implicit-def: $vgpr3
	s_branch .LBB77_669
.LBB77_661:
	s_mov_b64 s[0:1], -1
                                        ; implicit-def: $vgpr3
	s_branch .LBB77_666
.LBB77_662:
	s_mov_b64 s[0:1], -1
                                        ; implicit-def: $vgpr3
.LBB77_663:
	s_andn2_b64 vcc, exec, s[0:1]
	s_cbranch_vccnz .LBB77_665
; %bb.664:
	global_load_dword v3, v[1:2], off
	s_movk_i32 s0, 0x7fff
	v_mov_b32_e32 v4, 0x7fc0
	s_waitcnt vmcnt(0)
	v_bfe_u32 v5, v3, 16, 1
	v_cmp_o_f32_e32 vcc, v3, v3
	v_add3_u32 v3, v3, v5, s0
	v_cndmask_b32_sdwa v3, v4, v3, vcc dst_sel:DWORD dst_unused:UNUSED_PAD src0_sel:DWORD src1_sel:WORD_1
.LBB77_665:
	s_mov_b64 s[0:1], 0
.LBB77_666:
	s_andn2_b64 vcc, exec, s[0:1]
	s_cbranch_vccnz .LBB77_668
; %bb.667:
	global_load_dword v3, v[1:2], off
	s_movk_i32 s0, 0x7fff
	v_mov_b32_e32 v5, 0x7fc0
	s_waitcnt vmcnt(0)
	v_cvt_f32_f16_e32 v4, v3
	v_cmp_o_f16_e32 vcc, v3, v3
	v_bfe_u32 v3, v4, 16, 1
	v_add3_u32 v3, v4, v3, s0
	v_cndmask_b32_sdwa v3, v5, v3, vcc dst_sel:DWORD dst_unused:UNUSED_PAD src0_sel:DWORD src1_sel:WORD_1
.LBB77_668:
	s_mov_b64 s[0:1], 0
.LBB77_669:
	s_andn2_b64 vcc, exec, s[0:1]
	s_cbranch_vccnz .LBB77_680
; %bb.670:
	s_cmp_lt_i32 s10, 6
	s_cbranch_scc1 .LBB77_673
; %bb.671:
	s_cmp_gt_i32 s10, 6
	s_cbranch_scc0 .LBB77_674
; %bb.672:
	global_load_dwordx2 v[3:4], v[1:2], off
	s_movk_i32 s0, 0x7fff
	s_waitcnt vmcnt(0)
	v_cvt_f32_f64_e32 v3, v[3:4]
	v_mov_b32_e32 v4, 0x7fc0
	v_bfe_u32 v5, v3, 16, 1
	v_cmp_o_f32_e32 vcc, v3, v3
	v_add3_u32 v3, v3, v5, s0
	v_cndmask_b32_sdwa v3, v4, v3, vcc dst_sel:DWORD dst_unused:UNUSED_PAD src0_sel:DWORD src1_sel:WORD_1
	s_mov_b64 s[0:1], 0
	s_branch .LBB77_675
.LBB77_673:
	s_mov_b64 s[0:1], -1
                                        ; implicit-def: $vgpr3
	s_branch .LBB77_678
.LBB77_674:
	s_mov_b64 s[0:1], -1
                                        ; implicit-def: $vgpr3
.LBB77_675:
	s_andn2_b64 vcc, exec, s[0:1]
	s_cbranch_vccnz .LBB77_677
; %bb.676:
	global_load_dword v3, v[1:2], off
	s_movk_i32 s0, 0x7fff
	v_mov_b32_e32 v4, 0x7fc0
	s_waitcnt vmcnt(0)
	v_bfe_u32 v5, v3, 16, 1
	v_cmp_o_f32_e32 vcc, v3, v3
	v_add3_u32 v3, v3, v5, s0
	v_cndmask_b32_sdwa v3, v4, v3, vcc dst_sel:DWORD dst_unused:UNUSED_PAD src0_sel:DWORD src1_sel:WORD_1
.LBB77_677:
	s_mov_b64 s[0:1], 0
.LBB77_678:
	s_andn2_b64 vcc, exec, s[0:1]
	s_cbranch_vccnz .LBB77_680
; %bb.679:
	global_load_ushort v3, v[1:2], off
	s_movk_i32 s0, 0x7fff
	v_mov_b32_e32 v5, 0x7fc0
	s_waitcnt vmcnt(0)
	v_cvt_f32_f16_e32 v4, v3
	v_cmp_o_f16_e32 vcc, v3, v3
	v_bfe_u32 v3, v4, 16, 1
	v_add3_u32 v3, v4, v3, s0
	v_cndmask_b32_sdwa v3, v5, v3, vcc dst_sel:DWORD dst_unused:UNUSED_PAD src0_sel:DWORD src1_sel:WORD_1
.LBB77_680:
	s_mov_b64 s[0:1], 0
.LBB77_681:
	s_andn2_b64 vcc, exec, s[0:1]
	s_cbranch_vccnz .LBB77_701
; %bb.682:
	s_cmp_lt_i32 s10, 2
	s_cbranch_scc1 .LBB77_686
; %bb.683:
	s_cmp_lt_i32 s10, 3
	s_cbranch_scc1 .LBB77_687
; %bb.684:
	s_cmp_gt_i32 s10, 3
	s_cbranch_scc0 .LBB77_688
; %bb.685:
	global_load_dwordx2 v[3:4], v[1:2], off
	s_movk_i32 s0, 0x7fff
	s_waitcnt vmcnt(0)
	v_xor_b32_e32 v6, v3, v4
	v_ffbh_i32_e32 v5, v4
	v_ashrrev_i32_e32 v6, 31, v6
	v_add_u32_e32 v5, -1, v5
	v_add_u32_e32 v6, 32, v6
	v_min_u32_e32 v5, v5, v6
	v_lshlrev_b64 v[3:4], v5, v[3:4]
	v_min_u32_e32 v3, 1, v3
	v_or_b32_e32 v3, v4, v3
	v_cvt_f32_i32_e32 v3, v3
	v_sub_u32_e32 v4, 32, v5
	v_ldexp_f32 v3, v3, v4
	v_bfe_u32 v4, v3, 16, 1
	v_add3_u32 v3, v3, v4, s0
	v_lshrrev_b32_e32 v3, 16, v3
	s_mov_b64 s[0:1], 0
	s_branch .LBB77_689
.LBB77_686:
	s_mov_b64 s[0:1], -1
                                        ; implicit-def: $vgpr3
	s_branch .LBB77_695
.LBB77_687:
	s_mov_b64 s[0:1], -1
                                        ; implicit-def: $vgpr3
	s_branch .LBB77_692
.LBB77_688:
	s_mov_b64 s[0:1], -1
                                        ; implicit-def: $vgpr3
.LBB77_689:
	s_andn2_b64 vcc, exec, s[0:1]
	s_cbranch_vccnz .LBB77_691
; %bb.690:
	global_load_dword v3, v[1:2], off
	s_movk_i32 s0, 0x7fff
	s_waitcnt vmcnt(0)
	v_cvt_f32_i32_e32 v3, v3
	v_bfe_u32 v4, v3, 16, 1
	v_add3_u32 v3, v3, v4, s0
	v_lshrrev_b32_e32 v3, 16, v3
.LBB77_691:
	s_mov_b64 s[0:1], 0
.LBB77_692:
	s_andn2_b64 vcc, exec, s[0:1]
	s_cbranch_vccnz .LBB77_694
; %bb.693:
	global_load_sshort v3, v[1:2], off
	s_movk_i32 s0, 0x7fff
	s_waitcnt vmcnt(0)
	v_cvt_f32_i32_e32 v3, v3
	v_bfe_u32 v4, v3, 16, 1
	v_add3_u32 v3, v3, v4, s0
	v_lshrrev_b32_e32 v3, 16, v3
.LBB77_694:
	s_mov_b64 s[0:1], 0
.LBB77_695:
	s_andn2_b64 vcc, exec, s[0:1]
	s_cbranch_vccnz .LBB77_701
; %bb.696:
	s_cmp_gt_i32 s10, 0
	s_cbranch_scc0 .LBB77_698
; %bb.697:
	global_load_sbyte v3, v[1:2], off
	s_movk_i32 s0, 0x7fff
	s_waitcnt vmcnt(0)
	v_cvt_f32_i32_e32 v3, v3
	v_bfe_u32 v4, v3, 16, 1
	v_add3_u32 v3, v3, v4, s0
	v_lshrrev_b32_e32 v3, 16, v3
	s_mov_b64 s[0:1], 0
	s_branch .LBB77_699
.LBB77_698:
	s_mov_b64 s[0:1], -1
                                        ; implicit-def: $vgpr3
.LBB77_699:
	s_andn2_b64 vcc, exec, s[0:1]
	s_cbranch_vccnz .LBB77_701
; %bb.700:
	global_load_ubyte v1, v[1:2], off
	s_movk_i32 s0, 0x7fff
	s_waitcnt vmcnt(0)
	v_cvt_f32_ubyte0_e32 v1, v1
	v_bfe_u32 v2, v1, 16, 1
	v_add3_u32 v1, v1, v2, s0
	v_lshrrev_b32_e32 v3, 16, v1
.LBB77_701:
	s_mov_b64 s[0:1], -1
.LBB77_702:
	s_andn2_b64 vcc, exec, s[0:1]
	s_cbranch_vccnz .LBB77_716
; %bb.703:
	s_waitcnt vmcnt(0)
	v_lshlrev_b32_e32 v1, 16, v3
	v_cmp_gt_f32_e32 vcc, 0.5, v1
	v_mov_b32_e32 v3, 0
	v_mov_b32_e32 v2, 1.0
	s_and_saveexec_b64 s[10:11], vcc
	s_cbranch_execz .LBB77_709
; %bb.704:
	v_mul_f32_e32 v2, 0x40490fdb, v1
	s_brev_b32 s0, 18
	v_and_b32_e32 v3, 0x7fffffff, v2
	v_cmp_nlt_f32_e64 s[0:1], |v2|, s0
                                        ; implicit-def: $vgpr4
                                        ; implicit-def: $vgpr5
	s_and_saveexec_b64 s[2:3], s[0:1]
	s_xor_b64 s[12:13], exec, s[2:3]
	s_cbranch_execz .LBB77_706
; %bb.705:
	v_and_b32_e32 v4, 0x7fffff, v3
	v_or_b32_e32 v7, 0x800000, v4
	s_mov_b32 s0, 0xfe5163ab
	v_mad_u64_u32 v[4:5], s[0:1], v7, s0, 0
	v_mov_b32_e32 v6, 0
	s_mov_b32 s0, 0x3c439041
	v_mad_u64_u32 v[9:10], s[0:1], v7, s0, v[5:6]
	s_mov_b32 s0, 0xdb629599
	v_not_b32_e32 v14, 63
	v_mov_b32_e32 v5, v10
	v_mad_u64_u32 v[10:11], s[0:1], v7, s0, v[5:6]
	s_mov_b32 s0, 0xf534ddc0
	v_not_b32_e32 v16, 31
	v_mov_b32_e32 v5, v11
	v_mad_u64_u32 v[11:12], s[0:1], v7, s0, v[5:6]
	v_lshrrev_b32_e32 v5, 23, v3
	v_add_u32_e32 v15, 0xffffff88, v5
	v_mov_b32_e32 v5, v12
	s_mov_b32 s0, 0xfc2757d1
	v_mad_u64_u32 v[12:13], s[0:1], v7, s0, v[5:6]
	v_cmp_lt_u32_e32 vcc, 63, v15
	v_cndmask_b32_e32 v5, 0, v14, vcc
	v_add_u32_e32 v15, v5, v15
	v_mov_b32_e32 v5, v13
	s_mov_b32 s0, 0x4e441529
	v_mad_u64_u32 v[13:14], s[0:1], v7, s0, v[5:6]
	v_cmp_lt_u32_e64 s[0:1], 31, v15
	v_cndmask_b32_e64 v5, 0, v16, s[0:1]
	v_add_u32_e32 v15, v5, v15
	v_mov_b32_e32 v5, v14
	s_mov_b32 s2, 0xa2f9836e
	v_mad_u64_u32 v[5:6], s[2:3], v7, s2, v[5:6]
	v_cmp_lt_u32_e64 s[2:3], 31, v15
	v_cndmask_b32_e64 v7, 0, v16, s[2:3]
	v_cndmask_b32_e32 v14, v13, v11, vcc
	v_cndmask_b32_e32 v5, v5, v12, vcc
	;; [unrolled: 1-line block ×3, first 2 shown]
	v_add_u32_e32 v7, v7, v15
	v_cndmask_b32_e64 v15, v5, v14, s[0:1]
	v_cndmask_b32_e64 v5, v6, v5, s[0:1]
	v_cndmask_b32_e32 v6, v12, v10, vcc
	v_cndmask_b32_e64 v12, v14, v6, s[0:1]
	v_cndmask_b32_e64 v5, v5, v15, s[2:3]
	;; [unrolled: 1-line block ×3, first 2 shown]
	v_sub_u32_e32 v14, 32, v7
	v_alignbit_b32 v15, v5, v13, v14
	v_cmp_eq_u32_e64 s[6:7], 0, v7
	v_cndmask_b32_e64 v7, v15, v5, s[6:7]
	v_cndmask_b32_e32 v5, v11, v9, vcc
	v_cndmask_b32_e64 v6, v6, v5, s[0:1]
	v_cndmask_b32_e64 v9, v12, v6, s[2:3]
	v_alignbit_b32 v11, v13, v9, v14
	v_cndmask_b32_e32 v4, v10, v4, vcc
	v_cndmask_b32_e64 v11, v11, v13, s[6:7]
	v_bfe_u32 v15, v7, 29, 1
	v_cndmask_b32_e64 v4, v5, v4, s[0:1]
	v_alignbit_b32 v12, v7, v11, 30
	v_sub_u32_e32 v16, 0, v15
	v_cndmask_b32_e64 v4, v6, v4, s[2:3]
	v_xor_b32_e32 v12, v12, v16
	v_alignbit_b32 v5, v9, v4, v14
	v_cndmask_b32_e64 v5, v5, v9, s[6:7]
	v_ffbh_u32_e32 v9, v12
	v_alignbit_b32 v6, v11, v5, 30
	v_min_u32_e32 v9, 32, v9
	v_alignbit_b32 v4, v5, v4, 30
	v_xor_b32_e32 v6, v6, v16
	v_sub_u32_e32 v10, 31, v9
	v_xor_b32_e32 v4, v4, v16
	v_alignbit_b32 v11, v12, v6, v10
	v_alignbit_b32 v4, v6, v4, v10
	;; [unrolled: 1-line block ×3, first 2 shown]
	v_ffbh_u32_e32 v6, v5
	v_min_u32_e32 v6, 32, v6
	v_lshrrev_b32_e32 v13, 29, v7
	v_not_b32_e32 v10, v6
	v_alignbit_b32 v4, v5, v4, v10
	v_lshlrev_b32_e32 v5, 31, v13
	v_or_b32_e32 v10, 0x33000000, v5
	v_add_lshl_u32 v6, v6, v9, 23
	v_lshrrev_b32_e32 v4, 9, v4
	v_sub_u32_e32 v6, v10, v6
	v_or_b32_e32 v5, 0.5, v5
	v_lshlrev_b32_e32 v9, 23, v9
	v_or_b32_e32 v4, v6, v4
	v_lshrrev_b32_e32 v6, 9, v11
	v_sub_u32_e32 v5, v5, v9
	v_or_b32_e32 v5, v6, v5
	s_mov_b32 s0, 0x3fc90fda
	v_mul_f32_e32 v6, 0x3fc90fda, v5
	v_fma_f32 v9, v5, s0, -v6
	v_fmac_f32_e32 v9, 0x33a22168, v5
	v_fmac_f32_e32 v9, 0x3fc90fda, v4
	v_lshrrev_b32_e32 v4, 30, v7
	v_add_f32_e32 v5, v6, v9
	v_add_u32_e32 v4, v15, v4
.LBB77_706:
	s_andn2_saveexec_b64 s[0:1], s[12:13]
	s_cbranch_execz .LBB77_708
; %bb.707:
	s_mov_b32 s2, 0x3f22f983
	v_mul_f32_e64 v4, |v2|, s2
	v_rndne_f32_e32 v6, v4
	s_mov_b32 s2, 0xbfc90fda
	v_cvt_i32_f32_e32 v4, v6
	v_fma_f32 v5, v6, s2, |v2|
	v_fmac_f32_e32 v5, 0xb3a22168, v6
	v_fmac_f32_e32 v5, 0xa7c234c4, v6
.LBB77_708:
	s_or_b64 exec, exec, s[0:1]
	v_mul_f32_e32 v6, v5, v5
	v_mov_b32_e32 v7, 0x3c0881c4
	v_fmac_f32_e32 v7, 0xb94c1982, v6
	v_mov_b32_e32 v9, 0xbe2aaa9d
	v_fmac_f32_e32 v9, v6, v7
	v_mul_f32_e32 v7, v6, v9
	v_fmac_f32_e32 v5, v5, v7
	v_mov_b32_e32 v7, 0xbab64f3b
	v_fmac_f32_e32 v7, 0x37d75334, v6
	v_mov_b32_e32 v9, 0x3d2aabf7
	v_fmac_f32_e32 v9, v6, v7
	v_mov_b32_e32 v7, 0xbf000004
	v_fmac_f32_e32 v7, v6, v9
	v_fma_f32 v6, v6, v7, 1.0
	v_and_b32_e32 v7, 1, v4
	v_lshlrev_b32_e32 v4, 30, v4
	v_cmp_eq_u32_e32 vcc, 0, v7
	v_and_b32_e32 v4, 0x80000000, v4
	v_xor_b32_e32 v3, v3, v2
	v_cndmask_b32_e32 v5, v6, v5, vcc
	v_xor_b32_e32 v3, v3, v4
	s_movk_i32 s0, 0x1f8
	v_xor_b32_e32 v3, v3, v5
	v_mov_b32_e32 v4, 0x7fc00000
	v_cmp_class_f32_e64 vcc, v2, s0
	v_cndmask_b32_e32 v2, v4, v3, vcc
	v_mul_f32_e32 v2, v2, v2
	s_mov_b32 s2, 0xc11de9e7
	v_div_scale_f32 v3, s[0:1], v2, v2, s2
	v_div_scale_f32 v4, vcc, s2, v2, s2
	v_sub_f32_e32 v1, 1.0, v1
	v_rcp_f32_e32 v5, v3
	v_fma_f32 v6, -v3, v5, 1.0
	v_fmac_f32_e32 v5, v6, v5
	v_mul_f32_e32 v6, v4, v5
	v_fma_f32 v7, -v3, v6, v4
	v_fmac_f32_e32 v6, v7, v5
	v_fma_f32 v3, -v3, v6, v4
	v_div_fmas_f32 v3, v3, v5, v6
	v_div_fixup_f32 v2, v3, v2, s2
	v_add_f32_e32 v3, 0, v2
	v_mov_b32_e32 v2, -1.0
.LBB77_709:
	s_or_b64 exec, exec, s[10:11]
	v_mul_f32_e32 v4, v1, v1
	v_div_scale_f32 v6, s[0:1], v4, v4, 1.0
	v_add_f32_e32 v5, 1.0, v1
	v_mul_f32_e32 v1, v5, v5
	v_div_scale_f32 v9, s[0:1], v1, v1, 1.0
	v_div_scale_f32 v7, vcc, 1.0, v4, 1.0
	v_add_f32_e32 v10, 1.0, v5
	v_div_scale_f32 v11, s[0:1], 1.0, v1, 1.0
	v_mul_f32_e32 v5, v10, v10
	v_div_scale_f32 v12, s[2:3], v5, v5, 1.0
	v_div_scale_f32 v15, s[2:3], 1.0, v5, 1.0
	v_rcp_f32_e32 v13, v6
	v_add_f32_e32 v10, 1.0, v10
	s_and_b32 s12, s73, 0xff
	s_cmp_lt_i32 s12, 11
	v_rcp_f32_e32 v14, v9
	v_fma_f32 v16, -v6, v13, 1.0
	v_fmac_f32_e32 v13, v16, v13
	v_mul_f32_e32 v17, v7, v13
	v_fma_f32 v18, -v6, v17, v7
	v_fma_f32 v16, -v9, v14, 1.0
	v_fmac_f32_e32 v17, v18, v13
	v_fma_f32 v6, -v6, v17, v7
	v_fmac_f32_e32 v14, v16, v14
	v_div_fmas_f32 v6, v6, v13, v17
	v_mul_f32_e32 v13, v11, v14
	v_fma_f32 v7, -v9, v13, v11
	v_rcp_f32_e32 v16, v12
	v_fmac_f32_e32 v13, v7, v14
	v_mul_f32_e32 v7, v10, v10
	v_div_scale_f32 v17, s[6:7], v7, v7, 1.0
	v_fma_f32 v9, -v9, v13, v11
	v_fma_f32 v11, -v12, v16, 1.0
	v_fmac_f32_e32 v16, v11, v16
	s_mov_b64 vcc, s[0:1]
	v_mul_f32_e32 v11, v15, v16
	v_div_fmas_f32 v9, v9, v14, v13
	v_fma_f32 v13, -v12, v11, v15
	v_fmac_f32_e32 v11, v13, v16
	v_div_scale_f32 v13, s[0:1], 1.0, v7, 1.0
	v_add_f32_e32 v14, 1.0, v10
	v_mul_f32_e32 v10, v14, v14
	v_div_scale_f32 v18, s[6:7], v10, v10, 1.0
	v_fma_f32 v12, -v12, v11, v15
	s_mov_b64 vcc, s[2:3]
	v_div_fmas_f32 v11, v12, v16, v11
	v_div_scale_f32 v12, s[2:3], 1.0, v10, 1.0
	v_rcp_f32_e32 v15, v17
	v_add_f32_e32 v14, 1.0, v14
	v_mul_f32_e32 v19, v14, v14
	v_div_scale_f32 v20, s[6:7], v19, v19, 1.0
	v_fma_f32 v16, -v17, v15, 1.0
	v_fmac_f32_e32 v15, v16, v15
	v_mul_f32_e32 v16, v13, v15
	v_fma_f32 v21, -v17, v16, v13
	v_fmac_f32_e32 v16, v21, v15
	v_rcp_f32_e32 v21, v18
	v_fma_f32 v13, -v17, v16, v13
	s_mov_b64 vcc, s[0:1]
	v_div_fmas_f32 v13, v13, v15, v16
	v_fma_f32 v15, -v18, v21, 1.0
	v_fmac_f32_e32 v21, v15, v21
	v_mul_f32_e32 v15, v12, v21
	v_fma_f32 v16, -v18, v15, v12
	v_fmac_f32_e32 v15, v16, v21
	v_div_scale_f32 v16, s[0:1], 1.0, v19, 1.0
	v_add_f32_e32 v14, 1.0, v14
	v_mul_f32_e32 v22, v14, v14
	v_div_scale_f32 v23, s[6:7], v22, v22, 1.0
	v_rcp_f32_e32 v17, v20
	v_fma_f32 v12, -v18, v15, v12
	s_mov_b64 vcc, s[2:3]
	v_div_scale_f32 v18, s[2:3], 1.0, v22, 1.0
	v_div_fmas_f32 v12, v12, v21, v15
	v_add_f32_e32 v21, v14, v14
	v_div_scale_f32 v24, s[6:7], v21, v21, 1.0
	v_fma_f32 v15, -v20, v17, 1.0
	v_fmac_f32_e32 v17, v15, v17
	v_mul_f32_e32 v15, v16, v17
	v_fma_f32 v25, -v20, v15, v16
	v_fmac_f32_e32 v15, v25, v17
	v_div_scale_f32 v25, s[6:7], 1.0, v21, 1.0
	v_rcp_f32_e32 v26, v23
	v_fma_f32 v16, -v20, v15, v16
	s_mov_b64 vcc, s[0:1]
	v_div_fmas_f32 v15, v16, v17, v15
	v_fma_f32 v16, -v23, v26, 1.0
	v_fmac_f32_e32 v26, v16, v26
	v_mul_f32_e32 v16, v18, v26
	v_fma_f32 v17, -v23, v16, v18
	v_fmac_f32_e32 v16, v17, v26
	v_rcp_f32_e32 v17, v24
	v_fma_f32 v18, -v23, v16, v18
	s_mov_b64 vcc, s[2:3]
	v_div_fmas_f32 v16, v18, v26, v16
	v_fma_f32 v18, -v24, v17, 1.0
	v_fmac_f32_e32 v17, v18, v17
	v_mul_f32_e32 v18, v25, v17
	v_fma_f32 v20, -v24, v18, v25
	v_fmac_f32_e32 v18, v20, v17
	v_fma_f32 v20, -v24, v18, v25
	s_mov_b64 vcc, s[6:7]
	v_div_fmas_f32 v17, v20, v17, v18
	v_mov_b32_e32 v18, 0x3d088889
	s_mov_b32 s0, 0x3e2aaaab
	v_div_fixup_f32 v4, v6, v4, 1.0
	v_add_f32_e32 v3, v3, v4
	v_div_fixup_f32 v1, v9, v1, 1.0
	v_add_f32_e32 v1, v3, v1
	v_div_fixup_f32 v3, v11, v5, 1.0
	v_div_fixup_f32 v16, v16, v22, 1.0
	v_fmac_f32_e32 v18, 0xbcc30c31, v16
	v_fma_f32 v18, -v16, v18, s0
	v_add_f32_e32 v1, v1, v3
	v_div_fixup_f32 v3, v13, v7, 1.0
	v_add_f32_e32 v1, v1, v3
	v_div_fixup_f32 v3, v12, v10, 1.0
	;; [unrolled: 2-line block ×3, first 2 shown]
	v_add_f32_e32 v17, 1.0, v17
	v_fmac_f32_e32 v17, v16, v18
	v_div_scale_f32 v16, s[0:1], v14, v14, v17
	v_div_scale_f32 v18, vcc, v17, v14, v17
	v_div_fixup_f32 v3, v15, v19, 1.0
	v_add_f32_e32 v1, v1, v3
	s_movk_i32 s0, 0x7fff
	v_rcp_f32_e32 v20, v16
	v_fma_f32 v21, -v16, v20, 1.0
	v_fmac_f32_e32 v20, v21, v20
	v_mul_f32_e32 v21, v18, v20
	v_fma_f32 v22, -v16, v21, v18
	v_fmac_f32_e32 v21, v22, v20
	v_fma_f32 v16, -v16, v21, v18
	v_div_fmas_f32 v16, v16, v20, v21
	v_div_fixup_f32 v3, v16, v14, v17
	v_add_f32_e32 v1, v1, v3
	v_mul_f32_e32 v1, v2, v1
	v_bfe_u32 v2, v1, 16, 1
	v_add3_u32 v2, v1, v2, s0
	v_cmp_o_f32_e32 vcc, v1, v1
	v_mov_b32_e32 v1, 0x7fc0
	v_cndmask_b32_sdwa v2, v1, v2, vcc dst_sel:DWORD dst_unused:UNUSED_PAD src0_sel:DWORD src1_sel:WORD_1
	v_mov_b32_e32 v1, s25
	v_add_co_u32_e32 v0, vcc, s24, v0
	v_addc_co_u32_e32 v1, vcc, 0, v1, vcc
	s_cbranch_scc1 .LBB77_717
; %bb.710:
	s_and_b32 s13, 0xffff, s12
	s_cmp_gt_i32 s13, 25
	s_cbranch_scc0 .LBB77_718
; %bb.711:
	s_cmp_gt_i32 s13, 28
	s_cbranch_scc0 .LBB77_719
; %bb.712:
	;; [unrolled: 3-line block ×4, first 2 shown]
	s_mov_b64 s[6:7], 0
	s_mov_b64 s[0:1], -1
	s_cmp_eq_u32 s13, 46
	s_mov_b64 s[2:3], 0
	s_cbranch_scc0 .LBB77_722
; %bb.715:
	v_and_b32_e32 v3, 0xffff, v2
	global_store_dword v[0:1], v3, off
	s_mov_b64 s[2:3], -1
	s_mov_b64 s[0:1], 0
	s_branch .LBB77_722
.LBB77_716:
	s_mov_b64 s[2:3], 0
	s_mov_b64 s[0:1], s[62:63]
	s_branch .LBB77_833
.LBB77_717:
	s_mov_b64 s[6:7], -1
	s_mov_b64 s[2:3], 0
	s_mov_b64 s[0:1], s[62:63]
	s_branch .LBB77_791
.LBB77_718:
	s_mov_b64 s[6:7], -1
	s_mov_b64 s[2:3], 0
	s_mov_b64 s[0:1], s[62:63]
	s_branch .LBB77_749
.LBB77_719:
	s_mov_b64 s[6:7], -1
	s_mov_b64 s[2:3], 0
	s_mov_b64 s[0:1], s[62:63]
	s_branch .LBB77_732
.LBB77_720:
	s_mov_b64 s[6:7], -1
	s_mov_b64 s[2:3], 0
	s_mov_b64 s[0:1], s[62:63]
	s_branch .LBB77_728
.LBB77_721:
	s_mov_b64 s[6:7], -1
	s_mov_b64 s[2:3], 0
	s_mov_b64 s[0:1], s[62:63]
.LBB77_722:
	s_and_b64 vcc, exec, s[6:7]
	s_cbranch_vccz .LBB77_727
; %bb.723:
	s_cmp_eq_u32 s13, 44
	s_mov_b64 s[0:1], -1
	s_cbranch_scc0 .LBB77_727
; %bb.724:
	v_and_b32_e32 v4, 0xffff, v2
	v_bfe_u32 v3, v4, 7, 8
	s_movk_i32 s0, 0xff
	v_cmp_ne_u32_e32 vcc, s0, v3
	v_mov_b32_e32 v5, 0xff
	s_and_saveexec_b64 s[2:3], vcc
	s_cbranch_execz .LBB77_726
; %bb.725:
	v_lshlrev_b32_e32 v6, 16, v4
	s_mov_b32 s0, 0x3f0000
	v_lshrrev_b32_e32 v5, 7, v4
	v_and_b32_e32 v4, 64, v4
	v_and_or_b32 v3, v6, s0, v3
	v_cmp_ne_u32_e32 vcc, 0, v4
	v_cmp_ne_u32_e64 s[0:1], 0, v3
	s_and_b64 s[0:1], vcc, s[0:1]
	v_cndmask_b32_e64 v3, 0, 1, s[0:1]
	v_add_u32_e32 v5, v5, v3
.LBB77_726:
	s_or_b64 exec, exec, s[2:3]
	s_mov_b64 s[2:3], -1
	s_mov_b64 s[0:1], 0
	global_store_byte v[0:1], v5, off
.LBB77_727:
	s_mov_b64 s[6:7], 0
.LBB77_728:
	s_and_b64 vcc, exec, s[6:7]
	s_cbranch_vccz .LBB77_731
; %bb.729:
	s_cmp_eq_u32 s13, 29
	s_mov_b64 s[0:1], -1
	s_cbranch_scc0 .LBB77_731
; %bb.730:
	v_lshlrev_b32_e32 v3, 16, v2
	v_trunc_f32_e32 v3, v3
	v_mul_f32_e32 v4, 0x2f800000, v3
	v_floor_f32_e32 v5, v4
	v_fmac_f32_e32 v3, 0xcf800000, v5
	v_cvt_u32_f32_e32 v4, v5
	v_cvt_u32_f32_e32 v3, v3
	s_mov_b64 s[2:3], -1
	s_mov_b64 s[0:1], 0
	s_mov_b64 s[6:7], 0
	global_store_dwordx2 v[0:1], v[3:4], off
	s_branch .LBB77_732
.LBB77_731:
	s_mov_b64 s[6:7], 0
.LBB77_732:
	s_and_b64 vcc, exec, s[6:7]
	s_cbranch_vccz .LBB77_748
; %bb.733:
	s_cmp_lt_i32 s13, 27
	s_mov_b64 s[2:3], -1
	s_cbranch_scc1 .LBB77_739
; %bb.734:
	s_cmp_gt_i32 s13, 27
	s_cbranch_scc0 .LBB77_736
; %bb.735:
	v_lshlrev_b32_e32 v3, 16, v2
	v_cvt_u32_f32_e32 v3, v3
	s_mov_b64 s[2:3], 0
	global_store_dword v[0:1], v3, off
.LBB77_736:
	s_andn2_b64 vcc, exec, s[2:3]
	s_cbranch_vccnz .LBB77_738
; %bb.737:
	v_lshlrev_b32_e32 v3, 16, v2
	v_cvt_u32_f32_e32 v3, v3
	global_store_short v[0:1], v3, off
.LBB77_738:
	s_mov_b64 s[2:3], 0
.LBB77_739:
	s_andn2_b64 vcc, exec, s[2:3]
	s_cbranch_vccnz .LBB77_747
; %bb.740:
	v_lshlrev_b32_e32 v5, 16, v2
	v_and_b32_e32 v4, 0x7fffffff, v5
	s_mov_b32 s2, 0x43800000
	v_cmp_gt_u32_e32 vcc, s2, v4
	v_mov_b32_e32 v6, 0x80
	s_and_saveexec_b64 s[2:3], vcc
	s_cbranch_execz .LBB77_746
; %bb.741:
	s_mov_b32 s6, 0x3bffffff
	v_and_b32_e32 v3, 0xffff, v2
	v_cmp_lt_u32_e32 vcc, s6, v4
	s_mov_b64 s[6:7], 0
                                        ; implicit-def: $vgpr4
	s_and_saveexec_b64 s[10:11], vcc
	s_xor_b64 s[10:11], exec, s[10:11]
	s_cbranch_execz .LBB77_863
; %bb.742:
	v_bfe_u32 v4, v3, 4, 1
	s_mov_b32 s14, 0x487ffff
	v_add3_u32 v4, v5, v4, s14
	s_mov_b64 s[6:7], exec
	v_lshrrev_b32_e32 v4, 20, v4
                                        ; implicit-def: $vgpr5
	s_andn2_saveexec_b64 s[10:11], s[10:11]
	s_cbranch_execnz .LBB77_864
.LBB77_743:
	s_or_b64 exec, exec, s[10:11]
	v_mov_b32_e32 v6, 0
	s_and_saveexec_b64 s[10:11], s[6:7]
.LBB77_744:
	v_lshrrev_b32_e32 v3, 8, v3
	s_movk_i32 s6, 0x80
	v_and_or_b32 v6, v3, s6, v4
.LBB77_745:
	s_or_b64 exec, exec, s[10:11]
.LBB77_746:
	s_or_b64 exec, exec, s[2:3]
	global_store_byte v[0:1], v6, off
.LBB77_747:
	s_mov_b64 s[2:3], -1
.LBB77_748:
	s_mov_b64 s[6:7], 0
.LBB77_749:
	s_and_b64 vcc, exec, s[6:7]
	s_cbranch_vccz .LBB77_790
; %bb.750:
	s_cmp_gt_i32 s13, 22
	s_mov_b64 s[6:7], -1
	s_cbranch_scc0 .LBB77_782
; %bb.751:
	s_cmp_lt_i32 s13, 24
	s_mov_b64 s[2:3], -1
	s_cbranch_scc1 .LBB77_771
; %bb.752:
	s_cmp_gt_i32 s13, 24
	s_cbranch_scc0 .LBB77_760
; %bb.753:
	v_lshlrev_b32_e32 v5, 16, v2
	v_and_b32_e32 v4, 0x7fffffff, v5
	s_mov_b32 s2, 0x47800000
	v_cmp_gt_u32_e32 vcc, s2, v4
	v_mov_b32_e32 v6, 0x80
	s_and_saveexec_b64 s[2:3], vcc
	s_cbranch_execz .LBB77_759
; %bb.754:
	s_mov_b32 s6, 0x37ffffff
	v_and_b32_e32 v3, 0xffff, v2
	v_cmp_lt_u32_e32 vcc, s6, v4
	s_mov_b64 s[6:7], 0
                                        ; implicit-def: $vgpr4
	s_and_saveexec_b64 s[10:11], vcc
	s_xor_b64 s[10:11], exec, s[10:11]
	s_cbranch_execz .LBB77_866
; %bb.755:
	v_bfe_u32 v4, v3, 5, 1
	s_mov_b32 s14, 0x88fffff
	v_add3_u32 v4, v5, v4, s14
	s_mov_b64 s[6:7], exec
	v_lshrrev_b32_e32 v4, 21, v4
                                        ; implicit-def: $vgpr5
	s_andn2_saveexec_b64 s[10:11], s[10:11]
	s_cbranch_execnz .LBB77_867
.LBB77_756:
	s_or_b64 exec, exec, s[10:11]
	v_mov_b32_e32 v6, 0
	s_and_saveexec_b64 s[10:11], s[6:7]
.LBB77_757:
	v_lshrrev_b32_e32 v3, 8, v3
	s_movk_i32 s6, 0x80
	v_and_or_b32 v6, v3, s6, v4
.LBB77_758:
	s_or_b64 exec, exec, s[10:11]
.LBB77_759:
	s_or_b64 exec, exec, s[2:3]
	s_mov_b64 s[2:3], 0
	global_store_byte v[0:1], v6, off
.LBB77_760:
	s_and_b64 vcc, exec, s[2:3]
	s_cbranch_vccz .LBB77_770
; %bb.761:
	v_lshlrev_b32_e32 v5, 16, v2
	v_and_b32_e32 v6, 0x7fffffff, v5
	s_mov_b32 s2, 0x43f00000
	v_and_b32_e32 v3, 0xffff, v2
	v_cmp_gt_u32_e32 vcc, s2, v6
                                        ; implicit-def: $vgpr4
	s_and_saveexec_b64 s[2:3], vcc
	s_xor_b64 s[2:3], exec, s[2:3]
	s_cbranch_execz .LBB77_767
; %bb.762:
	s_mov_b32 s6, 0x3c7fffff
	v_cmp_lt_u32_e32 vcc, s6, v6
                                        ; implicit-def: $vgpr4
	s_and_saveexec_b64 s[6:7], vcc
	s_xor_b64 s[6:7], exec, s[6:7]
; %bb.763:
	v_bfe_u32 v4, v3, 4, 1
	s_mov_b32 s10, 0x407ffff
	v_add3_u32 v4, v5, v4, s10
	v_lshrrev_b32_e32 v5, 20, v4
	v_and_b32_e32 v4, 0xff00000, v4
	s_mov_b32 s10, 0x7f00000
	v_mov_b32_e32 v6, 0x7e
	v_cmp_ne_u32_e32 vcc, s10, v4
	v_cndmask_b32_e32 v4, v6, v5, vcc
                                        ; implicit-def: $vgpr5
; %bb.764:
	s_andn2_saveexec_b64 s[6:7], s[6:7]
; %bb.765:
	s_mov_b32 s10, 0x46800000
	v_add_f32_e64 v4, |v5|, s10
; %bb.766:
	s_or_b64 exec, exec, s[6:7]
                                        ; implicit-def: $vgpr6
.LBB77_767:
	s_andn2_saveexec_b64 s[2:3], s[2:3]
; %bb.768:
	s_mov_b32 s6, 0x7f800000
	v_mov_b32_e32 v4, 0x7e
	v_mov_b32_e32 v5, 0x7f
	v_cmp_lt_u32_e32 vcc, s6, v6
	v_cndmask_b32_e32 v4, v4, v5, vcc
; %bb.769:
	s_or_b64 exec, exec, s[2:3]
	v_lshrrev_b32_e32 v3, 8, v3
	s_movk_i32 s2, 0x80
	v_and_or_b32 v3, v3, s2, v4
	global_store_byte v[0:1], v3, off
.LBB77_770:
	s_mov_b64 s[2:3], 0
.LBB77_771:
	s_andn2_b64 vcc, exec, s[2:3]
	s_cbranch_vccnz .LBB77_781
; %bb.772:
	v_lshlrev_b32_e32 v5, 16, v2
	v_and_b32_e32 v6, 0x7fffffff, v5
	s_mov_b32 s2, 0x47800000
	v_and_b32_e32 v3, 0xffff, v2
	v_cmp_gt_u32_e32 vcc, s2, v6
                                        ; implicit-def: $vgpr4
	s_and_saveexec_b64 s[2:3], vcc
	s_xor_b64 s[2:3], exec, s[2:3]
	s_cbranch_execz .LBB77_778
; %bb.773:
	s_mov_b32 s6, 0x387fffff
	v_cmp_lt_u32_e32 vcc, s6, v6
                                        ; implicit-def: $vgpr4
	s_and_saveexec_b64 s[6:7], vcc
	s_xor_b64 s[6:7], exec, s[6:7]
; %bb.774:
	v_bfe_u32 v4, v3, 5, 1
	s_mov_b32 s10, 0x80fffff
	v_add3_u32 v4, v5, v4, s10
	v_lshrrev_b32_e32 v4, 21, v4
                                        ; implicit-def: $vgpr5
; %bb.775:
	s_andn2_saveexec_b64 s[6:7], s[6:7]
; %bb.776:
	s_mov_b32 s10, 0x43000000
	v_add_f32_e64 v4, |v5|, s10
; %bb.777:
	s_or_b64 exec, exec, s[6:7]
                                        ; implicit-def: $vgpr6
.LBB77_778:
	s_andn2_saveexec_b64 s[2:3], s[2:3]
; %bb.779:
	s_mov_b32 s6, 0x7f800000
	v_mov_b32_e32 v4, 0x7c
	v_mov_b32_e32 v5, 0x7f
	v_cmp_lt_u32_e32 vcc, s6, v6
	v_cndmask_b32_e32 v4, v4, v5, vcc
; %bb.780:
	s_or_b64 exec, exec, s[2:3]
	v_lshrrev_b32_e32 v3, 8, v3
	s_movk_i32 s2, 0x80
	v_and_or_b32 v3, v3, s2, v4
	global_store_byte v[0:1], v3, off
.LBB77_781:
	s_mov_b64 s[6:7], 0
	s_mov_b64 s[2:3], -1
.LBB77_782:
	s_andn2_b64 vcc, exec, s[6:7]
	s_cbranch_vccnz .LBB77_790
; %bb.783:
	s_cmp_gt_i32 s13, 14
	s_mov_b64 s[6:7], -1
	s_cbranch_scc0 .LBB77_787
; %bb.784:
	s_cmp_eq_u32 s13, 15
	s_mov_b64 s[0:1], -1
	s_cbranch_scc0 .LBB77_786
; %bb.785:
	global_store_short v[0:1], v2, off
	s_mov_b64 s[2:3], -1
	s_mov_b64 s[0:1], 0
.LBB77_786:
	s_mov_b64 s[6:7], 0
.LBB77_787:
	s_and_b64 vcc, exec, s[6:7]
	s_cbranch_vccz .LBB77_790
; %bb.788:
	s_cmp_eq_u32 s13, 11
	s_mov_b64 s[0:1], -1
	s_cbranch_scc0 .LBB77_790
; %bb.789:
	v_and_b32_e32 v3, 0x7fff, v2
	v_cmp_ne_u16_e32 vcc, 0, v3
	v_cndmask_b32_e64 v3, 0, 1, vcc
	s_mov_b64 s[2:3], -1
	s_mov_b64 s[0:1], 0
	global_store_byte v[0:1], v3, off
.LBB77_790:
	s_mov_b64 s[6:7], 0
.LBB77_791:
	s_and_b64 vcc, exec, s[6:7]
	s_cbranch_vccz .LBB77_830
; %bb.792:
	s_and_b32 s6, 0xffff, s12
	s_cmp_lt_i32 s6, 5
	s_mov_b64 s[2:3], -1
	s_cbranch_scc1 .LBB77_813
; %bb.793:
	s_cmp_lt_i32 s6, 8
	s_cbranch_scc1 .LBB77_803
; %bb.794:
	s_cmp_lt_i32 s6, 9
	s_cbranch_scc1 .LBB77_800
; %bb.795:
	s_cmp_gt_i32 s6, 9
	s_cbranch_scc0 .LBB77_797
; %bb.796:
	v_lshlrev_b32_e32 v3, 16, v2
	v_cvt_f64_f32_e32 v[3:4], v3
	v_mov_b32_e32 v5, 0
	v_mov_b32_e32 v6, v5
	s_mov_b64 s[2:3], 0
	global_store_dwordx4 v[0:1], v[3:6], off
.LBB77_797:
	s_andn2_b64 vcc, exec, s[2:3]
	s_cbranch_vccnz .LBB77_799
; %bb.798:
	v_lshlrev_b32_e32 v3, 16, v2
	v_mov_b32_e32 v4, 0
	global_store_dwordx2 v[0:1], v[3:4], off
.LBB77_799:
	s_mov_b64 s[2:3], 0
.LBB77_800:
	s_andn2_b64 vcc, exec, s[2:3]
	s_cbranch_vccnz .LBB77_802
; %bb.801:
	v_lshlrev_b32_e32 v3, 16, v2
	v_cvt_f16_f32_e32 v3, v3
	global_store_dword v[0:1], v3, off
.LBB77_802:
	s_mov_b64 s[2:3], 0
.LBB77_803:
	s_andn2_b64 vcc, exec, s[2:3]
	s_cbranch_vccnz .LBB77_812
; %bb.804:
	s_cmp_lt_i32 s6, 6
	s_mov_b64 s[2:3], -1
	s_cbranch_scc1 .LBB77_810
; %bb.805:
	s_cmp_gt_i32 s6, 6
	s_cbranch_scc0 .LBB77_807
; %bb.806:
	v_lshlrev_b32_e32 v3, 16, v2
	v_cvt_f64_f32_e32 v[3:4], v3
	s_mov_b64 s[2:3], 0
	global_store_dwordx2 v[0:1], v[3:4], off
.LBB77_807:
	s_andn2_b64 vcc, exec, s[2:3]
	s_cbranch_vccnz .LBB77_809
; %bb.808:
	v_lshlrev_b32_e32 v3, 16, v2
	global_store_dword v[0:1], v3, off
.LBB77_809:
	s_mov_b64 s[2:3], 0
.LBB77_810:
	s_andn2_b64 vcc, exec, s[2:3]
	s_cbranch_vccnz .LBB77_812
; %bb.811:
	v_lshlrev_b32_e32 v3, 16, v2
	v_cvt_f16_f32_e32 v3, v3
	global_store_short v[0:1], v3, off
.LBB77_812:
	s_mov_b64 s[2:3], 0
.LBB77_813:
	s_andn2_b64 vcc, exec, s[2:3]
	s_cbranch_vccnz .LBB77_829
; %bb.814:
	s_cmp_lt_i32 s6, 2
	s_mov_b64 s[2:3], -1
	s_cbranch_scc1 .LBB77_824
; %bb.815:
	s_cmp_lt_i32 s6, 3
	s_cbranch_scc1 .LBB77_821
; %bb.816:
	s_cmp_gt_i32 s6, 3
	s_cbranch_scc0 .LBB77_818
; %bb.817:
	v_lshlrev_b32_e32 v3, 16, v2
	v_trunc_f32_e32 v3, v3
	s_mov_b32 s2, 0x2f800000
	v_mul_f32_e64 v4, |v3|, s2
	v_floor_f32_e32 v4, v4
	s_mov_b32 s2, 0xcf800000
	v_cvt_u32_f32_e32 v5, v4
	v_fma_f32 v4, v4, s2, |v3|
	v_cvt_u32_f32_e32 v4, v4
	v_ashrrev_i32_e32 v6, 31, v3
	v_xor_b32_e32 v5, v5, v6
	s_mov_b64 s[2:3], 0
	v_xor_b32_e32 v3, v4, v6
	v_sub_co_u32_e32 v3, vcc, v3, v6
	v_subb_co_u32_e32 v4, vcc, v5, v6, vcc
	global_store_dwordx2 v[0:1], v[3:4], off
.LBB77_818:
	s_andn2_b64 vcc, exec, s[2:3]
	s_cbranch_vccnz .LBB77_820
; %bb.819:
	v_lshlrev_b32_e32 v3, 16, v2
	v_cvt_i32_f32_e32 v3, v3
	global_store_dword v[0:1], v3, off
.LBB77_820:
	s_mov_b64 s[2:3], 0
.LBB77_821:
	s_andn2_b64 vcc, exec, s[2:3]
	s_cbranch_vccnz .LBB77_823
; %bb.822:
	v_lshlrev_b32_e32 v3, 16, v2
	v_cvt_i32_f32_e32 v3, v3
	global_store_short v[0:1], v3, off
.LBB77_823:
	s_mov_b64 s[2:3], 0
.LBB77_824:
	s_andn2_b64 vcc, exec, s[2:3]
	s_cbranch_vccnz .LBB77_829
; %bb.825:
	s_mov_b64 s[2:3], -1
	s_cmp_gt_i32 s6, 0
	v_lshlrev_b32_e32 v2, 16, v2
	s_cbranch_scc0 .LBB77_827
; %bb.826:
	v_cvt_i32_f32_e32 v3, v2
	s_mov_b64 s[2:3], 0
	global_store_byte v[0:1], v3, off
.LBB77_827:
	s_andn2_b64 vcc, exec, s[2:3]
	s_cbranch_vccnz .LBB77_829
; %bb.828:
	v_trunc_f32_e32 v2, v2
	s_mov_b32 s2, 0x2f800000
	v_mul_f32_e64 v3, |v2|, s2
	v_floor_f32_e32 v3, v3
	s_mov_b32 s2, 0xcf800000
	v_fma_f32 v3, v3, s2, |v2|
	v_cvt_u32_f32_e32 v3, v3
	v_ashrrev_i32_e32 v2, 31, v2
	v_xor_b32_e32 v3, v3, v2
	v_sub_u32_e32 v2, v3, v2
	global_store_byte v[0:1], v2, off
.LBB77_829:
	s_mov_b64 s[2:3], -1
.LBB77_830:
	s_andn2_b64 vcc, exec, s[2:3]
	s_cbranch_vccnz .LBB77_832
; %bb.831:
	v_add_u32_e32 v8, 0x80, v8
	s_mov_b64 s[2:3], -1
	s_branch .LBB77_834
.LBB77_832:
	s_mov_b64 s[2:3], 0
.LBB77_833:
                                        ; implicit-def: $vgpr8
.LBB77_834:
	s_andn2_b64 s[6:7], s[62:63], exec
	s_and_b64 s[0:1], s[0:1], exec
	s_or_b64 s[68:69], s[6:7], s[0:1]
	s_andn2_b64 s[0:1], s[60:61], exec
	s_and_b64 s[6:7], s[8:9], exec
	s_or_b64 s[6:7], s[0:1], s[6:7]
	s_orn2_b64 s[2:3], s[2:3], exec
.LBB77_835:
	s_or_b64 exec, exec, s[66:67]
	s_mov_b64 s[0:1], 0
	s_mov_b64 s[8:9], 0
	s_mov_b64 s[10:11], 0
                                        ; implicit-def: $vgpr1_vgpr2
                                        ; implicit-def: $vgpr0
                                        ; implicit-def: $vgpr4
	s_and_saveexec_b64 s[66:67], s[2:3]
	s_cbranch_execz .LBB77_934
; %bb.836:
	v_cmp_gt_i32_e32 vcc, s70, v8
	s_mov_b64 s[2:3], 0
	s_mov_b64 s[12:13], s[6:7]
                                        ; implicit-def: $vgpr1_vgpr2
                                        ; implicit-def: $vgpr0
                                        ; implicit-def: $vgpr4
	s_and_saveexec_b64 s[70:71], vcc
	s_cbranch_execz .LBB77_933
; %bb.837:
	s_andn2_b64 vcc, exec, s[42:43]
	s_cbranch_vccnz .LBB77_842
; %bb.838:
	s_andn2_b64 vcc, exec, s[52:53]
	s_cbranch_vccnz .LBB77_843
; %bb.839:
	s_add_i32 s76, s75, 1
	s_cmp_eq_u32 s72, 2
	s_cbranch_scc1 .LBB77_844
; %bb.840:
	s_and_b32 s75, s76, 28
	v_mov_b32_e32 v2, 0
	s_mov_b32 s77, 0
	s_mov_b64 s[52:53], s[34:35]
	v_mov_b32_e32 v0, 0
	v_mov_b32_e32 v1, v8
.LBB77_841:                             ; =>This Inner Loop Header: Depth=1
	s_load_dwordx8 s[16:23], s[52:53], 0x4
	s_load_dwordx4 s[0:3], s[52:53], 0x24
	s_load_dwordx8 s[8:15], s[50:51], 0x0
	s_add_u32 s52, s52, 48
	s_addc_u32 s53, s53, 0
	s_waitcnt vmcnt(0) lgkmcnt(0)
	v_mul_hi_u32 v3, s17, v1
	s_add_i32 s77, s77, 4
	s_add_u32 s50, s50, 32
	s_addc_u32 s51, s51, 0
	v_add_u32_e32 v3, v1, v3
	v_lshrrev_b32_e32 v3, s18, v3
	v_mul_lo_u32 v4, v3, s16
	v_mul_hi_u32 v5, s20, v3
	s_cmp_eq_u32 s75, s77
	v_sub_u32_e32 v1, v1, v4
	v_add_u32_e32 v4, v3, v5
	v_mul_lo_u32 v5, v1, s8
	v_mul_lo_u32 v6, v1, s9
	v_lshrrev_b32_e32 v1, s21, v4
	v_mul_lo_u32 v4, v1, s19
	v_mul_hi_u32 v7, s23, v1
	v_sub_u32_e32 v3, v3, v4
	v_add_u32_e32 v4, v1, v7
	v_lshrrev_b32_e32 v4, s0, v4
	v_mul_hi_u32 v9, s2, v4
	v_mul_lo_u32 v10, v4, s22
	v_mul_lo_u32 v7, v3, s10
	;; [unrolled: 1-line block ×3, first 2 shown]
	v_sub_u32_e32 v10, v1, v10
	v_add_u32_e32 v1, v4, v9
	v_lshrrev_b32_e32 v1, s3, v1
	v_mul_lo_u32 v9, v1, s1
	v_mul_lo_u32 v11, v10, s12
	v_mul_lo_u32 v10, v10, s13
	v_add3_u32 v0, v5, v0, v7
	v_sub_u32_e32 v4, v4, v9
	v_mul_lo_u32 v9, v4, s14
	v_mul_lo_u32 v4, v4, s15
	v_add3_u32 v2, v6, v2, v3
	v_add3_u32 v0, v11, v0, v9
	;; [unrolled: 1-line block ×3, first 2 shown]
	s_cbranch_scc0 .LBB77_841
	s_branch .LBB77_845
.LBB77_842:
	s_mov_b64 s[0:1], -1
                                        ; implicit-def: $vgpr0
                                        ; implicit-def: $vgpr2
	s_branch .LBB77_849
.LBB77_843:
	v_mov_b32_e32 v0, 0
	v_mov_b32_e32 v2, 0
	s_branch .LBB77_848
.LBB77_844:
	s_mov_b32 s75, 0
	v_mov_b32_e32 v0, 0
	v_mov_b32_e32 v2, 0
	v_mov_b32_e32 v1, v8
.LBB77_845:
	s_and_b32 s8, s76, 3
	s_cmp_eq_u32 s8, 0
	s_cbranch_scc1 .LBB77_848
; %bb.846:
	s_lshl_b32 s0, s75, 3
	s_add_u32 s0, s34, s0
	s_addc_u32 s1, s35, 0
	s_add_u32 s0, s0, 0xc4
	s_addc_u32 s1, s1, 0
	s_mul_i32 s2, s75, 12
	s_add_u32 s2, s34, s2
	s_addc_u32 s3, s35, 0
.LBB77_847:                             ; =>This Inner Loop Header: Depth=1
	s_load_dwordx2 s[10:11], s[2:3], 0x4
	s_load_dword s9, s[2:3], 0xc
	s_load_dwordx2 s[12:13], s[0:1], 0x0
	s_add_u32 s2, s2, 12
	s_addc_u32 s3, s3, 0
	s_waitcnt vmcnt(0) lgkmcnt(0)
	v_mul_hi_u32 v3, s11, v1
	s_add_u32 s0, s0, 8
	s_addc_u32 s1, s1, 0
	s_add_i32 s8, s8, -1
	v_add_u32_e32 v3, v1, v3
	v_lshrrev_b32_e32 v4, s9, v3
	v_mul_lo_u32 v3, v4, s10
	s_cmp_lg_u32 s8, 0
	v_sub_u32_e32 v3, v1, v3
	v_mad_u64_u32 v[0:1], s[10:11], v3, s12, v[0:1]
	v_mad_u64_u32 v[2:3], s[10:11], v3, s13, v[2:3]
	v_mov_b32_e32 v1, v4
	s_cbranch_scc1 .LBB77_847
.LBB77_848:
	s_mov_b64 s[0:1], 0
.LBB77_849:
	s_andn2_b64 vcc, exec, s[0:1]
	s_cbranch_vccnz .LBB77_852
; %bb.850:
	s_waitcnt lgkmcnt(0)
	v_mul_hi_u32 v0, s37, v8
	s_andn2_b64 vcc, exec, s[48:49]
	v_add_u32_e32 v0, v8, v0
	v_lshrrev_b32_e32 v1, s38, v0
	v_mul_lo_u32 v0, v1, s36
	v_sub_u32_e32 v2, v8, v0
	v_mul_lo_u32 v0, v2, s28
	v_mul_lo_u32 v2, v2, s29
	s_cbranch_vccnz .LBB77_852
; %bb.851:
	s_waitcnt vmcnt(0)
	v_mul_hi_u32 v3, s46, v1
	v_add_u32_e32 v3, v1, v3
	v_lshrrev_b32_e32 v3, s47, v3
	v_mul_lo_u32 v3, v3, s39
	v_sub_u32_e32 v3, v1, v3
	v_mad_u64_u32 v[0:1], s[0:1], v3, s30, v[0:1]
	v_mad_u64_u32 v[2:3], s[0:1], v3, s31, v[2:3]
.LBB77_852:
	s_waitcnt vmcnt(0) lgkmcnt(0)
	v_mov_b32_e32 v3, s27
	s_and_b32 s14, 0xffff, s74
	v_add_co_u32_e32 v1, vcc, s26, v2
	s_cmp_lt_i32 s14, 11
	v_addc_co_u32_e32 v2, vcc, 0, v3, vcc
	s_cbranch_scc1 .LBB77_859
; %bb.853:
	s_cmp_gt_i32 s14, 25
	s_mov_b64 s[2:3], 0
	s_cbranch_scc0 .LBB77_860
; %bb.854:
	s_cmp_gt_i32 s14, 28
	s_cbranch_scc0 .LBB77_861
; %bb.855:
	s_cmp_gt_i32 s14, 43
	;; [unrolled: 3-line block ×3, first 2 shown]
	s_cbranch_scc0 .LBB77_865
; %bb.857:
	s_cmp_eq_u32 s14, 46
	s_mov_b64 s[10:11], 0
	s_cbranch_scc0 .LBB77_868
; %bb.858:
	global_load_dword v4, v[1:2], off
	s_mov_b64 s[0:1], 0
	s_mov_b64 s[8:9], -1
	s_branch .LBB77_869
.LBB77_859:
	s_mov_b64 s[12:13], -1
	s_mov_b64 s[8:9], 0
	s_mov_b64 s[2:3], 0
	;; [unrolled: 1-line block ×3, first 2 shown]
                                        ; implicit-def: $vgpr4
	s_branch .LBB77_932
.LBB77_860:
	s_mov_b64 s[10:11], -1
	s_mov_b64 s[8:9], 0
	s_mov_b64 s[0:1], s[6:7]
                                        ; implicit-def: $vgpr4
	s_branch .LBB77_898
.LBB77_861:
	s_mov_b64 s[10:11], -1
	s_mov_b64 s[8:9], 0
	s_mov_b64 s[0:1], s[6:7]
                                        ; implicit-def: $vgpr4
	s_branch .LBB77_879
.LBB77_862:
	s_mov_b64 s[10:11], -1
	s_mov_b64 s[8:9], 0
	s_mov_b64 s[0:1], s[6:7]
                                        ; implicit-def: $vgpr4
	s_branch .LBB77_874
.LBB77_863:
	s_andn2_saveexec_b64 s[10:11], s[10:11]
	s_cbranch_execz .LBB77_743
.LBB77_864:
	s_mov_b32 s14, 0x46000000
	v_add_f32_e64 v4, |v5|, s14
	v_and_b32_e32 v4, 0xff, v4
	v_cmp_ne_u32_e32 vcc, 0, v4
	s_andn2_b64 s[6:7], s[6:7], exec
	s_and_b64 s[14:15], vcc, exec
	s_or_b64 s[6:7], s[6:7], s[14:15]
	s_or_b64 exec, exec, s[10:11]
	v_mov_b32_e32 v6, 0
	s_and_saveexec_b64 s[10:11], s[6:7]
	s_cbranch_execnz .LBB77_744
	s_branch .LBB77_745
.LBB77_865:
	s_mov_b64 s[10:11], -1
	s_mov_b64 s[8:9], 0
	s_mov_b64 s[0:1], s[6:7]
                                        ; implicit-def: $vgpr4
	s_branch .LBB77_869
.LBB77_866:
	s_andn2_saveexec_b64 s[10:11], s[10:11]
	s_cbranch_execz .LBB77_756
.LBB77_867:
	s_mov_b32 s14, 0x42800000
	v_add_f32_e64 v4, |v5|, s14
	v_and_b32_e32 v4, 0xff, v4
	v_cmp_ne_u32_e32 vcc, 0, v4
	s_andn2_b64 s[6:7], s[6:7], exec
	s_and_b64 s[14:15], vcc, exec
	s_or_b64 s[6:7], s[6:7], s[14:15]
	s_or_b64 exec, exec, s[10:11]
	v_mov_b32_e32 v6, 0
	s_and_saveexec_b64 s[10:11], s[6:7]
	s_cbranch_execnz .LBB77_757
	s_branch .LBB77_758
.LBB77_868:
	s_mov_b64 s[0:1], -1
                                        ; implicit-def: $vgpr4
	s_mov_b64 s[8:9], 0
.LBB77_869:
	s_and_b64 vcc, exec, s[10:11]
	s_cbranch_vccz .LBB77_873
; %bb.870:
	s_cmp_eq_u32 s14, 44
	s_cbranch_scc0 .LBB77_872
; %bb.871:
	global_load_ubyte v3, v[1:2], off
	s_movk_i32 s8, 0xff
	s_waitcnt vmcnt(1)
	v_mov_b32_e32 v4, 0x7f800001
	v_mov_b32_e32 v5, 0x400000
	;; [unrolled: 1-line block ×3, first 2 shown]
	s_mov_b64 s[0:1], 0
	s_waitcnt vmcnt(0)
	v_lshlrev_b32_e32 v7, 23, v3
	v_cmp_ne_u32_e32 vcc, s8, v3
	v_cndmask_b32_e32 v4, v4, v7, vcc
	v_cmp_ne_u32_e32 vcc, 0, v3
	v_cndmask_b32_e32 v3, v5, v4, vcc
	v_add_u32_e32 v4, 0x7fff, v3
	v_cmp_o_f32_e32 vcc, v3, v3
	v_cndmask_b32_sdwa v4, v6, v4, vcc dst_sel:DWORD dst_unused:UNUSED_PAD src0_sel:DWORD src1_sel:WORD_1
	s_mov_b64 s[8:9], -1
	s_branch .LBB77_873
.LBB77_872:
	s_mov_b64 s[0:1], -1
                                        ; implicit-def: $vgpr4
.LBB77_873:
	s_mov_b64 s[10:11], 0
.LBB77_874:
	s_and_b64 vcc, exec, s[10:11]
	s_cbranch_vccz .LBB77_878
; %bb.875:
	s_cmp_eq_u32 s14, 29
	s_cbranch_scc0 .LBB77_877
; %bb.876:
	global_load_dwordx2 v[3:4], v[1:2], off
	s_movk_i32 s8, 0x7fff
	s_mov_b64 s[0:1], 0
	s_mov_b64 s[10:11], 0
	s_waitcnt vmcnt(0)
	v_ffbh_u32_e32 v5, v4
	v_min_u32_e32 v5, 32, v5
	v_lshlrev_b64 v[3:4], v5, v[3:4]
	v_min_u32_e32 v3, 1, v3
	v_or_b32_e32 v3, v4, v3
	v_cvt_f32_u32_e32 v3, v3
	v_sub_u32_e32 v4, 32, v5
	v_ldexp_f32 v3, v3, v4
	v_bfe_u32 v4, v3, 16, 1
	v_add3_u32 v3, v3, v4, s8
	v_lshrrev_b32_e32 v4, 16, v3
	s_mov_b64 s[8:9], -1
	s_branch .LBB77_879
.LBB77_877:
	s_mov_b64 s[0:1], -1
                                        ; implicit-def: $vgpr4
.LBB77_878:
	s_mov_b64 s[10:11], 0
.LBB77_879:
	s_and_b64 vcc, exec, s[10:11]
	s_cbranch_vccz .LBB77_897
; %bb.880:
	s_cmp_lt_i32 s14, 27
	s_cbranch_scc1 .LBB77_883
; %bb.881:
	s_cmp_gt_i32 s14, 27
	s_cbranch_scc0 .LBB77_884
; %bb.882:
	global_load_dword v3, v[1:2], off
	s_movk_i32 s8, 0x7fff
	s_waitcnt vmcnt(0)
	v_cvt_f32_u32_e32 v3, v3
	v_bfe_u32 v4, v3, 16, 1
	v_add3_u32 v3, v3, v4, s8
	v_lshrrev_b32_e32 v4, 16, v3
	s_mov_b64 s[8:9], 0
	s_branch .LBB77_885
.LBB77_883:
	s_mov_b64 s[8:9], -1
                                        ; implicit-def: $vgpr4
	s_branch .LBB77_888
.LBB77_884:
	s_mov_b64 s[8:9], -1
                                        ; implicit-def: $vgpr4
.LBB77_885:
	s_andn2_b64 vcc, exec, s[8:9]
	s_cbranch_vccnz .LBB77_887
; %bb.886:
	global_load_ushort v3, v[1:2], off
	s_movk_i32 s8, 0x7fff
	s_waitcnt vmcnt(0)
	v_cvt_f32_u32_e32 v3, v3
	v_bfe_u32 v4, v3, 16, 1
	v_add3_u32 v3, v3, v4, s8
	v_lshrrev_b32_e32 v4, 16, v3
.LBB77_887:
	s_mov_b64 s[8:9], 0
.LBB77_888:
	s_andn2_b64 vcc, exec, s[8:9]
	s_cbranch_vccnz .LBB77_896
; %bb.889:
	global_load_ubyte v3, v[1:2], off
	s_movk_i32 s8, 0x7f
	s_waitcnt vmcnt(0)
	v_cmp_lt_i16_e32 vcc, s8, v3
	s_mov_b64 s[8:9], 0
	s_and_saveexec_b64 s[10:11], vcc
	s_xor_b64 s[10:11], exec, s[10:11]
	s_cbranch_execz .LBB77_910
; %bb.890:
	s_movk_i32 s8, 0x80
	v_cmp_eq_u16_e32 vcc, s8, v3
	s_mov_b64 s[8:9], -1
	s_and_saveexec_b64 s[12:13], vcc
; %bb.891:
	s_xor_b64 s[8:9], exec, -1
; %bb.892:
	s_or_b64 exec, exec, s[12:13]
	s_and_b64 s[8:9], s[8:9], exec
	s_or_saveexec_b64 s[10:11], s[10:11]
	v_mov_b32_e32 v4, 0x7f800001
	s_xor_b64 exec, exec, s[10:11]
	s_cbranch_execnz .LBB77_911
.LBB77_893:
	s_or_b64 exec, exec, s[10:11]
	s_and_saveexec_b64 s[10:11], s[8:9]
	s_cbranch_execz .LBB77_895
.LBB77_894:
	v_lshlrev_b32_e32 v4, 24, v3
	v_and_b32_e32 v3, 0xffff, v3
	v_and_b32_e32 v5, 7, v3
	v_ffbh_u32_e32 v7, v5
	v_min_u32_e32 v7, 32, v7
	v_subrev_u32_e32 v8, 28, v7
	v_bfe_u32 v6, v3, 3, 4
	v_lshlrev_b32_e32 v3, v8, v3
	v_sub_u32_e32 v7, 29, v7
	v_and_b32_e32 v3, 7, v3
	v_cmp_eq_u32_e32 vcc, 0, v6
	v_cndmask_b32_e32 v6, v6, v7, vcc
	v_cndmask_b32_e32 v3, v5, v3, vcc
	v_mov_b32_e32 v5, 0x3b800000
	v_lshlrev_b32_e32 v3, 20, v3
	v_and_b32_e32 v4, 0x80000000, v4
	v_lshl_add_u32 v5, v6, 23, v5
	v_or3_b32 v4, v4, v5, v3
.LBB77_895:
	s_or_b64 exec, exec, s[10:11]
	v_bfe_u32 v3, v4, 16, 1
	s_movk_i32 s8, 0x7fff
	v_add3_u32 v3, v4, v3, s8
	v_cmp_o_f32_e32 vcc, v4, v4
	v_mov_b32_e32 v4, 0x7fc0
	v_cndmask_b32_sdwa v4, v4, v3, vcc dst_sel:DWORD dst_unused:UNUSED_PAD src0_sel:DWORD src1_sel:WORD_1
.LBB77_896:
	s_mov_b64 s[8:9], -1
.LBB77_897:
	s_mov_b64 s[10:11], 0
.LBB77_898:
	s_and_b64 vcc, exec, s[10:11]
	s_cbranch_vccz .LBB77_931
; %bb.899:
	s_cmp_gt_i32 s14, 22
	s_cbranch_scc0 .LBB77_909
; %bb.900:
	s_cmp_lt_i32 s14, 24
	s_cbranch_scc1 .LBB77_912
; %bb.901:
	s_cmp_gt_i32 s14, 24
	s_cbranch_scc0 .LBB77_913
; %bb.902:
	global_load_ubyte v3, v[1:2], off
	s_movk_i32 s2, 0x7f
	s_waitcnt vmcnt(0)
	v_cmp_lt_i16_e32 vcc, s2, v3
	s_mov_b64 s[2:3], 0
	s_and_saveexec_b64 s[8:9], vcc
	s_xor_b64 s[8:9], exec, s[8:9]
	s_cbranch_execz .LBB77_925
; %bb.903:
	s_movk_i32 s2, 0x80
	v_cmp_eq_u16_e32 vcc, s2, v3
	s_mov_b64 s[2:3], -1
	s_and_saveexec_b64 s[10:11], vcc
; %bb.904:
	s_xor_b64 s[2:3], exec, -1
; %bb.905:
	s_or_b64 exec, exec, s[10:11]
	s_and_b64 s[2:3], s[2:3], exec
	s_or_saveexec_b64 s[8:9], s[8:9]
	v_mov_b32_e32 v4, 0x7f800001
	s_xor_b64 exec, exec, s[8:9]
	s_cbranch_execnz .LBB77_926
.LBB77_906:
	s_or_b64 exec, exec, s[8:9]
	s_and_saveexec_b64 s[8:9], s[2:3]
	s_cbranch_execz .LBB77_908
.LBB77_907:
	v_lshlrev_b32_e32 v4, 24, v3
	v_and_b32_e32 v3, 0xffff, v3
	v_and_b32_e32 v5, 3, v3
	v_ffbh_u32_e32 v7, v5
	v_min_u32_e32 v7, 32, v7
	v_subrev_u32_e32 v8, 29, v7
	v_bfe_u32 v6, v3, 2, 5
	v_lshlrev_b32_e32 v3, v8, v3
	v_sub_u32_e32 v7, 30, v7
	v_and_b32_e32 v3, 3, v3
	v_cmp_eq_u32_e32 vcc, 0, v6
	v_cndmask_b32_e32 v6, v6, v7, vcc
	v_cndmask_b32_e32 v3, v5, v3, vcc
	v_mov_b32_e32 v5, 0x37800000
	v_lshlrev_b32_e32 v3, 21, v3
	v_and_b32_e32 v4, 0x80000000, v4
	v_lshl_add_u32 v5, v6, 23, v5
	v_or3_b32 v4, v4, v5, v3
.LBB77_908:
	s_or_b64 exec, exec, s[8:9]
	v_bfe_u32 v3, v4, 16, 1
	s_movk_i32 s2, 0x7fff
	v_add3_u32 v3, v4, v3, s2
	v_cmp_o_f32_e32 vcc, v4, v4
	v_mov_b32_e32 v4, 0x7fc0
	v_cndmask_b32_sdwa v4, v4, v3, vcc dst_sel:DWORD dst_unused:UNUSED_PAD src0_sel:DWORD src1_sel:WORD_1
	s_mov_b64 s[2:3], 0
	s_branch .LBB77_914
.LBB77_909:
	s_mov_b64 s[2:3], -1
                                        ; implicit-def: $vgpr4
	s_branch .LBB77_920
.LBB77_910:
	s_or_saveexec_b64 s[10:11], s[10:11]
	v_mov_b32_e32 v4, 0x7f800001
	s_xor_b64 exec, exec, s[10:11]
	s_cbranch_execz .LBB77_893
.LBB77_911:
	v_cmp_ne_u16_e32 vcc, 0, v3
	s_andn2_b64 s[8:9], s[8:9], exec
	s_and_b64 s[12:13], vcc, exec
	v_mov_b32_e32 v4, 0
	s_or_b64 s[8:9], s[8:9], s[12:13]
	s_or_b64 exec, exec, s[10:11]
	s_and_saveexec_b64 s[10:11], s[8:9]
	s_cbranch_execnz .LBB77_894
	s_branch .LBB77_895
.LBB77_912:
	s_mov_b64 s[2:3], -1
                                        ; implicit-def: $vgpr4
	s_branch .LBB77_917
.LBB77_913:
	s_mov_b64 s[2:3], -1
                                        ; implicit-def: $vgpr4
.LBB77_914:
	s_and_b64 vcc, exec, s[2:3]
	s_cbranch_vccz .LBB77_916
; %bb.915:
	global_load_ubyte v3, v[1:2], off
	s_mov_b32 s2, 0x7f800000
	s_brev_b32 s3, 1
	s_movk_i32 s8, 0x7fff
	s_waitcnt vmcnt(0)
	v_lshlrev_b32_e32 v3, 24, v3
	v_and_b32_e32 v4, 0x7f000000, v3
	v_ffbh_u32_e32 v5, v4
	v_min_u32_e32 v5, 32, v5
	v_sub_u32_e64 v5, v5, 4 clamp
	v_lshlrev_b32_e32 v7, v5, v4
	v_lshlrev_b32_e32 v5, 23, v5
	v_lshrrev_b32_e32 v7, 4, v7
	v_add_u32_e32 v6, 0x1000000, v4
	v_sub_u32_e32 v5, v7, v5
	v_ashrrev_i32_e32 v6, 8, v6
	v_add_u32_e32 v5, 0x3c000000, v5
	v_and_or_b32 v5, v6, s2, v5
	v_cmp_ne_u32_e32 vcc, 0, v4
	v_cndmask_b32_e32 v4, 0, v5, vcc
	v_and_or_b32 v3, v3, s3, v4
	v_bfe_u32 v4, v4, 16, 1
	v_add3_u32 v4, v3, v4, s8
	v_cmp_o_f32_e32 vcc, v3, v3
	v_mov_b32_e32 v3, 0x7fc0
	v_cndmask_b32_sdwa v4, v3, v4, vcc dst_sel:DWORD dst_unused:UNUSED_PAD src0_sel:DWORD src1_sel:WORD_1
.LBB77_916:
	s_mov_b64 s[2:3], 0
.LBB77_917:
	s_andn2_b64 vcc, exec, s[2:3]
	s_cbranch_vccnz .LBB77_919
; %bb.918:
	global_load_ubyte v3, v[1:2], off
	s_movk_i32 s2, 0x7f00
	s_brev_b32 s3, 16
	s_brev_b32 s8, 1
	s_movk_i32 s9, 0x7fff
	s_waitcnt vmcnt(0)
	v_lshlrev_b16_e32 v4, 8, v3
	v_lshlrev_b32_e32 v3, 25, v3
	v_lshrrev_b32_e32 v5, 4, v3
	v_and_or_b32 v6, v4, s2, 0.5
	v_or_b32_e32 v5, 0x70000000, v5
	v_add_f32_e32 v6, -0.5, v6
	v_mul_f32_e32 v5, 0x7800000, v5
	v_cmp_gt_u32_e32 vcc, s3, v3
	v_bfe_i32 v4, v4, 0, 16
	v_cndmask_b32_e32 v3, v5, v6, vcc
	v_and_or_b32 v4, v4, s8, v3
	v_bfe_u32 v3, v3, 16, 1
	v_add3_u32 v3, v4, v3, s9
	v_cmp_o_f32_e32 vcc, v4, v4
	v_mov_b32_e32 v4, 0x7fc0
	v_cndmask_b32_sdwa v4, v4, v3, vcc dst_sel:DWORD dst_unused:UNUSED_PAD src0_sel:DWORD src1_sel:WORD_1
.LBB77_919:
	s_mov_b64 s[2:3], 0
	s_mov_b64 s[8:9], -1
.LBB77_920:
	s_andn2_b64 vcc, exec, s[2:3]
	s_mov_b64 s[2:3], 0
	s_cbranch_vccnz .LBB77_931
; %bb.921:
	s_cmp_gt_i32 s14, 14
	s_cbranch_scc0 .LBB77_924
; %bb.922:
	s_cmp_eq_u32 s14, 15
	s_cbranch_scc0 .LBB77_927
; %bb.923:
	global_load_ushort v4, v[1:2], off
	s_mov_b64 s[0:1], 0
	s_mov_b64 s[8:9], -1
	s_branch .LBB77_928
.LBB77_924:
	s_mov_b64 s[10:11], -1
                                        ; implicit-def: $vgpr4
	s_branch .LBB77_929
.LBB77_925:
	s_or_saveexec_b64 s[8:9], s[8:9]
	v_mov_b32_e32 v4, 0x7f800001
	s_xor_b64 exec, exec, s[8:9]
	s_cbranch_execz .LBB77_906
.LBB77_926:
	v_cmp_ne_u16_e32 vcc, 0, v3
	s_andn2_b64 s[2:3], s[2:3], exec
	s_and_b64 s[10:11], vcc, exec
	v_mov_b32_e32 v4, 0
	s_or_b64 s[2:3], s[2:3], s[10:11]
	s_or_b64 exec, exec, s[8:9]
	s_and_saveexec_b64 s[8:9], s[2:3]
	s_cbranch_execnz .LBB77_907
	s_branch .LBB77_908
.LBB77_927:
	s_mov_b64 s[0:1], -1
                                        ; implicit-def: $vgpr4
.LBB77_928:
	s_mov_b64 s[10:11], 0
.LBB77_929:
	s_and_b64 vcc, exec, s[10:11]
	s_cbranch_vccz .LBB77_931
; %bb.930:
	s_cmp_lg_u32 s14, 11
	s_cselect_b64 s[10:11], -1, 0
	s_andn2_b64 s[0:1], s[0:1], exec
	s_and_b64 s[10:11], s[10:11], exec
	s_mov_b64 s[2:3], -1
	s_or_b64 s[0:1], s[0:1], s[10:11]
.LBB77_931:
	s_mov_b64 s[12:13], 0
.LBB77_932:
	s_and_b64 s[10:11], s[8:9], exec
	s_and_b64 s[8:9], s[12:13], exec
	s_andn2_b64 s[12:13], s[6:7], exec
	s_and_b64 s[0:1], s[0:1], exec
	s_and_b64 s[2:3], s[2:3], exec
	s_or_b64 s[12:13], s[12:13], s[0:1]
.LBB77_933:
	s_or_b64 exec, exec, s[70:71]
	s_and_b64 s[0:1], s[2:3], exec
	s_andn2_b64 s[2:3], s[6:7], exec
	s_and_b64 s[6:7], s[12:13], exec
	s_and_b64 s[10:11], s[10:11], exec
	s_and_b64 s[8:9], s[8:9], exec
	s_or_b64 s[6:7], s[2:3], s[6:7]
.LBB77_934:
	s_or_b64 exec, exec, s[66:67]
	s_andn2_b64 s[2:3], s[62:63], exec
	s_and_b64 s[12:13], s[68:69], exec
	s_or_b64 s[62:63], s[2:3], s[12:13]
	s_and_b64 s[2:3], s[0:1], exec
	s_andn2_b64 s[0:1], s[60:61], exec
	s_and_b64 s[6:7], s[6:7], exec
	s_and_b64 s[10:11], s[10:11], exec
	s_and_b64 s[8:9], s[8:9], exec
	s_or_b64 s[60:61], s[0:1], s[6:7]
.LBB77_935:
	s_or_b64 exec, exec, s[64:65]
	s_andn2_b64 s[0:1], s[54:55], exec
	s_and_b64 s[6:7], s[62:63], exec
	s_or_b64 s[54:55], s[0:1], s[6:7]
	s_and_b64 s[6:7], s[8:9], exec
	s_and_b64 s[62:63], s[2:3], exec
	s_andn2_b64 s[2:3], s[56:57], exec
	s_and_b64 s[8:9], s[60:61], exec
	s_and_b64 s[0:1], s[10:11], exec
	s_or_b64 s[56:57], s[2:3], s[8:9]
	s_or_b64 exec, exec, s[58:59]
	s_mov_b64 s[8:9], 0
	s_and_saveexec_b64 s[2:3], s[56:57]
	s_cbranch_execz .LBB77_280
.LBB77_936:
	s_mov_b64 s[8:9], exec
	s_andn2_b64 s[62:63], s[62:63], exec
	s_trap 2
	s_or_b64 exec, exec, s[2:3]
	s_and_saveexec_b64 s[2:3], s[62:63]
	s_xor_b64 s[2:3], exec, s[2:3]
	s_cbranch_execnz .LBB77_281
.LBB77_937:
	s_or_b64 exec, exec, s[2:3]
	s_and_saveexec_b64 s[2:3], s[6:7]
	s_cbranch_execz .LBB77_983
.LBB77_938:
	s_sext_i32_i16 s6, s74
	s_cmp_lt_i32 s6, 5
	s_cbranch_scc1 .LBB77_943
; %bb.939:
	s_cmp_lt_i32 s6, 8
	s_cbranch_scc1 .LBB77_944
; %bb.940:
	s_cmp_lt_i32 s6, 9
	s_cbranch_scc1 .LBB77_945
; %bb.941:
	s_cmp_gt_i32 s6, 9
	s_cbranch_scc0 .LBB77_946
; %bb.942:
	global_load_dwordx2 v[3:4], v[1:2], off
	s_movk_i32 s6, 0x7fff
	s_waitcnt vmcnt(0)
	v_cvt_f32_f64_e32 v3, v[3:4]
	v_mov_b32_e32 v4, 0x7fc0
	v_bfe_u32 v5, v3, 16, 1
	v_cmp_o_f32_e32 vcc, v3, v3
	v_add3_u32 v3, v3, v5, s6
	v_cndmask_b32_sdwa v4, v4, v3, vcc dst_sel:DWORD dst_unused:UNUSED_PAD src0_sel:DWORD src1_sel:WORD_1
	s_mov_b64 s[6:7], 0
	s_branch .LBB77_947
.LBB77_943:
                                        ; implicit-def: $vgpr4
	s_branch .LBB77_964
.LBB77_944:
                                        ; implicit-def: $vgpr4
	s_branch .LBB77_953
.LBB77_945:
	s_mov_b64 s[6:7], -1
                                        ; implicit-def: $vgpr4
	s_branch .LBB77_950
.LBB77_946:
	s_mov_b64 s[6:7], -1
                                        ; implicit-def: $vgpr4
.LBB77_947:
	s_andn2_b64 vcc, exec, s[6:7]
	s_cbranch_vccnz .LBB77_949
; %bb.948:
	global_load_dword v3, v[1:2], off
	s_movk_i32 s6, 0x7fff
	s_waitcnt vmcnt(1)
	v_mov_b32_e32 v4, 0x7fc0
	s_waitcnt vmcnt(0)
	v_bfe_u32 v5, v3, 16, 1
	v_cmp_o_f32_e32 vcc, v3, v3
	v_add3_u32 v3, v3, v5, s6
	v_cndmask_b32_sdwa v4, v4, v3, vcc dst_sel:DWORD dst_unused:UNUSED_PAD src0_sel:DWORD src1_sel:WORD_1
.LBB77_949:
	s_mov_b64 s[6:7], 0
.LBB77_950:
	s_andn2_b64 vcc, exec, s[6:7]
	s_cbranch_vccnz .LBB77_952
; %bb.951:
	global_load_dword v3, v[1:2], off
	s_movk_i32 s6, 0x7fff
	v_mov_b32_e32 v5, 0x7fc0
	s_waitcnt vmcnt(0)
	v_cvt_f32_f16_e32 v4, v3
	v_cmp_o_f16_e32 vcc, v3, v3
	v_bfe_u32 v3, v4, 16, 1
	v_add3_u32 v3, v4, v3, s6
	v_cndmask_b32_sdwa v4, v5, v3, vcc dst_sel:DWORD dst_unused:UNUSED_PAD src0_sel:DWORD src1_sel:WORD_1
.LBB77_952:
	s_cbranch_execnz .LBB77_963
.LBB77_953:
	s_sext_i32_i16 s6, s74
	s_cmp_lt_i32 s6, 6
	s_cbranch_scc1 .LBB77_956
; %bb.954:
	s_cmp_gt_i32 s6, 6
	s_cbranch_scc0 .LBB77_957
; %bb.955:
	global_load_dwordx2 v[3:4], v[1:2], off
	s_movk_i32 s6, 0x7fff
	s_waitcnt vmcnt(0)
	v_cvt_f32_f64_e32 v3, v[3:4]
	v_mov_b32_e32 v4, 0x7fc0
	v_bfe_u32 v5, v3, 16, 1
	v_cmp_o_f32_e32 vcc, v3, v3
	v_add3_u32 v3, v3, v5, s6
	v_cndmask_b32_sdwa v4, v4, v3, vcc dst_sel:DWORD dst_unused:UNUSED_PAD src0_sel:DWORD src1_sel:WORD_1
	s_mov_b64 s[6:7], 0
	s_branch .LBB77_958
.LBB77_956:
	s_mov_b64 s[6:7], -1
                                        ; implicit-def: $vgpr4
	s_branch .LBB77_961
.LBB77_957:
	s_mov_b64 s[6:7], -1
                                        ; implicit-def: $vgpr4
.LBB77_958:
	s_andn2_b64 vcc, exec, s[6:7]
	s_cbranch_vccnz .LBB77_960
; %bb.959:
	global_load_dword v3, v[1:2], off
	s_movk_i32 s6, 0x7fff
	s_waitcnt vmcnt(1)
	v_mov_b32_e32 v4, 0x7fc0
	s_waitcnt vmcnt(0)
	v_bfe_u32 v5, v3, 16, 1
	v_cmp_o_f32_e32 vcc, v3, v3
	v_add3_u32 v3, v3, v5, s6
	v_cndmask_b32_sdwa v4, v4, v3, vcc dst_sel:DWORD dst_unused:UNUSED_PAD src0_sel:DWORD src1_sel:WORD_1
.LBB77_960:
	s_mov_b64 s[6:7], 0
.LBB77_961:
	s_andn2_b64 vcc, exec, s[6:7]
	s_cbranch_vccnz .LBB77_963
; %bb.962:
	global_load_ushort v3, v[1:2], off
	s_movk_i32 s6, 0x7fff
	v_mov_b32_e32 v5, 0x7fc0
	s_waitcnt vmcnt(0)
	v_cvt_f32_f16_e32 v4, v3
	v_cmp_o_f16_e32 vcc, v3, v3
	v_bfe_u32 v3, v4, 16, 1
	v_add3_u32 v3, v4, v3, s6
	v_cndmask_b32_sdwa v4, v5, v3, vcc dst_sel:DWORD dst_unused:UNUSED_PAD src0_sel:DWORD src1_sel:WORD_1
.LBB77_963:
	s_cbranch_execnz .LBB77_982
.LBB77_964:
	s_sext_i32_i16 s6, s74
	s_cmp_lt_i32 s6, 2
	s_cbranch_scc1 .LBB77_968
; %bb.965:
	s_cmp_lt_i32 s6, 3
	s_cbranch_scc1 .LBB77_969
; %bb.966:
	s_cmp_gt_i32 s6, 3
	s_cbranch_scc0 .LBB77_970
; %bb.967:
	global_load_dwordx2 v[3:4], v[1:2], off
	s_movk_i32 s6, 0x7fff
	s_waitcnt vmcnt(0)
	v_xor_b32_e32 v6, v3, v4
	v_ffbh_i32_e32 v5, v4
	v_ashrrev_i32_e32 v6, 31, v6
	v_add_u32_e32 v5, -1, v5
	v_add_u32_e32 v6, 32, v6
	v_min_u32_e32 v5, v5, v6
	v_lshlrev_b64 v[3:4], v5, v[3:4]
	v_min_u32_e32 v3, 1, v3
	v_or_b32_e32 v3, v4, v3
	v_cvt_f32_i32_e32 v3, v3
	v_sub_u32_e32 v4, 32, v5
	v_ldexp_f32 v3, v3, v4
	v_bfe_u32 v4, v3, 16, 1
	v_add3_u32 v3, v3, v4, s6
	v_lshrrev_b32_e32 v4, 16, v3
	s_mov_b64 s[6:7], 0
	s_branch .LBB77_971
.LBB77_968:
                                        ; implicit-def: $vgpr4
	s_branch .LBB77_977
.LBB77_969:
	s_mov_b64 s[6:7], -1
                                        ; implicit-def: $vgpr4
	s_branch .LBB77_974
.LBB77_970:
	s_mov_b64 s[6:7], -1
                                        ; implicit-def: $vgpr4
.LBB77_971:
	s_andn2_b64 vcc, exec, s[6:7]
	s_cbranch_vccnz .LBB77_973
; %bb.972:
	global_load_dword v3, v[1:2], off
	s_movk_i32 s6, 0x7fff
	s_waitcnt vmcnt(0)
	v_cvt_f32_i32_e32 v3, v3
	v_bfe_u32 v4, v3, 16, 1
	v_add3_u32 v3, v3, v4, s6
	v_lshrrev_b32_e32 v4, 16, v3
.LBB77_973:
	s_mov_b64 s[6:7], 0
.LBB77_974:
	s_andn2_b64 vcc, exec, s[6:7]
	s_cbranch_vccnz .LBB77_976
; %bb.975:
	global_load_sshort v3, v[1:2], off
	s_movk_i32 s6, 0x7fff
	s_waitcnt vmcnt(0)
	v_cvt_f32_i32_e32 v3, v3
	v_bfe_u32 v4, v3, 16, 1
	v_add3_u32 v3, v3, v4, s6
	v_lshrrev_b32_e32 v4, 16, v3
.LBB77_976:
	s_cbranch_execnz .LBB77_982
.LBB77_977:
	s_sext_i32_i16 s6, s74
	s_cmp_gt_i32 s6, 0
	s_cbranch_scc0 .LBB77_979
; %bb.978:
	global_load_sbyte v3, v[1:2], off
	s_movk_i32 s6, 0x7fff
	s_waitcnt vmcnt(0)
	v_cvt_f32_i32_e32 v3, v3
	v_bfe_u32 v4, v3, 16, 1
	v_add3_u32 v3, v3, v4, s6
	v_lshrrev_b32_e32 v4, 16, v3
	s_mov_b64 s[6:7], 0
	s_branch .LBB77_980
.LBB77_979:
	s_mov_b64 s[6:7], -1
                                        ; implicit-def: $vgpr4
.LBB77_980:
	s_andn2_b64 vcc, exec, s[6:7]
	s_cbranch_vccnz .LBB77_982
; %bb.981:
	global_load_ubyte v1, v[1:2], off
	s_movk_i32 s6, 0x7fff
	s_waitcnt vmcnt(0)
	v_cvt_f32_ubyte0_e32 v1, v1
	v_bfe_u32 v2, v1, 16, 1
	v_add3_u32 v1, v1, v2, s6
	v_lshrrev_b32_e32 v4, 16, v1
.LBB77_982:
	s_or_b64 s[0:1], s[0:1], exec
.LBB77_983:
	s_or_b64 exec, exec, s[2:3]
	s_mov_b64 s[6:7], 0
	s_mov_b64 s[2:3], 0
                                        ; implicit-def: $sgpr16
                                        ; implicit-def: $vgpr1_vgpr2
                                        ; implicit-def: $vgpr3
	s_and_saveexec_b64 s[10:11], s[0:1]
	s_cbranch_execz .LBB77_1007
; %bb.984:
	s_waitcnt vmcnt(0)
	v_lshlrev_b32_e32 v1, 16, v4
	v_cmp_gt_f32_e32 vcc, 0.5, v1
	v_mov_b32_e32 v3, 0
	v_mov_b32_e32 v2, 1.0
	s_and_saveexec_b64 s[12:13], vcc
	s_cbranch_execz .LBB77_990
; %bb.985:
	v_mul_f32_e32 v2, 0x40490fdb, v1
	s_brev_b32 s0, 18
	v_and_b32_e32 v3, 0x7fffffff, v2
	v_cmp_nlt_f32_e64 s[0:1], |v2|, s0
                                        ; implicit-def: $vgpr4
                                        ; implicit-def: $vgpr5
	s_and_saveexec_b64 s[2:3], s[0:1]
	s_xor_b64 s[14:15], exec, s[2:3]
	s_cbranch_execz .LBB77_987
; %bb.986:
	v_and_b32_e32 v4, 0x7fffff, v3
	v_or_b32_e32 v13, 0x800000, v4
	s_mov_b32 s0, 0xfe5163ab
	v_mad_u64_u32 v[4:5], s[0:1], v13, s0, 0
	v_mov_b32_e32 v6, 0
	s_mov_b32 s0, 0x3c439041
	v_mad_u64_u32 v[7:8], s[0:1], v13, s0, v[5:6]
	s_mov_b32 s0, 0xdb629599
	v_not_b32_e32 v12, 63
	v_mov_b32_e32 v5, v8
	v_mad_u64_u32 v[8:9], s[0:1], v13, s0, v[5:6]
	s_mov_b32 s0, 0xf534ddc0
	v_not_b32_e32 v15, 31
	v_mov_b32_e32 v5, v9
	v_mad_u64_u32 v[9:10], s[0:1], v13, s0, v[5:6]
	v_lshrrev_b32_e32 v5, 23, v3
	v_add_u32_e32 v14, 0xffffff88, v5
	v_mov_b32_e32 v5, v10
	s_mov_b32 s0, 0xfc2757d1
	v_mad_u64_u32 v[10:11], s[0:1], v13, s0, v[5:6]
	v_cmp_lt_u32_e32 vcc, 63, v14
	v_cndmask_b32_e32 v5, 0, v12, vcc
	v_add_u32_e32 v14, v5, v14
	v_mov_b32_e32 v5, v11
	s_mov_b32 s0, 0x4e441529
	v_mad_u64_u32 v[11:12], s[0:1], v13, s0, v[5:6]
	v_cmp_lt_u32_e64 s[0:1], 31, v14
	v_cndmask_b32_e64 v5, 0, v15, s[0:1]
	v_add_u32_e32 v14, v5, v14
	v_mov_b32_e32 v5, v12
	s_mov_b32 s2, 0xa2f9836e
	v_mad_u64_u32 v[5:6], s[2:3], v13, s2, v[5:6]
	v_cmp_lt_u32_e64 s[2:3], 31, v14
	v_cndmask_b32_e64 v12, 0, v15, s[2:3]
	v_cndmask_b32_e32 v13, v11, v9, vcc
	v_cndmask_b32_e32 v5, v5, v10, vcc
	;; [unrolled: 1-line block ×3, first 2 shown]
	v_add_u32_e32 v12, v12, v14
	v_cndmask_b32_e64 v14, v5, v13, s[0:1]
	v_cndmask_b32_e64 v5, v6, v5, s[0:1]
	v_cndmask_b32_e32 v6, v10, v8, vcc
	v_cndmask_b32_e64 v10, v13, v6, s[0:1]
	v_cndmask_b32_e64 v5, v5, v14, s[2:3]
	v_cndmask_b32_e64 v11, v14, v10, s[2:3]
	v_sub_u32_e32 v13, 32, v12
	v_alignbit_b32 v14, v5, v11, v13
	v_cmp_eq_u32_e64 s[6:7], 0, v12
	v_cndmask_b32_e64 v12, v14, v5, s[6:7]
	v_cndmask_b32_e32 v5, v9, v7, vcc
	v_cndmask_b32_e64 v6, v6, v5, s[0:1]
	v_cndmask_b32_e64 v7, v10, v6, s[2:3]
	v_alignbit_b32 v9, v11, v7, v13
	v_cndmask_b32_e32 v4, v8, v4, vcc
	v_cndmask_b32_e64 v9, v9, v11, s[6:7]
	v_bfe_u32 v14, v12, 29, 1
	v_cndmask_b32_e64 v4, v5, v4, s[0:1]
	v_alignbit_b32 v10, v12, v9, 30
	v_sub_u32_e32 v15, 0, v14
	v_cndmask_b32_e64 v4, v6, v4, s[2:3]
	v_xor_b32_e32 v10, v10, v15
	v_alignbit_b32 v5, v7, v4, v13
	v_cndmask_b32_e64 v5, v5, v7, s[6:7]
	v_ffbh_u32_e32 v7, v10
	v_alignbit_b32 v6, v9, v5, 30
	v_min_u32_e32 v7, 32, v7
	v_alignbit_b32 v4, v5, v4, 30
	v_xor_b32_e32 v6, v6, v15
	v_sub_u32_e32 v8, 31, v7
	v_xor_b32_e32 v4, v4, v15
	v_alignbit_b32 v9, v10, v6, v8
	v_alignbit_b32 v4, v6, v4, v8
	;; [unrolled: 1-line block ×3, first 2 shown]
	v_ffbh_u32_e32 v6, v5
	v_min_u32_e32 v6, 32, v6
	v_lshrrev_b32_e32 v11, 29, v12
	v_not_b32_e32 v8, v6
	v_alignbit_b32 v4, v5, v4, v8
	v_lshlrev_b32_e32 v5, 31, v11
	v_or_b32_e32 v8, 0x33000000, v5
	v_add_lshl_u32 v6, v6, v7, 23
	v_lshrrev_b32_e32 v4, 9, v4
	v_sub_u32_e32 v6, v8, v6
	v_or_b32_e32 v5, 0.5, v5
	v_lshlrev_b32_e32 v7, 23, v7
	v_or_b32_e32 v4, v6, v4
	v_lshrrev_b32_e32 v6, 9, v9
	v_sub_u32_e32 v5, v5, v7
	v_or_b32_e32 v5, v6, v5
	s_mov_b32 s0, 0x3fc90fda
	v_mul_f32_e32 v6, 0x3fc90fda, v5
	v_fma_f32 v7, v5, s0, -v6
	v_fmac_f32_e32 v7, 0x33a22168, v5
	v_fmac_f32_e32 v7, 0x3fc90fda, v4
	v_lshrrev_b32_e32 v4, 30, v12
	v_add_f32_e32 v5, v6, v7
	v_add_u32_e32 v4, v14, v4
.LBB77_987:
	s_andn2_saveexec_b64 s[0:1], s[14:15]
	s_cbranch_execz .LBB77_989
; %bb.988:
	s_mov_b32 s2, 0x3f22f983
	v_mul_f32_e64 v4, |v2|, s2
	v_rndne_f32_e32 v6, v4
	s_mov_b32 s2, 0xbfc90fda
	v_cvt_i32_f32_e32 v4, v6
	v_fma_f32 v5, v6, s2, |v2|
	v_fmac_f32_e32 v5, 0xb3a22168, v6
	v_fmac_f32_e32 v5, 0xa7c234c4, v6
.LBB77_989:
	s_or_b64 exec, exec, s[0:1]
	v_mul_f32_e32 v6, v5, v5
	v_mov_b32_e32 v7, 0x3c0881c4
	v_fmac_f32_e32 v7, 0xb94c1982, v6
	v_mov_b32_e32 v8, 0xbe2aaa9d
	v_fmac_f32_e32 v8, v6, v7
	v_mul_f32_e32 v7, v6, v8
	v_fmac_f32_e32 v5, v5, v7
	v_mov_b32_e32 v7, 0xbab64f3b
	v_fmac_f32_e32 v7, 0x37d75334, v6
	v_mov_b32_e32 v8, 0x3d2aabf7
	;; [unrolled: 2-line block ×3, first 2 shown]
	v_fmac_f32_e32 v7, v6, v8
	v_fma_f32 v6, v6, v7, 1.0
	v_and_b32_e32 v7, 1, v4
	v_lshlrev_b32_e32 v4, 30, v4
	v_cmp_eq_u32_e32 vcc, 0, v7
	v_and_b32_e32 v4, 0x80000000, v4
	v_xor_b32_e32 v3, v3, v2
	v_cndmask_b32_e32 v5, v6, v5, vcc
	v_xor_b32_e32 v3, v3, v4
	s_movk_i32 s0, 0x1f8
	v_xor_b32_e32 v3, v3, v5
	v_mov_b32_e32 v4, 0x7fc00000
	v_cmp_class_f32_e64 vcc, v2, s0
	v_cndmask_b32_e32 v2, v4, v3, vcc
	v_mul_f32_e32 v2, v2, v2
	s_mov_b32 s2, 0xc11de9e7
	v_div_scale_f32 v3, s[0:1], v2, v2, s2
	v_div_scale_f32 v4, vcc, s2, v2, s2
	v_sub_f32_e32 v1, 1.0, v1
	v_rcp_f32_e32 v5, v3
	v_fma_f32 v6, -v3, v5, 1.0
	v_fmac_f32_e32 v5, v6, v5
	v_mul_f32_e32 v6, v4, v5
	v_fma_f32 v7, -v3, v6, v4
	v_fmac_f32_e32 v6, v7, v5
	v_fma_f32 v3, -v3, v6, v4
	v_div_fmas_f32 v3, v3, v5, v6
	v_div_fixup_f32 v2, v3, v2, s2
	v_add_f32_e32 v3, 0, v2
	v_mov_b32_e32 v2, -1.0
.LBB77_990:
	s_or_b64 exec, exec, s[12:13]
	v_mul_f32_e32 v4, v1, v1
	v_div_scale_f32 v6, s[0:1], v4, v4, 1.0
	v_add_f32_e32 v5, 1.0, v1
	v_mul_f32_e32 v1, v5, v5
	v_div_scale_f32 v8, s[0:1], v1, v1, 1.0
	v_div_scale_f32 v7, vcc, 1.0, v4, 1.0
	v_add_f32_e32 v9, 1.0, v5
	v_div_scale_f32 v10, s[0:1], 1.0, v1, 1.0
	v_mul_f32_e32 v5, v9, v9
	v_div_scale_f32 v11, s[2:3], v5, v5, 1.0
	v_div_scale_f32 v14, s[2:3], 1.0, v5, 1.0
	v_rcp_f32_e32 v12, v6
	v_add_f32_e32 v9, 1.0, v9
	s_and_b32 s16, s73, 0xff
	s_cmp_lt_i32 s16, 11
	v_rcp_f32_e32 v13, v8
	v_fma_f32 v15, -v6, v12, 1.0
	v_fmac_f32_e32 v12, v15, v12
	v_mul_f32_e32 v16, v7, v12
	v_fma_f32 v17, -v6, v16, v7
	v_fma_f32 v15, -v8, v13, 1.0
	v_fmac_f32_e32 v16, v17, v12
	v_fma_f32 v6, -v6, v16, v7
	v_fmac_f32_e32 v13, v15, v13
	v_div_fmas_f32 v6, v6, v12, v16
	v_mul_f32_e32 v12, v10, v13
	v_fma_f32 v7, -v8, v12, v10
	v_rcp_f32_e32 v15, v11
	v_fmac_f32_e32 v12, v7, v13
	v_mul_f32_e32 v7, v9, v9
	v_div_scale_f32 v16, s[6:7], v7, v7, 1.0
	v_fma_f32 v8, -v8, v12, v10
	v_fma_f32 v10, -v11, v15, 1.0
	v_fmac_f32_e32 v15, v10, v15
	s_mov_b64 vcc, s[0:1]
	v_mul_f32_e32 v10, v14, v15
	v_div_fmas_f32 v8, v8, v13, v12
	v_fma_f32 v12, -v11, v10, v14
	v_fmac_f32_e32 v10, v12, v15
	v_div_scale_f32 v12, s[0:1], 1.0, v7, 1.0
	v_add_f32_e32 v13, 1.0, v9
	v_mul_f32_e32 v9, v13, v13
	v_div_scale_f32 v17, s[6:7], v9, v9, 1.0
	v_fma_f32 v11, -v11, v10, v14
	s_mov_b64 vcc, s[2:3]
	v_div_fmas_f32 v10, v11, v15, v10
	v_div_scale_f32 v11, s[2:3], 1.0, v9, 1.0
	v_rcp_f32_e32 v14, v16
	v_add_f32_e32 v13, 1.0, v13
	v_mul_f32_e32 v18, v13, v13
	v_div_scale_f32 v19, s[6:7], v18, v18, 1.0
	v_fma_f32 v15, -v16, v14, 1.0
	v_fmac_f32_e32 v14, v15, v14
	v_mul_f32_e32 v15, v12, v14
	v_fma_f32 v20, -v16, v15, v12
	v_fmac_f32_e32 v15, v20, v14
	v_rcp_f32_e32 v20, v17
	v_fma_f32 v12, -v16, v15, v12
	s_mov_b64 vcc, s[0:1]
	v_div_fmas_f32 v12, v12, v14, v15
	v_fma_f32 v14, -v17, v20, 1.0
	v_fmac_f32_e32 v20, v14, v20
	v_mul_f32_e32 v14, v11, v20
	v_fma_f32 v15, -v17, v14, v11
	v_fmac_f32_e32 v14, v15, v20
	v_div_scale_f32 v15, s[0:1], 1.0, v18, 1.0
	v_add_f32_e32 v13, 1.0, v13
	v_mul_f32_e32 v21, v13, v13
	v_div_scale_f32 v22, s[6:7], v21, v21, 1.0
	v_rcp_f32_e32 v16, v19
	v_fma_f32 v11, -v17, v14, v11
	s_mov_b64 vcc, s[2:3]
	v_div_scale_f32 v17, s[2:3], 1.0, v21, 1.0
	v_div_fmas_f32 v11, v11, v20, v14
	v_add_f32_e32 v20, v13, v13
	v_div_scale_f32 v23, s[6:7], v20, v20, 1.0
	v_fma_f32 v14, -v19, v16, 1.0
	v_fmac_f32_e32 v16, v14, v16
	v_mul_f32_e32 v14, v15, v16
	v_fma_f32 v24, -v19, v14, v15
	v_fmac_f32_e32 v14, v24, v16
	v_div_scale_f32 v24, s[6:7], 1.0, v20, 1.0
	v_rcp_f32_e32 v25, v22
	v_fma_f32 v15, -v19, v14, v15
	s_mov_b64 vcc, s[0:1]
	v_div_fmas_f32 v14, v15, v16, v14
	v_fma_f32 v15, -v22, v25, 1.0
	v_fmac_f32_e32 v25, v15, v25
	v_mul_f32_e32 v15, v17, v25
	v_fma_f32 v16, -v22, v15, v17
	v_fmac_f32_e32 v15, v16, v25
	v_rcp_f32_e32 v16, v23
	v_fma_f32 v17, -v22, v15, v17
	s_mov_b64 vcc, s[2:3]
	v_div_fmas_f32 v15, v17, v25, v15
	v_fma_f32 v17, -v23, v16, 1.0
	v_fmac_f32_e32 v16, v17, v16
	v_mul_f32_e32 v17, v24, v16
	v_fma_f32 v19, -v23, v17, v24
	v_fmac_f32_e32 v17, v19, v16
	v_fma_f32 v19, -v23, v17, v24
	s_mov_b64 vcc, s[6:7]
	v_div_fmas_f32 v16, v19, v16, v17
	v_mov_b32_e32 v17, 0x3d088889
	s_mov_b32 s0, 0x3e2aaaab
	v_div_fixup_f32 v4, v6, v4, 1.0
	v_add_f32_e32 v3, v3, v4
	v_div_fixup_f32 v1, v8, v1, 1.0
	v_add_f32_e32 v1, v3, v1
	v_div_fixup_f32 v3, v10, v5, 1.0
	v_div_fixup_f32 v15, v15, v21, 1.0
	v_fmac_f32_e32 v17, 0xbcc30c31, v15
	v_fma_f32 v17, -v15, v17, s0
	v_add_f32_e32 v1, v1, v3
	v_div_fixup_f32 v3, v12, v7, 1.0
	v_add_f32_e32 v1, v1, v3
	v_div_fixup_f32 v3, v11, v9, 1.0
	;; [unrolled: 2-line block ×3, first 2 shown]
	v_add_f32_e32 v16, 1.0, v16
	v_fmac_f32_e32 v16, v15, v17
	v_div_scale_f32 v15, s[0:1], v13, v13, v16
	v_div_scale_f32 v17, vcc, v16, v13, v16
	v_div_fixup_f32 v3, v14, v18, 1.0
	v_add_f32_e32 v1, v1, v3
	s_movk_i32 s0, 0x7fff
	v_rcp_f32_e32 v19, v15
	v_fma_f32 v20, -v15, v19, 1.0
	v_fmac_f32_e32 v19, v20, v19
	v_mul_f32_e32 v20, v17, v19
	v_fma_f32 v21, -v15, v20, v17
	v_fmac_f32_e32 v20, v21, v19
	v_fma_f32 v15, -v15, v20, v17
	v_div_fmas_f32 v15, v15, v19, v20
	v_div_fixup_f32 v3, v15, v13, v16
	v_add_f32_e32 v1, v1, v3
	v_mul_f32_e32 v1, v2, v1
	v_bfe_u32 v2, v1, 16, 1
	v_add3_u32 v2, v1, v2, s0
	v_cmp_o_f32_e32 vcc, v1, v1
	v_mov_b32_e32 v1, 0x7fc0
	v_cndmask_b32_sdwa v3, v1, v2, vcc dst_sel:DWORD dst_unused:UNUSED_PAD src0_sel:DWORD src1_sel:WORD_1
	s_waitcnt lgkmcnt(0)
	v_mov_b32_e32 v2, s25
	v_add_co_u32_e32 v1, vcc, s24, v0
	v_addc_co_u32_e32 v2, vcc, 0, v2, vcc
	s_cbranch_scc1 .LBB77_1010
; %bb.991:
	s_and_b32 s17, 0xffff, s16
	s_mov_b64 s[6:7], -1
	s_cmp_gt_i32 s17, 25
	s_mov_b64 s[0:1], s[54:55]
	s_cbranch_scc0 .LBB77_1028
; %bb.992:
	s_mov_b64 s[2:3], -1
	s_cmp_gt_i32 s17, 28
	s_mov_b64 s[0:1], s[54:55]
	s_cbranch_scc0 .LBB77_1012
; %bb.993:
	s_cmp_gt_i32 s17, 43
	s_mov_b64 s[0:1], s[54:55]
	s_cbranch_scc0 .LBB77_1004
; %bb.994:
	;; [unrolled: 4-line block ×3, first 2 shown]
	s_cmp_eq_u32 s17, 46
	s_mov_b64 s[0:1], -1
	s_cbranch_scc0 .LBB77_997
; %bb.996:
	v_and_b32_e32 v0, 0xffff, v3
	global_store_dword v[1:2], v0, off
	s_mov_b64 s[0:1], 0
.LBB77_997:
	s_mov_b64 s[2:3], 0
.LBB77_998:
	s_and_b64 vcc, exec, s[2:3]
	s_cbranch_vccz .LBB77_1003
; %bb.999:
	s_cmp_eq_u32 s17, 44
	s_mov_b64 s[0:1], -1
	s_cbranch_scc0 .LBB77_1003
; %bb.1000:
	v_and_b32_e32 v4, 0xffff, v3
	v_bfe_u32 v0, v4, 7, 8
	s_movk_i32 s0, 0xff
	v_cmp_ne_u32_e32 vcc, s0, v0
	v_mov_b32_e32 v5, 0xff
	s_and_saveexec_b64 s[2:3], vcc
	s_cbranch_execz .LBB77_1002
; %bb.1001:
	v_lshlrev_b32_e32 v6, 16, v4
	s_mov_b32 s0, 0x3f0000
	v_lshrrev_b32_e32 v5, 7, v4
	v_and_b32_e32 v4, 64, v4
	v_and_or_b32 v0, v6, s0, v0
	v_cmp_ne_u32_e32 vcc, 0, v4
	v_cmp_ne_u32_e64 s[0:1], 0, v0
	s_and_b64 s[0:1], vcc, s[0:1]
	v_cndmask_b32_e64 v0, 0, 1, s[0:1]
	v_add_u32_e32 v5, v5, v0
.LBB77_1002:
	s_or_b64 exec, exec, s[2:3]
	s_mov_b64 s[0:1], 0
	global_store_byte v[1:2], v5, off
.LBB77_1003:
	s_mov_b64 s[2:3], 0
.LBB77_1004:
	s_and_b64 vcc, exec, s[2:3]
	s_cbranch_vccz .LBB77_1011
; %bb.1005:
	s_cmp_eq_u32 s17, 29
	s_mov_b64 s[0:1], -1
	s_cbranch_scc0 .LBB77_1011
; %bb.1006:
	v_lshlrev_b32_e32 v0, 16, v3
	v_trunc_f32_e32 v0, v0
	v_mul_f32_e32 v4, 0x2f800000, v0
	v_floor_f32_e32 v4, v4
	v_fmac_f32_e32 v0, 0xcf800000, v4
	v_cvt_u32_f32_e32 v5, v4
	v_cvt_u32_f32_e32 v4, v0
	s_mov_b64 s[0:1], 0
	s_mov_b64 s[2:3], 0
	global_store_dwordx2 v[1:2], v[4:5], off
	s_branch .LBB77_1012
.LBB77_1007:
	s_or_b64 exec, exec, s[10:11]
	s_and_saveexec_b64 s[0:1], s[54:55]
	s_cbranch_execnz .LBB77_1070
.LBB77_1008:
	s_or_b64 exec, exec, s[0:1]
	s_and_saveexec_b64 s[0:1], s[6:7]
	s_xor_b64 s[0:1], exec, s[0:1]
	s_cbranch_execz .LBB77_1071
.LBB77_1009:
	s_waitcnt vmcnt(0)
	v_and_b32_e32 v0, 0x7fff, v3
	v_cmp_ne_u16_e32 vcc, 0, v0
	v_cndmask_b32_e64 v0, 0, 1, vcc
	global_store_byte v[1:2], v0, off
	s_or_b64 exec, exec, s[0:1]
	s_and_saveexec_b64 s[0:1], s[2:3]
	s_xor_b64 s[0:1], exec, s[0:1]
	s_cbranch_execz .LBB77_1109
	s_branch .LBB77_1072
.LBB77_1010:
	s_mov_b64 s[6:7], 0
	s_mov_b64 s[2:3], -1
	s_mov_b64 s[0:1], s[54:55]
	s_branch .LBB77_1069
.LBB77_1011:
	s_mov_b64 s[2:3], 0
.LBB77_1012:
	s_and_b64 vcc, exec, s[2:3]
	s_cbranch_vccz .LBB77_1027
; %bb.1013:
	s_cmp_lt_i32 s17, 27
	s_mov_b64 s[2:3], -1
	s_cbranch_scc1 .LBB77_1019
; %bb.1014:
	s_cmp_gt_i32 s17, 27
	s_cbranch_scc0 .LBB77_1016
; %bb.1015:
	v_lshlrev_b32_e32 v0, 16, v3
	v_cvt_u32_f32_e32 v0, v0
	s_mov_b64 s[2:3], 0
	global_store_dword v[1:2], v0, off
.LBB77_1016:
	s_andn2_b64 vcc, exec, s[2:3]
	s_cbranch_vccnz .LBB77_1018
; %bb.1017:
	v_lshlrev_b32_e32 v0, 16, v3
	v_cvt_u32_f32_e32 v0, v0
	global_store_short v[1:2], v0, off
.LBB77_1018:
	s_mov_b64 s[2:3], 0
.LBB77_1019:
	s_andn2_b64 vcc, exec, s[2:3]
	s_cbranch_vccnz .LBB77_1027
; %bb.1020:
	v_lshlrev_b32_e32 v5, 16, v3
	v_and_b32_e32 v4, 0x7fffffff, v5
	s_mov_b32 s2, 0x43800000
	v_cmp_gt_u32_e32 vcc, s2, v4
	v_mov_b32_e32 v6, 0x80
	s_and_saveexec_b64 s[2:3], vcc
	s_cbranch_execz .LBB77_1026
; %bb.1021:
	s_mov_b32 s6, 0x3bffffff
	v_and_b32_e32 v0, 0xffff, v3
	v_cmp_lt_u32_e32 vcc, s6, v4
	s_mov_b64 s[6:7], 0
                                        ; implicit-def: $vgpr4
	s_and_saveexec_b64 s[12:13], vcc
	s_xor_b64 s[12:13], exec, s[12:13]
	s_cbranch_execz .LBB77_1180
; %bb.1022:
	v_bfe_u32 v4, v0, 4, 1
	s_mov_b32 s14, 0x487ffff
	v_add3_u32 v4, v5, v4, s14
	s_mov_b64 s[6:7], exec
	v_lshrrev_b32_e32 v4, 20, v4
                                        ; implicit-def: $vgpr5
	s_andn2_saveexec_b64 s[12:13], s[12:13]
	s_cbranch_execnz .LBB77_1181
.LBB77_1023:
	s_or_b64 exec, exec, s[12:13]
	v_mov_b32_e32 v6, 0
	s_and_saveexec_b64 s[12:13], s[6:7]
.LBB77_1024:
	v_lshrrev_b32_e32 v0, 8, v0
	s_movk_i32 s6, 0x80
	v_and_or_b32 v6, v0, s6, v4
.LBB77_1025:
	s_or_b64 exec, exec, s[12:13]
.LBB77_1026:
	s_or_b64 exec, exec, s[2:3]
	global_store_byte v[1:2], v6, off
.LBB77_1027:
	s_mov_b64 s[6:7], 0
.LBB77_1028:
	s_mov_b64 s[2:3], 0
	s_and_b64 vcc, exec, s[6:7]
	s_cbranch_vccz .LBB77_1068
; %bb.1029:
	s_cmp_gt_i32 s17, 22
	s_mov_b64 s[6:7], -1
	s_cbranch_scc0 .LBB77_1061
; %bb.1030:
	s_cmp_lt_i32 s17, 24
	s_cbranch_scc1 .LBB77_1050
; %bb.1031:
	s_cmp_gt_i32 s17, 24
	s_cbranch_scc0 .LBB77_1039
; %bb.1032:
	v_lshlrev_b32_e32 v5, 16, v3
	v_and_b32_e32 v4, 0x7fffffff, v5
	s_mov_b32 s6, 0x47800000
	v_cmp_gt_u32_e32 vcc, s6, v4
	v_mov_b32_e32 v6, 0x80
	s_and_saveexec_b64 s[6:7], vcc
	s_cbranch_execz .LBB77_1038
; %bb.1033:
	s_mov_b32 s12, 0x37ffffff
	v_and_b32_e32 v0, 0xffff, v3
	v_cmp_lt_u32_e32 vcc, s12, v4
	s_mov_b64 s[12:13], 0
                                        ; implicit-def: $vgpr4
	s_and_saveexec_b64 s[14:15], vcc
	s_xor_b64 s[14:15], exec, s[14:15]
	s_cbranch_execz .LBB77_1311
; %bb.1034:
	v_bfe_u32 v4, v0, 5, 1
	s_mov_b32 s18, 0x88fffff
	v_add3_u32 v4, v5, v4, s18
	s_mov_b64 s[12:13], exec
	v_lshrrev_b32_e32 v4, 21, v4
                                        ; implicit-def: $vgpr5
	s_andn2_saveexec_b64 s[14:15], s[14:15]
	s_cbranch_execnz .LBB77_1312
.LBB77_1035:
	s_or_b64 exec, exec, s[14:15]
	v_mov_b32_e32 v6, 0
	s_and_saveexec_b64 s[14:15], s[12:13]
.LBB77_1036:
	v_lshrrev_b32_e32 v0, 8, v0
	s_movk_i32 s12, 0x80
	v_and_or_b32 v6, v0, s12, v4
.LBB77_1037:
	s_or_b64 exec, exec, s[14:15]
.LBB77_1038:
	s_or_b64 exec, exec, s[6:7]
	s_mov_b64 s[6:7], 0
	global_store_byte v[1:2], v6, off
.LBB77_1039:
	s_and_b64 vcc, exec, s[6:7]
	s_cbranch_vccz .LBB77_1049
; %bb.1040:
	v_lshlrev_b32_e32 v5, 16, v3
	v_and_b32_e32 v6, 0x7fffffff, v5
	s_mov_b32 s6, 0x43f00000
	v_and_b32_e32 v0, 0xffff, v3
	v_cmp_gt_u32_e32 vcc, s6, v6
                                        ; implicit-def: $vgpr4
	s_and_saveexec_b64 s[6:7], vcc
	s_xor_b64 s[6:7], exec, s[6:7]
	s_cbranch_execz .LBB77_1046
; %bb.1041:
	s_mov_b32 s12, 0x3c7fffff
	v_cmp_lt_u32_e32 vcc, s12, v6
                                        ; implicit-def: $vgpr4
	s_and_saveexec_b64 s[12:13], vcc
	s_xor_b64 s[12:13], exec, s[12:13]
; %bb.1042:
	v_bfe_u32 v4, v0, 4, 1
	s_mov_b32 s14, 0x407ffff
	v_add3_u32 v4, v5, v4, s14
	v_lshrrev_b32_e32 v5, 20, v4
	v_and_b32_e32 v4, 0xff00000, v4
	s_mov_b32 s14, 0x7f00000
	v_mov_b32_e32 v6, 0x7e
	v_cmp_ne_u32_e32 vcc, s14, v4
	v_cndmask_b32_e32 v4, v6, v5, vcc
                                        ; implicit-def: $vgpr5
; %bb.1043:
	s_andn2_saveexec_b64 s[12:13], s[12:13]
; %bb.1044:
	s_mov_b32 s14, 0x46800000
	v_add_f32_e64 v4, |v5|, s14
; %bb.1045:
	s_or_b64 exec, exec, s[12:13]
                                        ; implicit-def: $vgpr6
.LBB77_1046:
	s_andn2_saveexec_b64 s[6:7], s[6:7]
; %bb.1047:
	s_mov_b32 s12, 0x7f800000
	v_mov_b32_e32 v4, 0x7e
	v_mov_b32_e32 v5, 0x7f
	v_cmp_lt_u32_e32 vcc, s12, v6
	v_cndmask_b32_e32 v4, v4, v5, vcc
; %bb.1048:
	s_or_b64 exec, exec, s[6:7]
	v_lshrrev_b32_e32 v0, 8, v0
	s_movk_i32 s6, 0x80
	v_and_or_b32 v0, v0, s6, v4
	global_store_byte v[1:2], v0, off
.LBB77_1049:
	s_mov_b64 s[6:7], 0
.LBB77_1050:
	s_andn2_b64 vcc, exec, s[6:7]
	s_cbranch_vccnz .LBB77_1060
; %bb.1051:
	v_lshlrev_b32_e32 v5, 16, v3
	v_and_b32_e32 v6, 0x7fffffff, v5
	s_mov_b32 s6, 0x47800000
	v_and_b32_e32 v0, 0xffff, v3
	v_cmp_gt_u32_e32 vcc, s6, v6
                                        ; implicit-def: $vgpr4
	s_and_saveexec_b64 s[6:7], vcc
	s_xor_b64 s[6:7], exec, s[6:7]
	s_cbranch_execz .LBB77_1057
; %bb.1052:
	s_mov_b32 s12, 0x387fffff
	v_cmp_lt_u32_e32 vcc, s12, v6
                                        ; implicit-def: $vgpr4
	s_and_saveexec_b64 s[12:13], vcc
	s_xor_b64 s[12:13], exec, s[12:13]
; %bb.1053:
	v_bfe_u32 v4, v0, 5, 1
	s_mov_b32 s14, 0x80fffff
	v_add3_u32 v4, v5, v4, s14
	v_lshrrev_b32_e32 v4, 21, v4
                                        ; implicit-def: $vgpr5
; %bb.1054:
	s_andn2_saveexec_b64 s[12:13], s[12:13]
; %bb.1055:
	s_mov_b32 s14, 0x43000000
	v_add_f32_e64 v4, |v5|, s14
; %bb.1056:
	s_or_b64 exec, exec, s[12:13]
                                        ; implicit-def: $vgpr6
.LBB77_1057:
	s_andn2_saveexec_b64 s[6:7], s[6:7]
; %bb.1058:
	s_mov_b32 s12, 0x7f800000
	v_mov_b32_e32 v4, 0x7c
	v_mov_b32_e32 v5, 0x7f
	v_cmp_lt_u32_e32 vcc, s12, v6
	v_cndmask_b32_e32 v4, v4, v5, vcc
; %bb.1059:
	s_or_b64 exec, exec, s[6:7]
	v_lshrrev_b32_e32 v0, 8, v0
	s_movk_i32 s6, 0x80
	v_and_or_b32 v0, v0, s6, v4
	global_store_byte v[1:2], v0, off
.LBB77_1060:
	s_mov_b64 s[6:7], 0
.LBB77_1061:
	s_andn2_b64 vcc, exec, s[6:7]
	s_mov_b64 s[6:7], 0
	s_cbranch_vccnz .LBB77_1069
; %bb.1062:
	s_cmp_gt_i32 s17, 14
	s_mov_b64 s[12:13], -1
	s_cbranch_scc0 .LBB77_1066
; %bb.1063:
	s_cmp_eq_u32 s17, 15
	s_mov_b64 s[0:1], -1
	s_cbranch_scc0 .LBB77_1065
; %bb.1064:
	global_store_short v[1:2], v3, off
	s_mov_b64 s[0:1], 0
.LBB77_1065:
	s_mov_b64 s[12:13], 0
.LBB77_1066:
	s_and_b64 vcc, exec, s[12:13]
	s_cbranch_vccz .LBB77_1069
; %bb.1067:
	s_cmp_lg_u32 s17, 11
	s_cselect_b64 s[12:13], -1, 0
	s_andn2_b64 s[0:1], s[0:1], exec
	s_and_b64 s[12:13], s[12:13], exec
	s_mov_b64 s[6:7], -1
	s_or_b64 s[0:1], s[0:1], s[12:13]
	s_branch .LBB77_1069
.LBB77_1068:
	s_mov_b64 s[6:7], 0
.LBB77_1069:
	s_andn2_b64 s[12:13], s[54:55], exec
	s_and_b64 s[0:1], s[0:1], exec
	s_and_b64 s[2:3], s[2:3], exec
	;; [unrolled: 1-line block ×3, first 2 shown]
	s_or_b64 s[54:55], s[12:13], s[0:1]
	s_or_b64 exec, exec, s[10:11]
	s_and_saveexec_b64 s[0:1], s[54:55]
	s_cbranch_execz .LBB77_1008
.LBB77_1070:
	s_or_b64 s[8:9], s[8:9], exec
	s_andn2_b64 s[6:7], s[6:7], exec
	s_trap 2
	s_or_b64 exec, exec, s[0:1]
	s_and_saveexec_b64 s[0:1], s[6:7]
	s_xor_b64 s[0:1], exec, s[0:1]
	s_cbranch_execnz .LBB77_1009
.LBB77_1071:
	s_or_b64 exec, exec, s[0:1]
	s_and_saveexec_b64 s[0:1], s[2:3]
	s_xor_b64 s[0:1], exec, s[0:1]
	s_cbranch_execz .LBB77_1109
.LBB77_1072:
	s_sext_i32_i16 s6, s16
	s_cmp_lt_i32 s6, 5
	s_mov_b64 s[2:3], -1
	s_cbranch_scc1 .LBB77_1093
; %bb.1073:
	s_cmp_lt_i32 s6, 8
	s_cbranch_scc1 .LBB77_1083
; %bb.1074:
	s_cmp_lt_i32 s6, 9
	s_cbranch_scc1 .LBB77_1080
; %bb.1075:
	s_cmp_gt_i32 s6, 9
	s_cbranch_scc0 .LBB77_1077
; %bb.1076:
	s_waitcnt vmcnt(0)
	v_lshlrev_b32_e32 v0, 16, v3
	v_cvt_f64_f32_e32 v[4:5], v0
	v_mov_b32_e32 v6, 0
	v_mov_b32_e32 v7, v6
	s_mov_b64 s[2:3], 0
	global_store_dwordx4 v[1:2], v[4:7], off
.LBB77_1077:
	s_andn2_b64 vcc, exec, s[2:3]
	s_cbranch_vccnz .LBB77_1079
; %bb.1078:
	s_waitcnt vmcnt(0)
	v_lshlrev_b32_e32 v4, 16, v3
	v_mov_b32_e32 v5, 0
	global_store_dwordx2 v[1:2], v[4:5], off
.LBB77_1079:
	s_mov_b64 s[2:3], 0
.LBB77_1080:
	s_andn2_b64 vcc, exec, s[2:3]
	s_cbranch_vccnz .LBB77_1082
; %bb.1081:
	s_waitcnt vmcnt(0)
	v_lshlrev_b32_e32 v0, 16, v3
	v_cvt_f16_f32_e32 v0, v0
	global_store_dword v[1:2], v0, off
.LBB77_1082:
	s_mov_b64 s[2:3], 0
.LBB77_1083:
	s_andn2_b64 vcc, exec, s[2:3]
	s_cbranch_vccnz .LBB77_1092
; %bb.1084:
	s_sext_i32_i16 s6, s16
	s_cmp_lt_i32 s6, 6
	s_mov_b64 s[2:3], -1
	s_cbranch_scc1 .LBB77_1090
; %bb.1085:
	s_cmp_gt_i32 s6, 6
	s_cbranch_scc0 .LBB77_1087
; %bb.1086:
	s_waitcnt vmcnt(0)
	v_lshlrev_b32_e32 v0, 16, v3
	v_cvt_f64_f32_e32 v[4:5], v0
	s_mov_b64 s[2:3], 0
	global_store_dwordx2 v[1:2], v[4:5], off
.LBB77_1087:
	s_andn2_b64 vcc, exec, s[2:3]
	s_cbranch_vccnz .LBB77_1089
; %bb.1088:
	s_waitcnt vmcnt(0)
	v_lshlrev_b32_e32 v0, 16, v3
	global_store_dword v[1:2], v0, off
.LBB77_1089:
	s_mov_b64 s[2:3], 0
.LBB77_1090:
	s_andn2_b64 vcc, exec, s[2:3]
	s_cbranch_vccnz .LBB77_1092
; %bb.1091:
	s_waitcnt vmcnt(0)
	v_lshlrev_b32_e32 v0, 16, v3
	v_cvt_f16_f32_e32 v0, v0
	global_store_short v[1:2], v0, off
.LBB77_1092:
	s_mov_b64 s[2:3], 0
.LBB77_1093:
	s_andn2_b64 vcc, exec, s[2:3]
	s_cbranch_vccnz .LBB77_1109
; %bb.1094:
	s_sext_i32_i16 s6, s16
	s_cmp_lt_i32 s6, 2
	s_mov_b64 s[2:3], -1
	s_cbranch_scc1 .LBB77_1104
; %bb.1095:
	s_cmp_lt_i32 s6, 3
	s_cbranch_scc1 .LBB77_1101
; %bb.1096:
	s_cmp_gt_i32 s6, 3
	s_cbranch_scc0 .LBB77_1098
; %bb.1097:
	s_waitcnt vmcnt(0)
	v_lshlrev_b32_e32 v0, 16, v3
	v_trunc_f32_e32 v0, v0
	s_mov_b32 s2, 0x2f800000
	v_mul_f32_e64 v4, |v0|, s2
	v_floor_f32_e32 v4, v4
	s_mov_b32 s2, 0xcf800000
	v_cvt_u32_f32_e32 v5, v4
	v_fma_f32 v4, v4, s2, |v0|
	v_cvt_u32_f32_e32 v4, v4
	v_ashrrev_i32_e32 v0, 31, v0
	v_xor_b32_e32 v5, v5, v0
	s_mov_b64 s[2:3], 0
	v_xor_b32_e32 v4, v4, v0
	v_sub_co_u32_e32 v4, vcc, v4, v0
	v_subb_co_u32_e32 v5, vcc, v5, v0, vcc
	global_store_dwordx2 v[1:2], v[4:5], off
.LBB77_1098:
	s_andn2_b64 vcc, exec, s[2:3]
	s_cbranch_vccnz .LBB77_1100
; %bb.1099:
	s_waitcnt vmcnt(0)
	v_lshlrev_b32_e32 v0, 16, v3
	v_cvt_i32_f32_e32 v0, v0
	global_store_dword v[1:2], v0, off
.LBB77_1100:
	s_mov_b64 s[2:3], 0
.LBB77_1101:
	s_andn2_b64 vcc, exec, s[2:3]
	s_cbranch_vccnz .LBB77_1103
; %bb.1102:
	s_waitcnt vmcnt(0)
	v_lshlrev_b32_e32 v0, 16, v3
	v_cvt_i32_f32_e32 v0, v0
	global_store_short v[1:2], v0, off
.LBB77_1103:
	s_mov_b64 s[2:3], 0
.LBB77_1104:
	s_andn2_b64 vcc, exec, s[2:3]
	s_cbranch_vccnz .LBB77_1109
; %bb.1105:
	s_sext_i32_i16 s2, s16
	s_cmp_gt_i32 s2, 0
	s_mov_b64 s[2:3], -1
	s_cbranch_scc0 .LBB77_1107
; %bb.1106:
	s_waitcnt vmcnt(0)
	v_lshlrev_b32_e32 v0, 16, v3
	v_cvt_i32_f32_e32 v0, v0
	s_mov_b64 s[2:3], 0
	global_store_byte v[1:2], v0, off
.LBB77_1107:
	s_andn2_b64 vcc, exec, s[2:3]
	s_cbranch_vccnz .LBB77_1109
; %bb.1108:
	s_waitcnt vmcnt(0)
	v_lshlrev_b32_e32 v0, 16, v3
	v_trunc_f32_e32 v0, v0
	s_mov_b32 s2, 0x2f800000
	v_mul_f32_e64 v3, |v0|, s2
	v_floor_f32_e32 v3, v3
	s_mov_b32 s2, 0xcf800000
	v_fma_f32 v3, v3, s2, |v0|
	v_cvt_u32_f32_e32 v3, v3
	v_ashrrev_i32_e32 v0, 31, v0
	v_xor_b32_e32 v3, v3, v0
	v_sub_u32_e32 v0, v3, v0
	global_store_byte v[1:2], v0, off
.LBB77_1109:
	s_or_b64 exec, exec, s[0:1]
	s_and_b64 s[6:7], s[8:9], exec
                                        ; implicit-def: $vgpr15
                                        ; implicit-def: $vgpr8
.LBB77_1110:
	s_waitcnt lgkmcnt(0)
	s_or_saveexec_b64 s[28:29], s[44:45]
	s_mov_b64 s[0:1], 0
                                        ; implicit-def: $vgpr0_vgpr1
                                        ; implicit-def: $sgpr16
                                        ; implicit-def: $vgpr2
	s_xor_b64 exec, exec, s[28:29]
	s_cbranch_execz .LBB77_2138
; %bb.1111:
	v_cndmask_b32_e64 v0, 0, 1, s[42:43]
	v_cmp_ne_u32_e64 s[0:1], 1, v0
	s_andn2_b64 vcc, exec, s[42:43]
	s_cbranch_vccnz .LBB77_1117
; %bb.1112:
	s_cmp_lg_u32 s33, 0
	s_mov_b32 s36, 0
	s_cbranch_scc0 .LBB77_1118
; %bb.1113:
	s_min_u32 s37, s72, 15
	s_add_i32 s37, s37, 1
	s_cmp_eq_u32 s72, 2
	s_cbranch_scc1 .LBB77_1119
; %bb.1114:
	s_and_b32 s36, s37, 28
	s_add_u32 s2, s34, 0xc4
	s_addc_u32 s3, s35, 0
	v_mov_b32_e32 v13, 0
	s_mov_b32 s38, 0
	s_mov_b64 s[30:31], s[34:35]
	v_mov_b32_e32 v6, 0
	v_mov_b32_e32 v0, v8
.LBB77_1115:                            ; =>This Inner Loop Header: Depth=1
	s_load_dwordx8 s[16:23], s[30:31], 0x4
	s_load_dwordx4 s[24:27], s[30:31], 0x24
	s_load_dwordx8 s[8:15], s[2:3], 0x0
	s_add_u32 s30, s30, 48
	s_addc_u32 s31, s31, 0
	s_waitcnt lgkmcnt(0)
	v_mul_hi_u32 v1, s17, v0
	s_add_i32 s38, s38, 4
	s_add_u32 s2, s2, 32
	s_addc_u32 s3, s3, 0
	v_add_u32_e32 v1, v0, v1
	v_lshrrev_b32_e32 v1, s18, v1
	v_mul_lo_u32 v2, v1, s16
	s_waitcnt vmcnt(0)
	v_mul_hi_u32 v3, s20, v1
	s_cmp_lg_u32 s36, s38
	v_sub_u32_e32 v0, v0, v2
	v_add_u32_e32 v2, v1, v3
	v_mul_lo_u32 v3, v0, s8
	v_mul_lo_u32 v4, v0, s9
	v_lshrrev_b32_e32 v0, s21, v2
	v_mul_lo_u32 v2, v0, s19
	v_mul_hi_u32 v5, s23, v0
	v_sub_u32_e32 v1, v1, v2
	v_add_u32_e32 v2, v0, v5
	v_lshrrev_b32_e32 v2, s24, v2
	v_mul_hi_u32 v7, s26, v2
	v_mul_lo_u32 v9, v2, s22
	v_mul_lo_u32 v5, v1, s10
	;; [unrolled: 1-line block ×3, first 2 shown]
	v_sub_u32_e32 v9, v0, v9
	v_add_u32_e32 v0, v2, v7
	v_lshrrev_b32_e32 v0, s27, v0
	v_mul_lo_u32 v7, v0, s25
	v_mul_lo_u32 v10, v9, s12
	;; [unrolled: 1-line block ×3, first 2 shown]
	v_add3_u32 v3, v3, v6, v5
	v_sub_u32_e32 v2, v2, v7
	v_mul_lo_u32 v7, v2, s14
	v_mul_lo_u32 v2, v2, s15
	v_add3_u32 v1, v4, v13, v1
	v_add3_u32 v6, v10, v3, v7
	;; [unrolled: 1-line block ×3, first 2 shown]
	s_cbranch_scc1 .LBB77_1115
; %bb.1116:
	s_and_b32 s10, s37, 3
	s_cmp_eq_u32 s10, 0
	s_cbranch_scc0 .LBB77_1120
	s_branch .LBB77_1122
.LBB77_1117:
                                        ; implicit-def: $vgpr6
                                        ; implicit-def: $vgpr13
	s_branch .LBB77_1123
.LBB77_1118:
	v_mov_b32_e32 v6, 0
	v_mov_b32_e32 v13, 0
	s_branch .LBB77_1122
.LBB77_1119:
	v_mov_b32_e32 v6, 0
	v_mov_b32_e32 v13, 0
	;; [unrolled: 1-line block ×3, first 2 shown]
	s_and_b32 s10, s37, 3
	s_cmp_eq_u32 s10, 0
	s_cbranch_scc1 .LBB77_1122
.LBB77_1120:
	s_lshl_b32 s2, s36, 3
	s_add_u32 s2, s34, s2
	s_addc_u32 s3, s35, 0
	s_add_u32 s2, s2, 0xc4
	s_addc_u32 s3, s3, 0
	s_mul_i32 s8, s36, 12
	s_add_u32 s8, s34, s8
	s_addc_u32 s9, s35, 0
.LBB77_1121:                            ; =>This Inner Loop Header: Depth=1
	s_load_dwordx2 s[12:13], s[8:9], 0x4
	s_load_dword s11, s[8:9], 0xc
	s_load_dwordx2 s[14:15], s[2:3], 0x0
	s_add_u32 s8, s8, 12
	s_addc_u32 s9, s9, 0
	s_waitcnt lgkmcnt(0)
	v_mul_hi_u32 v1, s13, v0
	s_add_u32 s2, s2, 8
	s_addc_u32 s3, s3, 0
	s_add_i32 s10, s10, -1
	v_add_u32_e32 v1, v0, v1
	v_lshrrev_b32_e32 v1, s11, v1
	v_mul_lo_u32 v2, v1, s12
	s_cmp_lg_u32 s10, 0
	v_sub_u32_e32 v0, v0, v2
	v_mad_u64_u32 v[6:7], s[12:13], v0, s14, v[6:7]
	v_mad_u64_u32 v[13:14], s[12:13], v0, s15, v[13:14]
	v_mov_b32_e32 v0, v1
	s_cbranch_scc1 .LBB77_1121
.LBB77_1122:
	s_cbranch_execnz .LBB77_1125
.LBB77_1123:
	s_load_dwordx4 s[8:11], s[34:35], 0x4
	s_load_dwordx2 s[2:3], s[34:35], 0xc4
	s_cmp_lt_u32 s33, 2
	s_waitcnt lgkmcnt(0)
	v_mul_hi_u32 v0, s9, v8
	v_add_u32_e32 v0, v8, v0
	v_lshrrev_b32_e32 v0, s10, v0
	v_mul_lo_u32 v1, v0, s8
	v_sub_u32_e32 v1, v8, v1
	v_mul_lo_u32 v6, v1, s2
	v_mul_lo_u32 v13, v1, s3
	s_cbranch_scc1 .LBB77_1125
; %bb.1124:
	s_load_dwordx4 s[8:11], s[34:35], 0x10
	s_load_dwordx2 s[2:3], s[34:35], 0xcc
	s_waitcnt lgkmcnt(0)
	v_mul_hi_u32 v1, s9, v0
	v_add_u32_e32 v1, v0, v1
	v_lshrrev_b32_e32 v1, s10, v1
	v_mul_lo_u32 v1, v1, s8
	v_sub_u32_e32 v0, v0, v1
	v_mad_u64_u32 v[6:7], s[8:9], v0, s2, v[6:7]
	v_mad_u64_u32 v[13:14], s[2:3], v0, s3, v[13:14]
.LBB77_1125:
	s_and_b64 vcc, exec, s[0:1]
	v_add_u32_e32 v0, 0x80, v8
	s_cbranch_vccnz .LBB77_1131
; %bb.1126:
	s_cmp_lg_u32 s33, 0
	s_mov_b32 s36, 0
	s_cbranch_scc0 .LBB77_1132
; %bb.1127:
	s_min_u32 s37, s72, 15
	s_add_i32 s37, s37, 1
	s_cmp_eq_u32 s72, 2
	s_cbranch_scc1 .LBB77_1133
; %bb.1128:
	s_and_b32 s36, s37, 28
	s_add_u32 s2, s34, 0xc4
	s_addc_u32 s3, s35, 0
	v_mov_b32_e32 v11, 0
	s_mov_b32 s38, 0
	s_mov_b64 s[30:31], s[34:35]
	s_waitcnt vmcnt(0)
	v_mov_b32_e32 v4, 0
	v_mov_b32_e32 v1, v0
.LBB77_1129:                            ; =>This Inner Loop Header: Depth=1
	s_load_dwordx8 s[16:23], s[30:31], 0x4
	s_load_dwordx4 s[24:27], s[30:31], 0x24
	s_load_dwordx8 s[8:15], s[2:3], 0x0
	s_add_u32 s30, s30, 48
	s_addc_u32 s31, s31, 0
	s_waitcnt lgkmcnt(0)
	v_mul_hi_u32 v2, s17, v1
	s_add_i32 s38, s38, 4
	s_add_u32 s2, s2, 32
	s_addc_u32 s3, s3, 0
	v_add_u32_e32 v2, v1, v2
	v_lshrrev_b32_e32 v2, s18, v2
	v_mul_lo_u32 v3, v2, s16
	v_mul_hi_u32 v5, s20, v2
	s_cmp_lg_u32 s36, s38
	v_sub_u32_e32 v1, v1, v3
	v_add_u32_e32 v3, v2, v5
	v_mul_lo_u32 v5, v1, s8
	v_mul_lo_u32 v7, v1, s9
	v_lshrrev_b32_e32 v1, s21, v3
	v_mul_lo_u32 v3, v1, s19
	v_mul_hi_u32 v9, s23, v1
	v_sub_u32_e32 v2, v2, v3
	v_add_u32_e32 v3, v1, v9
	v_lshrrev_b32_e32 v3, s24, v3
	v_mul_hi_u32 v10, s26, v3
	v_mul_lo_u32 v12, v3, s22
	v_mul_lo_u32 v9, v2, s10
	;; [unrolled: 1-line block ×3, first 2 shown]
	v_sub_u32_e32 v12, v1, v12
	v_add_u32_e32 v1, v3, v10
	v_lshrrev_b32_e32 v1, s27, v1
	v_mul_lo_u32 v10, v1, s25
	v_mul_lo_u32 v14, v12, s12
	;; [unrolled: 1-line block ×3, first 2 shown]
	v_add3_u32 v4, v5, v4, v9
	v_sub_u32_e32 v3, v3, v10
	v_mul_lo_u32 v10, v3, s14
	v_mul_lo_u32 v3, v3, s15
	v_add3_u32 v2, v7, v11, v2
	v_add3_u32 v4, v14, v4, v10
	;; [unrolled: 1-line block ×3, first 2 shown]
	s_cbranch_scc1 .LBB77_1129
; %bb.1130:
	s_and_b32 s10, s37, 3
	s_cmp_eq_u32 s10, 0
	s_cbranch_scc0 .LBB77_1134
	s_branch .LBB77_1136
.LBB77_1131:
                                        ; implicit-def: $vgpr4
                                        ; implicit-def: $vgpr11
	s_branch .LBB77_1137
.LBB77_1132:
	s_waitcnt vmcnt(0)
	v_mov_b32_e32 v4, 0
	v_mov_b32_e32 v11, 0
	s_branch .LBB77_1136
.LBB77_1133:
	s_waitcnt vmcnt(0)
	v_mov_b32_e32 v4, 0
	v_mov_b32_e32 v11, 0
	;; [unrolled: 1-line block ×3, first 2 shown]
	s_and_b32 s10, s37, 3
	s_cmp_eq_u32 s10, 0
	s_cbranch_scc1 .LBB77_1136
.LBB77_1134:
	s_lshl_b32 s2, s36, 3
	s_add_u32 s2, s34, s2
	s_addc_u32 s3, s35, 0
	s_add_u32 s2, s2, 0xc4
	s_addc_u32 s3, s3, 0
	s_mul_i32 s8, s36, 12
	s_add_u32 s8, s34, s8
	s_addc_u32 s9, s35, 0
.LBB77_1135:                            ; =>This Inner Loop Header: Depth=1
	s_load_dwordx2 s[12:13], s[8:9], 0x4
	s_load_dword s11, s[8:9], 0xc
	s_load_dwordx2 s[14:15], s[2:3], 0x0
	s_add_u32 s8, s8, 12
	s_addc_u32 s9, s9, 0
	s_waitcnt lgkmcnt(0)
	v_mul_hi_u32 v2, s13, v1
	s_add_u32 s2, s2, 8
	s_addc_u32 s3, s3, 0
	s_add_i32 s10, s10, -1
	v_add_u32_e32 v2, v1, v2
	v_lshrrev_b32_e32 v2, s11, v2
	v_mul_lo_u32 v3, v2, s12
	s_cmp_lg_u32 s10, 0
	v_sub_u32_e32 v1, v1, v3
	v_mad_u64_u32 v[4:5], s[12:13], v1, s14, v[4:5]
	v_mad_u64_u32 v[11:12], s[12:13], v1, s15, v[11:12]
	v_mov_b32_e32 v1, v2
	s_cbranch_scc1 .LBB77_1135
.LBB77_1136:
	s_cbranch_execnz .LBB77_1139
.LBB77_1137:
	s_load_dwordx4 s[8:11], s[34:35], 0x4
	s_load_dwordx2 s[2:3], s[34:35], 0xc4
	s_cmp_lt_u32 s33, 2
	s_waitcnt lgkmcnt(0)
	v_mul_hi_u32 v1, s9, v0
	v_add_u32_e32 v1, v0, v1
	v_lshrrev_b32_e32 v1, s10, v1
	v_mul_lo_u32 v2, v1, s8
	v_sub_u32_e32 v0, v0, v2
	s_waitcnt vmcnt(0)
	v_mul_lo_u32 v4, v0, s2
	v_mul_lo_u32 v11, v0, s3
	s_cbranch_scc1 .LBB77_1139
; %bb.1138:
	s_load_dwordx4 s[8:11], s[34:35], 0x10
	s_load_dwordx2 s[2:3], s[34:35], 0xcc
	s_waitcnt lgkmcnt(0)
	v_mul_hi_u32 v0, s9, v1
	v_add_u32_e32 v0, v1, v0
	v_lshrrev_b32_e32 v0, s10, v0
	v_mul_lo_u32 v0, v0, s8
	v_sub_u32_e32 v0, v1, v0
	v_mad_u64_u32 v[4:5], s[8:9], v0, s2, v[4:5]
	v_mad_u64_u32 v[11:12], s[2:3], v0, s3, v[11:12]
.LBB77_1139:
	s_and_b64 vcc, exec, s[0:1]
	v_add_u32_e32 v0, 0x100, v8
	s_cbranch_vccnz .LBB77_1145
; %bb.1140:
	s_cmp_lg_u32 s33, 0
	s_mov_b32 s36, 0
	s_cbranch_scc0 .LBB77_1146
; %bb.1141:
	s_min_u32 s37, s72, 15
	s_add_i32 s37, s37, 1
	s_cmp_eq_u32 s72, 2
	s_cbranch_scc1 .LBB77_1147
; %bb.1142:
	s_and_b32 s36, s37, 28
	s_add_u32 s2, s34, 0xc4
	s_addc_u32 s3, s35, 0
	v_mov_b32_e32 v9, 0
	s_mov_b32 s38, 0
	s_mov_b64 s[30:31], s[34:35]
	v_mov_b32_e32 v2, 0
	v_mov_b32_e32 v1, v0
.LBB77_1143:                            ; =>This Inner Loop Header: Depth=1
	s_load_dwordx8 s[16:23], s[30:31], 0x4
	s_load_dwordx4 s[24:27], s[30:31], 0x24
	s_load_dwordx8 s[8:15], s[2:3], 0x0
	s_add_u32 s30, s30, 48
	s_addc_u32 s31, s31, 0
	s_waitcnt vmcnt(0) lgkmcnt(0)
	v_mul_hi_u32 v3, s17, v1
	s_add_i32 s38, s38, 4
	s_add_u32 s2, s2, 32
	s_addc_u32 s3, s3, 0
	v_add_u32_e32 v3, v1, v3
	v_lshrrev_b32_e32 v3, s18, v3
	v_mul_lo_u32 v5, v3, s16
	v_mul_hi_u32 v7, s20, v3
	s_cmp_lg_u32 s36, s38
	v_sub_u32_e32 v1, v1, v5
	v_add_u32_e32 v5, v3, v7
	v_mul_lo_u32 v7, v1, s8
	v_mul_lo_u32 v8, v1, s9
	v_lshrrev_b32_e32 v1, s21, v5
	v_mul_lo_u32 v5, v1, s19
	v_mul_hi_u32 v10, s23, v1
	v_sub_u32_e32 v3, v3, v5
	v_add_u32_e32 v5, v1, v10
	v_lshrrev_b32_e32 v5, s24, v5
	v_mul_hi_u32 v12, s26, v5
	v_mul_lo_u32 v14, v5, s22
	v_mul_lo_u32 v10, v3, s10
	;; [unrolled: 1-line block ×3, first 2 shown]
	v_sub_u32_e32 v14, v1, v14
	v_add_u32_e32 v1, v5, v12
	v_lshrrev_b32_e32 v1, s27, v1
	v_mul_lo_u32 v12, v1, s25
	v_mul_lo_u32 v16, v14, s12
	;; [unrolled: 1-line block ×3, first 2 shown]
	v_add3_u32 v2, v7, v2, v10
	v_sub_u32_e32 v5, v5, v12
	v_mul_lo_u32 v12, v5, s14
	v_mul_lo_u32 v5, v5, s15
	v_add3_u32 v3, v8, v9, v3
	v_add3_u32 v2, v16, v2, v12
	;; [unrolled: 1-line block ×3, first 2 shown]
	s_cbranch_scc1 .LBB77_1143
; %bb.1144:
	s_and_b32 s10, s37, 3
	s_cmp_eq_u32 s10, 0
	s_cbranch_scc0 .LBB77_1148
	s_branch .LBB77_1150
.LBB77_1145:
                                        ; implicit-def: $vgpr2
                                        ; implicit-def: $vgpr9
	s_branch .LBB77_1151
.LBB77_1146:
	v_mov_b32_e32 v2, 0
	v_mov_b32_e32 v9, 0
	s_branch .LBB77_1150
.LBB77_1147:
	v_mov_b32_e32 v2, 0
	v_mov_b32_e32 v9, 0
	;; [unrolled: 1-line block ×3, first 2 shown]
	s_and_b32 s10, s37, 3
	s_cmp_eq_u32 s10, 0
	s_cbranch_scc1 .LBB77_1150
.LBB77_1148:
	s_lshl_b32 s2, s36, 3
	s_add_u32 s2, s34, s2
	s_addc_u32 s3, s35, 0
	s_add_u32 s2, s2, 0xc4
	s_addc_u32 s3, s3, 0
	s_mul_i32 s8, s36, 12
	s_add_u32 s8, s34, s8
	s_addc_u32 s9, s35, 0
.LBB77_1149:                            ; =>This Inner Loop Header: Depth=1
	s_load_dwordx2 s[12:13], s[8:9], 0x4
	s_load_dword s11, s[8:9], 0xc
	s_load_dwordx2 s[14:15], s[2:3], 0x0
	s_add_u32 s8, s8, 12
	s_addc_u32 s9, s9, 0
	s_waitcnt vmcnt(0) lgkmcnt(0)
	v_mul_hi_u32 v3, s13, v1
	s_add_u32 s2, s2, 8
	s_addc_u32 s3, s3, 0
	s_add_i32 s10, s10, -1
	v_add_u32_e32 v3, v1, v3
	v_lshrrev_b32_e32 v5, s11, v3
	v_mul_lo_u32 v3, v5, s12
	s_cmp_lg_u32 s10, 0
	v_sub_u32_e32 v1, v1, v3
	v_mad_u64_u32 v[2:3], s[12:13], v1, s14, v[2:3]
	v_mad_u64_u32 v[9:10], s[12:13], v1, s15, v[9:10]
	v_mov_b32_e32 v1, v5
	s_cbranch_scc1 .LBB77_1149
.LBB77_1150:
	s_cbranch_execnz .LBB77_1153
.LBB77_1151:
	s_load_dwordx4 s[8:11], s[34:35], 0x4
	s_load_dwordx2 s[2:3], s[34:35], 0xc4
	s_cmp_lt_u32 s33, 2
	s_waitcnt lgkmcnt(0)
	v_mul_hi_u32 v1, s9, v0
	v_add_u32_e32 v1, v0, v1
	v_lshrrev_b32_e32 v1, s10, v1
	v_mul_lo_u32 v2, v1, s8
	v_sub_u32_e32 v0, v0, v2
	v_mul_lo_u32 v2, v0, s2
	v_mul_lo_u32 v9, v0, s3
	s_cbranch_scc1 .LBB77_1153
; %bb.1152:
	s_load_dwordx4 s[8:11], s[34:35], 0x10
	s_load_dwordx2 s[2:3], s[34:35], 0xcc
	s_waitcnt lgkmcnt(0)
	v_mul_hi_u32 v0, s9, v1
	v_add_u32_e32 v0, v1, v0
	v_lshrrev_b32_e32 v0, s10, v0
	v_mul_lo_u32 v0, v0, s8
	v_sub_u32_e32 v0, v1, v0
	s_waitcnt vmcnt(0)
	v_mad_u64_u32 v[2:3], s[8:9], v0, s2, v[2:3]
	v_mad_u64_u32 v[9:10], s[2:3], v0, s3, v[9:10]
.LBB77_1153:
	s_and_b64 vcc, exec, s[0:1]
	s_cbranch_vccnz .LBB77_1159
; %bb.1154:
	s_cmp_lg_u32 s33, 0
	s_mov_b32 s30, 0
	s_cbranch_scc0 .LBB77_1160
; %bb.1155:
	s_min_u32 s31, s72, 15
	s_add_i32 s31, s31, 1
	s_cmp_eq_u32 s72, 2
	s_cbranch_scc1 .LBB77_1161
; %bb.1156:
	s_and_b32 s30, s31, 28
	s_add_u32 s24, s34, 0xc4
	s_addc_u32 s25, s35, 0
	v_mov_b32_e32 v7, 0
	s_mov_b32 s36, 0
	s_mov_b64 s[26:27], s[34:35]
	v_mov_b32_e32 v0, 0
	v_mov_b32_e32 v1, v15
.LBB77_1157:                            ; =>This Inner Loop Header: Depth=1
	s_load_dwordx8 s[16:23], s[26:27], 0x4
	s_load_dwordx4 s[0:3], s[26:27], 0x24
	s_load_dwordx8 s[8:15], s[24:25], 0x0
	s_add_u32 s26, s26, 48
	s_addc_u32 s27, s27, 0
	s_waitcnt vmcnt(0) lgkmcnt(0)
	v_mul_hi_u32 v3, s17, v1
	s_add_i32 s36, s36, 4
	s_add_u32 s24, s24, 32
	s_addc_u32 s25, s25, 0
	v_add_u32_e32 v3, v1, v3
	v_lshrrev_b32_e32 v3, s18, v3
	v_mul_lo_u32 v5, v3, s16
	v_mul_hi_u32 v8, s20, v3
	s_cmp_lg_u32 s30, s36
	v_sub_u32_e32 v1, v1, v5
	v_add_u32_e32 v5, v3, v8
	v_mul_lo_u32 v8, v1, s8
	v_mul_lo_u32 v10, v1, s9
	v_lshrrev_b32_e32 v1, s21, v5
	v_mul_lo_u32 v5, v1, s19
	v_mul_hi_u32 v12, s23, v1
	v_sub_u32_e32 v3, v3, v5
	v_add_u32_e32 v5, v1, v12
	v_lshrrev_b32_e32 v5, s0, v5
	v_mul_hi_u32 v14, s2, v5
	v_mul_lo_u32 v16, v5, s22
	v_mul_lo_u32 v12, v3, s10
	;; [unrolled: 1-line block ×3, first 2 shown]
	v_sub_u32_e32 v16, v1, v16
	v_add_u32_e32 v1, v5, v14
	v_lshrrev_b32_e32 v1, s3, v1
	v_mul_lo_u32 v14, v1, s1
	v_mul_lo_u32 v17, v16, s12
	;; [unrolled: 1-line block ×3, first 2 shown]
	v_add3_u32 v0, v8, v0, v12
	v_sub_u32_e32 v5, v5, v14
	v_mul_lo_u32 v14, v5, s14
	v_mul_lo_u32 v5, v5, s15
	v_add3_u32 v3, v10, v7, v3
	v_add3_u32 v0, v17, v0, v14
	;; [unrolled: 1-line block ×3, first 2 shown]
	s_cbranch_scc1 .LBB77_1157
; %bb.1158:
	s_and_b32 s8, s31, 3
	s_cmp_eq_u32 s8, 0
	s_cbranch_scc0 .LBB77_1162
	s_branch .LBB77_1164
.LBB77_1159:
                                        ; implicit-def: $vgpr0
                                        ; implicit-def: $vgpr7
	s_branch .LBB77_1165
.LBB77_1160:
	v_mov_b32_e32 v0, 0
	v_mov_b32_e32 v7, 0
	s_branch .LBB77_1164
.LBB77_1161:
	v_mov_b32_e32 v0, 0
	v_mov_b32_e32 v7, 0
	;; [unrolled: 1-line block ×3, first 2 shown]
	s_and_b32 s8, s31, 3
	s_cmp_eq_u32 s8, 0
	s_cbranch_scc1 .LBB77_1164
.LBB77_1162:
	s_lshl_b32 s0, s30, 3
	s_add_u32 s0, s34, s0
	s_addc_u32 s1, s35, 0
	s_add_u32 s0, s0, 0xc4
	s_addc_u32 s1, s1, 0
	s_mul_i32 s2, s30, 12
	s_add_u32 s2, s34, s2
	s_addc_u32 s3, s35, 0
.LBB77_1163:                            ; =>This Inner Loop Header: Depth=1
	s_load_dwordx2 s[10:11], s[2:3], 0x4
	s_load_dword s9, s[2:3], 0xc
	s_load_dwordx2 s[12:13], s[0:1], 0x0
	s_add_u32 s2, s2, 12
	s_addc_u32 s3, s3, 0
	s_waitcnt vmcnt(0) lgkmcnt(0)
	v_mul_hi_u32 v3, s11, v1
	s_add_u32 s0, s0, 8
	s_addc_u32 s1, s1, 0
	s_add_i32 s8, s8, -1
	v_add_u32_e32 v3, v1, v3
	v_lshrrev_b32_e32 v3, s9, v3
	v_mul_lo_u32 v5, v3, s10
	s_cmp_lg_u32 s8, 0
	v_sub_u32_e32 v5, v1, v5
	v_mad_u64_u32 v[0:1], s[10:11], v5, s12, v[0:1]
	v_mad_u64_u32 v[7:8], s[10:11], v5, s13, v[7:8]
	v_mov_b32_e32 v1, v3
	s_cbranch_scc1 .LBB77_1163
.LBB77_1164:
	s_cbranch_execnz .LBB77_1167
.LBB77_1165:
	s_load_dwordx4 s[0:3], s[34:35], 0x4
	s_load_dwordx2 s[8:9], s[34:35], 0xc4
	s_cmp_lt_u32 s33, 2
	s_waitcnt lgkmcnt(0)
	v_mul_hi_u32 v0, s1, v15
	v_add_u32_e32 v0, v15, v0
	v_lshrrev_b32_e32 v1, s2, v0
	v_mul_lo_u32 v0, v1, s0
	s_waitcnt vmcnt(0)
	v_sub_u32_e32 v3, v15, v0
	v_mul_lo_u32 v0, v3, s8
	v_mul_lo_u32 v7, v3, s9
	s_cbranch_scc1 .LBB77_1167
; %bb.1166:
	s_load_dwordx4 s[0:3], s[34:35], 0x10
	s_load_dwordx2 s[8:9], s[34:35], 0xcc
	s_waitcnt lgkmcnt(0)
	v_mul_hi_u32 v3, s1, v1
	v_add_u32_e32 v3, v1, v3
	v_lshrrev_b32_e32 v3, s2, v3
	v_mul_lo_u32 v3, v3, s0
	v_sub_u32_e32 v3, v1, v3
	v_mad_u64_u32 v[0:1], s[0:1], v3, s8, v[0:1]
	v_mad_u64_u32 v[7:8], s[0:1], v3, s9, v[7:8]
.LBB77_1167:
	s_load_dwordx4 s[8:11], s[34:35], 0x148
	s_load_dword s18, s[4:5], 0x160
	s_waitcnt lgkmcnt(0)
	v_mov_b32_e32 v1, s11
	s_bfe_u32 s16, s18, 0x80010
	v_add_co_u32_e32 v12, vcc, s10, v13
	s_cmp_lt_i32 s16, 11
	v_addc_co_u32_e32 v13, vcc, 0, v1, vcc
	s_cbranch_scc1 .LBB77_1174
; %bb.1168:
	s_and_b32 s17, 0xffff, s16
	s_cmp_gt_i32 s17, 25
	s_mov_b64 s[2:3], 0
	s_cbranch_scc0 .LBB77_1176
; %bb.1169:
	s_cmp_gt_i32 s17, 28
	s_cbranch_scc0 .LBB77_1177
; %bb.1170:
	s_cmp_gt_i32 s17, 43
	;; [unrolled: 3-line block ×3, first 2 shown]
	s_cbranch_scc0 .LBB77_1179
; %bb.1172:
	s_cmp_eq_u32 s17, 46
	s_mov_b64 s[12:13], 0
	s_cbranch_scc0 .LBB77_1182
; %bb.1173:
	global_load_dword v1, v[12:13], off
	s_mov_b64 s[0:1], 0
	s_mov_b64 s[4:5], -1
	s_branch .LBB77_1183
.LBB77_1174:
	s_mov_b64 s[4:5], 0
                                        ; implicit-def: $vgpr1
	s_mov_b64 s[12:13], s[6:7]
	s_cbranch_execnz .LBB77_1246
.LBB77_1175:
	s_andn2_b64 vcc, exec, s[4:5]
	s_cbranch_vccz .LBB77_1291
	s_branch .LBB77_2136
.LBB77_1176:
	s_mov_b64 s[4:5], 0
	s_mov_b64 s[0:1], 0
                                        ; implicit-def: $vgpr1
	s_cbranch_execnz .LBB77_1211
	s_branch .LBB77_1242
.LBB77_1177:
	s_mov_b64 s[12:13], -1
	s_mov_b64 s[4:5], 0
	s_mov_b64 s[0:1], 0
                                        ; implicit-def: $vgpr1
	s_branch .LBB77_1192
.LBB77_1178:
	s_mov_b64 s[4:5], 0
	s_mov_b64 s[0:1], 0
                                        ; implicit-def: $vgpr1
	s_cbranch_execnz .LBB77_1188
	s_branch .LBB77_1191
.LBB77_1179:
	s_mov_b64 s[12:13], -1
	s_mov_b64 s[4:5], 0
	s_mov_b64 s[0:1], 0
                                        ; implicit-def: $vgpr1
	s_branch .LBB77_1183
.LBB77_1180:
	s_andn2_saveexec_b64 s[12:13], s[12:13]
	s_cbranch_execz .LBB77_1023
.LBB77_1181:
	s_mov_b32 s14, 0x46000000
	v_add_f32_e64 v4, |v5|, s14
	v_and_b32_e32 v4, 0xff, v4
	v_cmp_ne_u32_e32 vcc, 0, v4
	s_andn2_b64 s[6:7], s[6:7], exec
	s_and_b64 s[14:15], vcc, exec
	s_or_b64 s[6:7], s[6:7], s[14:15]
	s_or_b64 exec, exec, s[12:13]
	v_mov_b32_e32 v6, 0
	s_and_saveexec_b64 s[12:13], s[6:7]
	s_cbranch_execnz .LBB77_1024
	s_branch .LBB77_1025
.LBB77_1182:
	s_mov_b64 s[0:1], -1
                                        ; implicit-def: $vgpr1
	s_mov_b64 s[4:5], 0
.LBB77_1183:
	s_and_b64 vcc, exec, s[12:13]
	s_cbranch_vccz .LBB77_1186
; %bb.1184:
	s_cmp_eq_u32 s17, 44
	s_cbranch_scc0 .LBB77_1187
; %bb.1185:
	global_load_ubyte v1, v[12:13], off
	s_movk_i32 s4, 0xff
	s_waitcnt vmcnt(1)
	v_mov_b32_e32 v3, 0x7f800001
	v_mov_b32_e32 v5, 0x400000
	;; [unrolled: 1-line block ×3, first 2 shown]
	s_mov_b64 s[0:1], 0
	s_waitcnt vmcnt(0)
	v_lshlrev_b32_e32 v10, 23, v1
	v_cmp_ne_u32_e32 vcc, s4, v1
	v_cndmask_b32_e32 v3, v3, v10, vcc
	v_cmp_ne_u32_e32 vcc, 0, v1
	v_cndmask_b32_e32 v1, v5, v3, vcc
	v_add_u32_e32 v3, 0x7fff, v1
	v_cmp_o_f32_e32 vcc, v1, v1
	v_cndmask_b32_sdwa v1, v8, v3, vcc dst_sel:DWORD dst_unused:UNUSED_PAD src0_sel:DWORD src1_sel:WORD_1
	s_mov_b64 s[4:5], -1
.LBB77_1186:
	s_branch .LBB77_1191
.LBB77_1187:
	s_mov_b64 s[0:1], -1
                                        ; implicit-def: $vgpr1
	s_branch .LBB77_1191
.LBB77_1188:
	s_cmp_eq_u32 s17, 29
	s_cbranch_scc0 .LBB77_1190
; %bb.1189:
	global_load_dwordx2 v[14:15], v[12:13], off
	s_movk_i32 s4, 0x7fff
	s_mov_b64 s[0:1], 0
	s_mov_b64 s[12:13], 0
	s_waitcnt vmcnt(0)
	v_ffbh_u32_e32 v1, v15
	v_min_u32_e32 v1, 32, v1
	v_lshlrev_b64 v[14:15], v1, v[14:15]
	v_sub_u32_e32 v1, 32, v1
	v_min_u32_e32 v3, 1, v14
	v_or_b32_e32 v3, v15, v3
	v_cvt_f32_u32_e32 v3, v3
	v_ldexp_f32 v1, v3, v1
	v_bfe_u32 v3, v1, 16, 1
	v_add3_u32 v1, v1, v3, s4
	v_lshrrev_b32_e32 v1, 16, v1
	s_mov_b64 s[4:5], -1
	s_branch .LBB77_1192
.LBB77_1190:
	s_mov_b64 s[0:1], -1
                                        ; implicit-def: $vgpr1
.LBB77_1191:
	s_mov_b64 s[12:13], 0
.LBB77_1192:
	s_and_b64 vcc, exec, s[12:13]
	s_cbranch_vccz .LBB77_1210
; %bb.1193:
	s_cmp_lt_i32 s17, 27
	s_cbranch_scc1 .LBB77_1196
; %bb.1194:
	s_cmp_gt_i32 s17, 27
	s_cbranch_scc0 .LBB77_1197
; %bb.1195:
	global_load_dword v1, v[12:13], off
	s_movk_i32 s4, 0x7fff
	s_waitcnt vmcnt(0)
	v_cvt_f32_u32_e32 v1, v1
	v_bfe_u32 v3, v1, 16, 1
	v_add3_u32 v1, v1, v3, s4
	v_lshrrev_b32_e32 v1, 16, v1
	s_mov_b64 s[4:5], 0
	s_branch .LBB77_1198
.LBB77_1196:
	s_mov_b64 s[4:5], -1
                                        ; implicit-def: $vgpr1
	s_branch .LBB77_1201
.LBB77_1197:
	s_mov_b64 s[4:5], -1
                                        ; implicit-def: $vgpr1
.LBB77_1198:
	s_andn2_b64 vcc, exec, s[4:5]
	s_cbranch_vccnz .LBB77_1200
; %bb.1199:
	global_load_ushort v1, v[12:13], off
	s_movk_i32 s4, 0x7fff
	s_waitcnt vmcnt(0)
	v_cvt_f32_u32_e32 v1, v1
	v_bfe_u32 v3, v1, 16, 1
	v_add3_u32 v1, v1, v3, s4
	v_lshrrev_b32_e32 v1, 16, v1
.LBB77_1200:
	s_mov_b64 s[4:5], 0
.LBB77_1201:
	s_andn2_b64 vcc, exec, s[4:5]
	s_cbranch_vccnz .LBB77_1209
; %bb.1202:
	global_load_ubyte v1, v[12:13], off
	s_movk_i32 s4, 0x7f
	s_waitcnt vmcnt(0)
	v_cmp_lt_i16_e32 vcc, s4, v1
	s_mov_b64 s[4:5], 0
	s_and_saveexec_b64 s[12:13], vcc
	s_xor_b64 s[12:13], exec, s[12:13]
	s_cbranch_execz .LBB77_1222
; %bb.1203:
	s_movk_i32 s4, 0x80
	v_cmp_eq_u16_e32 vcc, s4, v1
	s_mov_b64 s[4:5], -1
	s_and_saveexec_b64 s[14:15], vcc
; %bb.1204:
	s_xor_b64 s[4:5], exec, -1
; %bb.1205:
	s_or_b64 exec, exec, s[14:15]
	s_and_b64 s[4:5], s[4:5], exec
	s_or_saveexec_b64 s[12:13], s[12:13]
	v_mov_b32_e32 v3, 0x7f800001
	s_xor_b64 exec, exec, s[12:13]
	s_cbranch_execnz .LBB77_1223
.LBB77_1206:
	s_or_b64 exec, exec, s[12:13]
	s_and_saveexec_b64 s[12:13], s[4:5]
	s_cbranch_execz .LBB77_1208
.LBB77_1207:
	v_lshlrev_b32_e32 v3, 24, v1
	v_and_b32_e32 v1, 0xffff, v1
	v_and_b32_e32 v5, 7, v1
	v_ffbh_u32_e32 v10, v5
	v_min_u32_e32 v10, 32, v10
	v_subrev_u32_e32 v14, 28, v10
	v_bfe_u32 v8, v1, 3, 4
	v_lshlrev_b32_e32 v1, v14, v1
	v_sub_u32_e32 v10, 29, v10
	v_and_b32_e32 v1, 7, v1
	v_cmp_eq_u32_e32 vcc, 0, v8
	v_cndmask_b32_e32 v8, v8, v10, vcc
	v_cndmask_b32_e32 v1, v5, v1, vcc
	v_mov_b32_e32 v5, 0x3b800000
	v_lshlrev_b32_e32 v1, 20, v1
	v_and_b32_e32 v3, 0x80000000, v3
	v_lshl_add_u32 v5, v8, 23, v5
	v_or3_b32 v3, v3, v5, v1
.LBB77_1208:
	s_or_b64 exec, exec, s[12:13]
	v_bfe_u32 v1, v3, 16, 1
	s_movk_i32 s4, 0x7fff
	v_add3_u32 v1, v3, v1, s4
	v_cmp_o_f32_e32 vcc, v3, v3
	v_mov_b32_e32 v3, 0x7fc0
	v_cndmask_b32_sdwa v1, v3, v1, vcc dst_sel:DWORD dst_unused:UNUSED_PAD src0_sel:DWORD src1_sel:WORD_1
.LBB77_1209:
	s_mov_b64 s[4:5], -1
.LBB77_1210:
	s_branch .LBB77_1242
.LBB77_1211:
	s_cmp_gt_i32 s17, 22
	s_cbranch_scc0 .LBB77_1221
; %bb.1212:
	s_cmp_lt_i32 s17, 24
	s_cbranch_scc1 .LBB77_1224
; %bb.1213:
	s_cmp_gt_i32 s17, 24
	s_cbranch_scc0 .LBB77_1225
; %bb.1214:
	global_load_ubyte v1, v[12:13], off
	s_movk_i32 s2, 0x7f
	s_waitcnt vmcnt(0)
	v_cmp_lt_i16_e32 vcc, s2, v1
	s_mov_b64 s[2:3], 0
	s_and_saveexec_b64 s[4:5], vcc
	s_xor_b64 s[4:5], exec, s[4:5]
	s_cbranch_execz .LBB77_1236
; %bb.1215:
	s_movk_i32 s2, 0x80
	v_cmp_eq_u16_e32 vcc, s2, v1
	s_mov_b64 s[2:3], -1
	s_and_saveexec_b64 s[12:13], vcc
; %bb.1216:
	s_xor_b64 s[2:3], exec, -1
; %bb.1217:
	s_or_b64 exec, exec, s[12:13]
	s_and_b64 s[2:3], s[2:3], exec
	s_or_saveexec_b64 s[4:5], s[4:5]
	v_mov_b32_e32 v3, 0x7f800001
	s_xor_b64 exec, exec, s[4:5]
	s_cbranch_execnz .LBB77_1237
.LBB77_1218:
	s_or_b64 exec, exec, s[4:5]
	s_and_saveexec_b64 s[4:5], s[2:3]
	s_cbranch_execz .LBB77_1220
.LBB77_1219:
	v_lshlrev_b32_e32 v3, 24, v1
	v_and_b32_e32 v1, 0xffff, v1
	v_and_b32_e32 v5, 3, v1
	v_ffbh_u32_e32 v10, v5
	v_min_u32_e32 v10, 32, v10
	v_subrev_u32_e32 v14, 29, v10
	v_bfe_u32 v8, v1, 2, 5
	v_lshlrev_b32_e32 v1, v14, v1
	v_sub_u32_e32 v10, 30, v10
	v_and_b32_e32 v1, 3, v1
	v_cmp_eq_u32_e32 vcc, 0, v8
	v_cndmask_b32_e32 v8, v8, v10, vcc
	v_cndmask_b32_e32 v1, v5, v1, vcc
	v_mov_b32_e32 v5, 0x37800000
	v_lshlrev_b32_e32 v1, 21, v1
	v_and_b32_e32 v3, 0x80000000, v3
	v_lshl_add_u32 v5, v8, 23, v5
	v_or3_b32 v3, v3, v5, v1
.LBB77_1220:
	s_or_b64 exec, exec, s[4:5]
	v_bfe_u32 v1, v3, 16, 1
	s_movk_i32 s2, 0x7fff
	v_add3_u32 v1, v3, v1, s2
	v_cmp_o_f32_e32 vcc, v3, v3
	v_mov_b32_e32 v3, 0x7fc0
	v_cndmask_b32_sdwa v1, v3, v1, vcc dst_sel:DWORD dst_unused:UNUSED_PAD src0_sel:DWORD src1_sel:WORD_1
	s_mov_b64 s[2:3], 0
	s_branch .LBB77_1226
.LBB77_1221:
                                        ; implicit-def: $vgpr1
	s_mov_b64 s[2:3], 0
	s_branch .LBB77_1232
.LBB77_1222:
	s_or_saveexec_b64 s[12:13], s[12:13]
	v_mov_b32_e32 v3, 0x7f800001
	s_xor_b64 exec, exec, s[12:13]
	s_cbranch_execz .LBB77_1206
.LBB77_1223:
	v_cmp_ne_u16_e32 vcc, 0, v1
	s_andn2_b64 s[4:5], s[4:5], exec
	s_and_b64 s[14:15], vcc, exec
	v_mov_b32_e32 v3, 0
	s_or_b64 s[4:5], s[4:5], s[14:15]
	s_or_b64 exec, exec, s[12:13]
	s_and_saveexec_b64 s[12:13], s[4:5]
	s_cbranch_execnz .LBB77_1207
	s_branch .LBB77_1208
.LBB77_1224:
	s_mov_b64 s[2:3], -1
                                        ; implicit-def: $vgpr1
	s_branch .LBB77_1229
.LBB77_1225:
	s_mov_b64 s[2:3], -1
                                        ; implicit-def: $vgpr1
.LBB77_1226:
	s_and_b64 vcc, exec, s[2:3]
	s_cbranch_vccz .LBB77_1228
; %bb.1227:
	global_load_ubyte v1, v[12:13], off
	s_mov_b32 s2, 0x7f800000
	s_brev_b32 s3, 1
	s_movk_i32 s4, 0x7fff
	s_waitcnt vmcnt(0)
	v_lshlrev_b32_e32 v1, 24, v1
	v_and_b32_e32 v3, 0x7f000000, v1
	v_ffbh_u32_e32 v5, v3
	v_min_u32_e32 v5, 32, v5
	v_sub_u32_e64 v5, v5, 4 clamp
	v_lshlrev_b32_e32 v10, v5, v3
	v_lshlrev_b32_e32 v5, 23, v5
	v_lshrrev_b32_e32 v10, 4, v10
	v_add_u32_e32 v8, 0x1000000, v3
	v_sub_u32_e32 v5, v10, v5
	v_ashrrev_i32_e32 v8, 8, v8
	v_add_u32_e32 v5, 0x3c000000, v5
	v_and_or_b32 v5, v8, s2, v5
	v_cmp_ne_u32_e32 vcc, 0, v3
	v_cndmask_b32_e32 v3, 0, v5, vcc
	v_and_or_b32 v1, v1, s3, v3
	v_bfe_u32 v3, v3, 16, 1
	v_add3_u32 v3, v1, v3, s4
	v_cmp_o_f32_e32 vcc, v1, v1
	v_mov_b32_e32 v1, 0x7fc0
	v_cndmask_b32_sdwa v1, v1, v3, vcc dst_sel:DWORD dst_unused:UNUSED_PAD src0_sel:DWORD src1_sel:WORD_1
.LBB77_1228:
	s_mov_b64 s[2:3], 0
.LBB77_1229:
	s_andn2_b64 vcc, exec, s[2:3]
	s_cbranch_vccnz .LBB77_1231
; %bb.1230:
	global_load_ubyte v1, v[12:13], off
	s_movk_i32 s2, 0x7f00
	s_brev_b32 s3, 16
	s_brev_b32 s4, 1
	s_movk_i32 s5, 0x7fff
	s_waitcnt vmcnt(0)
	v_lshlrev_b16_e32 v3, 8, v1
	v_lshlrev_b32_e32 v1, 25, v1
	v_lshrrev_b32_e32 v5, 4, v1
	v_and_or_b32 v8, v3, s2, 0.5
	v_or_b32_e32 v5, 0x70000000, v5
	v_add_f32_e32 v8, -0.5, v8
	v_mul_f32_e32 v5, 0x7800000, v5
	v_cmp_gt_u32_e32 vcc, s3, v1
	v_bfe_i32 v3, v3, 0, 16
	v_cndmask_b32_e32 v1, v5, v8, vcc
	v_and_or_b32 v3, v3, s4, v1
	v_bfe_u32 v1, v1, 16, 1
	v_add3_u32 v1, v3, v1, s5
	v_cmp_o_f32_e32 vcc, v3, v3
	v_mov_b32_e32 v3, 0x7fc0
	v_cndmask_b32_sdwa v1, v3, v1, vcc dst_sel:DWORD dst_unused:UNUSED_PAD src0_sel:DWORD src1_sel:WORD_1
.LBB77_1231:
	s_mov_b64 s[4:5], -1
	s_mov_b64 s[2:3], 0
	s_cbranch_execnz .LBB77_1242
.LBB77_1232:
	s_cmp_gt_i32 s17, 14
	s_cbranch_scc0 .LBB77_1235
; %bb.1233:
	s_cmp_eq_u32 s17, 15
	s_cbranch_scc0 .LBB77_1238
; %bb.1234:
	global_load_ushort v1, v[12:13], off
	s_mov_b64 s[0:1], 0
	s_mov_b64 s[4:5], -1
	s_branch .LBB77_1239
.LBB77_1235:
	s_mov_b64 s[12:13], -1
                                        ; implicit-def: $vgpr1
	s_branch .LBB77_1240
.LBB77_1236:
	s_or_saveexec_b64 s[4:5], s[4:5]
	v_mov_b32_e32 v3, 0x7f800001
	s_xor_b64 exec, exec, s[4:5]
	s_cbranch_execz .LBB77_1218
.LBB77_1237:
	v_cmp_ne_u16_e32 vcc, 0, v1
	s_andn2_b64 s[2:3], s[2:3], exec
	s_and_b64 s[12:13], vcc, exec
	v_mov_b32_e32 v3, 0
	s_or_b64 s[2:3], s[2:3], s[12:13]
	s_or_b64 exec, exec, s[4:5]
	s_and_saveexec_b64 s[4:5], s[2:3]
	s_cbranch_execnz .LBB77_1219
	s_branch .LBB77_1220
.LBB77_1238:
	s_mov_b64 s[0:1], -1
                                        ; implicit-def: $vgpr1
.LBB77_1239:
	s_mov_b64 s[12:13], 0
.LBB77_1240:
	s_and_b64 vcc, exec, s[12:13]
	s_cbranch_vccz .LBB77_1242
; %bb.1241:
	s_cmp_lg_u32 s17, 11
	s_mov_b64 s[2:3], -1
	s_cselect_b64 s[0:1], -1, 0
.LBB77_1242:
	s_and_b64 vcc, exec, s[0:1]
	s_mov_b64 s[12:13], s[6:7]
	s_cbranch_vccnz .LBB77_1309
; %bb.1243:
	s_andn2_b64 vcc, exec, s[2:3]
	s_cbranch_vccnz .LBB77_1245
.LBB77_1244:
	global_load_ubyte v1, v[12:13], off
	s_mov_b64 s[4:5], -1
	s_waitcnt vmcnt(0)
	v_cmp_ne_u16_e32 vcc, 0, v1
	v_cndmask_b32_e64 v1, 0, 1.0, vcc
	v_lshrrev_b32_e32 v1, 16, v1
.LBB77_1245:
	s_branch .LBB77_1175
.LBB77_1246:
	s_and_b32 s2, 0xffff, s16
	s_cmp_lt_i32 s2, 5
	s_cbranch_scc1 .LBB77_1251
; %bb.1247:
	s_cmp_lt_i32 s2, 8
	s_cbranch_scc1 .LBB77_1252
; %bb.1248:
	;; [unrolled: 3-line block ×3, first 2 shown]
	s_cmp_gt_i32 s2, 9
	s_cbranch_scc0 .LBB77_1254
; %bb.1250:
	global_load_dwordx2 v[14:15], v[12:13], off
	s_movk_i32 s0, 0x7fff
	s_waitcnt vmcnt(1)
	v_mov_b32_e32 v3, 0x7fc0
	s_waitcnt vmcnt(0)
	v_cvt_f32_f64_e32 v1, v[14:15]
	v_bfe_u32 v5, v1, 16, 1
	v_cmp_o_f32_e32 vcc, v1, v1
	v_add3_u32 v1, v1, v5, s0
	v_cndmask_b32_sdwa v1, v3, v1, vcc dst_sel:DWORD dst_unused:UNUSED_PAD src0_sel:DWORD src1_sel:WORD_1
	s_mov_b64 s[0:1], 0
	s_branch .LBB77_1255
.LBB77_1251:
                                        ; implicit-def: $vgpr1
	s_branch .LBB77_1272
.LBB77_1252:
                                        ; implicit-def: $vgpr1
	s_branch .LBB77_1261
.LBB77_1253:
	s_mov_b64 s[0:1], -1
                                        ; implicit-def: $vgpr1
	s_branch .LBB77_1258
.LBB77_1254:
	s_mov_b64 s[0:1], -1
                                        ; implicit-def: $vgpr1
.LBB77_1255:
	s_andn2_b64 vcc, exec, s[0:1]
	s_cbranch_vccnz .LBB77_1257
; %bb.1256:
	global_load_dword v1, v[12:13], off
	s_movk_i32 s0, 0x7fff
	s_waitcnt vmcnt(1)
	v_mov_b32_e32 v3, 0x7fc0
	s_waitcnt vmcnt(0)
	v_bfe_u32 v5, v1, 16, 1
	v_cmp_o_f32_e32 vcc, v1, v1
	v_add3_u32 v1, v1, v5, s0
	v_cndmask_b32_sdwa v1, v3, v1, vcc dst_sel:DWORD dst_unused:UNUSED_PAD src0_sel:DWORD src1_sel:WORD_1
.LBB77_1257:
	s_mov_b64 s[0:1], 0
.LBB77_1258:
	s_andn2_b64 vcc, exec, s[0:1]
	s_cbranch_vccnz .LBB77_1260
; %bb.1259:
	global_load_dword v1, v[12:13], off
	s_movk_i32 s0, 0x7fff
	v_mov_b32_e32 v5, 0x7fc0
	s_waitcnt vmcnt(0)
	v_cvt_f32_f16_e32 v3, v1
	v_cmp_o_f16_e32 vcc, v1, v1
	v_bfe_u32 v1, v3, 16, 1
	v_add3_u32 v1, v3, v1, s0
	v_cndmask_b32_sdwa v1, v5, v1, vcc dst_sel:DWORD dst_unused:UNUSED_PAD src0_sel:DWORD src1_sel:WORD_1
.LBB77_1260:
	s_cbranch_execnz .LBB77_1271
.LBB77_1261:
	s_cmp_lt_i32 s2, 6
	s_cbranch_scc1 .LBB77_1264
; %bb.1262:
	s_cmp_gt_i32 s2, 6
	s_cbranch_scc0 .LBB77_1265
; %bb.1263:
	global_load_dwordx2 v[14:15], v[12:13], off
	s_movk_i32 s0, 0x7fff
	s_waitcnt vmcnt(1)
	v_mov_b32_e32 v3, 0x7fc0
	s_waitcnt vmcnt(0)
	v_cvt_f32_f64_e32 v1, v[14:15]
	v_bfe_u32 v5, v1, 16, 1
	v_cmp_o_f32_e32 vcc, v1, v1
	v_add3_u32 v1, v1, v5, s0
	v_cndmask_b32_sdwa v1, v3, v1, vcc dst_sel:DWORD dst_unused:UNUSED_PAD src0_sel:DWORD src1_sel:WORD_1
	s_mov_b64 s[0:1], 0
	s_branch .LBB77_1266
.LBB77_1264:
	s_mov_b64 s[0:1], -1
                                        ; implicit-def: $vgpr1
	s_branch .LBB77_1269
.LBB77_1265:
	s_mov_b64 s[0:1], -1
                                        ; implicit-def: $vgpr1
.LBB77_1266:
	s_andn2_b64 vcc, exec, s[0:1]
	s_cbranch_vccnz .LBB77_1268
; %bb.1267:
	global_load_dword v1, v[12:13], off
	s_movk_i32 s0, 0x7fff
	s_waitcnt vmcnt(1)
	v_mov_b32_e32 v3, 0x7fc0
	s_waitcnt vmcnt(0)
	v_bfe_u32 v5, v1, 16, 1
	v_cmp_o_f32_e32 vcc, v1, v1
	v_add3_u32 v1, v1, v5, s0
	v_cndmask_b32_sdwa v1, v3, v1, vcc dst_sel:DWORD dst_unused:UNUSED_PAD src0_sel:DWORD src1_sel:WORD_1
.LBB77_1268:
	s_mov_b64 s[0:1], 0
.LBB77_1269:
	s_andn2_b64 vcc, exec, s[0:1]
	s_cbranch_vccnz .LBB77_1271
; %bb.1270:
	global_load_ushort v1, v[12:13], off
	s_movk_i32 s0, 0x7fff
	v_mov_b32_e32 v5, 0x7fc0
	s_waitcnt vmcnt(0)
	v_cvt_f32_f16_e32 v3, v1
	v_cmp_o_f16_e32 vcc, v1, v1
	v_bfe_u32 v1, v3, 16, 1
	v_add3_u32 v1, v3, v1, s0
	v_cndmask_b32_sdwa v1, v5, v1, vcc dst_sel:DWORD dst_unused:UNUSED_PAD src0_sel:DWORD src1_sel:WORD_1
.LBB77_1271:
	s_cbranch_execnz .LBB77_1290
.LBB77_1272:
	s_cmp_lt_i32 s2, 2
	s_cbranch_scc1 .LBB77_1276
; %bb.1273:
	s_cmp_lt_i32 s2, 3
	s_cbranch_scc1 .LBB77_1277
; %bb.1274:
	s_cmp_gt_i32 s2, 3
	s_cbranch_scc0 .LBB77_1278
; %bb.1275:
	global_load_dwordx2 v[14:15], v[12:13], off
	s_movk_i32 s0, 0x7fff
	s_waitcnt vmcnt(0)
	v_xor_b32_e32 v3, v14, v15
	v_ffbh_i32_e32 v1, v15
	v_ashrrev_i32_e32 v3, 31, v3
	v_add_u32_e32 v1, -1, v1
	v_add_u32_e32 v3, 32, v3
	v_min_u32_e32 v1, v1, v3
	v_lshlrev_b64 v[14:15], v1, v[14:15]
	v_sub_u32_e32 v1, 32, v1
	v_min_u32_e32 v3, 1, v14
	v_or_b32_e32 v3, v15, v3
	v_cvt_f32_i32_e32 v3, v3
	v_ldexp_f32 v1, v3, v1
	v_bfe_u32 v3, v1, 16, 1
	v_add3_u32 v1, v1, v3, s0
	v_lshrrev_b32_e32 v1, 16, v1
	s_mov_b64 s[0:1], 0
	s_branch .LBB77_1279
.LBB77_1276:
                                        ; implicit-def: $vgpr1
	s_branch .LBB77_1285
.LBB77_1277:
	s_mov_b64 s[0:1], -1
                                        ; implicit-def: $vgpr1
	s_branch .LBB77_1282
.LBB77_1278:
	s_mov_b64 s[0:1], -1
                                        ; implicit-def: $vgpr1
.LBB77_1279:
	s_andn2_b64 vcc, exec, s[0:1]
	s_cbranch_vccnz .LBB77_1281
; %bb.1280:
	global_load_dword v1, v[12:13], off
	s_movk_i32 s0, 0x7fff
	s_waitcnt vmcnt(0)
	v_cvt_f32_i32_e32 v1, v1
	v_bfe_u32 v3, v1, 16, 1
	v_add3_u32 v1, v1, v3, s0
	v_lshrrev_b32_e32 v1, 16, v1
.LBB77_1281:
	s_mov_b64 s[0:1], 0
.LBB77_1282:
	s_andn2_b64 vcc, exec, s[0:1]
	s_cbranch_vccnz .LBB77_1284
; %bb.1283:
	global_load_sshort v1, v[12:13], off
	s_movk_i32 s0, 0x7fff
	s_waitcnt vmcnt(0)
	v_cvt_f32_i32_e32 v1, v1
	v_bfe_u32 v3, v1, 16, 1
	v_add3_u32 v1, v1, v3, s0
	v_lshrrev_b32_e32 v1, 16, v1
.LBB77_1284:
	s_cbranch_execnz .LBB77_1290
.LBB77_1285:
	s_cmp_gt_i32 s2, 0
	s_cbranch_scc0 .LBB77_1287
; %bb.1286:
	global_load_sbyte v1, v[12:13], off
	s_movk_i32 s0, 0x7fff
	s_waitcnt vmcnt(0)
	v_cvt_f32_i32_e32 v1, v1
	v_bfe_u32 v3, v1, 16, 1
	v_add3_u32 v1, v1, v3, s0
	v_lshrrev_b32_e32 v1, 16, v1
	s_mov_b64 s[0:1], 0
	s_branch .LBB77_1288
.LBB77_1287:
	s_mov_b64 s[0:1], -1
                                        ; implicit-def: $vgpr1
.LBB77_1288:
	s_andn2_b64 vcc, exec, s[0:1]
	s_cbranch_vccnz .LBB77_1290
; %bb.1289:
	global_load_ubyte v1, v[12:13], off
	s_movk_i32 s0, 0x7fff
	s_waitcnt vmcnt(0)
	v_cvt_f32_ubyte0_e32 v1, v1
	v_bfe_u32 v3, v1, 16, 1
	v_add3_u32 v1, v1, v3, s0
	v_lshrrev_b32_e32 v1, 16, v1
.LBB77_1290:
.LBB77_1291:
	s_waitcnt vmcnt(0)
	v_lshlrev_b32_e32 v3, 16, v1
	v_cmp_gt_f32_e32 vcc, 0.5, v3
	v_mov_b32_e32 v5, 0
	v_mov_b32_e32 v1, 1.0
	s_and_saveexec_b64 s[14:15], vcc
	s_cbranch_execz .LBB77_1297
; %bb.1292:
	v_mul_f32_e32 v1, 0x40490fdb, v3
	s_brev_b32 s0, 18
	v_and_b32_e32 v5, 0x7fffffff, v1
	v_cmp_nlt_f32_e64 s[0:1], |v1|, s0
                                        ; implicit-def: $vgpr8
                                        ; implicit-def: $vgpr10
	s_and_saveexec_b64 s[2:3], s[0:1]
	s_xor_b64 s[16:17], exec, s[2:3]
	s_cbranch_execz .LBB77_1294
; %bb.1293:
	v_and_b32_e32 v8, 0x7fffff, v5
	v_or_b32_e32 v8, 0x800000, v8
	s_mov_b32 s0, 0xfe5163ab
	v_mad_u64_u32 v[12:13], s[0:1], v8, s0, 0
	v_mov_b32_e32 v14, 0
	s_mov_b32 s0, 0x3c439041
	v_mad_u64_u32 v[15:16], s[0:1], v8, s0, v[13:14]
	s_mov_b32 s0, 0xdb629599
	v_lshrrev_b32_e32 v10, 23, v5
	v_mov_b32_e32 v13, v16
	v_mad_u64_u32 v[16:17], s[0:1], v8, s0, v[13:14]
	s_mov_b32 s0, 0xf534ddc0
	v_add_u32_e32 v10, 0xffffff88, v10
	v_mov_b32_e32 v13, v17
	v_mad_u64_u32 v[17:18], s[0:1], v8, s0, v[13:14]
	s_mov_b32 s0, 0xfc2757d1
	v_not_b32_e32 v20, 63
	v_mov_b32_e32 v13, v18
	v_mad_u64_u32 v[18:19], s[0:1], v8, s0, v[13:14]
	v_cmp_lt_u32_e32 vcc, 63, v10
	v_cndmask_b32_e32 v13, 0, v20, vcc
	v_add_u32_e32 v10, v13, v10
	v_mov_b32_e32 v13, v19
	s_mov_b32 s0, 0x4e441529
	v_mad_u64_u32 v[19:20], s[0:1], v8, s0, v[13:14]
	v_not_b32_e32 v21, 31
	v_cmp_lt_u32_e64 s[0:1], 31, v10
	v_cndmask_b32_e64 v13, 0, v21, s[0:1]
	v_add_u32_e32 v10, v13, v10
	v_mov_b32_e32 v13, v20
	s_mov_b32 s2, 0xa2f9836e
	v_mad_u64_u32 v[13:14], s[2:3], v8, s2, v[13:14]
	v_cmp_lt_u32_e64 s[2:3], 31, v10
	v_cndmask_b32_e64 v8, 0, v21, s[2:3]
	v_add_u32_e32 v8, v8, v10
	v_cndmask_b32_e32 v10, v19, v17, vcc
	v_cndmask_b32_e32 v13, v13, v18, vcc
	;; [unrolled: 1-line block ×3, first 2 shown]
	v_cndmask_b32_e64 v20, v13, v10, s[0:1]
	v_cndmask_b32_e64 v13, v14, v13, s[0:1]
	v_cndmask_b32_e32 v14, v18, v16, vcc
	v_cndmask_b32_e64 v10, v10, v14, s[0:1]
	v_cndmask_b32_e64 v13, v13, v20, s[2:3]
	;; [unrolled: 1-line block ×3, first 2 shown]
	v_sub_u32_e32 v19, 32, v8
	v_alignbit_b32 v20, v13, v18, v19
	v_cmp_eq_u32_e64 s[4:5], 0, v8
	v_cndmask_b32_e64 v8, v20, v13, s[4:5]
	v_cndmask_b32_e32 v13, v17, v15, vcc
	v_cndmask_b32_e64 v14, v14, v13, s[0:1]
	v_cndmask_b32_e64 v10, v10, v14, s[2:3]
	v_alignbit_b32 v15, v18, v10, v19
	v_cndmask_b32_e32 v12, v16, v12, vcc
	v_cndmask_b32_e64 v15, v15, v18, s[4:5]
	v_bfe_u32 v20, v8, 29, 1
	v_cndmask_b32_e64 v12, v13, v12, s[0:1]
	v_alignbit_b32 v17, v8, v15, 30
	v_sub_u32_e32 v21, 0, v20
	v_cndmask_b32_e64 v12, v14, v12, s[2:3]
	v_xor_b32_e32 v17, v17, v21
	v_alignbit_b32 v13, v10, v12, v19
	v_cndmask_b32_e64 v10, v13, v10, s[4:5]
	v_ffbh_u32_e32 v14, v17
	v_alignbit_b32 v13, v15, v10, 30
	v_min_u32_e32 v14, 32, v14
	v_alignbit_b32 v10, v10, v12, 30
	v_xor_b32_e32 v13, v13, v21
	v_sub_u32_e32 v15, 31, v14
	v_xor_b32_e32 v10, v10, v21
	v_alignbit_b32 v16, v17, v13, v15
	v_alignbit_b32 v10, v13, v10, v15
	;; [unrolled: 1-line block ×3, first 2 shown]
	v_ffbh_u32_e32 v13, v12
	v_min_u32_e32 v13, 32, v13
	v_lshrrev_b32_e32 v18, 29, v8
	v_not_b32_e32 v15, v13
	v_alignbit_b32 v10, v12, v10, v15
	v_lshlrev_b32_e32 v12, 31, v18
	v_or_b32_e32 v15, 0x33000000, v12
	v_add_lshl_u32 v13, v13, v14, 23
	v_lshrrev_b32_e32 v10, 9, v10
	v_sub_u32_e32 v13, v15, v13
	v_or_b32_e32 v12, 0.5, v12
	v_lshlrev_b32_e32 v14, 23, v14
	v_or_b32_e32 v10, v13, v10
	v_lshrrev_b32_e32 v13, 9, v16
	v_sub_u32_e32 v12, v12, v14
	v_or_b32_e32 v12, v13, v12
	s_mov_b32 s0, 0x3fc90fda
	v_mul_f32_e32 v13, 0x3fc90fda, v12
	v_fma_f32 v14, v12, s0, -v13
	v_fmac_f32_e32 v14, 0x33a22168, v12
	v_fmac_f32_e32 v14, 0x3fc90fda, v10
	v_lshrrev_b32_e32 v8, 30, v8
	v_add_f32_e32 v10, v13, v14
	v_add_u32_e32 v8, v20, v8
.LBB77_1294:
	s_andn2_saveexec_b64 s[0:1], s[16:17]
	s_cbranch_execz .LBB77_1296
; %bb.1295:
	s_mov_b32 s2, 0x3f22f983
	v_mul_f32_e64 v8, |v1|, s2
	v_rndne_f32_e32 v12, v8
	s_mov_b32 s2, 0xbfc90fda
	v_cvt_i32_f32_e32 v8, v12
	v_fma_f32 v10, v12, s2, |v1|
	v_fmac_f32_e32 v10, 0xb3a22168, v12
	v_fmac_f32_e32 v10, 0xa7c234c4, v12
.LBB77_1296:
	s_or_b64 exec, exec, s[0:1]
	v_mul_f32_e32 v12, v10, v10
	v_mov_b32_e32 v13, 0x3c0881c4
	v_fmac_f32_e32 v13, 0xb94c1982, v12
	v_mov_b32_e32 v14, 0xbe2aaa9d
	v_fmac_f32_e32 v14, v12, v13
	v_mul_f32_e32 v13, v12, v14
	v_fmac_f32_e32 v10, v10, v13
	v_mov_b32_e32 v13, 0xbab64f3b
	v_fmac_f32_e32 v13, 0x37d75334, v12
	v_mov_b32_e32 v14, 0x3d2aabf7
	;; [unrolled: 2-line block ×3, first 2 shown]
	v_fmac_f32_e32 v13, v12, v14
	v_fma_f32 v12, v12, v13, 1.0
	v_and_b32_e32 v13, 1, v8
	v_lshlrev_b32_e32 v8, 30, v8
	v_cmp_eq_u32_e32 vcc, 0, v13
	v_and_b32_e32 v8, 0x80000000, v8
	v_xor_b32_e32 v5, v5, v1
	v_cndmask_b32_e32 v10, v12, v10, vcc
	v_xor_b32_e32 v5, v5, v8
	s_movk_i32 s0, 0x1f8
	v_xor_b32_e32 v5, v5, v10
	v_mov_b32_e32 v8, 0x7fc00000
	v_cmp_class_f32_e64 vcc, v1, s0
	v_cndmask_b32_e32 v1, v8, v5, vcc
	v_mul_f32_e32 v1, v1, v1
	s_mov_b32 s2, 0xc11de9e7
	v_div_scale_f32 v5, s[0:1], v1, v1, s2
	v_div_scale_f32 v8, vcc, s2, v1, s2
	v_sub_f32_e32 v3, 1.0, v3
	v_rcp_f32_e32 v10, v5
	v_fma_f32 v12, -v5, v10, 1.0
	v_fmac_f32_e32 v10, v12, v10
	v_mul_f32_e32 v12, v8, v10
	v_fma_f32 v13, -v5, v12, v8
	v_fmac_f32_e32 v12, v13, v10
	v_fma_f32 v5, -v5, v12, v8
	v_div_fmas_f32 v5, v5, v10, v12
	v_div_fixup_f32 v1, v5, v1, s2
	v_add_f32_e32 v5, 0, v1
	v_mov_b32_e32 v1, -1.0
.LBB77_1297:
	s_or_b64 exec, exec, s[14:15]
	s_lshr_b32 s0, s18, 16
	v_mov_b32_e32 v8, s11
	s_and_b32 s19, s0, 0xff
	v_add_co_u32_e32 v10, vcc, s10, v11
	s_cmp_lt_i32 s19, 11
	v_addc_co_u32_e32 v11, vcc, 0, v8, vcc
	s_cbranch_scc1 .LBB77_1304
; %bb.1298:
	s_and_b32 s20, 0xffff, s19
	s_cmp_gt_i32 s20, 25
	s_mov_b64 s[2:3], 0
	s_cbranch_scc0 .LBB77_1306
; %bb.1299:
	s_cmp_gt_i32 s20, 28
	s_cbranch_scc0 .LBB77_1307
; %bb.1300:
	s_cmp_gt_i32 s20, 43
	;; [unrolled: 3-line block ×3, first 2 shown]
	s_cbranch_scc0 .LBB77_1310
; %bb.1302:
	s_cmp_eq_u32 s20, 46
	s_mov_b64 s[14:15], 0
	s_cbranch_scc0 .LBB77_1313
; %bb.1303:
	global_load_dword v8, v[10:11], off
	s_mov_b64 s[0:1], 0
	s_mov_b64 s[4:5], -1
	s_branch .LBB77_1314
.LBB77_1304:
	s_mov_b64 s[4:5], 0
                                        ; implicit-def: $vgpr8
	s_cbranch_execnz .LBB77_1379
.LBB77_1305:
	s_andn2_b64 vcc, exec, s[4:5]
	s_cbranch_vccnz .LBB77_2136
	s_branch .LBB77_1426
.LBB77_1306:
	s_mov_b64 s[4:5], 0
	s_mov_b64 s[0:1], 0
                                        ; implicit-def: $vgpr8
	s_cbranch_execnz .LBB77_1343
	s_branch .LBB77_1375
.LBB77_1307:
	s_mov_b64 s[14:15], -1
	s_mov_b64 s[4:5], 0
	s_mov_b64 s[0:1], 0
                                        ; implicit-def: $vgpr8
	s_branch .LBB77_1324
.LBB77_1308:
	s_mov_b64 s[14:15], -1
	s_mov_b64 s[4:5], 0
	s_mov_b64 s[0:1], 0
                                        ; implicit-def: $vgpr8
	s_branch .LBB77_1319
.LBB77_1309:
	s_or_b64 s[12:13], s[6:7], exec
	s_trap 2
	s_cbranch_execz .LBB77_1244
	s_branch .LBB77_1245
.LBB77_1310:
	s_mov_b64 s[14:15], -1
	s_mov_b64 s[4:5], 0
	s_mov_b64 s[0:1], 0
                                        ; implicit-def: $vgpr8
	s_branch .LBB77_1314
.LBB77_1311:
	s_andn2_saveexec_b64 s[14:15], s[14:15]
	s_cbranch_execz .LBB77_1035
.LBB77_1312:
	s_mov_b32 s18, 0x42800000
	v_add_f32_e64 v4, |v5|, s18
	v_and_b32_e32 v4, 0xff, v4
	v_cmp_ne_u32_e32 vcc, 0, v4
	s_andn2_b64 s[12:13], s[12:13], exec
	s_and_b64 s[18:19], vcc, exec
	s_or_b64 s[12:13], s[12:13], s[18:19]
	s_or_b64 exec, exec, s[14:15]
	v_mov_b32_e32 v6, 0
	s_and_saveexec_b64 s[14:15], s[12:13]
	s_cbranch_execnz .LBB77_1036
	s_branch .LBB77_1037
.LBB77_1313:
	s_mov_b64 s[0:1], -1
                                        ; implicit-def: $vgpr8
	s_mov_b64 s[4:5], 0
.LBB77_1314:
	s_and_b64 vcc, exec, s[14:15]
	s_cbranch_vccz .LBB77_1318
; %bb.1315:
	s_cmp_eq_u32 s20, 44
	s_cbranch_scc0 .LBB77_1317
; %bb.1316:
	global_load_ubyte v8, v[10:11], off
	s_movk_i32 s4, 0xff
	v_mov_b32_e32 v12, 0x7f800001
	v_mov_b32_e32 v13, 0x400000
	;; [unrolled: 1-line block ×3, first 2 shown]
	s_mov_b64 s[0:1], 0
	s_waitcnt vmcnt(0)
	v_lshlrev_b32_e32 v15, 23, v8
	v_cmp_ne_u32_e32 vcc, s4, v8
	v_cndmask_b32_e32 v12, v12, v15, vcc
	v_cmp_ne_u32_e32 vcc, 0, v8
	v_cndmask_b32_e32 v8, v13, v12, vcc
	v_add_u32_e32 v12, 0x7fff, v8
	v_cmp_o_f32_e32 vcc, v8, v8
	v_cndmask_b32_sdwa v8, v14, v12, vcc dst_sel:DWORD dst_unused:UNUSED_PAD src0_sel:DWORD src1_sel:WORD_1
	s_mov_b64 s[4:5], -1
	s_branch .LBB77_1318
.LBB77_1317:
	s_mov_b64 s[0:1], -1
                                        ; implicit-def: $vgpr8
.LBB77_1318:
	s_mov_b64 s[14:15], 0
.LBB77_1319:
	s_and_b64 vcc, exec, s[14:15]
	s_cbranch_vccz .LBB77_1323
; %bb.1320:
	s_cmp_eq_u32 s20, 29
	s_cbranch_scc0 .LBB77_1322
; %bb.1321:
	global_load_dwordx2 v[12:13], v[10:11], off
	s_movk_i32 s4, 0x7fff
	s_mov_b64 s[0:1], 0
	s_mov_b64 s[14:15], 0
	s_waitcnt vmcnt(0)
	v_ffbh_u32_e32 v8, v13
	v_min_u32_e32 v8, 32, v8
	v_lshlrev_b64 v[12:13], v8, v[12:13]
	v_sub_u32_e32 v8, 32, v8
	v_min_u32_e32 v12, 1, v12
	v_or_b32_e32 v12, v13, v12
	v_cvt_f32_u32_e32 v12, v12
	v_ldexp_f32 v8, v12, v8
	v_bfe_u32 v12, v8, 16, 1
	v_add3_u32 v8, v8, v12, s4
	v_lshrrev_b32_e32 v8, 16, v8
	s_mov_b64 s[4:5], -1
	s_branch .LBB77_1324
.LBB77_1322:
	s_mov_b64 s[0:1], -1
                                        ; implicit-def: $vgpr8
.LBB77_1323:
	s_mov_b64 s[14:15], 0
.LBB77_1324:
	s_and_b64 vcc, exec, s[14:15]
	s_cbranch_vccz .LBB77_1342
; %bb.1325:
	s_cmp_lt_i32 s20, 27
	s_cbranch_scc1 .LBB77_1328
; %bb.1326:
	s_cmp_gt_i32 s20, 27
	s_cbranch_scc0 .LBB77_1329
; %bb.1327:
	global_load_dword v8, v[10:11], off
	s_movk_i32 s4, 0x7fff
	s_waitcnt vmcnt(0)
	v_cvt_f32_u32_e32 v8, v8
	v_bfe_u32 v12, v8, 16, 1
	v_add3_u32 v8, v8, v12, s4
	v_lshrrev_b32_e32 v8, 16, v8
	s_mov_b64 s[4:5], 0
	s_branch .LBB77_1330
.LBB77_1328:
	s_mov_b64 s[4:5], -1
                                        ; implicit-def: $vgpr8
	s_branch .LBB77_1333
.LBB77_1329:
	s_mov_b64 s[4:5], -1
                                        ; implicit-def: $vgpr8
.LBB77_1330:
	s_andn2_b64 vcc, exec, s[4:5]
	s_cbranch_vccnz .LBB77_1332
; %bb.1331:
	global_load_ushort v8, v[10:11], off
	s_movk_i32 s4, 0x7fff
	s_waitcnt vmcnt(0)
	v_cvt_f32_u32_e32 v8, v8
	v_bfe_u32 v12, v8, 16, 1
	v_add3_u32 v8, v8, v12, s4
	v_lshrrev_b32_e32 v8, 16, v8
.LBB77_1332:
	s_mov_b64 s[4:5], 0
.LBB77_1333:
	s_andn2_b64 vcc, exec, s[4:5]
	s_cbranch_vccnz .LBB77_1341
; %bb.1334:
	global_load_ubyte v8, v[10:11], off
	s_movk_i32 s4, 0x7f
	s_waitcnt vmcnt(0)
	v_cmp_lt_i16_e32 vcc, s4, v8
	s_mov_b64 s[4:5], 0
	s_and_saveexec_b64 s[14:15], vcc
	s_xor_b64 s[14:15], exec, s[14:15]
	s_cbranch_execz .LBB77_1354
; %bb.1335:
	s_movk_i32 s4, 0x80
	v_cmp_eq_u16_e32 vcc, s4, v8
	s_mov_b64 s[4:5], -1
	s_and_saveexec_b64 s[16:17], vcc
; %bb.1336:
	s_xor_b64 s[4:5], exec, -1
; %bb.1337:
	s_or_b64 exec, exec, s[16:17]
	s_and_b64 s[4:5], s[4:5], exec
	s_or_saveexec_b64 s[14:15], s[14:15]
	v_mov_b32_e32 v12, 0x7f800001
	s_xor_b64 exec, exec, s[14:15]
	s_cbranch_execnz .LBB77_1355
.LBB77_1338:
	s_or_b64 exec, exec, s[14:15]
	s_and_saveexec_b64 s[14:15], s[4:5]
	s_cbranch_execz .LBB77_1340
.LBB77_1339:
	v_lshlrev_b32_e32 v12, 24, v8
	v_and_b32_e32 v8, 0xffff, v8
	v_and_b32_e32 v13, 7, v8
	v_ffbh_u32_e32 v15, v13
	v_min_u32_e32 v15, 32, v15
	v_subrev_u32_e32 v16, 28, v15
	v_bfe_u32 v14, v8, 3, 4
	v_lshlrev_b32_e32 v8, v16, v8
	v_sub_u32_e32 v15, 29, v15
	v_and_b32_e32 v8, 7, v8
	v_cmp_eq_u32_e32 vcc, 0, v14
	v_cndmask_b32_e32 v14, v14, v15, vcc
	v_cndmask_b32_e32 v8, v13, v8, vcc
	v_mov_b32_e32 v13, 0x3b800000
	v_lshlrev_b32_e32 v8, 20, v8
	v_and_b32_e32 v12, 0x80000000, v12
	v_lshl_add_u32 v13, v14, 23, v13
	v_or3_b32 v12, v12, v13, v8
.LBB77_1340:
	s_or_b64 exec, exec, s[14:15]
	v_bfe_u32 v8, v12, 16, 1
	s_movk_i32 s4, 0x7fff
	v_add3_u32 v8, v12, v8, s4
	v_cmp_o_f32_e32 vcc, v12, v12
	v_mov_b32_e32 v12, 0x7fc0
	v_cndmask_b32_sdwa v8, v12, v8, vcc dst_sel:DWORD dst_unused:UNUSED_PAD src0_sel:DWORD src1_sel:WORD_1
.LBB77_1341:
	s_mov_b64 s[4:5], -1
.LBB77_1342:
	s_branch .LBB77_1375
.LBB77_1343:
	s_cmp_gt_i32 s20, 22
	s_cbranch_scc0 .LBB77_1353
; %bb.1344:
	s_cmp_lt_i32 s20, 24
	s_cbranch_scc1 .LBB77_1356
; %bb.1345:
	s_cmp_gt_i32 s20, 24
	s_cbranch_scc0 .LBB77_1357
; %bb.1346:
	global_load_ubyte v8, v[10:11], off
	s_movk_i32 s2, 0x7f
	s_waitcnt vmcnt(0)
	v_cmp_lt_i16_e32 vcc, s2, v8
	s_mov_b64 s[2:3], 0
	s_and_saveexec_b64 s[4:5], vcc
	s_xor_b64 s[4:5], exec, s[4:5]
	s_cbranch_execz .LBB77_1369
; %bb.1347:
	s_movk_i32 s2, 0x80
	v_cmp_eq_u16_e32 vcc, s2, v8
	s_mov_b64 s[2:3], -1
	s_and_saveexec_b64 s[14:15], vcc
; %bb.1348:
	s_xor_b64 s[2:3], exec, -1
; %bb.1349:
	s_or_b64 exec, exec, s[14:15]
	s_and_b64 s[2:3], s[2:3], exec
	s_or_saveexec_b64 s[4:5], s[4:5]
	v_mov_b32_e32 v12, 0x7f800001
	s_xor_b64 exec, exec, s[4:5]
	s_cbranch_execnz .LBB77_1370
.LBB77_1350:
	s_or_b64 exec, exec, s[4:5]
	s_and_saveexec_b64 s[4:5], s[2:3]
	s_cbranch_execz .LBB77_1352
.LBB77_1351:
	v_lshlrev_b32_e32 v12, 24, v8
	v_and_b32_e32 v8, 0xffff, v8
	v_and_b32_e32 v13, 3, v8
	v_ffbh_u32_e32 v15, v13
	v_min_u32_e32 v15, 32, v15
	v_subrev_u32_e32 v16, 29, v15
	v_bfe_u32 v14, v8, 2, 5
	v_lshlrev_b32_e32 v8, v16, v8
	v_sub_u32_e32 v15, 30, v15
	v_and_b32_e32 v8, 3, v8
	v_cmp_eq_u32_e32 vcc, 0, v14
	v_cndmask_b32_e32 v14, v14, v15, vcc
	v_cndmask_b32_e32 v8, v13, v8, vcc
	v_mov_b32_e32 v13, 0x37800000
	v_lshlrev_b32_e32 v8, 21, v8
	v_and_b32_e32 v12, 0x80000000, v12
	v_lshl_add_u32 v13, v14, 23, v13
	v_or3_b32 v12, v12, v13, v8
.LBB77_1352:
	s_or_b64 exec, exec, s[4:5]
	v_bfe_u32 v8, v12, 16, 1
	s_movk_i32 s2, 0x7fff
	v_add3_u32 v8, v12, v8, s2
	v_cmp_o_f32_e32 vcc, v12, v12
	v_mov_b32_e32 v12, 0x7fc0
	v_cndmask_b32_sdwa v8, v12, v8, vcc dst_sel:DWORD dst_unused:UNUSED_PAD src0_sel:DWORD src1_sel:WORD_1
	s_mov_b64 s[2:3], 0
	s_branch .LBB77_1358
.LBB77_1353:
	s_mov_b64 s[2:3], -1
                                        ; implicit-def: $vgpr8
	s_branch .LBB77_1364
.LBB77_1354:
	s_or_saveexec_b64 s[14:15], s[14:15]
	v_mov_b32_e32 v12, 0x7f800001
	s_xor_b64 exec, exec, s[14:15]
	s_cbranch_execz .LBB77_1338
.LBB77_1355:
	v_cmp_ne_u16_e32 vcc, 0, v8
	s_andn2_b64 s[4:5], s[4:5], exec
	s_and_b64 s[16:17], vcc, exec
	v_mov_b32_e32 v12, 0
	s_or_b64 s[4:5], s[4:5], s[16:17]
	s_or_b64 exec, exec, s[14:15]
	s_and_saveexec_b64 s[14:15], s[4:5]
	s_cbranch_execnz .LBB77_1339
	s_branch .LBB77_1340
.LBB77_1356:
	s_mov_b64 s[2:3], -1
                                        ; implicit-def: $vgpr8
	s_branch .LBB77_1361
.LBB77_1357:
	s_mov_b64 s[2:3], -1
                                        ; implicit-def: $vgpr8
.LBB77_1358:
	s_and_b64 vcc, exec, s[2:3]
	s_cbranch_vccz .LBB77_1360
; %bb.1359:
	global_load_ubyte v8, v[10:11], off
	s_mov_b32 s2, 0x7f800000
	s_brev_b32 s3, 1
	s_movk_i32 s4, 0x7fff
	s_waitcnt vmcnt(0)
	v_lshlrev_b32_e32 v8, 24, v8
	v_and_b32_e32 v12, 0x7f000000, v8
	v_ffbh_u32_e32 v13, v12
	v_min_u32_e32 v13, 32, v13
	v_sub_u32_e64 v13, v13, 4 clamp
	v_lshlrev_b32_e32 v15, v13, v12
	v_lshlrev_b32_e32 v13, 23, v13
	v_lshrrev_b32_e32 v15, 4, v15
	v_add_u32_e32 v14, 0x1000000, v12
	v_sub_u32_e32 v13, v15, v13
	v_ashrrev_i32_e32 v14, 8, v14
	v_add_u32_e32 v13, 0x3c000000, v13
	v_and_or_b32 v13, v14, s2, v13
	v_cmp_ne_u32_e32 vcc, 0, v12
	v_cndmask_b32_e32 v12, 0, v13, vcc
	v_and_or_b32 v8, v8, s3, v12
	v_bfe_u32 v12, v12, 16, 1
	v_add3_u32 v12, v8, v12, s4
	v_cmp_o_f32_e32 vcc, v8, v8
	v_mov_b32_e32 v8, 0x7fc0
	v_cndmask_b32_sdwa v8, v8, v12, vcc dst_sel:DWORD dst_unused:UNUSED_PAD src0_sel:DWORD src1_sel:WORD_1
.LBB77_1360:
	s_mov_b64 s[2:3], 0
.LBB77_1361:
	s_andn2_b64 vcc, exec, s[2:3]
	s_cbranch_vccnz .LBB77_1363
; %bb.1362:
	global_load_ubyte v8, v[10:11], off
	s_movk_i32 s2, 0x7f00
	s_brev_b32 s3, 16
	s_brev_b32 s4, 1
	s_movk_i32 s5, 0x7fff
	s_waitcnt vmcnt(0)
	v_lshlrev_b16_e32 v12, 8, v8
	v_lshlrev_b32_e32 v8, 25, v8
	v_lshrrev_b32_e32 v13, 4, v8
	v_and_or_b32 v14, v12, s2, 0.5
	v_or_b32_e32 v13, 0x70000000, v13
	v_add_f32_e32 v14, -0.5, v14
	v_mul_f32_e32 v13, 0x7800000, v13
	v_cmp_gt_u32_e32 vcc, s3, v8
	v_bfe_i32 v12, v12, 0, 16
	v_cndmask_b32_e32 v8, v13, v14, vcc
	v_and_or_b32 v12, v12, s4, v8
	v_bfe_u32 v8, v8, 16, 1
	v_add3_u32 v8, v12, v8, s5
	v_cmp_o_f32_e32 vcc, v12, v12
	v_mov_b32_e32 v12, 0x7fc0
	v_cndmask_b32_sdwa v8, v12, v8, vcc dst_sel:DWORD dst_unused:UNUSED_PAD src0_sel:DWORD src1_sel:WORD_1
.LBB77_1363:
	s_mov_b64 s[2:3], 0
	s_mov_b64 s[4:5], -1
.LBB77_1364:
	s_andn2_b64 vcc, exec, s[2:3]
	s_mov_b64 s[2:3], 0
	s_cbranch_vccnz .LBB77_1375
; %bb.1365:
	s_cmp_gt_i32 s20, 14
	s_cbranch_scc0 .LBB77_1368
; %bb.1366:
	s_cmp_eq_u32 s20, 15
	s_cbranch_scc0 .LBB77_1371
; %bb.1367:
	global_load_ushort v8, v[10:11], off
	s_mov_b64 s[0:1], 0
	s_mov_b64 s[4:5], -1
	s_branch .LBB77_1372
.LBB77_1368:
	s_mov_b64 s[14:15], -1
                                        ; implicit-def: $vgpr8
	s_branch .LBB77_1373
.LBB77_1369:
	s_or_saveexec_b64 s[4:5], s[4:5]
	v_mov_b32_e32 v12, 0x7f800001
	s_xor_b64 exec, exec, s[4:5]
	s_cbranch_execz .LBB77_1350
.LBB77_1370:
	v_cmp_ne_u16_e32 vcc, 0, v8
	s_andn2_b64 s[2:3], s[2:3], exec
	s_and_b64 s[14:15], vcc, exec
	v_mov_b32_e32 v12, 0
	s_or_b64 s[2:3], s[2:3], s[14:15]
	s_or_b64 exec, exec, s[4:5]
	s_and_saveexec_b64 s[4:5], s[2:3]
	s_cbranch_execnz .LBB77_1351
	s_branch .LBB77_1352
.LBB77_1371:
	s_mov_b64 s[0:1], -1
                                        ; implicit-def: $vgpr8
.LBB77_1372:
	s_mov_b64 s[14:15], 0
.LBB77_1373:
	s_and_b64 vcc, exec, s[14:15]
	s_cbranch_vccz .LBB77_1375
; %bb.1374:
	s_cmp_lg_u32 s20, 11
	s_mov_b64 s[2:3], -1
	s_cselect_b64 s[0:1], -1, 0
.LBB77_1375:
	s_and_b64 vcc, exec, s[0:1]
	s_cbranch_vccnz .LBB77_1444
; %bb.1376:
	s_andn2_b64 vcc, exec, s[2:3]
	s_cbranch_vccnz .LBB77_1378
.LBB77_1377:
	global_load_ubyte v8, v[10:11], off
	s_mov_b64 s[4:5], -1
	s_waitcnt vmcnt(0)
	v_cmp_ne_u16_e32 vcc, 0, v8
	v_cndmask_b32_e64 v8, 0, 1.0, vcc
	v_lshrrev_b32_e32 v8, 16, v8
.LBB77_1378:
	s_branch .LBB77_1305
.LBB77_1379:
	s_and_b32 s2, 0xffff, s19
	s_cmp_lt_i32 s2, 5
	s_cbranch_scc1 .LBB77_1384
; %bb.1380:
	s_cmp_lt_i32 s2, 8
	s_cbranch_scc1 .LBB77_1385
; %bb.1381:
	;; [unrolled: 3-line block ×3, first 2 shown]
	s_cmp_gt_i32 s2, 9
	s_cbranch_scc0 .LBB77_1387
; %bb.1383:
	global_load_dwordx2 v[12:13], v[10:11], off
	s_movk_i32 s0, 0x7fff
	s_waitcnt vmcnt(0)
	v_cvt_f32_f64_e32 v8, v[12:13]
	v_mov_b32_e32 v12, 0x7fc0
	v_bfe_u32 v13, v8, 16, 1
	v_cmp_o_f32_e32 vcc, v8, v8
	v_add3_u32 v8, v8, v13, s0
	v_cndmask_b32_sdwa v8, v12, v8, vcc dst_sel:DWORD dst_unused:UNUSED_PAD src0_sel:DWORD src1_sel:WORD_1
	s_mov_b64 s[0:1], 0
	s_branch .LBB77_1388
.LBB77_1384:
                                        ; implicit-def: $vgpr8
	s_branch .LBB77_1406
.LBB77_1385:
	s_mov_b64 s[0:1], -1
                                        ; implicit-def: $vgpr8
	s_branch .LBB77_1394
.LBB77_1386:
	s_mov_b64 s[0:1], -1
                                        ; implicit-def: $vgpr8
	s_branch .LBB77_1391
.LBB77_1387:
	s_mov_b64 s[0:1], -1
                                        ; implicit-def: $vgpr8
.LBB77_1388:
	s_andn2_b64 vcc, exec, s[0:1]
	s_cbranch_vccnz .LBB77_1390
; %bb.1389:
	global_load_dword v8, v[10:11], off
	s_movk_i32 s0, 0x7fff
	v_mov_b32_e32 v12, 0x7fc0
	s_waitcnt vmcnt(0)
	v_bfe_u32 v13, v8, 16, 1
	v_cmp_o_f32_e32 vcc, v8, v8
	v_add3_u32 v8, v8, v13, s0
	v_cndmask_b32_sdwa v8, v12, v8, vcc dst_sel:DWORD dst_unused:UNUSED_PAD src0_sel:DWORD src1_sel:WORD_1
.LBB77_1390:
	s_mov_b64 s[0:1], 0
.LBB77_1391:
	s_andn2_b64 vcc, exec, s[0:1]
	s_cbranch_vccnz .LBB77_1393
; %bb.1392:
	global_load_dword v8, v[10:11], off
	s_movk_i32 s0, 0x7fff
	v_mov_b32_e32 v13, 0x7fc0
	s_waitcnt vmcnt(0)
	v_cvt_f32_f16_e32 v12, v8
	v_cmp_o_f16_e32 vcc, v8, v8
	v_bfe_u32 v8, v12, 16, 1
	v_add3_u32 v8, v12, v8, s0
	v_cndmask_b32_sdwa v8, v13, v8, vcc dst_sel:DWORD dst_unused:UNUSED_PAD src0_sel:DWORD src1_sel:WORD_1
.LBB77_1393:
	s_mov_b64 s[0:1], 0
.LBB77_1394:
	s_andn2_b64 vcc, exec, s[0:1]
	s_cbranch_vccnz .LBB77_1405
; %bb.1395:
	s_cmp_lt_i32 s2, 6
	s_cbranch_scc1 .LBB77_1398
; %bb.1396:
	s_cmp_gt_i32 s2, 6
	s_cbranch_scc0 .LBB77_1399
; %bb.1397:
	global_load_dwordx2 v[12:13], v[10:11], off
	s_movk_i32 s0, 0x7fff
	s_waitcnt vmcnt(0)
	v_cvt_f32_f64_e32 v8, v[12:13]
	v_mov_b32_e32 v12, 0x7fc0
	v_bfe_u32 v13, v8, 16, 1
	v_cmp_o_f32_e32 vcc, v8, v8
	v_add3_u32 v8, v8, v13, s0
	v_cndmask_b32_sdwa v8, v12, v8, vcc dst_sel:DWORD dst_unused:UNUSED_PAD src0_sel:DWORD src1_sel:WORD_1
	s_mov_b64 s[0:1], 0
	s_branch .LBB77_1400
.LBB77_1398:
	s_mov_b64 s[0:1], -1
                                        ; implicit-def: $vgpr8
	s_branch .LBB77_1403
.LBB77_1399:
	s_mov_b64 s[0:1], -1
                                        ; implicit-def: $vgpr8
.LBB77_1400:
	s_andn2_b64 vcc, exec, s[0:1]
	s_cbranch_vccnz .LBB77_1402
; %bb.1401:
	global_load_dword v8, v[10:11], off
	s_movk_i32 s0, 0x7fff
	v_mov_b32_e32 v12, 0x7fc0
	s_waitcnt vmcnt(0)
	v_bfe_u32 v13, v8, 16, 1
	v_cmp_o_f32_e32 vcc, v8, v8
	v_add3_u32 v8, v8, v13, s0
	v_cndmask_b32_sdwa v8, v12, v8, vcc dst_sel:DWORD dst_unused:UNUSED_PAD src0_sel:DWORD src1_sel:WORD_1
.LBB77_1402:
	s_mov_b64 s[0:1], 0
.LBB77_1403:
	s_andn2_b64 vcc, exec, s[0:1]
	s_cbranch_vccnz .LBB77_1405
; %bb.1404:
	global_load_ushort v8, v[10:11], off
	s_movk_i32 s0, 0x7fff
	v_mov_b32_e32 v13, 0x7fc0
	s_waitcnt vmcnt(0)
	v_cvt_f32_f16_e32 v12, v8
	v_cmp_o_f16_e32 vcc, v8, v8
	v_bfe_u32 v8, v12, 16, 1
	v_add3_u32 v8, v12, v8, s0
	v_cndmask_b32_sdwa v8, v13, v8, vcc dst_sel:DWORD dst_unused:UNUSED_PAD src0_sel:DWORD src1_sel:WORD_1
.LBB77_1405:
	s_cbranch_execnz .LBB77_1425
.LBB77_1406:
	s_cmp_lt_i32 s2, 2
	s_cbranch_scc1 .LBB77_1410
; %bb.1407:
	s_cmp_lt_i32 s2, 3
	s_cbranch_scc1 .LBB77_1411
; %bb.1408:
	s_cmp_gt_i32 s2, 3
	s_cbranch_scc0 .LBB77_1412
; %bb.1409:
	global_load_dwordx2 v[12:13], v[10:11], off
	s_movk_i32 s0, 0x7fff
	s_waitcnt vmcnt(0)
	v_xor_b32_e32 v14, v12, v13
	v_ffbh_i32_e32 v8, v13
	v_ashrrev_i32_e32 v14, 31, v14
	v_add_u32_e32 v8, -1, v8
	v_add_u32_e32 v14, 32, v14
	v_min_u32_e32 v8, v8, v14
	v_lshlrev_b64 v[12:13], v8, v[12:13]
	v_sub_u32_e32 v8, 32, v8
	v_min_u32_e32 v12, 1, v12
	v_or_b32_e32 v12, v13, v12
	v_cvt_f32_i32_e32 v12, v12
	v_ldexp_f32 v8, v12, v8
	v_bfe_u32 v12, v8, 16, 1
	v_add3_u32 v8, v8, v12, s0
	v_lshrrev_b32_e32 v8, 16, v8
	s_mov_b64 s[0:1], 0
	s_branch .LBB77_1413
.LBB77_1410:
	s_mov_b64 s[0:1], -1
                                        ; implicit-def: $vgpr8
	s_branch .LBB77_1419
.LBB77_1411:
	s_mov_b64 s[0:1], -1
                                        ; implicit-def: $vgpr8
	s_branch .LBB77_1416
.LBB77_1412:
	s_mov_b64 s[0:1], -1
                                        ; implicit-def: $vgpr8
.LBB77_1413:
	s_andn2_b64 vcc, exec, s[0:1]
	s_cbranch_vccnz .LBB77_1415
; %bb.1414:
	global_load_dword v8, v[10:11], off
	s_movk_i32 s0, 0x7fff
	s_waitcnt vmcnt(0)
	v_cvt_f32_i32_e32 v8, v8
	v_bfe_u32 v12, v8, 16, 1
	v_add3_u32 v8, v8, v12, s0
	v_lshrrev_b32_e32 v8, 16, v8
.LBB77_1415:
	s_mov_b64 s[0:1], 0
.LBB77_1416:
	s_andn2_b64 vcc, exec, s[0:1]
	s_cbranch_vccnz .LBB77_1418
; %bb.1417:
	global_load_sshort v8, v[10:11], off
	s_movk_i32 s0, 0x7fff
	s_waitcnt vmcnt(0)
	v_cvt_f32_i32_e32 v8, v8
	v_bfe_u32 v12, v8, 16, 1
	v_add3_u32 v8, v8, v12, s0
	v_lshrrev_b32_e32 v8, 16, v8
.LBB77_1418:
	s_mov_b64 s[0:1], 0
.LBB77_1419:
	s_andn2_b64 vcc, exec, s[0:1]
	s_cbranch_vccnz .LBB77_1425
; %bb.1420:
	s_cmp_gt_i32 s2, 0
	s_cbranch_scc0 .LBB77_1422
; %bb.1421:
	global_load_sbyte v8, v[10:11], off
	s_movk_i32 s0, 0x7fff
	s_waitcnt vmcnt(0)
	v_cvt_f32_i32_e32 v8, v8
	v_bfe_u32 v12, v8, 16, 1
	v_add3_u32 v8, v8, v12, s0
	v_lshrrev_b32_e32 v8, 16, v8
	s_mov_b64 s[0:1], 0
	s_branch .LBB77_1423
.LBB77_1422:
	s_mov_b64 s[0:1], -1
                                        ; implicit-def: $vgpr8
.LBB77_1423:
	s_andn2_b64 vcc, exec, s[0:1]
	s_cbranch_vccnz .LBB77_1425
; %bb.1424:
	global_load_ubyte v8, v[10:11], off
	s_movk_i32 s0, 0x7fff
	s_waitcnt vmcnt(0)
	v_cvt_f32_ubyte0_e32 v8, v8
	v_bfe_u32 v10, v8, 16, 1
	v_add3_u32 v8, v8, v10, s0
	v_lshrrev_b32_e32 v8, 16, v8
.LBB77_1425:
.LBB77_1426:
	s_waitcnt vmcnt(0)
	v_lshlrev_b32_e32 v10, 16, v8
	v_cmp_gt_f32_e32 vcc, 0.5, v10
	v_mov_b32_e32 v12, 0
	v_mov_b32_e32 v11, 1.0
	s_and_saveexec_b64 s[14:15], vcc
	s_cbranch_execz .LBB77_1432
; %bb.1427:
	v_mul_f32_e32 v8, 0x40490fdb, v10
	s_brev_b32 s0, 18
	v_and_b32_e32 v11, 0x7fffffff, v8
	v_cmp_nlt_f32_e64 s[0:1], |v8|, s0
                                        ; implicit-def: $vgpr12
                                        ; implicit-def: $vgpr13
	s_and_saveexec_b64 s[2:3], s[0:1]
	s_xor_b64 s[16:17], exec, s[2:3]
	s_cbranch_execz .LBB77_1429
; %bb.1428:
	v_and_b32_e32 v12, 0x7fffff, v11
	v_or_b32_e32 v21, 0x800000, v12
	s_mov_b32 s0, 0xfe5163ab
	v_mad_u64_u32 v[12:13], s[0:1], v21, s0, 0
	v_mov_b32_e32 v14, 0
	s_mov_b32 s0, 0x3c439041
	v_mad_u64_u32 v[15:16], s[0:1], v21, s0, v[13:14]
	s_mov_b32 s0, 0xdb629599
	v_not_b32_e32 v20, 63
	v_mov_b32_e32 v13, v16
	v_mad_u64_u32 v[16:17], s[0:1], v21, s0, v[13:14]
	s_mov_b32 s0, 0xf534ddc0
	v_not_b32_e32 v23, 31
	v_mov_b32_e32 v13, v17
	v_mad_u64_u32 v[17:18], s[0:1], v21, s0, v[13:14]
	v_lshrrev_b32_e32 v13, 23, v11
	v_add_u32_e32 v22, 0xffffff88, v13
	v_mov_b32_e32 v13, v18
	s_mov_b32 s0, 0xfc2757d1
	v_mad_u64_u32 v[18:19], s[0:1], v21, s0, v[13:14]
	v_cmp_lt_u32_e32 vcc, 63, v22
	v_cndmask_b32_e32 v13, 0, v20, vcc
	v_add_u32_e32 v22, v13, v22
	v_mov_b32_e32 v13, v19
	s_mov_b32 s0, 0x4e441529
	v_mad_u64_u32 v[19:20], s[0:1], v21, s0, v[13:14]
	v_cmp_lt_u32_e64 s[0:1], 31, v22
	v_cndmask_b32_e64 v13, 0, v23, s[0:1]
	v_add_u32_e32 v22, v13, v22
	v_mov_b32_e32 v13, v20
	s_mov_b32 s2, 0xa2f9836e
	v_mad_u64_u32 v[13:14], s[2:3], v21, s2, v[13:14]
	v_cmp_lt_u32_e64 s[2:3], 31, v22
	v_cndmask_b32_e64 v20, 0, v23, s[2:3]
	v_cndmask_b32_e32 v21, v19, v17, vcc
	v_cndmask_b32_e32 v13, v13, v18, vcc
	;; [unrolled: 1-line block ×3, first 2 shown]
	v_add_u32_e32 v20, v20, v22
	v_cndmask_b32_e64 v22, v13, v21, s[0:1]
	v_cndmask_b32_e64 v13, v14, v13, s[0:1]
	v_cndmask_b32_e32 v14, v18, v16, vcc
	v_cndmask_b32_e64 v18, v21, v14, s[0:1]
	v_cndmask_b32_e64 v13, v13, v22, s[2:3]
	;; [unrolled: 1-line block ×3, first 2 shown]
	v_sub_u32_e32 v21, 32, v20
	v_alignbit_b32 v22, v13, v19, v21
	v_cmp_eq_u32_e64 s[4:5], 0, v20
	v_cndmask_b32_e64 v20, v22, v13, s[4:5]
	v_cndmask_b32_e32 v13, v17, v15, vcc
	v_cndmask_b32_e64 v14, v14, v13, s[0:1]
	v_cndmask_b32_e64 v15, v18, v14, s[2:3]
	v_alignbit_b32 v17, v19, v15, v21
	v_cndmask_b32_e32 v12, v16, v12, vcc
	v_cndmask_b32_e64 v17, v17, v19, s[4:5]
	v_bfe_u32 v22, v20, 29, 1
	v_cndmask_b32_e64 v12, v13, v12, s[0:1]
	v_alignbit_b32 v18, v20, v17, 30
	v_sub_u32_e32 v23, 0, v22
	v_cndmask_b32_e64 v12, v14, v12, s[2:3]
	v_xor_b32_e32 v18, v18, v23
	v_alignbit_b32 v13, v15, v12, v21
	v_cndmask_b32_e64 v13, v13, v15, s[4:5]
	v_ffbh_u32_e32 v15, v18
	v_alignbit_b32 v14, v17, v13, 30
	v_min_u32_e32 v15, 32, v15
	v_alignbit_b32 v12, v13, v12, 30
	v_xor_b32_e32 v14, v14, v23
	v_sub_u32_e32 v16, 31, v15
	v_xor_b32_e32 v12, v12, v23
	v_alignbit_b32 v17, v18, v14, v16
	v_alignbit_b32 v12, v14, v12, v16
	;; [unrolled: 1-line block ×3, first 2 shown]
	v_ffbh_u32_e32 v14, v13
	v_min_u32_e32 v14, 32, v14
	v_lshrrev_b32_e32 v19, 29, v20
	v_not_b32_e32 v16, v14
	v_alignbit_b32 v12, v13, v12, v16
	v_lshlrev_b32_e32 v13, 31, v19
	v_or_b32_e32 v16, 0x33000000, v13
	v_add_lshl_u32 v14, v14, v15, 23
	v_lshrrev_b32_e32 v12, 9, v12
	v_sub_u32_e32 v14, v16, v14
	v_or_b32_e32 v13, 0.5, v13
	v_lshlrev_b32_e32 v15, 23, v15
	v_or_b32_e32 v12, v14, v12
	v_lshrrev_b32_e32 v14, 9, v17
	v_sub_u32_e32 v13, v13, v15
	v_or_b32_e32 v13, v14, v13
	s_mov_b32 s0, 0x3fc90fda
	v_mul_f32_e32 v14, 0x3fc90fda, v13
	v_fma_f32 v15, v13, s0, -v14
	v_fmac_f32_e32 v15, 0x33a22168, v13
	v_fmac_f32_e32 v15, 0x3fc90fda, v12
	v_lshrrev_b32_e32 v12, 30, v20
	v_add_f32_e32 v13, v14, v15
	v_add_u32_e32 v12, v22, v12
.LBB77_1429:
	s_andn2_saveexec_b64 s[0:1], s[16:17]
	s_cbranch_execz .LBB77_1431
; %bb.1430:
	s_mov_b32 s2, 0x3f22f983
	v_mul_f32_e64 v12, |v8|, s2
	v_rndne_f32_e32 v14, v12
	s_mov_b32 s2, 0xbfc90fda
	v_cvt_i32_f32_e32 v12, v14
	v_fma_f32 v13, v14, s2, |v8|
	v_fmac_f32_e32 v13, 0xb3a22168, v14
	v_fmac_f32_e32 v13, 0xa7c234c4, v14
.LBB77_1431:
	s_or_b64 exec, exec, s[0:1]
	v_mul_f32_e32 v14, v13, v13
	v_mov_b32_e32 v15, 0x3c0881c4
	v_fmac_f32_e32 v15, 0xb94c1982, v14
	v_mov_b32_e32 v16, 0xbe2aaa9d
	v_fmac_f32_e32 v16, v14, v15
	v_mul_f32_e32 v15, v14, v16
	v_fmac_f32_e32 v13, v13, v15
	v_mov_b32_e32 v15, 0xbab64f3b
	v_fmac_f32_e32 v15, 0x37d75334, v14
	v_mov_b32_e32 v16, 0x3d2aabf7
	v_fmac_f32_e32 v16, v14, v15
	v_mov_b32_e32 v15, 0xbf000004
	v_fmac_f32_e32 v15, v14, v16
	v_fma_f32 v14, v14, v15, 1.0
	v_and_b32_e32 v15, 1, v12
	v_lshlrev_b32_e32 v12, 30, v12
	v_cmp_eq_u32_e32 vcc, 0, v15
	v_and_b32_e32 v12, 0x80000000, v12
	v_xor_b32_e32 v11, v11, v8
	v_cndmask_b32_e32 v13, v14, v13, vcc
	v_xor_b32_e32 v11, v11, v12
	s_movk_i32 s0, 0x1f8
	v_xor_b32_e32 v11, v11, v13
	v_mov_b32_e32 v12, 0x7fc00000
	v_cmp_class_f32_e64 vcc, v8, s0
	v_cndmask_b32_e32 v8, v12, v11, vcc
	v_mul_f32_e32 v8, v8, v8
	s_mov_b32 s2, 0xc11de9e7
	v_div_scale_f32 v11, s[0:1], v8, v8, s2
	v_div_scale_f32 v12, vcc, s2, v8, s2
	v_sub_f32_e32 v10, 1.0, v10
	v_rcp_f32_e32 v13, v11
	v_fma_f32 v14, -v11, v13, 1.0
	v_fmac_f32_e32 v13, v14, v13
	v_mul_f32_e32 v14, v12, v13
	v_fma_f32 v15, -v11, v14, v12
	v_fmac_f32_e32 v14, v15, v13
	v_fma_f32 v11, -v11, v14, v12
	v_div_fmas_f32 v11, v11, v13, v14
	v_div_fixup_f32 v8, v11, v8, s2
	v_add_f32_e32 v12, 0, v8
	v_mov_b32_e32 v11, -1.0
.LBB77_1432:
	s_or_b64 exec, exec, s[14:15]
	v_mov_b32_e32 v13, s11
	v_add_co_u32_e32 v8, vcc, s10, v9
	s_cmp_lt_i32 s19, 11
	v_addc_co_u32_e32 v9, vcc, 0, v13, vcc
	s_cbranch_scc1 .LBB77_1439
; %bb.1433:
	s_and_b32 s20, 0xffff, s19
	s_cmp_gt_i32 s20, 25
	s_mov_b64 s[2:3], 0
	s_cbranch_scc0 .LBB77_1441
; %bb.1434:
	s_cmp_gt_i32 s20, 28
	s_cbranch_scc0 .LBB77_1442
; %bb.1435:
	s_cmp_gt_i32 s20, 43
	;; [unrolled: 3-line block ×3, first 2 shown]
	s_cbranch_scc0 .LBB77_1445
; %bb.1437:
	s_cmp_eq_u32 s20, 46
	s_mov_b64 s[14:15], 0
	s_cbranch_scc0 .LBB77_1446
; %bb.1438:
	global_load_dword v13, v[8:9], off
	s_mov_b64 s[0:1], 0
	s_mov_b64 s[4:5], -1
	s_branch .LBB77_1447
.LBB77_1439:
	s_mov_b64 s[4:5], 0
                                        ; implicit-def: $vgpr13
	s_cbranch_execnz .LBB77_1513
.LBB77_1440:
	s_andn2_b64 vcc, exec, s[4:5]
	s_cbranch_vccnz .LBB77_2136
	s_branch .LBB77_1561
.LBB77_1441:
	s_mov_b64 s[14:15], -1
	s_mov_b64 s[4:5], 0
	s_mov_b64 s[0:1], 0
                                        ; implicit-def: $vgpr13
	s_branch .LBB77_1476
.LBB77_1442:
	s_mov_b64 s[14:15], -1
	s_mov_b64 s[4:5], 0
	s_mov_b64 s[0:1], 0
                                        ; implicit-def: $vgpr13
	s_branch .LBB77_1457
.LBB77_1443:
	s_mov_b64 s[14:15], -1
	s_mov_b64 s[4:5], 0
	s_mov_b64 s[0:1], 0
                                        ; implicit-def: $vgpr13
	s_branch .LBB77_1452
.LBB77_1444:
	s_trap 2
	s_or_b64 s[12:13], s[12:13], exec
	s_cbranch_execz .LBB77_1377
	s_branch .LBB77_1378
.LBB77_1445:
	s_mov_b64 s[14:15], -1
	s_mov_b64 s[4:5], 0
	s_mov_b64 s[0:1], 0
                                        ; implicit-def: $vgpr13
	s_branch .LBB77_1447
.LBB77_1446:
	s_mov_b64 s[0:1], -1
                                        ; implicit-def: $vgpr13
	s_mov_b64 s[4:5], 0
.LBB77_1447:
	s_and_b64 vcc, exec, s[14:15]
	s_cbranch_vccz .LBB77_1451
; %bb.1448:
	s_cmp_eq_u32 s20, 44
	s_cbranch_scc0 .LBB77_1450
; %bb.1449:
	global_load_ubyte v13, v[8:9], off
	s_movk_i32 s4, 0xff
	v_mov_b32_e32 v14, 0x7f800001
	v_mov_b32_e32 v15, 0x400000
	;; [unrolled: 1-line block ×3, first 2 shown]
	s_mov_b64 s[0:1], 0
	s_waitcnt vmcnt(0)
	v_lshlrev_b32_e32 v17, 23, v13
	v_cmp_ne_u32_e32 vcc, s4, v13
	v_cndmask_b32_e32 v14, v14, v17, vcc
	v_cmp_ne_u32_e32 vcc, 0, v13
	v_cndmask_b32_e32 v13, v15, v14, vcc
	v_add_u32_e32 v14, 0x7fff, v13
	v_cmp_o_f32_e32 vcc, v13, v13
	v_cndmask_b32_sdwa v13, v16, v14, vcc dst_sel:DWORD dst_unused:UNUSED_PAD src0_sel:DWORD src1_sel:WORD_1
	s_mov_b64 s[4:5], -1
	s_branch .LBB77_1451
.LBB77_1450:
	s_mov_b64 s[0:1], -1
                                        ; implicit-def: $vgpr13
.LBB77_1451:
	s_mov_b64 s[14:15], 0
.LBB77_1452:
	s_and_b64 vcc, exec, s[14:15]
	s_cbranch_vccz .LBB77_1456
; %bb.1453:
	s_cmp_eq_u32 s20, 29
	s_cbranch_scc0 .LBB77_1455
; %bb.1454:
	global_load_dwordx2 v[13:14], v[8:9], off
	s_movk_i32 s4, 0x7fff
	s_mov_b64 s[0:1], 0
	s_mov_b64 s[14:15], 0
	s_waitcnt vmcnt(0)
	v_ffbh_u32_e32 v15, v14
	v_min_u32_e32 v15, 32, v15
	v_lshlrev_b64 v[13:14], v15, v[13:14]
	v_min_u32_e32 v13, 1, v13
	v_or_b32_e32 v13, v14, v13
	v_cvt_f32_u32_e32 v13, v13
	v_sub_u32_e32 v14, 32, v15
	v_ldexp_f32 v13, v13, v14
	v_bfe_u32 v14, v13, 16, 1
	v_add3_u32 v13, v13, v14, s4
	v_lshrrev_b32_e32 v13, 16, v13
	s_mov_b64 s[4:5], -1
	s_branch .LBB77_1457
.LBB77_1455:
	s_mov_b64 s[0:1], -1
                                        ; implicit-def: $vgpr13
.LBB77_1456:
	s_mov_b64 s[14:15], 0
.LBB77_1457:
	s_and_b64 vcc, exec, s[14:15]
	s_cbranch_vccz .LBB77_1475
; %bb.1458:
	s_cmp_lt_i32 s20, 27
	s_cbranch_scc1 .LBB77_1461
; %bb.1459:
	s_cmp_gt_i32 s20, 27
	s_cbranch_scc0 .LBB77_1462
; %bb.1460:
	global_load_dword v13, v[8:9], off
	s_movk_i32 s4, 0x7fff
	s_waitcnt vmcnt(0)
	v_cvt_f32_u32_e32 v13, v13
	v_bfe_u32 v14, v13, 16, 1
	v_add3_u32 v13, v13, v14, s4
	v_lshrrev_b32_e32 v13, 16, v13
	s_mov_b64 s[4:5], 0
	s_branch .LBB77_1463
.LBB77_1461:
	s_mov_b64 s[4:5], -1
                                        ; implicit-def: $vgpr13
	s_branch .LBB77_1466
.LBB77_1462:
	s_mov_b64 s[4:5], -1
                                        ; implicit-def: $vgpr13
.LBB77_1463:
	s_andn2_b64 vcc, exec, s[4:5]
	s_cbranch_vccnz .LBB77_1465
; %bb.1464:
	global_load_ushort v13, v[8:9], off
	s_movk_i32 s4, 0x7fff
	s_waitcnt vmcnt(0)
	v_cvt_f32_u32_e32 v13, v13
	v_bfe_u32 v14, v13, 16, 1
	v_add3_u32 v13, v13, v14, s4
	v_lshrrev_b32_e32 v13, 16, v13
.LBB77_1465:
	s_mov_b64 s[4:5], 0
.LBB77_1466:
	s_andn2_b64 vcc, exec, s[4:5]
	s_cbranch_vccnz .LBB77_1474
; %bb.1467:
	global_load_ubyte v13, v[8:9], off
	s_movk_i32 s4, 0x7f
	s_waitcnt vmcnt(0)
	v_cmp_lt_i16_e32 vcc, s4, v13
	s_mov_b64 s[4:5], 0
	s_and_saveexec_b64 s[14:15], vcc
	s_xor_b64 s[14:15], exec, s[14:15]
	s_cbranch_execz .LBB77_1488
; %bb.1468:
	s_movk_i32 s4, 0x80
	v_cmp_eq_u16_e32 vcc, s4, v13
	s_mov_b64 s[4:5], -1
	s_and_saveexec_b64 s[16:17], vcc
; %bb.1469:
	s_xor_b64 s[4:5], exec, -1
; %bb.1470:
	s_or_b64 exec, exec, s[16:17]
	s_and_b64 s[4:5], s[4:5], exec
	s_or_saveexec_b64 s[14:15], s[14:15]
	v_mov_b32_e32 v14, 0x7f800001
	s_xor_b64 exec, exec, s[14:15]
	s_cbranch_execnz .LBB77_1489
.LBB77_1471:
	s_or_b64 exec, exec, s[14:15]
	s_and_saveexec_b64 s[14:15], s[4:5]
	s_cbranch_execz .LBB77_1473
.LBB77_1472:
	v_lshlrev_b32_e32 v14, 24, v13
	v_and_b32_e32 v13, 0xffff, v13
	v_and_b32_e32 v15, 7, v13
	v_ffbh_u32_e32 v17, v15
	v_min_u32_e32 v17, 32, v17
	v_subrev_u32_e32 v18, 28, v17
	v_bfe_u32 v16, v13, 3, 4
	v_lshlrev_b32_e32 v13, v18, v13
	v_sub_u32_e32 v17, 29, v17
	v_and_b32_e32 v13, 7, v13
	v_cmp_eq_u32_e32 vcc, 0, v16
	v_cndmask_b32_e32 v16, v16, v17, vcc
	v_cndmask_b32_e32 v13, v15, v13, vcc
	v_mov_b32_e32 v15, 0x3b800000
	v_lshlrev_b32_e32 v13, 20, v13
	v_and_b32_e32 v14, 0x80000000, v14
	v_lshl_add_u32 v15, v16, 23, v15
	v_or3_b32 v14, v14, v15, v13
.LBB77_1473:
	s_or_b64 exec, exec, s[14:15]
	v_bfe_u32 v13, v14, 16, 1
	s_movk_i32 s4, 0x7fff
	v_add3_u32 v13, v14, v13, s4
	v_cmp_o_f32_e32 vcc, v14, v14
	v_mov_b32_e32 v14, 0x7fc0
	v_cndmask_b32_sdwa v13, v14, v13, vcc dst_sel:DWORD dst_unused:UNUSED_PAD src0_sel:DWORD src1_sel:WORD_1
.LBB77_1474:
	s_mov_b64 s[4:5], -1
.LBB77_1475:
	s_mov_b64 s[14:15], 0
.LBB77_1476:
	s_and_b64 vcc, exec, s[14:15]
	s_cbranch_vccz .LBB77_1509
; %bb.1477:
	s_cmp_gt_i32 s20, 22
	s_cbranch_scc0 .LBB77_1487
; %bb.1478:
	s_cmp_lt_i32 s20, 24
	s_cbranch_scc1 .LBB77_1490
; %bb.1479:
	s_cmp_gt_i32 s20, 24
	s_cbranch_scc0 .LBB77_1491
; %bb.1480:
	global_load_ubyte v13, v[8:9], off
	s_movk_i32 s2, 0x7f
	s_waitcnt vmcnt(0)
	v_cmp_lt_i16_e32 vcc, s2, v13
	s_mov_b64 s[2:3], 0
	s_and_saveexec_b64 s[4:5], vcc
	s_xor_b64 s[4:5], exec, s[4:5]
	s_cbranch_execz .LBB77_1503
; %bb.1481:
	s_movk_i32 s2, 0x80
	v_cmp_eq_u16_e32 vcc, s2, v13
	s_mov_b64 s[2:3], -1
	s_and_saveexec_b64 s[14:15], vcc
; %bb.1482:
	s_xor_b64 s[2:3], exec, -1
; %bb.1483:
	s_or_b64 exec, exec, s[14:15]
	s_and_b64 s[2:3], s[2:3], exec
	s_or_saveexec_b64 s[4:5], s[4:5]
	v_mov_b32_e32 v14, 0x7f800001
	s_xor_b64 exec, exec, s[4:5]
	s_cbranch_execnz .LBB77_1504
.LBB77_1484:
	s_or_b64 exec, exec, s[4:5]
	s_and_saveexec_b64 s[4:5], s[2:3]
	s_cbranch_execz .LBB77_1486
.LBB77_1485:
	v_lshlrev_b32_e32 v14, 24, v13
	v_and_b32_e32 v13, 0xffff, v13
	v_and_b32_e32 v15, 3, v13
	v_ffbh_u32_e32 v17, v15
	v_min_u32_e32 v17, 32, v17
	v_subrev_u32_e32 v18, 29, v17
	v_bfe_u32 v16, v13, 2, 5
	v_lshlrev_b32_e32 v13, v18, v13
	v_sub_u32_e32 v17, 30, v17
	v_and_b32_e32 v13, 3, v13
	v_cmp_eq_u32_e32 vcc, 0, v16
	v_cndmask_b32_e32 v16, v16, v17, vcc
	v_cndmask_b32_e32 v13, v15, v13, vcc
	v_mov_b32_e32 v15, 0x37800000
	v_lshlrev_b32_e32 v13, 21, v13
	v_and_b32_e32 v14, 0x80000000, v14
	v_lshl_add_u32 v15, v16, 23, v15
	v_or3_b32 v14, v14, v15, v13
.LBB77_1486:
	s_or_b64 exec, exec, s[4:5]
	v_bfe_u32 v13, v14, 16, 1
	s_movk_i32 s2, 0x7fff
	v_add3_u32 v13, v14, v13, s2
	v_cmp_o_f32_e32 vcc, v14, v14
	v_mov_b32_e32 v14, 0x7fc0
	v_cndmask_b32_sdwa v13, v14, v13, vcc dst_sel:DWORD dst_unused:UNUSED_PAD src0_sel:DWORD src1_sel:WORD_1
	s_mov_b64 s[2:3], 0
	s_branch .LBB77_1492
.LBB77_1487:
	s_mov_b64 s[2:3], -1
                                        ; implicit-def: $vgpr13
	s_branch .LBB77_1498
.LBB77_1488:
	s_or_saveexec_b64 s[14:15], s[14:15]
	v_mov_b32_e32 v14, 0x7f800001
	s_xor_b64 exec, exec, s[14:15]
	s_cbranch_execz .LBB77_1471
.LBB77_1489:
	v_cmp_ne_u16_e32 vcc, 0, v13
	s_andn2_b64 s[4:5], s[4:5], exec
	s_and_b64 s[16:17], vcc, exec
	v_mov_b32_e32 v14, 0
	s_or_b64 s[4:5], s[4:5], s[16:17]
	s_or_b64 exec, exec, s[14:15]
	s_and_saveexec_b64 s[14:15], s[4:5]
	s_cbranch_execnz .LBB77_1472
	s_branch .LBB77_1473
.LBB77_1490:
	s_mov_b64 s[2:3], -1
                                        ; implicit-def: $vgpr13
	s_branch .LBB77_1495
.LBB77_1491:
	s_mov_b64 s[2:3], -1
                                        ; implicit-def: $vgpr13
.LBB77_1492:
	s_and_b64 vcc, exec, s[2:3]
	s_cbranch_vccz .LBB77_1494
; %bb.1493:
	global_load_ubyte v13, v[8:9], off
	s_mov_b32 s2, 0x7f800000
	s_brev_b32 s3, 1
	s_movk_i32 s4, 0x7fff
	s_waitcnt vmcnt(0)
	v_lshlrev_b32_e32 v13, 24, v13
	v_and_b32_e32 v14, 0x7f000000, v13
	v_ffbh_u32_e32 v15, v14
	v_min_u32_e32 v15, 32, v15
	v_sub_u32_e64 v15, v15, 4 clamp
	v_lshlrev_b32_e32 v17, v15, v14
	v_lshlrev_b32_e32 v15, 23, v15
	v_lshrrev_b32_e32 v17, 4, v17
	v_add_u32_e32 v16, 0x1000000, v14
	v_sub_u32_e32 v15, v17, v15
	v_ashrrev_i32_e32 v16, 8, v16
	v_add_u32_e32 v15, 0x3c000000, v15
	v_and_or_b32 v15, v16, s2, v15
	v_cmp_ne_u32_e32 vcc, 0, v14
	v_cndmask_b32_e32 v14, 0, v15, vcc
	v_and_or_b32 v13, v13, s3, v14
	v_bfe_u32 v14, v14, 16, 1
	v_add3_u32 v14, v13, v14, s4
	v_cmp_o_f32_e32 vcc, v13, v13
	v_mov_b32_e32 v13, 0x7fc0
	v_cndmask_b32_sdwa v13, v13, v14, vcc dst_sel:DWORD dst_unused:UNUSED_PAD src0_sel:DWORD src1_sel:WORD_1
.LBB77_1494:
	s_mov_b64 s[2:3], 0
.LBB77_1495:
	s_andn2_b64 vcc, exec, s[2:3]
	s_cbranch_vccnz .LBB77_1497
; %bb.1496:
	global_load_ubyte v13, v[8:9], off
	s_movk_i32 s2, 0x7f00
	s_brev_b32 s3, 16
	s_brev_b32 s4, 1
	s_movk_i32 s5, 0x7fff
	s_waitcnt vmcnt(0)
	v_lshlrev_b16_e32 v14, 8, v13
	v_lshlrev_b32_e32 v13, 25, v13
	v_lshrrev_b32_e32 v15, 4, v13
	v_and_or_b32 v16, v14, s2, 0.5
	v_or_b32_e32 v15, 0x70000000, v15
	v_add_f32_e32 v16, -0.5, v16
	v_mul_f32_e32 v15, 0x7800000, v15
	v_cmp_gt_u32_e32 vcc, s3, v13
	v_bfe_i32 v14, v14, 0, 16
	v_cndmask_b32_e32 v13, v15, v16, vcc
	v_and_or_b32 v14, v14, s4, v13
	v_bfe_u32 v13, v13, 16, 1
	v_add3_u32 v13, v14, v13, s5
	v_cmp_o_f32_e32 vcc, v14, v14
	v_mov_b32_e32 v14, 0x7fc0
	v_cndmask_b32_sdwa v13, v14, v13, vcc dst_sel:DWORD dst_unused:UNUSED_PAD src0_sel:DWORD src1_sel:WORD_1
.LBB77_1497:
	s_mov_b64 s[2:3], 0
	s_mov_b64 s[4:5], -1
.LBB77_1498:
	s_andn2_b64 vcc, exec, s[2:3]
	s_mov_b64 s[2:3], 0
	s_cbranch_vccnz .LBB77_1509
; %bb.1499:
	s_cmp_gt_i32 s20, 14
	s_cbranch_scc0 .LBB77_1502
; %bb.1500:
	s_cmp_eq_u32 s20, 15
	s_cbranch_scc0 .LBB77_1505
; %bb.1501:
	global_load_ushort v13, v[8:9], off
	s_mov_b64 s[0:1], 0
	s_mov_b64 s[4:5], -1
	s_branch .LBB77_1506
.LBB77_1502:
	s_mov_b64 s[14:15], -1
                                        ; implicit-def: $vgpr13
	s_branch .LBB77_1507
.LBB77_1503:
	s_or_saveexec_b64 s[4:5], s[4:5]
	v_mov_b32_e32 v14, 0x7f800001
	s_xor_b64 exec, exec, s[4:5]
	s_cbranch_execz .LBB77_1484
.LBB77_1504:
	v_cmp_ne_u16_e32 vcc, 0, v13
	s_andn2_b64 s[2:3], s[2:3], exec
	s_and_b64 s[14:15], vcc, exec
	v_mov_b32_e32 v14, 0
	s_or_b64 s[2:3], s[2:3], s[14:15]
	s_or_b64 exec, exec, s[4:5]
	s_and_saveexec_b64 s[4:5], s[2:3]
	s_cbranch_execnz .LBB77_1485
	s_branch .LBB77_1486
.LBB77_1505:
	s_mov_b64 s[0:1], -1
                                        ; implicit-def: $vgpr13
.LBB77_1506:
	s_mov_b64 s[14:15], 0
.LBB77_1507:
	s_and_b64 vcc, exec, s[14:15]
	s_cbranch_vccz .LBB77_1509
; %bb.1508:
	s_cmp_lg_u32 s20, 11
	s_mov_b64 s[2:3], -1
	s_cselect_b64 s[0:1], -1, 0
.LBB77_1509:
	s_and_b64 vcc, exec, s[0:1]
	s_cbranch_vccnz .LBB77_1578
; %bb.1510:
	s_andn2_b64 vcc, exec, s[2:3]
	s_cbranch_vccnz .LBB77_1512
.LBB77_1511:
	global_load_ubyte v13, v[8:9], off
	s_mov_b64 s[4:5], -1
	s_waitcnt vmcnt(0)
	v_cmp_ne_u16_e32 vcc, 0, v13
	v_cndmask_b32_e64 v13, 0, 1.0, vcc
	v_lshrrev_b32_e32 v13, 16, v13
.LBB77_1512:
	s_branch .LBB77_1440
.LBB77_1513:
	s_and_b32 s2, 0xffff, s19
	s_cmp_lt_i32 s2, 5
	s_cbranch_scc1 .LBB77_1518
; %bb.1514:
	s_cmp_lt_i32 s2, 8
	s_cbranch_scc1 .LBB77_1519
; %bb.1515:
	;; [unrolled: 3-line block ×3, first 2 shown]
	s_cmp_gt_i32 s2, 9
	s_cbranch_scc0 .LBB77_1521
; %bb.1517:
	global_load_dwordx2 v[13:14], v[8:9], off
	s_movk_i32 s0, 0x7fff
	s_waitcnt vmcnt(0)
	v_cvt_f32_f64_e32 v13, v[13:14]
	v_mov_b32_e32 v14, 0x7fc0
	v_bfe_u32 v15, v13, 16, 1
	v_cmp_o_f32_e32 vcc, v13, v13
	v_add3_u32 v13, v13, v15, s0
	v_cndmask_b32_sdwa v13, v14, v13, vcc dst_sel:DWORD dst_unused:UNUSED_PAD src0_sel:DWORD src1_sel:WORD_1
	s_mov_b64 s[0:1], 0
	s_branch .LBB77_1522
.LBB77_1518:
	s_mov_b64 s[0:1], -1
                                        ; implicit-def: $vgpr13
	s_branch .LBB77_1540
.LBB77_1519:
	s_mov_b64 s[0:1], -1
                                        ; implicit-def: $vgpr13
	s_branch .LBB77_1528
.LBB77_1520:
	s_mov_b64 s[0:1], -1
                                        ; implicit-def: $vgpr13
	s_branch .LBB77_1525
.LBB77_1521:
	s_mov_b64 s[0:1], -1
                                        ; implicit-def: $vgpr13
.LBB77_1522:
	s_andn2_b64 vcc, exec, s[0:1]
	s_cbranch_vccnz .LBB77_1524
; %bb.1523:
	global_load_dword v13, v[8:9], off
	s_movk_i32 s0, 0x7fff
	v_mov_b32_e32 v14, 0x7fc0
	s_waitcnt vmcnt(0)
	v_bfe_u32 v15, v13, 16, 1
	v_cmp_o_f32_e32 vcc, v13, v13
	v_add3_u32 v13, v13, v15, s0
	v_cndmask_b32_sdwa v13, v14, v13, vcc dst_sel:DWORD dst_unused:UNUSED_PAD src0_sel:DWORD src1_sel:WORD_1
.LBB77_1524:
	s_mov_b64 s[0:1], 0
.LBB77_1525:
	s_andn2_b64 vcc, exec, s[0:1]
	s_cbranch_vccnz .LBB77_1527
; %bb.1526:
	global_load_dword v13, v[8:9], off
	s_movk_i32 s0, 0x7fff
	v_mov_b32_e32 v15, 0x7fc0
	s_waitcnt vmcnt(0)
	v_cvt_f32_f16_e32 v14, v13
	v_cmp_o_f16_e32 vcc, v13, v13
	v_bfe_u32 v13, v14, 16, 1
	v_add3_u32 v13, v14, v13, s0
	v_cndmask_b32_sdwa v13, v15, v13, vcc dst_sel:DWORD dst_unused:UNUSED_PAD src0_sel:DWORD src1_sel:WORD_1
.LBB77_1527:
	s_mov_b64 s[0:1], 0
.LBB77_1528:
	s_andn2_b64 vcc, exec, s[0:1]
	s_cbranch_vccnz .LBB77_1539
; %bb.1529:
	s_cmp_lt_i32 s2, 6
	s_cbranch_scc1 .LBB77_1532
; %bb.1530:
	s_cmp_gt_i32 s2, 6
	s_cbranch_scc0 .LBB77_1533
; %bb.1531:
	global_load_dwordx2 v[13:14], v[8:9], off
	s_movk_i32 s0, 0x7fff
	s_waitcnt vmcnt(0)
	v_cvt_f32_f64_e32 v13, v[13:14]
	v_mov_b32_e32 v14, 0x7fc0
	v_bfe_u32 v15, v13, 16, 1
	v_cmp_o_f32_e32 vcc, v13, v13
	v_add3_u32 v13, v13, v15, s0
	v_cndmask_b32_sdwa v13, v14, v13, vcc dst_sel:DWORD dst_unused:UNUSED_PAD src0_sel:DWORD src1_sel:WORD_1
	s_mov_b64 s[0:1], 0
	s_branch .LBB77_1534
.LBB77_1532:
	s_mov_b64 s[0:1], -1
                                        ; implicit-def: $vgpr13
	s_branch .LBB77_1537
.LBB77_1533:
	s_mov_b64 s[0:1], -1
                                        ; implicit-def: $vgpr13
.LBB77_1534:
	s_andn2_b64 vcc, exec, s[0:1]
	s_cbranch_vccnz .LBB77_1536
; %bb.1535:
	global_load_dword v13, v[8:9], off
	s_movk_i32 s0, 0x7fff
	v_mov_b32_e32 v14, 0x7fc0
	s_waitcnt vmcnt(0)
	v_bfe_u32 v15, v13, 16, 1
	v_cmp_o_f32_e32 vcc, v13, v13
	v_add3_u32 v13, v13, v15, s0
	v_cndmask_b32_sdwa v13, v14, v13, vcc dst_sel:DWORD dst_unused:UNUSED_PAD src0_sel:DWORD src1_sel:WORD_1
.LBB77_1536:
	s_mov_b64 s[0:1], 0
.LBB77_1537:
	s_andn2_b64 vcc, exec, s[0:1]
	s_cbranch_vccnz .LBB77_1539
; %bb.1538:
	global_load_ushort v13, v[8:9], off
	s_movk_i32 s0, 0x7fff
	v_mov_b32_e32 v15, 0x7fc0
	s_waitcnt vmcnt(0)
	v_cvt_f32_f16_e32 v14, v13
	v_cmp_o_f16_e32 vcc, v13, v13
	v_bfe_u32 v13, v14, 16, 1
	v_add3_u32 v13, v14, v13, s0
	v_cndmask_b32_sdwa v13, v15, v13, vcc dst_sel:DWORD dst_unused:UNUSED_PAD src0_sel:DWORD src1_sel:WORD_1
.LBB77_1539:
	s_mov_b64 s[0:1], 0
.LBB77_1540:
	s_andn2_b64 vcc, exec, s[0:1]
	s_cbranch_vccnz .LBB77_1560
; %bb.1541:
	s_cmp_lt_i32 s2, 2
	s_cbranch_scc1 .LBB77_1545
; %bb.1542:
	s_cmp_lt_i32 s2, 3
	s_cbranch_scc1 .LBB77_1546
; %bb.1543:
	s_cmp_gt_i32 s2, 3
	s_cbranch_scc0 .LBB77_1547
; %bb.1544:
	global_load_dwordx2 v[13:14], v[8:9], off
	s_movk_i32 s0, 0x7fff
	s_waitcnt vmcnt(0)
	v_xor_b32_e32 v16, v13, v14
	v_ffbh_i32_e32 v15, v14
	v_ashrrev_i32_e32 v16, 31, v16
	v_add_u32_e32 v15, -1, v15
	v_add_u32_e32 v16, 32, v16
	v_min_u32_e32 v15, v15, v16
	v_lshlrev_b64 v[13:14], v15, v[13:14]
	v_min_u32_e32 v13, 1, v13
	v_or_b32_e32 v13, v14, v13
	v_cvt_f32_i32_e32 v13, v13
	v_sub_u32_e32 v14, 32, v15
	v_ldexp_f32 v13, v13, v14
	v_bfe_u32 v14, v13, 16, 1
	v_add3_u32 v13, v13, v14, s0
	v_lshrrev_b32_e32 v13, 16, v13
	s_mov_b64 s[0:1], 0
	s_branch .LBB77_1548
.LBB77_1545:
	s_mov_b64 s[0:1], -1
                                        ; implicit-def: $vgpr13
	s_branch .LBB77_1554
.LBB77_1546:
	s_mov_b64 s[0:1], -1
                                        ; implicit-def: $vgpr13
	s_branch .LBB77_1551
.LBB77_1547:
	s_mov_b64 s[0:1], -1
                                        ; implicit-def: $vgpr13
.LBB77_1548:
	s_andn2_b64 vcc, exec, s[0:1]
	s_cbranch_vccnz .LBB77_1550
; %bb.1549:
	global_load_dword v13, v[8:9], off
	s_movk_i32 s0, 0x7fff
	s_waitcnt vmcnt(0)
	v_cvt_f32_i32_e32 v13, v13
	v_bfe_u32 v14, v13, 16, 1
	v_add3_u32 v13, v13, v14, s0
	v_lshrrev_b32_e32 v13, 16, v13
.LBB77_1550:
	s_mov_b64 s[0:1], 0
.LBB77_1551:
	s_andn2_b64 vcc, exec, s[0:1]
	s_cbranch_vccnz .LBB77_1553
; %bb.1552:
	global_load_sshort v13, v[8:9], off
	s_movk_i32 s0, 0x7fff
	s_waitcnt vmcnt(0)
	v_cvt_f32_i32_e32 v13, v13
	v_bfe_u32 v14, v13, 16, 1
	v_add3_u32 v13, v13, v14, s0
	v_lshrrev_b32_e32 v13, 16, v13
.LBB77_1553:
	s_mov_b64 s[0:1], 0
.LBB77_1554:
	s_andn2_b64 vcc, exec, s[0:1]
	s_cbranch_vccnz .LBB77_1560
; %bb.1555:
	s_cmp_gt_i32 s2, 0
	s_cbranch_scc0 .LBB77_1557
; %bb.1556:
	global_load_sbyte v13, v[8:9], off
	s_movk_i32 s0, 0x7fff
	s_waitcnt vmcnt(0)
	v_cvt_f32_i32_e32 v13, v13
	v_bfe_u32 v14, v13, 16, 1
	v_add3_u32 v13, v13, v14, s0
	v_lshrrev_b32_e32 v13, 16, v13
	s_mov_b64 s[0:1], 0
	s_branch .LBB77_1558
.LBB77_1557:
	s_mov_b64 s[0:1], -1
                                        ; implicit-def: $vgpr13
.LBB77_1558:
	s_andn2_b64 vcc, exec, s[0:1]
	s_cbranch_vccnz .LBB77_1560
; %bb.1559:
	global_load_ubyte v8, v[8:9], off
	s_movk_i32 s0, 0x7fff
	s_waitcnt vmcnt(0)
	v_cvt_f32_ubyte0_e32 v8, v8
	v_bfe_u32 v9, v8, 16, 1
	v_add3_u32 v8, v8, v9, s0
	v_lshrrev_b32_e32 v13, 16, v8
.LBB77_1560:
.LBB77_1561:
	s_waitcnt vmcnt(0)
	v_lshlrev_b32_e32 v9, 16, v13
	v_cmp_gt_f32_e32 vcc, 0.5, v9
	v_mov_b32_e32 v14, 0
	v_mov_b32_e32 v13, 1.0
	s_and_saveexec_b64 s[14:15], vcc
	s_cbranch_execz .LBB77_1567
; %bb.1562:
	v_mul_f32_e32 v8, 0x40490fdb, v9
	s_brev_b32 s0, 18
	v_and_b32_e32 v13, 0x7fffffff, v8
	v_cmp_nlt_f32_e64 s[0:1], |v8|, s0
                                        ; implicit-def: $vgpr14
                                        ; implicit-def: $vgpr15
	s_and_saveexec_b64 s[2:3], s[0:1]
	s_xor_b64 s[16:17], exec, s[2:3]
	s_cbranch_execz .LBB77_1564
; %bb.1563:
	v_and_b32_e32 v14, 0x7fffff, v13
	v_or_b32_e32 v23, 0x800000, v14
	s_mov_b32 s0, 0xfe5163ab
	v_mad_u64_u32 v[14:15], s[0:1], v23, s0, 0
	v_mov_b32_e32 v16, 0
	s_mov_b32 s0, 0x3c439041
	v_mad_u64_u32 v[17:18], s[0:1], v23, s0, v[15:16]
	s_mov_b32 s0, 0xdb629599
	v_not_b32_e32 v22, 63
	v_mov_b32_e32 v15, v18
	v_mad_u64_u32 v[18:19], s[0:1], v23, s0, v[15:16]
	s_mov_b32 s0, 0xf534ddc0
	v_not_b32_e32 v25, 31
	v_mov_b32_e32 v15, v19
	v_mad_u64_u32 v[19:20], s[0:1], v23, s0, v[15:16]
	v_lshrrev_b32_e32 v15, 23, v13
	v_add_u32_e32 v24, 0xffffff88, v15
	v_mov_b32_e32 v15, v20
	s_mov_b32 s0, 0xfc2757d1
	v_mad_u64_u32 v[20:21], s[0:1], v23, s0, v[15:16]
	v_cmp_lt_u32_e32 vcc, 63, v24
	v_cndmask_b32_e32 v15, 0, v22, vcc
	v_add_u32_e32 v24, v15, v24
	v_mov_b32_e32 v15, v21
	s_mov_b32 s0, 0x4e441529
	v_mad_u64_u32 v[21:22], s[0:1], v23, s0, v[15:16]
	v_cmp_lt_u32_e64 s[0:1], 31, v24
	v_cndmask_b32_e64 v15, 0, v25, s[0:1]
	v_add_u32_e32 v24, v15, v24
	v_mov_b32_e32 v15, v22
	s_mov_b32 s2, 0xa2f9836e
	v_mad_u64_u32 v[15:16], s[2:3], v23, s2, v[15:16]
	v_cmp_lt_u32_e64 s[2:3], 31, v24
	v_cndmask_b32_e64 v22, 0, v25, s[2:3]
	v_cndmask_b32_e32 v23, v21, v19, vcc
	v_cndmask_b32_e32 v15, v15, v20, vcc
	v_cndmask_b32_e32 v16, v16, v21, vcc
	v_add_u32_e32 v22, v22, v24
	v_cndmask_b32_e64 v24, v15, v23, s[0:1]
	v_cndmask_b32_e64 v15, v16, v15, s[0:1]
	v_cndmask_b32_e32 v16, v20, v18, vcc
	v_cndmask_b32_e64 v20, v23, v16, s[0:1]
	v_cndmask_b32_e64 v15, v15, v24, s[2:3]
	;; [unrolled: 1-line block ×3, first 2 shown]
	v_sub_u32_e32 v23, 32, v22
	v_alignbit_b32 v24, v15, v21, v23
	v_cmp_eq_u32_e64 s[4:5], 0, v22
	v_cndmask_b32_e64 v22, v24, v15, s[4:5]
	v_cndmask_b32_e32 v15, v19, v17, vcc
	v_cndmask_b32_e64 v16, v16, v15, s[0:1]
	v_cndmask_b32_e64 v17, v20, v16, s[2:3]
	v_alignbit_b32 v19, v21, v17, v23
	v_cndmask_b32_e32 v14, v18, v14, vcc
	v_cndmask_b32_e64 v19, v19, v21, s[4:5]
	v_bfe_u32 v24, v22, 29, 1
	v_cndmask_b32_e64 v14, v15, v14, s[0:1]
	v_alignbit_b32 v20, v22, v19, 30
	v_sub_u32_e32 v25, 0, v24
	v_cndmask_b32_e64 v14, v16, v14, s[2:3]
	v_xor_b32_e32 v20, v20, v25
	v_alignbit_b32 v15, v17, v14, v23
	v_cndmask_b32_e64 v15, v15, v17, s[4:5]
	v_ffbh_u32_e32 v17, v20
	v_alignbit_b32 v16, v19, v15, 30
	v_min_u32_e32 v17, 32, v17
	v_alignbit_b32 v14, v15, v14, 30
	v_xor_b32_e32 v16, v16, v25
	v_sub_u32_e32 v18, 31, v17
	v_xor_b32_e32 v14, v14, v25
	v_alignbit_b32 v19, v20, v16, v18
	v_alignbit_b32 v14, v16, v14, v18
	;; [unrolled: 1-line block ×3, first 2 shown]
	v_ffbh_u32_e32 v16, v15
	v_min_u32_e32 v16, 32, v16
	v_lshrrev_b32_e32 v21, 29, v22
	v_not_b32_e32 v18, v16
	v_alignbit_b32 v14, v15, v14, v18
	v_lshlrev_b32_e32 v15, 31, v21
	v_or_b32_e32 v18, 0x33000000, v15
	v_add_lshl_u32 v16, v16, v17, 23
	v_lshrrev_b32_e32 v14, 9, v14
	v_sub_u32_e32 v16, v18, v16
	v_or_b32_e32 v15, 0.5, v15
	v_lshlrev_b32_e32 v17, 23, v17
	v_or_b32_e32 v14, v16, v14
	v_lshrrev_b32_e32 v16, 9, v19
	v_sub_u32_e32 v15, v15, v17
	v_or_b32_e32 v15, v16, v15
	s_mov_b32 s0, 0x3fc90fda
	v_mul_f32_e32 v16, 0x3fc90fda, v15
	v_fma_f32 v17, v15, s0, -v16
	v_fmac_f32_e32 v17, 0x33a22168, v15
	v_fmac_f32_e32 v17, 0x3fc90fda, v14
	v_lshrrev_b32_e32 v14, 30, v22
	v_add_f32_e32 v15, v16, v17
	v_add_u32_e32 v14, v24, v14
.LBB77_1564:
	s_andn2_saveexec_b64 s[0:1], s[16:17]
	s_cbranch_execz .LBB77_1566
; %bb.1565:
	s_mov_b32 s2, 0x3f22f983
	v_mul_f32_e64 v14, |v8|, s2
	v_rndne_f32_e32 v16, v14
	s_mov_b32 s2, 0xbfc90fda
	v_cvt_i32_f32_e32 v14, v16
	v_fma_f32 v15, v16, s2, |v8|
	v_fmac_f32_e32 v15, 0xb3a22168, v16
	v_fmac_f32_e32 v15, 0xa7c234c4, v16
.LBB77_1566:
	s_or_b64 exec, exec, s[0:1]
	v_mul_f32_e32 v16, v15, v15
	v_mov_b32_e32 v17, 0x3c0881c4
	v_fmac_f32_e32 v17, 0xb94c1982, v16
	v_mov_b32_e32 v18, 0xbe2aaa9d
	v_fmac_f32_e32 v18, v16, v17
	v_mul_f32_e32 v17, v16, v18
	v_fmac_f32_e32 v15, v15, v17
	v_mov_b32_e32 v17, 0xbab64f3b
	v_fmac_f32_e32 v17, 0x37d75334, v16
	v_mov_b32_e32 v18, 0x3d2aabf7
	;; [unrolled: 2-line block ×3, first 2 shown]
	v_fmac_f32_e32 v17, v16, v18
	v_fma_f32 v16, v16, v17, 1.0
	v_and_b32_e32 v17, 1, v14
	v_lshlrev_b32_e32 v14, 30, v14
	v_cmp_eq_u32_e32 vcc, 0, v17
	v_and_b32_e32 v14, 0x80000000, v14
	v_xor_b32_e32 v13, v13, v8
	v_cndmask_b32_e32 v15, v16, v15, vcc
	v_xor_b32_e32 v13, v13, v14
	s_movk_i32 s0, 0x1f8
	v_xor_b32_e32 v13, v13, v15
	v_mov_b32_e32 v14, 0x7fc00000
	v_cmp_class_f32_e64 vcc, v8, s0
	v_cndmask_b32_e32 v8, v14, v13, vcc
	v_mul_f32_e32 v8, v8, v8
	s_mov_b32 s2, 0xc11de9e7
	v_div_scale_f32 v13, s[0:1], v8, v8, s2
	v_div_scale_f32 v14, vcc, s2, v8, s2
	v_sub_f32_e32 v9, 1.0, v9
	v_rcp_f32_e32 v15, v13
	v_fma_f32 v16, -v13, v15, 1.0
	v_fmac_f32_e32 v15, v16, v15
	v_mul_f32_e32 v16, v14, v15
	v_fma_f32 v17, -v13, v16, v14
	v_fmac_f32_e32 v16, v17, v15
	v_fma_f32 v13, -v13, v16, v14
	v_div_fmas_f32 v13, v13, v15, v16
	v_div_fixup_f32 v8, v13, v8, s2
	v_add_f32_e32 v14, 0, v8
	v_mov_b32_e32 v13, -1.0
.LBB77_1567:
	s_or_b64 exec, exec, s[14:15]
	v_mov_b32_e32 v8, s11
	v_add_co_u32_e32 v7, vcc, s10, v7
	s_cmp_lt_i32 s19, 11
	v_addc_co_u32_e32 v8, vcc, 0, v8, vcc
	s_cbranch_scc1 .LBB77_1574
; %bb.1568:
	s_and_b32 s16, 0xffff, s19
	s_cmp_gt_i32 s16, 25
	s_mov_b64 s[2:3], 0
	s_cbranch_scc0 .LBB77_1575
; %bb.1569:
	s_cmp_gt_i32 s16, 28
	s_cbranch_scc0 .LBB77_1576
; %bb.1570:
	s_cmp_gt_i32 s16, 43
	;; [unrolled: 3-line block ×3, first 2 shown]
	s_cbranch_scc0 .LBB77_1579
; %bb.1572:
	s_cmp_eq_u32 s16, 46
	s_mov_b64 s[10:11], 0
	s_cbranch_scc0 .LBB77_1580
; %bb.1573:
	global_load_dword v15, v[7:8], off
	s_mov_b64 s[0:1], 0
	s_mov_b64 s[4:5], -1
	s_branch .LBB77_1581
.LBB77_1574:
	s_mov_b64 s[0:1], -1
	s_mov_b64 s[4:5], 0
                                        ; implicit-def: $vgpr15
	s_branch .LBB77_1647
.LBB77_1575:
	s_mov_b64 s[10:11], -1
	s_mov_b64 s[4:5], 0
	s_mov_b64 s[0:1], 0
                                        ; implicit-def: $vgpr15
	s_branch .LBB77_1610
.LBB77_1576:
	s_mov_b64 s[10:11], -1
	s_mov_b64 s[4:5], 0
	s_mov_b64 s[0:1], 0
                                        ; implicit-def: $vgpr15
	s_branch .LBB77_1591
.LBB77_1577:
	s_mov_b64 s[10:11], -1
	s_mov_b64 s[4:5], 0
	s_mov_b64 s[0:1], 0
                                        ; implicit-def: $vgpr15
	s_branch .LBB77_1586
.LBB77_1578:
	s_trap 2
	s_or_b64 s[12:13], s[12:13], exec
	s_cbranch_execz .LBB77_1511
	s_branch .LBB77_1512
.LBB77_1579:
	s_mov_b64 s[10:11], -1
	s_mov_b64 s[4:5], 0
	s_mov_b64 s[0:1], 0
                                        ; implicit-def: $vgpr15
	s_branch .LBB77_1581
.LBB77_1580:
	s_mov_b64 s[0:1], -1
                                        ; implicit-def: $vgpr15
	s_mov_b64 s[4:5], 0
.LBB77_1581:
	s_and_b64 vcc, exec, s[10:11]
	s_cbranch_vccz .LBB77_1585
; %bb.1582:
	s_cmp_eq_u32 s16, 44
	s_cbranch_scc0 .LBB77_1584
; %bb.1583:
	global_load_ubyte v15, v[7:8], off
	s_movk_i32 s4, 0xff
	v_mov_b32_e32 v16, 0x7f800001
	v_mov_b32_e32 v17, 0x400000
	v_mov_b32_e32 v18, 0x7fc0
	s_mov_b64 s[0:1], 0
	s_waitcnt vmcnt(0)
	v_lshlrev_b32_e32 v19, 23, v15
	v_cmp_ne_u32_e32 vcc, s4, v15
	v_cndmask_b32_e32 v16, v16, v19, vcc
	v_cmp_ne_u32_e32 vcc, 0, v15
	v_cndmask_b32_e32 v15, v17, v16, vcc
	v_add_u32_e32 v16, 0x7fff, v15
	v_cmp_o_f32_e32 vcc, v15, v15
	v_cndmask_b32_sdwa v15, v18, v16, vcc dst_sel:DWORD dst_unused:UNUSED_PAD src0_sel:DWORD src1_sel:WORD_1
	s_mov_b64 s[4:5], -1
	s_branch .LBB77_1585
.LBB77_1584:
	s_mov_b64 s[0:1], -1
                                        ; implicit-def: $vgpr15
.LBB77_1585:
	s_mov_b64 s[10:11], 0
.LBB77_1586:
	s_and_b64 vcc, exec, s[10:11]
	s_cbranch_vccz .LBB77_1590
; %bb.1587:
	s_cmp_eq_u32 s16, 29
	s_cbranch_scc0 .LBB77_1589
; %bb.1588:
	global_load_dwordx2 v[15:16], v[7:8], off
	s_movk_i32 s4, 0x7fff
	s_mov_b64 s[0:1], 0
	s_mov_b64 s[10:11], 0
	s_waitcnt vmcnt(0)
	v_ffbh_u32_e32 v17, v16
	v_min_u32_e32 v17, 32, v17
	v_lshlrev_b64 v[15:16], v17, v[15:16]
	v_min_u32_e32 v15, 1, v15
	v_or_b32_e32 v15, v16, v15
	v_cvt_f32_u32_e32 v15, v15
	v_sub_u32_e32 v16, 32, v17
	v_ldexp_f32 v15, v15, v16
	v_bfe_u32 v16, v15, 16, 1
	v_add3_u32 v15, v15, v16, s4
	v_lshrrev_b32_e32 v15, 16, v15
	s_mov_b64 s[4:5], -1
	s_branch .LBB77_1591
.LBB77_1589:
	s_mov_b64 s[0:1], -1
                                        ; implicit-def: $vgpr15
.LBB77_1590:
	s_mov_b64 s[10:11], 0
.LBB77_1591:
	s_and_b64 vcc, exec, s[10:11]
	s_cbranch_vccz .LBB77_1609
; %bb.1592:
	s_cmp_lt_i32 s16, 27
	s_cbranch_scc1 .LBB77_1595
; %bb.1593:
	s_cmp_gt_i32 s16, 27
	s_cbranch_scc0 .LBB77_1596
; %bb.1594:
	global_load_dword v15, v[7:8], off
	s_movk_i32 s4, 0x7fff
	s_waitcnt vmcnt(0)
	v_cvt_f32_u32_e32 v15, v15
	v_bfe_u32 v16, v15, 16, 1
	v_add3_u32 v15, v15, v16, s4
	v_lshrrev_b32_e32 v15, 16, v15
	s_mov_b64 s[4:5], 0
	s_branch .LBB77_1597
.LBB77_1595:
	s_mov_b64 s[4:5], -1
                                        ; implicit-def: $vgpr15
	s_branch .LBB77_1600
.LBB77_1596:
	s_mov_b64 s[4:5], -1
                                        ; implicit-def: $vgpr15
.LBB77_1597:
	s_andn2_b64 vcc, exec, s[4:5]
	s_cbranch_vccnz .LBB77_1599
; %bb.1598:
	global_load_ushort v15, v[7:8], off
	s_movk_i32 s4, 0x7fff
	s_waitcnt vmcnt(0)
	v_cvt_f32_u32_e32 v15, v15
	v_bfe_u32 v16, v15, 16, 1
	v_add3_u32 v15, v15, v16, s4
	v_lshrrev_b32_e32 v15, 16, v15
.LBB77_1599:
	s_mov_b64 s[4:5], 0
.LBB77_1600:
	s_andn2_b64 vcc, exec, s[4:5]
	s_cbranch_vccnz .LBB77_1608
; %bb.1601:
	global_load_ubyte v15, v[7:8], off
	s_movk_i32 s4, 0x7f
	s_waitcnt vmcnt(0)
	v_cmp_lt_i16_e32 vcc, s4, v15
	s_mov_b64 s[4:5], 0
	s_and_saveexec_b64 s[10:11], vcc
	s_xor_b64 s[10:11], exec, s[10:11]
	s_cbranch_execz .LBB77_1622
; %bb.1602:
	s_movk_i32 s4, 0x80
	v_cmp_eq_u16_e32 vcc, s4, v15
	s_mov_b64 s[4:5], -1
	s_and_saveexec_b64 s[14:15], vcc
; %bb.1603:
	s_xor_b64 s[4:5], exec, -1
; %bb.1604:
	s_or_b64 exec, exec, s[14:15]
	s_and_b64 s[4:5], s[4:5], exec
	s_or_saveexec_b64 s[10:11], s[10:11]
	v_mov_b32_e32 v16, 0x7f800001
	s_xor_b64 exec, exec, s[10:11]
	s_cbranch_execnz .LBB77_1623
.LBB77_1605:
	s_or_b64 exec, exec, s[10:11]
	s_and_saveexec_b64 s[10:11], s[4:5]
	s_cbranch_execz .LBB77_1607
.LBB77_1606:
	v_lshlrev_b32_e32 v16, 24, v15
	v_and_b32_e32 v15, 0xffff, v15
	v_and_b32_e32 v17, 7, v15
	v_ffbh_u32_e32 v19, v17
	v_min_u32_e32 v19, 32, v19
	v_subrev_u32_e32 v20, 28, v19
	v_bfe_u32 v18, v15, 3, 4
	v_lshlrev_b32_e32 v15, v20, v15
	v_sub_u32_e32 v19, 29, v19
	v_and_b32_e32 v15, 7, v15
	v_cmp_eq_u32_e32 vcc, 0, v18
	v_cndmask_b32_e32 v18, v18, v19, vcc
	v_cndmask_b32_e32 v15, v17, v15, vcc
	v_mov_b32_e32 v17, 0x3b800000
	v_lshlrev_b32_e32 v15, 20, v15
	v_and_b32_e32 v16, 0x80000000, v16
	v_lshl_add_u32 v17, v18, 23, v17
	v_or3_b32 v16, v16, v17, v15
.LBB77_1607:
	s_or_b64 exec, exec, s[10:11]
	v_bfe_u32 v15, v16, 16, 1
	s_movk_i32 s4, 0x7fff
	v_add3_u32 v15, v16, v15, s4
	v_cmp_o_f32_e32 vcc, v16, v16
	v_mov_b32_e32 v16, 0x7fc0
	v_cndmask_b32_sdwa v15, v16, v15, vcc dst_sel:DWORD dst_unused:UNUSED_PAD src0_sel:DWORD src1_sel:WORD_1
.LBB77_1608:
	s_mov_b64 s[4:5], -1
.LBB77_1609:
	s_mov_b64 s[10:11], 0
.LBB77_1610:
	s_and_b64 vcc, exec, s[10:11]
	s_cbranch_vccz .LBB77_1643
; %bb.1611:
	s_cmp_gt_i32 s16, 22
	s_cbranch_scc0 .LBB77_1621
; %bb.1612:
	s_cmp_lt_i32 s16, 24
	s_cbranch_scc1 .LBB77_1624
; %bb.1613:
	s_cmp_gt_i32 s16, 24
	s_cbranch_scc0 .LBB77_1625
; %bb.1614:
	global_load_ubyte v15, v[7:8], off
	s_movk_i32 s2, 0x7f
	s_waitcnt vmcnt(0)
	v_cmp_lt_i16_e32 vcc, s2, v15
	s_mov_b64 s[2:3], 0
	s_and_saveexec_b64 s[4:5], vcc
	s_xor_b64 s[4:5], exec, s[4:5]
	s_cbranch_execz .LBB77_1637
; %bb.1615:
	s_movk_i32 s2, 0x80
	v_cmp_eq_u16_e32 vcc, s2, v15
	s_mov_b64 s[2:3], -1
	s_and_saveexec_b64 s[10:11], vcc
; %bb.1616:
	s_xor_b64 s[2:3], exec, -1
; %bb.1617:
	s_or_b64 exec, exec, s[10:11]
	s_and_b64 s[2:3], s[2:3], exec
	s_or_saveexec_b64 s[4:5], s[4:5]
	v_mov_b32_e32 v16, 0x7f800001
	s_xor_b64 exec, exec, s[4:5]
	s_cbranch_execnz .LBB77_1638
.LBB77_1618:
	s_or_b64 exec, exec, s[4:5]
	s_and_saveexec_b64 s[4:5], s[2:3]
	s_cbranch_execz .LBB77_1620
.LBB77_1619:
	v_lshlrev_b32_e32 v16, 24, v15
	v_and_b32_e32 v15, 0xffff, v15
	v_and_b32_e32 v17, 3, v15
	v_ffbh_u32_e32 v19, v17
	v_min_u32_e32 v19, 32, v19
	v_subrev_u32_e32 v20, 29, v19
	v_bfe_u32 v18, v15, 2, 5
	v_lshlrev_b32_e32 v15, v20, v15
	v_sub_u32_e32 v19, 30, v19
	v_and_b32_e32 v15, 3, v15
	v_cmp_eq_u32_e32 vcc, 0, v18
	v_cndmask_b32_e32 v18, v18, v19, vcc
	v_cndmask_b32_e32 v15, v17, v15, vcc
	v_mov_b32_e32 v17, 0x37800000
	v_lshlrev_b32_e32 v15, 21, v15
	v_and_b32_e32 v16, 0x80000000, v16
	v_lshl_add_u32 v17, v18, 23, v17
	v_or3_b32 v16, v16, v17, v15
.LBB77_1620:
	s_or_b64 exec, exec, s[4:5]
	v_bfe_u32 v15, v16, 16, 1
	s_movk_i32 s2, 0x7fff
	v_add3_u32 v15, v16, v15, s2
	v_cmp_o_f32_e32 vcc, v16, v16
	v_mov_b32_e32 v16, 0x7fc0
	v_cndmask_b32_sdwa v15, v16, v15, vcc dst_sel:DWORD dst_unused:UNUSED_PAD src0_sel:DWORD src1_sel:WORD_1
	s_mov_b64 s[2:3], 0
	s_branch .LBB77_1626
.LBB77_1621:
	s_mov_b64 s[2:3], -1
                                        ; implicit-def: $vgpr15
	s_branch .LBB77_1632
.LBB77_1622:
	s_or_saveexec_b64 s[10:11], s[10:11]
	v_mov_b32_e32 v16, 0x7f800001
	s_xor_b64 exec, exec, s[10:11]
	s_cbranch_execz .LBB77_1605
.LBB77_1623:
	v_cmp_ne_u16_e32 vcc, 0, v15
	s_andn2_b64 s[4:5], s[4:5], exec
	s_and_b64 s[14:15], vcc, exec
	v_mov_b32_e32 v16, 0
	s_or_b64 s[4:5], s[4:5], s[14:15]
	s_or_b64 exec, exec, s[10:11]
	s_and_saveexec_b64 s[10:11], s[4:5]
	s_cbranch_execnz .LBB77_1606
	s_branch .LBB77_1607
.LBB77_1624:
	s_mov_b64 s[2:3], -1
                                        ; implicit-def: $vgpr15
	s_branch .LBB77_1629
.LBB77_1625:
	s_mov_b64 s[2:3], -1
                                        ; implicit-def: $vgpr15
.LBB77_1626:
	s_and_b64 vcc, exec, s[2:3]
	s_cbranch_vccz .LBB77_1628
; %bb.1627:
	global_load_ubyte v15, v[7:8], off
	s_mov_b32 s2, 0x7f800000
	s_brev_b32 s3, 1
	s_movk_i32 s4, 0x7fff
	s_waitcnt vmcnt(0)
	v_lshlrev_b32_e32 v15, 24, v15
	v_and_b32_e32 v16, 0x7f000000, v15
	v_ffbh_u32_e32 v17, v16
	v_min_u32_e32 v17, 32, v17
	v_sub_u32_e64 v17, v17, 4 clamp
	v_lshlrev_b32_e32 v19, v17, v16
	v_lshlrev_b32_e32 v17, 23, v17
	v_lshrrev_b32_e32 v19, 4, v19
	v_add_u32_e32 v18, 0x1000000, v16
	v_sub_u32_e32 v17, v19, v17
	v_ashrrev_i32_e32 v18, 8, v18
	v_add_u32_e32 v17, 0x3c000000, v17
	v_and_or_b32 v17, v18, s2, v17
	v_cmp_ne_u32_e32 vcc, 0, v16
	v_cndmask_b32_e32 v16, 0, v17, vcc
	v_and_or_b32 v15, v15, s3, v16
	v_bfe_u32 v16, v16, 16, 1
	v_add3_u32 v16, v15, v16, s4
	v_cmp_o_f32_e32 vcc, v15, v15
	v_mov_b32_e32 v15, 0x7fc0
	v_cndmask_b32_sdwa v15, v15, v16, vcc dst_sel:DWORD dst_unused:UNUSED_PAD src0_sel:DWORD src1_sel:WORD_1
.LBB77_1628:
	s_mov_b64 s[2:3], 0
.LBB77_1629:
	s_andn2_b64 vcc, exec, s[2:3]
	s_cbranch_vccnz .LBB77_1631
; %bb.1630:
	global_load_ubyte v15, v[7:8], off
	s_movk_i32 s2, 0x7f00
	s_brev_b32 s3, 16
	s_brev_b32 s4, 1
	s_movk_i32 s5, 0x7fff
	s_waitcnt vmcnt(0)
	v_lshlrev_b16_e32 v16, 8, v15
	v_lshlrev_b32_e32 v15, 25, v15
	v_lshrrev_b32_e32 v17, 4, v15
	v_and_or_b32 v18, v16, s2, 0.5
	v_or_b32_e32 v17, 0x70000000, v17
	v_add_f32_e32 v18, -0.5, v18
	v_mul_f32_e32 v17, 0x7800000, v17
	v_cmp_gt_u32_e32 vcc, s3, v15
	v_bfe_i32 v16, v16, 0, 16
	v_cndmask_b32_e32 v15, v17, v18, vcc
	v_and_or_b32 v16, v16, s4, v15
	v_bfe_u32 v15, v15, 16, 1
	v_add3_u32 v15, v16, v15, s5
	v_cmp_o_f32_e32 vcc, v16, v16
	v_mov_b32_e32 v16, 0x7fc0
	v_cndmask_b32_sdwa v15, v16, v15, vcc dst_sel:DWORD dst_unused:UNUSED_PAD src0_sel:DWORD src1_sel:WORD_1
.LBB77_1631:
	s_mov_b64 s[2:3], 0
	s_mov_b64 s[4:5], -1
.LBB77_1632:
	s_andn2_b64 vcc, exec, s[2:3]
	s_mov_b64 s[2:3], 0
	s_cbranch_vccnz .LBB77_1643
; %bb.1633:
	s_cmp_gt_i32 s16, 14
	s_cbranch_scc0 .LBB77_1636
; %bb.1634:
	s_cmp_eq_u32 s16, 15
	s_cbranch_scc0 .LBB77_1639
; %bb.1635:
	global_load_ushort v15, v[7:8], off
	s_mov_b64 s[0:1], 0
	s_mov_b64 s[4:5], -1
	s_branch .LBB77_1640
.LBB77_1636:
	s_mov_b64 s[10:11], -1
                                        ; implicit-def: $vgpr15
	s_branch .LBB77_1641
.LBB77_1637:
	s_or_saveexec_b64 s[4:5], s[4:5]
	v_mov_b32_e32 v16, 0x7f800001
	s_xor_b64 exec, exec, s[4:5]
	s_cbranch_execz .LBB77_1618
.LBB77_1638:
	v_cmp_ne_u16_e32 vcc, 0, v15
	s_andn2_b64 s[2:3], s[2:3], exec
	s_and_b64 s[10:11], vcc, exec
	v_mov_b32_e32 v16, 0
	s_or_b64 s[2:3], s[2:3], s[10:11]
	s_or_b64 exec, exec, s[4:5]
	s_and_saveexec_b64 s[4:5], s[2:3]
	s_cbranch_execnz .LBB77_1619
	s_branch .LBB77_1620
.LBB77_1639:
	s_mov_b64 s[0:1], -1
                                        ; implicit-def: $vgpr15
.LBB77_1640:
	s_mov_b64 s[10:11], 0
.LBB77_1641:
	s_and_b64 vcc, exec, s[10:11]
	s_cbranch_vccz .LBB77_1643
; %bb.1642:
	s_cmp_lg_u32 s16, 11
	s_mov_b64 s[2:3], -1
	s_cselect_b64 s[0:1], -1, 0
.LBB77_1643:
	s_and_b64 vcc, exec, s[0:1]
	s_cbranch_vccnz .LBB77_2182
; %bb.1644:
	s_andn2_b64 vcc, exec, s[2:3]
	s_cbranch_vccnz .LBB77_1646
.LBB77_1645:
	global_load_ubyte v15, v[7:8], off
	s_mov_b64 s[4:5], -1
	s_waitcnt vmcnt(0)
	v_cmp_ne_u16_e32 vcc, 0, v15
	v_cndmask_b32_e64 v15, 0, 1.0, vcc
	v_lshrrev_b32_e32 v15, 16, v15
.LBB77_1646:
	s_mov_b64 s[0:1], 0
.LBB77_1647:
	s_and_b64 vcc, exec, s[0:1]
	s_cbranch_vccz .LBB77_1696
; %bb.1648:
	s_and_b32 s2, 0xffff, s19
	s_cmp_lt_i32 s2, 5
	s_cbranch_scc1 .LBB77_1653
; %bb.1649:
	s_cmp_lt_i32 s2, 8
	s_cbranch_scc1 .LBB77_1654
; %bb.1650:
	;; [unrolled: 3-line block ×3, first 2 shown]
	s_cmp_gt_i32 s2, 9
	s_cbranch_scc0 .LBB77_1656
; %bb.1652:
	global_load_dwordx2 v[15:16], v[7:8], off
	s_movk_i32 s0, 0x7fff
	s_waitcnt vmcnt(0)
	v_cvt_f32_f64_e32 v15, v[15:16]
	v_mov_b32_e32 v16, 0x7fc0
	v_bfe_u32 v17, v15, 16, 1
	v_cmp_o_f32_e32 vcc, v15, v15
	v_add3_u32 v15, v15, v17, s0
	v_cndmask_b32_sdwa v15, v16, v15, vcc dst_sel:DWORD dst_unused:UNUSED_PAD src0_sel:DWORD src1_sel:WORD_1
	s_mov_b64 s[0:1], 0
	s_branch .LBB77_1657
.LBB77_1653:
	s_mov_b64 s[0:1], -1
                                        ; implicit-def: $vgpr15
	s_branch .LBB77_1675
.LBB77_1654:
	s_mov_b64 s[0:1], -1
                                        ; implicit-def: $vgpr15
	s_branch .LBB77_1663
.LBB77_1655:
	s_mov_b64 s[0:1], -1
                                        ; implicit-def: $vgpr15
	s_branch .LBB77_1660
.LBB77_1656:
	s_mov_b64 s[0:1], -1
                                        ; implicit-def: $vgpr15
.LBB77_1657:
	s_andn2_b64 vcc, exec, s[0:1]
	s_cbranch_vccnz .LBB77_1659
; %bb.1658:
	global_load_dword v15, v[7:8], off
	s_movk_i32 s0, 0x7fff
	v_mov_b32_e32 v16, 0x7fc0
	s_waitcnt vmcnt(0)
	v_bfe_u32 v17, v15, 16, 1
	v_cmp_o_f32_e32 vcc, v15, v15
	v_add3_u32 v15, v15, v17, s0
	v_cndmask_b32_sdwa v15, v16, v15, vcc dst_sel:DWORD dst_unused:UNUSED_PAD src0_sel:DWORD src1_sel:WORD_1
.LBB77_1659:
	s_mov_b64 s[0:1], 0
.LBB77_1660:
	s_andn2_b64 vcc, exec, s[0:1]
	s_cbranch_vccnz .LBB77_1662
; %bb.1661:
	global_load_dword v15, v[7:8], off
	s_movk_i32 s0, 0x7fff
	v_mov_b32_e32 v17, 0x7fc0
	s_waitcnt vmcnt(0)
	v_cvt_f32_f16_e32 v16, v15
	v_cmp_o_f16_e32 vcc, v15, v15
	v_bfe_u32 v15, v16, 16, 1
	v_add3_u32 v15, v16, v15, s0
	v_cndmask_b32_sdwa v15, v17, v15, vcc dst_sel:DWORD dst_unused:UNUSED_PAD src0_sel:DWORD src1_sel:WORD_1
.LBB77_1662:
	s_mov_b64 s[0:1], 0
.LBB77_1663:
	s_andn2_b64 vcc, exec, s[0:1]
	s_cbranch_vccnz .LBB77_1674
; %bb.1664:
	s_cmp_lt_i32 s2, 6
	s_cbranch_scc1 .LBB77_1667
; %bb.1665:
	s_cmp_gt_i32 s2, 6
	s_cbranch_scc0 .LBB77_1668
; %bb.1666:
	global_load_dwordx2 v[15:16], v[7:8], off
	s_movk_i32 s0, 0x7fff
	s_waitcnt vmcnt(0)
	v_cvt_f32_f64_e32 v15, v[15:16]
	v_mov_b32_e32 v16, 0x7fc0
	v_bfe_u32 v17, v15, 16, 1
	v_cmp_o_f32_e32 vcc, v15, v15
	v_add3_u32 v15, v15, v17, s0
	v_cndmask_b32_sdwa v15, v16, v15, vcc dst_sel:DWORD dst_unused:UNUSED_PAD src0_sel:DWORD src1_sel:WORD_1
	s_mov_b64 s[0:1], 0
	s_branch .LBB77_1669
.LBB77_1667:
	s_mov_b64 s[0:1], -1
                                        ; implicit-def: $vgpr15
	s_branch .LBB77_1672
.LBB77_1668:
	s_mov_b64 s[0:1], -1
                                        ; implicit-def: $vgpr15
.LBB77_1669:
	s_andn2_b64 vcc, exec, s[0:1]
	s_cbranch_vccnz .LBB77_1671
; %bb.1670:
	global_load_dword v15, v[7:8], off
	s_movk_i32 s0, 0x7fff
	v_mov_b32_e32 v16, 0x7fc0
	s_waitcnt vmcnt(0)
	v_bfe_u32 v17, v15, 16, 1
	v_cmp_o_f32_e32 vcc, v15, v15
	v_add3_u32 v15, v15, v17, s0
	v_cndmask_b32_sdwa v15, v16, v15, vcc dst_sel:DWORD dst_unused:UNUSED_PAD src0_sel:DWORD src1_sel:WORD_1
.LBB77_1671:
	s_mov_b64 s[0:1], 0
.LBB77_1672:
	s_andn2_b64 vcc, exec, s[0:1]
	s_cbranch_vccnz .LBB77_1674
; %bb.1673:
	global_load_ushort v15, v[7:8], off
	s_movk_i32 s0, 0x7fff
	v_mov_b32_e32 v17, 0x7fc0
	s_waitcnt vmcnt(0)
	v_cvt_f32_f16_e32 v16, v15
	v_cmp_o_f16_e32 vcc, v15, v15
	v_bfe_u32 v15, v16, 16, 1
	v_add3_u32 v15, v16, v15, s0
	v_cndmask_b32_sdwa v15, v17, v15, vcc dst_sel:DWORD dst_unused:UNUSED_PAD src0_sel:DWORD src1_sel:WORD_1
.LBB77_1674:
	s_mov_b64 s[0:1], 0
.LBB77_1675:
	s_andn2_b64 vcc, exec, s[0:1]
	s_cbranch_vccnz .LBB77_1695
; %bb.1676:
	s_cmp_lt_i32 s2, 2
	s_cbranch_scc1 .LBB77_1680
; %bb.1677:
	s_cmp_lt_i32 s2, 3
	s_cbranch_scc1 .LBB77_1681
; %bb.1678:
	s_cmp_gt_i32 s2, 3
	s_cbranch_scc0 .LBB77_1682
; %bb.1679:
	global_load_dwordx2 v[15:16], v[7:8], off
	s_movk_i32 s0, 0x7fff
	s_waitcnt vmcnt(0)
	v_xor_b32_e32 v18, v15, v16
	v_ffbh_i32_e32 v17, v16
	v_ashrrev_i32_e32 v18, 31, v18
	v_add_u32_e32 v17, -1, v17
	v_add_u32_e32 v18, 32, v18
	v_min_u32_e32 v17, v17, v18
	v_lshlrev_b64 v[15:16], v17, v[15:16]
	v_min_u32_e32 v15, 1, v15
	v_or_b32_e32 v15, v16, v15
	v_cvt_f32_i32_e32 v15, v15
	v_sub_u32_e32 v16, 32, v17
	v_ldexp_f32 v15, v15, v16
	v_bfe_u32 v16, v15, 16, 1
	v_add3_u32 v15, v15, v16, s0
	v_lshrrev_b32_e32 v15, 16, v15
	s_mov_b64 s[0:1], 0
	s_branch .LBB77_1683
.LBB77_1680:
	s_mov_b64 s[0:1], -1
                                        ; implicit-def: $vgpr15
	s_branch .LBB77_1689
.LBB77_1681:
	s_mov_b64 s[0:1], -1
                                        ; implicit-def: $vgpr15
	s_branch .LBB77_1686
.LBB77_1682:
	s_mov_b64 s[0:1], -1
                                        ; implicit-def: $vgpr15
.LBB77_1683:
	s_andn2_b64 vcc, exec, s[0:1]
	s_cbranch_vccnz .LBB77_1685
; %bb.1684:
	global_load_dword v15, v[7:8], off
	s_movk_i32 s0, 0x7fff
	s_waitcnt vmcnt(0)
	v_cvt_f32_i32_e32 v15, v15
	v_bfe_u32 v16, v15, 16, 1
	v_add3_u32 v15, v15, v16, s0
	v_lshrrev_b32_e32 v15, 16, v15
.LBB77_1685:
	s_mov_b64 s[0:1], 0
.LBB77_1686:
	s_andn2_b64 vcc, exec, s[0:1]
	s_cbranch_vccnz .LBB77_1688
; %bb.1687:
	global_load_sshort v15, v[7:8], off
	s_movk_i32 s0, 0x7fff
	s_waitcnt vmcnt(0)
	v_cvt_f32_i32_e32 v15, v15
	v_bfe_u32 v16, v15, 16, 1
	v_add3_u32 v15, v15, v16, s0
	v_lshrrev_b32_e32 v15, 16, v15
.LBB77_1688:
	s_mov_b64 s[0:1], 0
.LBB77_1689:
	s_andn2_b64 vcc, exec, s[0:1]
	s_cbranch_vccnz .LBB77_1695
; %bb.1690:
	s_cmp_gt_i32 s2, 0
	s_cbranch_scc0 .LBB77_1692
; %bb.1691:
	global_load_sbyte v15, v[7:8], off
	s_movk_i32 s0, 0x7fff
	s_waitcnt vmcnt(0)
	v_cvt_f32_i32_e32 v15, v15
	v_bfe_u32 v16, v15, 16, 1
	v_add3_u32 v15, v15, v16, s0
	v_lshrrev_b32_e32 v15, 16, v15
	s_mov_b64 s[0:1], 0
	s_branch .LBB77_1693
.LBB77_1692:
	s_mov_b64 s[0:1], -1
                                        ; implicit-def: $vgpr15
.LBB77_1693:
	s_andn2_b64 vcc, exec, s[0:1]
	s_cbranch_vccnz .LBB77_1695
; %bb.1694:
	global_load_ubyte v7, v[7:8], off
	s_movk_i32 s0, 0x7fff
	s_waitcnt vmcnt(0)
	v_cvt_f32_ubyte0_e32 v7, v7
	v_bfe_u32 v8, v7, 16, 1
	v_add3_u32 v7, v7, v8, s0
	v_lshrrev_b32_e32 v15, 16, v7
.LBB77_1695:
	s_mov_b64 s[4:5], -1
.LBB77_1696:
	s_andn2_b64 vcc, exec, s[4:5]
	s_cbranch_vccnz .LBB77_2136
; %bb.1697:
	s_waitcnt vmcnt(0)
	v_lshlrev_b32_e32 v7, 16, v15
	v_cmp_gt_f32_e32 vcc, 0.5, v7
	v_mov_b32_e32 v15, 0
	v_mov_b32_e32 v8, 1.0
	s_and_saveexec_b64 s[10:11], vcc
	s_cbranch_execz .LBB77_1703
; %bb.1698:
	v_mul_f32_e32 v8, 0x40490fdb, v7
	s_brev_b32 s0, 18
	v_and_b32_e32 v15, 0x7fffffff, v8
	v_cmp_nlt_f32_e64 s[0:1], |v8|, s0
                                        ; implicit-def: $vgpr16
                                        ; implicit-def: $vgpr17
	s_and_saveexec_b64 s[2:3], s[0:1]
	s_xor_b64 s[14:15], exec, s[2:3]
	s_cbranch_execz .LBB77_1700
; %bb.1699:
	v_and_b32_e32 v16, 0x7fffff, v15
	v_or_b32_e32 v25, 0x800000, v16
	s_mov_b32 s0, 0xfe5163ab
	v_mad_u64_u32 v[16:17], s[0:1], v25, s0, 0
	v_mov_b32_e32 v18, 0
	s_mov_b32 s0, 0x3c439041
	v_mad_u64_u32 v[19:20], s[0:1], v25, s0, v[17:18]
	s_mov_b32 s0, 0xdb629599
	v_not_b32_e32 v24, 63
	v_mov_b32_e32 v17, v20
	v_mad_u64_u32 v[20:21], s[0:1], v25, s0, v[17:18]
	s_mov_b32 s0, 0xf534ddc0
	v_not_b32_e32 v27, 31
	v_mov_b32_e32 v17, v21
	v_mad_u64_u32 v[21:22], s[0:1], v25, s0, v[17:18]
	v_lshrrev_b32_e32 v17, 23, v15
	v_add_u32_e32 v26, 0xffffff88, v17
	v_mov_b32_e32 v17, v22
	s_mov_b32 s0, 0xfc2757d1
	v_mad_u64_u32 v[22:23], s[0:1], v25, s0, v[17:18]
	v_cmp_lt_u32_e32 vcc, 63, v26
	v_cndmask_b32_e32 v17, 0, v24, vcc
	v_add_u32_e32 v26, v17, v26
	v_mov_b32_e32 v17, v23
	s_mov_b32 s0, 0x4e441529
	v_mad_u64_u32 v[23:24], s[0:1], v25, s0, v[17:18]
	v_cmp_lt_u32_e64 s[0:1], 31, v26
	v_cndmask_b32_e64 v17, 0, v27, s[0:1]
	v_add_u32_e32 v26, v17, v26
	v_mov_b32_e32 v17, v24
	s_mov_b32 s2, 0xa2f9836e
	v_mad_u64_u32 v[17:18], s[2:3], v25, s2, v[17:18]
	v_cmp_lt_u32_e64 s[2:3], 31, v26
	v_cndmask_b32_e64 v24, 0, v27, s[2:3]
	v_cndmask_b32_e32 v25, v23, v21, vcc
	v_cndmask_b32_e32 v17, v17, v22, vcc
	v_cndmask_b32_e32 v18, v18, v23, vcc
	v_add_u32_e32 v24, v24, v26
	v_cndmask_b32_e64 v26, v17, v25, s[0:1]
	v_cndmask_b32_e64 v17, v18, v17, s[0:1]
	v_cndmask_b32_e32 v18, v22, v20, vcc
	v_cndmask_b32_e64 v22, v25, v18, s[0:1]
	v_cndmask_b32_e64 v17, v17, v26, s[2:3]
	;; [unrolled: 1-line block ×3, first 2 shown]
	v_sub_u32_e32 v25, 32, v24
	v_alignbit_b32 v26, v17, v23, v25
	v_cmp_eq_u32_e64 s[4:5], 0, v24
	v_cndmask_b32_e64 v24, v26, v17, s[4:5]
	v_cndmask_b32_e32 v17, v21, v19, vcc
	v_cndmask_b32_e64 v18, v18, v17, s[0:1]
	v_cndmask_b32_e64 v19, v22, v18, s[2:3]
	v_alignbit_b32 v21, v23, v19, v25
	v_cndmask_b32_e32 v16, v20, v16, vcc
	v_cndmask_b32_e64 v21, v21, v23, s[4:5]
	v_bfe_u32 v26, v24, 29, 1
	v_cndmask_b32_e64 v16, v17, v16, s[0:1]
	v_alignbit_b32 v22, v24, v21, 30
	v_sub_u32_e32 v27, 0, v26
	v_cndmask_b32_e64 v16, v18, v16, s[2:3]
	v_xor_b32_e32 v22, v22, v27
	v_alignbit_b32 v17, v19, v16, v25
	v_cndmask_b32_e64 v17, v17, v19, s[4:5]
	v_ffbh_u32_e32 v19, v22
	v_alignbit_b32 v18, v21, v17, 30
	v_min_u32_e32 v19, 32, v19
	v_alignbit_b32 v16, v17, v16, 30
	v_xor_b32_e32 v18, v18, v27
	v_sub_u32_e32 v20, 31, v19
	v_xor_b32_e32 v16, v16, v27
	v_alignbit_b32 v21, v22, v18, v20
	v_alignbit_b32 v16, v18, v16, v20
	;; [unrolled: 1-line block ×3, first 2 shown]
	v_ffbh_u32_e32 v18, v17
	v_min_u32_e32 v18, 32, v18
	v_lshrrev_b32_e32 v23, 29, v24
	v_not_b32_e32 v20, v18
	v_alignbit_b32 v16, v17, v16, v20
	v_lshlrev_b32_e32 v17, 31, v23
	v_or_b32_e32 v20, 0x33000000, v17
	v_add_lshl_u32 v18, v18, v19, 23
	v_lshrrev_b32_e32 v16, 9, v16
	v_sub_u32_e32 v18, v20, v18
	v_or_b32_e32 v17, 0.5, v17
	v_lshlrev_b32_e32 v19, 23, v19
	v_or_b32_e32 v16, v18, v16
	v_lshrrev_b32_e32 v18, 9, v21
	v_sub_u32_e32 v17, v17, v19
	v_or_b32_e32 v17, v18, v17
	s_mov_b32 s0, 0x3fc90fda
	v_mul_f32_e32 v18, 0x3fc90fda, v17
	v_fma_f32 v19, v17, s0, -v18
	v_fmac_f32_e32 v19, 0x33a22168, v17
	v_fmac_f32_e32 v19, 0x3fc90fda, v16
	v_lshrrev_b32_e32 v16, 30, v24
	v_add_f32_e32 v17, v18, v19
	v_add_u32_e32 v16, v26, v16
.LBB77_1700:
	s_andn2_saveexec_b64 s[0:1], s[14:15]
	s_cbranch_execz .LBB77_1702
; %bb.1701:
	s_mov_b32 s2, 0x3f22f983
	v_mul_f32_e64 v16, |v8|, s2
	v_rndne_f32_e32 v18, v16
	s_mov_b32 s2, 0xbfc90fda
	v_cvt_i32_f32_e32 v16, v18
	v_fma_f32 v17, v18, s2, |v8|
	v_fmac_f32_e32 v17, 0xb3a22168, v18
	v_fmac_f32_e32 v17, 0xa7c234c4, v18
.LBB77_1702:
	s_or_b64 exec, exec, s[0:1]
	v_mul_f32_e32 v18, v17, v17
	v_mov_b32_e32 v19, 0x3c0881c4
	v_fmac_f32_e32 v19, 0xb94c1982, v18
	v_mov_b32_e32 v20, 0xbe2aaa9d
	v_fmac_f32_e32 v20, v18, v19
	v_mul_f32_e32 v19, v18, v20
	v_fmac_f32_e32 v17, v17, v19
	v_mov_b32_e32 v19, 0xbab64f3b
	v_fmac_f32_e32 v19, 0x37d75334, v18
	v_mov_b32_e32 v20, 0x3d2aabf7
	;; [unrolled: 2-line block ×3, first 2 shown]
	v_fmac_f32_e32 v19, v18, v20
	v_fma_f32 v18, v18, v19, 1.0
	v_and_b32_e32 v19, 1, v16
	v_lshlrev_b32_e32 v16, 30, v16
	v_cmp_eq_u32_e32 vcc, 0, v19
	v_and_b32_e32 v16, 0x80000000, v16
	v_xor_b32_e32 v15, v15, v8
	v_cndmask_b32_e32 v17, v18, v17, vcc
	v_xor_b32_e32 v15, v15, v16
	s_movk_i32 s0, 0x1f8
	v_xor_b32_e32 v15, v15, v17
	v_mov_b32_e32 v16, 0x7fc00000
	v_cmp_class_f32_e64 vcc, v8, s0
	v_cndmask_b32_e32 v8, v16, v15, vcc
	v_mul_f32_e32 v8, v8, v8
	s_mov_b32 s2, 0xc11de9e7
	v_div_scale_f32 v15, s[0:1], v8, v8, s2
	v_div_scale_f32 v16, vcc, s2, v8, s2
	v_sub_f32_e32 v7, 1.0, v7
	v_rcp_f32_e32 v17, v15
	v_fma_f32 v18, -v15, v17, 1.0
	v_fmac_f32_e32 v17, v18, v17
	v_mul_f32_e32 v18, v16, v17
	v_fma_f32 v19, -v15, v18, v16
	v_fmac_f32_e32 v18, v19, v17
	v_fma_f32 v15, -v15, v18, v16
	v_div_fmas_f32 v15, v15, v17, v18
	v_div_fixup_f32 v8, v15, v8, s2
	v_add_f32_e32 v15, 0, v8
	v_mov_b32_e32 v8, -1.0
.LBB77_1703:
	s_or_b64 exec, exec, s[10:11]
	v_mul_f32_e32 v16, v3, v3
	v_div_scale_f32 v18, s[0:1], v16, v16, 1.0
	v_add_f32_e32 v17, 1.0, v3
	v_mul_f32_e32 v3, v17, v17
	v_div_scale_f32 v20, s[0:1], v3, v3, 1.0
	v_div_scale_f32 v19, vcc, 1.0, v16, 1.0
	v_add_f32_e32 v21, 1.0, v17
	v_div_scale_f32 v22, s[0:1], 1.0, v3, 1.0
	v_mul_f32_e32 v17, v21, v21
	v_div_scale_f32 v23, s[2:3], v17, v17, 1.0
	v_div_scale_f32 v26, s[2:3], 1.0, v17, 1.0
	v_rcp_f32_e32 v24, v18
	v_add_f32_e32 v21, 1.0, v21
	s_bfe_u32 s16, s18, 0x80008
	s_cmp_lt_i32 s16, 11
	v_rcp_f32_e32 v25, v20
	v_fma_f32 v27, -v18, v24, 1.0
	v_fmac_f32_e32 v24, v27, v24
	v_mul_f32_e32 v28, v19, v24
	v_fma_f32 v29, -v18, v28, v19
	v_fma_f32 v27, -v20, v25, 1.0
	v_fmac_f32_e32 v28, v29, v24
	v_fma_f32 v18, -v18, v28, v19
	v_fmac_f32_e32 v25, v27, v25
	v_div_fmas_f32 v18, v18, v24, v28
	v_mul_f32_e32 v24, v22, v25
	v_fma_f32 v19, -v20, v24, v22
	v_rcp_f32_e32 v27, v23
	v_fmac_f32_e32 v24, v19, v25
	v_mul_f32_e32 v19, v21, v21
	v_div_scale_f32 v28, s[4:5], v19, v19, 1.0
	v_fma_f32 v20, -v20, v24, v22
	v_fma_f32 v22, -v23, v27, 1.0
	v_fmac_f32_e32 v27, v22, v27
	s_mov_b64 vcc, s[0:1]
	v_mul_f32_e32 v22, v26, v27
	v_div_fmas_f32 v20, v20, v25, v24
	v_fma_f32 v24, -v23, v22, v26
	v_fmac_f32_e32 v22, v24, v27
	v_div_scale_f32 v24, s[0:1], 1.0, v19, 1.0
	v_add_f32_e32 v25, 1.0, v21
	v_mul_f32_e32 v21, v25, v25
	v_div_scale_f32 v29, s[4:5], v21, v21, 1.0
	v_fma_f32 v23, -v23, v22, v26
	v_rcp_f32_e32 v26, v28
	s_mov_b64 vcc, s[2:3]
	v_div_fmas_f32 v22, v23, v27, v22
	v_div_scale_f32 v27, s[2:3], 1.0, v21, 1.0
	v_fma_f32 v30, -v28, v26, 1.0
	v_add_f32_e32 v25, 1.0, v25
	v_fmac_f32_e32 v26, v30, v26
	v_mul_f32_e32 v23, v25, v25
	v_mul_f32_e32 v30, v24, v26
	v_div_scale_f32 v31, s[4:5], v23, v23, 1.0
	v_fma_f32 v32, -v28, v30, v24
	v_fmac_f32_e32 v30, v32, v26
	v_rcp_f32_e32 v32, v29
	v_fma_f32 v24, -v28, v30, v24
	s_mov_b64 vcc, s[0:1]
	v_div_fmas_f32 v24, v24, v26, v30
	v_fma_f32 v26, -v29, v32, 1.0
	v_fmac_f32_e32 v32, v26, v32
	v_div_scale_f32 v26, s[0:1], 1.0, v23, 1.0
	v_add_f32_e32 v25, 1.0, v25
	v_mul_f32_e32 v28, v25, v25
	v_div_scale_f32 v30, s[4:5], v28, v28, 1.0
	v_mul_f32_e32 v33, v27, v32
	v_fma_f32 v34, -v29, v33, v27
	v_fmac_f32_e32 v33, v34, v32
	v_rcp_f32_e32 v34, v31
	v_fma_f32 v27, -v29, v33, v27
	v_div_scale_f32 v29, s[4:5], 1.0, v28, 1.0
	s_mov_b64 vcc, s[2:3]
	v_div_fmas_f32 v27, v27, v32, v33
	v_add_f32_e32 v33, v25, v25
	v_div_scale_f32 v35, s[2:3], v33, v33, 1.0
	v_fma_f32 v32, -v31, v34, 1.0
	v_fmac_f32_e32 v34, v32, v34
	v_mul_f32_e32 v32, v26, v34
	v_fma_f32 v36, -v31, v32, v26
	v_fmac_f32_e32 v32, v36, v34
	v_div_scale_f32 v36, s[2:3], 1.0, v33, 1.0
	v_rcp_f32_e32 v37, v30
	v_fma_f32 v26, -v31, v32, v26
	s_mov_b64 vcc, s[0:1]
	v_div_fmas_f32 v26, v26, v34, v32
	v_fma_f32 v31, -v30, v37, 1.0
	v_fmac_f32_e32 v37, v31, v37
	v_mul_f32_e32 v31, v29, v37
	v_fma_f32 v32, -v30, v31, v29
	v_fmac_f32_e32 v31, v32, v37
	v_rcp_f32_e32 v32, v35
	v_fma_f32 v29, -v30, v31, v29
	s_mov_b64 vcc, s[4:5]
	v_div_fmas_f32 v29, v29, v37, v31
	v_fma_f32 v30, -v35, v32, 1.0
	v_fmac_f32_e32 v32, v30, v32
	v_mul_f32_e32 v30, v36, v32
	v_fma_f32 v31, -v35, v30, v36
	v_fmac_f32_e32 v30, v31, v32
	v_fma_f32 v31, -v35, v30, v36
	s_mov_b64 vcc, s[2:3]
	v_div_fmas_f32 v30, v31, v32, v30
	s_mov_b32 s0, 0x3e2aaaab
	v_div_fixup_f32 v16, v18, v16, 1.0
	v_add_f32_e32 v5, v5, v16
	v_div_fixup_f32 v3, v20, v3, 1.0
	v_add_f32_e32 v3, v5, v3
	v_div_fixup_f32 v5, v22, v17, 1.0
	v_add_f32_e32 v3, v3, v5
	v_div_fixup_f32 v28, v29, v28, 1.0
	v_div_fixup_f32 v5, v24, v19, 1.0
	v_add_f32_e32 v3, v3, v5
	v_div_fixup_f32 v5, v27, v21, 1.0
	v_add_f32_e32 v3, v3, v5
	;; [unrolled: 2-line block ×3, first 2 shown]
	v_div_fixup_f32 v29, v30, v33, 1.0
	v_mov_b32_e32 v30, 0x3d088889
	v_fmac_f32_e32 v30, 0xbcc30c31, v28
	v_add_f32_e32 v29, 1.0, v29
	v_fma_f32 v30, -v28, v30, s0
	v_fmac_f32_e32 v29, v28, v30
	v_div_scale_f32 v28, s[0:1], v25, v25, v29
	v_div_scale_f32 v30, vcc, v29, v25, v29
	s_movk_i32 s0, 0x7fff
	v_rcp_f32_e32 v31, v28
	v_fma_f32 v32, -v28, v31, 1.0
	v_fmac_f32_e32 v31, v32, v31
	v_mul_f32_e32 v32, v30, v31
	v_fma_f32 v33, -v28, v32, v30
	v_fmac_f32_e32 v32, v33, v31
	v_fma_f32 v28, -v28, v32, v30
	v_div_fmas_f32 v28, v28, v31, v32
	v_div_fixup_f32 v5, v28, v25, v29
	v_add_f32_e32 v3, v3, v5
	v_mul_f32_e32 v1, v1, v3
	v_bfe_u32 v3, v1, 16, 1
	v_add3_u32 v3, v1, v3, s0
	v_cmp_o_f32_e32 vcc, v1, v1
	v_mov_b32_e32 v1, 0x7fc0
	v_cndmask_b32_sdwa v1, v1, v3, vcc dst_sel:DWORD dst_unused:UNUSED_PAD src0_sel:DWORD src1_sel:WORD_1
	v_mov_b32_e32 v3, s9
	v_add_co_u32_e32 v5, vcc, s8, v6
	v_addc_co_u32_e32 v6, vcc, 0, v3, vcc
	s_cbranch_scc1 .LBB77_1781
; %bb.1704:
	s_and_b32 s17, 0xffff, s16
	s_mov_b64 s[10:11], -1
	s_mov_b64 s[2:3], 0
	s_cmp_gt_i32 s17, 25
	s_mov_b64 s[4:5], 0
	s_mov_b64 s[0:1], 0
	s_cbranch_scc0 .LBB77_1737
; %bb.1705:
	s_cmp_gt_i32 s17, 28
	s_cbranch_scc0 .LBB77_1720
; %bb.1706:
	s_cmp_gt_i32 s17, 43
	;; [unrolled: 3-line block ×3, first 2 shown]
	s_cbranch_scc0 .LBB77_1710
; %bb.1708:
	s_mov_b64 s[0:1], -1
	s_mov_b64 s[10:11], 0
	s_cmp_eq_u32 s17, 46
	s_cbranch_scc0 .LBB77_1710
; %bb.1709:
	v_and_b32_e32 v3, 0xffff, v1
	global_store_dword v[5:6], v3, off
	s_mov_b64 s[0:1], 0
	s_mov_b64 s[4:5], -1
.LBB77_1710:
	s_and_b64 vcc, exec, s[10:11]
	s_cbranch_vccz .LBB77_1715
; %bb.1711:
	s_cmp_eq_u32 s17, 44
	s_mov_b64 s[0:1], -1
	s_cbranch_scc0 .LBB77_1715
; %bb.1712:
	v_and_b32_e32 v16, 0xffff, v1
	v_bfe_u32 v3, v16, 7, 8
	s_movk_i32 s0, 0xff
	v_cmp_ne_u32_e32 vcc, s0, v3
	v_mov_b32_e32 v17, 0xff
	s_and_saveexec_b64 s[4:5], vcc
	s_cbranch_execz .LBB77_1714
; %bb.1713:
	v_lshlrev_b32_e32 v18, 16, v16
	s_mov_b32 s0, 0x3f0000
	v_lshrrev_b32_e32 v17, 7, v16
	v_and_b32_e32 v16, 64, v16
	v_and_or_b32 v3, v18, s0, v3
	v_cmp_ne_u32_e32 vcc, 0, v16
	v_cmp_ne_u32_e64 s[0:1], 0, v3
	s_and_b64 s[0:1], vcc, s[0:1]
	v_cndmask_b32_e64 v3, 0, 1, s[0:1]
	v_add_u32_e32 v17, v17, v3
.LBB77_1714:
	s_or_b64 exec, exec, s[4:5]
	s_mov_b64 s[0:1], 0
	s_mov_b64 s[4:5], -1
	global_store_byte v[5:6], v17, off
.LBB77_1715:
	s_mov_b64 s[10:11], 0
.LBB77_1716:
	s_and_b64 vcc, exec, s[10:11]
	s_cbranch_vccz .LBB77_1719
; %bb.1717:
	s_cmp_eq_u32 s17, 29
	s_mov_b64 s[0:1], -1
	s_cbranch_scc0 .LBB77_1719
; %bb.1718:
	v_lshlrev_b32_e32 v3, 16, v1
	v_trunc_f32_e32 v3, v3
	v_mul_f32_e32 v16, 0x2f800000, v3
	v_floor_f32_e32 v16, v16
	v_fmac_f32_e32 v3, 0xcf800000, v16
	v_cvt_u32_f32_e32 v17, v16
	v_cvt_u32_f32_e32 v16, v3
	s_mov_b64 s[0:1], 0
	s_mov_b64 s[4:5], -1
	global_store_dwordx2 v[5:6], v[16:17], off
.LBB77_1719:
	s_mov_b64 s[10:11], 0
.LBB77_1720:
	s_and_b64 vcc, exec, s[10:11]
	s_cbranch_vccz .LBB77_1736
; %bb.1721:
	s_cmp_lt_i32 s17, 27
	s_mov_b64 s[4:5], -1
	s_cbranch_scc1 .LBB77_1727
; %bb.1722:
	s_cmp_gt_i32 s17, 27
	s_cbranch_scc0 .LBB77_1724
; %bb.1723:
	v_lshlrev_b32_e32 v3, 16, v1
	v_cvt_u32_f32_e32 v3, v3
	s_mov_b64 s[4:5], 0
	global_store_dword v[5:6], v3, off
.LBB77_1724:
	s_andn2_b64 vcc, exec, s[4:5]
	s_cbranch_vccnz .LBB77_1726
; %bb.1725:
	v_lshlrev_b32_e32 v3, 16, v1
	v_cvt_u32_f32_e32 v3, v3
	global_store_short v[5:6], v3, off
.LBB77_1726:
	s_mov_b64 s[4:5], 0
.LBB77_1727:
	s_andn2_b64 vcc, exec, s[4:5]
	s_cbranch_vccnz .LBB77_1735
; %bb.1728:
	v_lshlrev_b32_e32 v17, 16, v1
	v_and_b32_e32 v16, 0x7fffffff, v17
	s_mov_b32 s4, 0x43800000
	v_cmp_gt_u32_e32 vcc, s4, v16
	v_mov_b32_e32 v18, 0x80
	s_and_saveexec_b64 s[4:5], vcc
	s_cbranch_execz .LBB77_1734
; %bb.1729:
	s_mov_b32 s10, 0x3bffffff
	v_and_b32_e32 v3, 0xffff, v1
	v_cmp_lt_u32_e32 vcc, s10, v16
	s_mov_b64 s[10:11], 0
                                        ; implicit-def: $vgpr16
	s_and_saveexec_b64 s[14:15], vcc
	s_xor_b64 s[14:15], exec, s[14:15]
	s_cbranch_execz .LBB77_2183
; %bb.1730:
	v_bfe_u32 v16, v3, 4, 1
	s_mov_b32 s19, 0x487ffff
	v_add3_u32 v16, v17, v16, s19
	s_mov_b64 s[10:11], exec
	v_lshrrev_b32_e32 v16, 20, v16
                                        ; implicit-def: $vgpr17
	s_andn2_saveexec_b64 s[14:15], s[14:15]
	s_cbranch_execnz .LBB77_2184
.LBB77_1731:
	s_or_b64 exec, exec, s[14:15]
	v_mov_b32_e32 v18, 0
	s_and_saveexec_b64 s[14:15], s[10:11]
.LBB77_1732:
	v_lshrrev_b32_e32 v3, 8, v3
	s_movk_i32 s10, 0x80
	v_and_or_b32 v18, v3, s10, v16
.LBB77_1733:
	s_or_b64 exec, exec, s[14:15]
.LBB77_1734:
	s_or_b64 exec, exec, s[4:5]
	global_store_byte v[5:6], v18, off
.LBB77_1735:
	s_mov_b64 s[4:5], -1
.LBB77_1736:
	s_mov_b64 s[10:11], 0
.LBB77_1737:
	s_and_b64 vcc, exec, s[10:11]
	s_cbranch_vccz .LBB77_1777
; %bb.1738:
	s_cmp_gt_i32 s17, 22
	s_mov_b64 s[2:3], -1
	s_cbranch_scc0 .LBB77_1770
; %bb.1739:
	s_cmp_lt_i32 s17, 24
	s_cbranch_scc1 .LBB77_1759
; %bb.1740:
	s_cmp_gt_i32 s17, 24
	s_cbranch_scc0 .LBB77_1748
; %bb.1741:
	v_lshlrev_b32_e32 v17, 16, v1
	v_and_b32_e32 v16, 0x7fffffff, v17
	s_mov_b32 s2, 0x47800000
	v_cmp_gt_u32_e32 vcc, s2, v16
	v_mov_b32_e32 v18, 0x80
	s_and_saveexec_b64 s[2:3], vcc
	s_cbranch_execz .LBB77_1747
; %bb.1742:
	s_mov_b32 s4, 0x37ffffff
	v_and_b32_e32 v3, 0xffff, v1
	v_cmp_lt_u32_e32 vcc, s4, v16
	s_mov_b64 s[4:5], 0
                                        ; implicit-def: $vgpr16
	s_and_saveexec_b64 s[10:11], vcc
	s_xor_b64 s[10:11], exec, s[10:11]
	s_cbranch_execz .LBB77_2186
; %bb.1743:
	v_bfe_u32 v16, v3, 5, 1
	s_mov_b32 s14, 0x88fffff
	v_add3_u32 v16, v17, v16, s14
	s_mov_b64 s[4:5], exec
	v_lshrrev_b32_e32 v16, 21, v16
                                        ; implicit-def: $vgpr17
	s_andn2_saveexec_b64 s[10:11], s[10:11]
	s_cbranch_execnz .LBB77_2187
.LBB77_1744:
	s_or_b64 exec, exec, s[10:11]
	v_mov_b32_e32 v18, 0
	s_and_saveexec_b64 s[10:11], s[4:5]
.LBB77_1745:
	v_lshrrev_b32_e32 v3, 8, v3
	s_movk_i32 s4, 0x80
	v_and_or_b32 v18, v3, s4, v16
.LBB77_1746:
	s_or_b64 exec, exec, s[10:11]
.LBB77_1747:
	s_or_b64 exec, exec, s[2:3]
	s_mov_b64 s[2:3], 0
	global_store_byte v[5:6], v18, off
.LBB77_1748:
	s_and_b64 vcc, exec, s[2:3]
	s_cbranch_vccz .LBB77_1758
; %bb.1749:
	v_lshlrev_b32_e32 v17, 16, v1
	v_and_b32_e32 v18, 0x7fffffff, v17
	s_mov_b32 s2, 0x43f00000
	v_and_b32_e32 v3, 0xffff, v1
	v_cmp_gt_u32_e32 vcc, s2, v18
                                        ; implicit-def: $vgpr16
	s_and_saveexec_b64 s[2:3], vcc
	s_xor_b64 s[2:3], exec, s[2:3]
	s_cbranch_execz .LBB77_1755
; %bb.1750:
	s_mov_b32 s4, 0x3c7fffff
	v_cmp_lt_u32_e32 vcc, s4, v18
                                        ; implicit-def: $vgpr16
	s_and_saveexec_b64 s[4:5], vcc
	s_xor_b64 s[4:5], exec, s[4:5]
; %bb.1751:
	v_bfe_u32 v16, v3, 4, 1
	s_mov_b32 s10, 0x407ffff
	v_add3_u32 v16, v17, v16, s10
	v_lshrrev_b32_e32 v17, 20, v16
	v_and_b32_e32 v16, 0xff00000, v16
	s_mov_b32 s10, 0x7f00000
	v_mov_b32_e32 v18, 0x7e
	v_cmp_ne_u32_e32 vcc, s10, v16
	v_cndmask_b32_e32 v16, v18, v17, vcc
                                        ; implicit-def: $vgpr17
; %bb.1752:
	s_andn2_saveexec_b64 s[4:5], s[4:5]
; %bb.1753:
	s_mov_b32 s10, 0x46800000
	v_add_f32_e64 v16, |v17|, s10
; %bb.1754:
	s_or_b64 exec, exec, s[4:5]
                                        ; implicit-def: $vgpr18
.LBB77_1755:
	s_andn2_saveexec_b64 s[2:3], s[2:3]
; %bb.1756:
	s_mov_b32 s4, 0x7f800000
	v_mov_b32_e32 v16, 0x7e
	v_mov_b32_e32 v17, 0x7f
	v_cmp_lt_u32_e32 vcc, s4, v18
	v_cndmask_b32_e32 v16, v16, v17, vcc
; %bb.1757:
	s_or_b64 exec, exec, s[2:3]
	v_lshrrev_b32_e32 v3, 8, v3
	s_movk_i32 s2, 0x80
	v_and_or_b32 v3, v3, s2, v16
	global_store_byte v[5:6], v3, off
.LBB77_1758:
	s_mov_b64 s[2:3], 0
.LBB77_1759:
	s_andn2_b64 vcc, exec, s[2:3]
	s_cbranch_vccnz .LBB77_1769
; %bb.1760:
	v_lshlrev_b32_e32 v17, 16, v1
	v_and_b32_e32 v18, 0x7fffffff, v17
	s_mov_b32 s2, 0x47800000
	v_and_b32_e32 v3, 0xffff, v1
	v_cmp_gt_u32_e32 vcc, s2, v18
                                        ; implicit-def: $vgpr16
	s_and_saveexec_b64 s[2:3], vcc
	s_xor_b64 s[2:3], exec, s[2:3]
	s_cbranch_execz .LBB77_1766
; %bb.1761:
	s_mov_b32 s4, 0x387fffff
	v_cmp_lt_u32_e32 vcc, s4, v18
                                        ; implicit-def: $vgpr16
	s_and_saveexec_b64 s[4:5], vcc
	s_xor_b64 s[4:5], exec, s[4:5]
; %bb.1762:
	v_bfe_u32 v16, v3, 5, 1
	s_mov_b32 s10, 0x80fffff
	v_add3_u32 v16, v17, v16, s10
	v_lshrrev_b32_e32 v16, 21, v16
                                        ; implicit-def: $vgpr17
; %bb.1763:
	s_andn2_saveexec_b64 s[4:5], s[4:5]
; %bb.1764:
	s_mov_b32 s10, 0x43000000
	v_add_f32_e64 v16, |v17|, s10
; %bb.1765:
	s_or_b64 exec, exec, s[4:5]
                                        ; implicit-def: $vgpr18
.LBB77_1766:
	s_andn2_saveexec_b64 s[2:3], s[2:3]
; %bb.1767:
	s_mov_b32 s4, 0x7f800000
	v_mov_b32_e32 v16, 0x7c
	v_mov_b32_e32 v17, 0x7f
	v_cmp_lt_u32_e32 vcc, s4, v18
	v_cndmask_b32_e32 v16, v16, v17, vcc
; %bb.1768:
	s_or_b64 exec, exec, s[2:3]
	v_lshrrev_b32_e32 v3, 8, v3
	s_movk_i32 s2, 0x80
	v_and_or_b32 v3, v3, s2, v16
	global_store_byte v[5:6], v3, off
.LBB77_1769:
	s_mov_b64 s[2:3], 0
	s_mov_b64 s[4:5], -1
.LBB77_1770:
	s_andn2_b64 vcc, exec, s[2:3]
	s_mov_b64 s[2:3], 0
	s_cbranch_vccnz .LBB77_1777
; %bb.1771:
	s_cmp_gt_i32 s17, 14
	s_mov_b64 s[10:11], -1
	s_cbranch_scc0 .LBB77_1775
; %bb.1772:
	s_cmp_eq_u32 s17, 15
	s_mov_b64 s[0:1], -1
	s_cbranch_scc0 .LBB77_1774
; %bb.1773:
	global_store_short v[5:6], v1, off
	s_mov_b64 s[0:1], 0
	s_mov_b64 s[4:5], -1
.LBB77_1774:
	s_mov_b64 s[10:11], 0
.LBB77_1775:
	s_and_b64 vcc, exec, s[10:11]
	s_cbranch_vccz .LBB77_1777
; %bb.1776:
	s_cmp_lg_u32 s17, 11
	s_mov_b64 s[2:3], -1
	s_cselect_b64 s[0:1], -1, 0
.LBB77_1777:
	s_and_b64 vcc, exec, s[0:1]
	s_cbranch_vccnz .LBB77_2185
; %bb.1778:
	s_andn2_b64 vcc, exec, s[2:3]
	s_cbranch_vccnz .LBB77_1780
.LBB77_1779:
	v_and_b32_e32 v3, 0x7fff, v1
	v_cmp_ne_u16_e32 vcc, 0, v3
	v_cndmask_b32_e64 v3, 0, 1, vcc
	s_mov_b64 s[4:5], -1
	global_store_byte v[5:6], v3, off
.LBB77_1780:
	s_mov_b64 s[0:1], 0
	s_branch .LBB77_1782
.LBB77_1781:
	s_mov_b64 s[0:1], -1
	s_mov_b64 s[4:5], 0
.LBB77_1782:
	s_and_b64 vcc, exec, s[0:1]
	s_cbranch_vccz .LBB77_1821
; %bb.1783:
	s_and_b32 s2, 0xffff, s16
	s_cmp_lt_i32 s2, 5
	s_mov_b64 s[0:1], -1
	s_cbranch_scc1 .LBB77_1804
; %bb.1784:
	s_cmp_lt_i32 s2, 8
	s_cbranch_scc1 .LBB77_1794
; %bb.1785:
	s_cmp_lt_i32 s2, 9
	s_cbranch_scc1 .LBB77_1791
; %bb.1786:
	s_cmp_gt_i32 s2, 9
	s_cbranch_scc0 .LBB77_1788
; %bb.1787:
	v_lshlrev_b32_e32 v3, 16, v1
	v_cvt_f64_f32_e32 v[16:17], v3
	v_mov_b32_e32 v18, 0
	v_mov_b32_e32 v19, v18
	s_mov_b64 s[0:1], 0
	global_store_dwordx4 v[5:6], v[16:19], off
.LBB77_1788:
	s_andn2_b64 vcc, exec, s[0:1]
	s_cbranch_vccnz .LBB77_1790
; %bb.1789:
	v_lshlrev_b32_e32 v16, 16, v1
	v_mov_b32_e32 v17, 0
	global_store_dwordx2 v[5:6], v[16:17], off
.LBB77_1790:
	s_mov_b64 s[0:1], 0
.LBB77_1791:
	s_andn2_b64 vcc, exec, s[0:1]
	s_cbranch_vccnz .LBB77_1793
; %bb.1792:
	v_lshlrev_b32_e32 v3, 16, v1
	v_cvt_f16_f32_e32 v3, v3
	global_store_dword v[5:6], v3, off
.LBB77_1793:
	s_mov_b64 s[0:1], 0
.LBB77_1794:
	s_andn2_b64 vcc, exec, s[0:1]
	s_cbranch_vccnz .LBB77_1803
; %bb.1795:
	s_cmp_lt_i32 s2, 6
	s_mov_b64 s[0:1], -1
	s_cbranch_scc1 .LBB77_1801
; %bb.1796:
	s_cmp_gt_i32 s2, 6
	s_cbranch_scc0 .LBB77_1798
; %bb.1797:
	v_lshlrev_b32_e32 v3, 16, v1
	v_cvt_f64_f32_e32 v[16:17], v3
	s_mov_b64 s[0:1], 0
	global_store_dwordx2 v[5:6], v[16:17], off
.LBB77_1798:
	s_andn2_b64 vcc, exec, s[0:1]
	s_cbranch_vccnz .LBB77_1800
; %bb.1799:
	v_lshlrev_b32_e32 v3, 16, v1
	global_store_dword v[5:6], v3, off
.LBB77_1800:
	s_mov_b64 s[0:1], 0
.LBB77_1801:
	s_andn2_b64 vcc, exec, s[0:1]
	s_cbranch_vccnz .LBB77_1803
; %bb.1802:
	v_lshlrev_b32_e32 v3, 16, v1
	v_cvt_f16_f32_e32 v3, v3
	global_store_short v[5:6], v3, off
.LBB77_1803:
	s_mov_b64 s[0:1], 0
.LBB77_1804:
	s_andn2_b64 vcc, exec, s[0:1]
	s_cbranch_vccnz .LBB77_1820
; %bb.1805:
	s_cmp_lt_i32 s2, 2
	s_mov_b64 s[0:1], -1
	s_cbranch_scc1 .LBB77_1815
; %bb.1806:
	s_cmp_lt_i32 s2, 3
	s_cbranch_scc1 .LBB77_1812
; %bb.1807:
	s_cmp_gt_i32 s2, 3
	s_cbranch_scc0 .LBB77_1809
; %bb.1808:
	v_lshlrev_b32_e32 v3, 16, v1
	v_trunc_f32_e32 v3, v3
	s_mov_b32 s0, 0x2f800000
	v_mul_f32_e64 v16, |v3|, s0
	v_floor_f32_e32 v16, v16
	s_mov_b32 s0, 0xcf800000
	v_cvt_u32_f32_e32 v17, v16
	v_fma_f32 v16, v16, s0, |v3|
	v_cvt_u32_f32_e32 v16, v16
	v_ashrrev_i32_e32 v3, 31, v3
	v_xor_b32_e32 v17, v17, v3
	s_mov_b64 s[0:1], 0
	v_xor_b32_e32 v16, v16, v3
	v_sub_co_u32_e32 v16, vcc, v16, v3
	v_subb_co_u32_e32 v17, vcc, v17, v3, vcc
	global_store_dwordx2 v[5:6], v[16:17], off
.LBB77_1809:
	s_andn2_b64 vcc, exec, s[0:1]
	s_cbranch_vccnz .LBB77_1811
; %bb.1810:
	v_lshlrev_b32_e32 v3, 16, v1
	v_cvt_i32_f32_e32 v3, v3
	global_store_dword v[5:6], v3, off
.LBB77_1811:
	s_mov_b64 s[0:1], 0
.LBB77_1812:
	s_andn2_b64 vcc, exec, s[0:1]
	s_cbranch_vccnz .LBB77_1814
; %bb.1813:
	v_lshlrev_b32_e32 v3, 16, v1
	v_cvt_i32_f32_e32 v3, v3
	global_store_short v[5:6], v3, off
.LBB77_1814:
	s_mov_b64 s[0:1], 0
.LBB77_1815:
	s_andn2_b64 vcc, exec, s[0:1]
	s_cbranch_vccnz .LBB77_1820
; %bb.1816:
	s_mov_b64 s[0:1], -1
	s_cmp_gt_i32 s2, 0
	v_lshlrev_b32_e32 v1, 16, v1
	s_cbranch_scc0 .LBB77_1818
; %bb.1817:
	v_cvt_i32_f32_e32 v3, v1
	s_mov_b64 s[0:1], 0
	global_store_byte v[5:6], v3, off
.LBB77_1818:
	s_andn2_b64 vcc, exec, s[0:1]
	s_cbranch_vccnz .LBB77_1820
; %bb.1819:
	v_trunc_f32_e32 v1, v1
	s_mov_b32 s0, 0x2f800000
	v_mul_f32_e64 v3, |v1|, s0
	v_floor_f32_e32 v3, v3
	s_mov_b32 s0, 0xcf800000
	v_fma_f32 v3, v3, s0, |v1|
	v_cvt_u32_f32_e32 v3, v3
	v_ashrrev_i32_e32 v1, 31, v1
	v_xor_b32_e32 v3, v3, v1
	v_sub_u32_e32 v1, v3, v1
	global_store_byte v[5:6], v1, off
.LBB77_1820:
	s_mov_b64 s[4:5], -1
.LBB77_1821:
	s_andn2_b64 vcc, exec, s[4:5]
	s_cbranch_vccnz .LBB77_2136
; %bb.1822:
	v_mul_f32_e32 v1, v10, v10
	v_div_scale_f32 v6, s[0:1], v1, v1, 1.0
	v_add_f32_e32 v5, 1.0, v10
	v_mul_f32_e32 v3, v5, v5
	v_div_scale_f32 v16, s[0:1], v3, v3, 1.0
	v_div_scale_f32 v10, vcc, 1.0, v1, 1.0
	v_add_f32_e32 v17, 1.0, v5
	v_div_scale_f32 v18, s[0:1], 1.0, v3, 1.0
	v_mul_f32_e32 v5, v17, v17
	v_div_scale_f32 v19, s[2:3], v5, v5, 1.0
	v_div_scale_f32 v22, s[2:3], 1.0, v5, 1.0
	v_rcp_f32_e32 v20, v6
	v_add_f32_e32 v17, 1.0, v17
	v_rcp_f32_e32 v21, v16
	v_fma_f32 v23, -v6, v20, 1.0
	v_fmac_f32_e32 v20, v23, v20
	v_mul_f32_e32 v24, v10, v20
	v_fma_f32 v25, -v6, v24, v10
	v_fma_f32 v23, -v16, v21, 1.0
	v_fmac_f32_e32 v24, v25, v20
	v_fma_f32 v6, -v6, v24, v10
	v_fmac_f32_e32 v21, v23, v21
	v_div_fmas_f32 v6, v6, v20, v24
	v_mul_f32_e32 v20, v18, v21
	v_fma_f32 v10, -v16, v20, v18
	v_rcp_f32_e32 v23, v19
	v_fmac_f32_e32 v20, v10, v21
	v_mul_f32_e32 v10, v17, v17
	v_div_scale_f32 v24, s[4:5], v10, v10, 1.0
	v_fma_f32 v16, -v16, v20, v18
	v_fma_f32 v18, -v19, v23, 1.0
	v_fmac_f32_e32 v23, v18, v23
	s_mov_b64 vcc, s[0:1]
	v_mul_f32_e32 v18, v22, v23
	v_div_fmas_f32 v16, v16, v21, v20
	v_fma_f32 v20, -v19, v18, v22
	v_fmac_f32_e32 v18, v20, v23
	v_div_scale_f32 v20, s[0:1], 1.0, v10, 1.0
	v_add_f32_e32 v21, 1.0, v17
	v_mul_f32_e32 v17, v21, v21
	v_div_scale_f32 v25, s[4:5], v17, v17, 1.0
	v_fma_f32 v19, -v19, v18, v22
	s_mov_b64 vcc, s[2:3]
	v_div_fmas_f32 v18, v19, v23, v18
	v_div_scale_f32 v19, s[2:3], 1.0, v17, 1.0
	v_rcp_f32_e32 v22, v24
	v_add_f32_e32 v21, 1.0, v21
	v_mul_f32_e32 v26, v21, v21
	v_div_scale_f32 v27, s[4:5], v26, v26, 1.0
	v_fma_f32 v23, -v24, v22, 1.0
	v_fmac_f32_e32 v22, v23, v22
	v_mul_f32_e32 v23, v20, v22
	v_fma_f32 v28, -v24, v23, v20
	v_fmac_f32_e32 v23, v28, v22
	v_rcp_f32_e32 v28, v25
	v_fma_f32 v20, -v24, v23, v20
	s_mov_b64 vcc, s[0:1]
	v_div_fmas_f32 v20, v20, v22, v23
	v_fma_f32 v22, -v25, v28, 1.0
	v_fmac_f32_e32 v28, v22, v28
	v_mul_f32_e32 v22, v19, v28
	v_fma_f32 v23, -v25, v22, v19
	v_fmac_f32_e32 v22, v23, v28
	v_div_scale_f32 v23, s[0:1], 1.0, v26, 1.0
	v_add_f32_e32 v21, 1.0, v21
	v_mul_f32_e32 v29, v21, v21
	v_div_scale_f32 v30, s[4:5], v29, v29, 1.0
	v_rcp_f32_e32 v24, v27
	v_fma_f32 v19, -v25, v22, v19
	s_mov_b64 vcc, s[2:3]
	v_div_scale_f32 v25, s[2:3], 1.0, v29, 1.0
	v_div_fmas_f32 v19, v19, v28, v22
	v_add_f32_e32 v28, v21, v21
	v_div_scale_f32 v31, s[4:5], v28, v28, 1.0
	v_fma_f32 v22, -v27, v24, 1.0
	v_fmac_f32_e32 v24, v22, v24
	v_mul_f32_e32 v22, v23, v24
	v_fma_f32 v32, -v27, v22, v23
	v_fmac_f32_e32 v22, v32, v24
	v_div_scale_f32 v32, s[4:5], 1.0, v28, 1.0
	v_rcp_f32_e32 v33, v30
	v_fma_f32 v23, -v27, v22, v23
	s_mov_b64 vcc, s[0:1]
	v_div_fmas_f32 v22, v23, v24, v22
	v_fma_f32 v23, -v30, v33, 1.0
	v_fmac_f32_e32 v33, v23, v33
	v_mul_f32_e32 v23, v25, v33
	v_fma_f32 v24, -v30, v23, v25
	v_fmac_f32_e32 v23, v24, v33
	v_rcp_f32_e32 v24, v31
	v_fma_f32 v25, -v30, v23, v25
	s_mov_b64 vcc, s[2:3]
	v_div_fmas_f32 v23, v25, v33, v23
	v_fma_f32 v25, -v31, v24, 1.0
	v_fmac_f32_e32 v24, v25, v24
	v_mul_f32_e32 v25, v32, v24
	v_fma_f32 v27, -v31, v25, v32
	v_fmac_f32_e32 v25, v27, v24
	v_fma_f32 v27, -v31, v25, v32
	s_mov_b64 vcc, s[4:5]
	v_div_fmas_f32 v24, v27, v24, v25
	v_mov_b32_e32 v25, 0x3d088889
	s_mov_b32 s0, 0x3e2aaaab
	v_div_fixup_f32 v1, v6, v1, 1.0
	v_add_f32_e32 v1, v12, v1
	v_div_fixup_f32 v3, v16, v3, 1.0
	v_add_f32_e32 v1, v1, v3
	v_div_fixup_f32 v3, v18, v5, 1.0
	v_div_fixup_f32 v23, v23, v29, 1.0
	v_fmac_f32_e32 v25, 0xbcc30c31, v23
	v_fma_f32 v25, -v23, v25, s0
	v_add_f32_e32 v1, v1, v3
	v_div_fixup_f32 v3, v20, v10, 1.0
	v_add_f32_e32 v1, v1, v3
	v_div_fixup_f32 v3, v19, v17, 1.0
	;; [unrolled: 2-line block ×3, first 2 shown]
	v_add_f32_e32 v24, 1.0, v24
	v_fmac_f32_e32 v24, v23, v25
	v_div_scale_f32 v23, s[0:1], v21, v21, v24
	v_div_scale_f32 v25, vcc, v24, v21, v24
	v_div_fixup_f32 v3, v22, v26, 1.0
	v_add_f32_e32 v1, v1, v3
	s_lshr_b32 s0, s18, 8
	s_and_b32 s16, s0, 0xff
	s_movk_i32 s0, 0x7fff
	v_mov_b32_e32 v5, s9
	s_cmp_lt_i32 s16, 11
	v_rcp_f32_e32 v27, v23
	v_fma_f32 v28, -v23, v27, 1.0
	v_fmac_f32_e32 v27, v28, v27
	v_mul_f32_e32 v28, v25, v27
	v_fma_f32 v29, -v23, v28, v25
	v_fmac_f32_e32 v28, v29, v27
	v_fma_f32 v23, -v23, v28, v25
	v_div_fmas_f32 v23, v23, v27, v28
	v_div_fixup_f32 v3, v23, v21, v24
	v_add_f32_e32 v1, v1, v3
	v_mul_f32_e32 v1, v11, v1
	v_bfe_u32 v3, v1, 16, 1
	v_add3_u32 v3, v1, v3, s0
	v_cmp_o_f32_e32 vcc, v1, v1
	v_mov_b32_e32 v1, 0x7fc0
	v_cndmask_b32_sdwa v1, v1, v3, vcc dst_sel:DWORD dst_unused:UNUSED_PAD src0_sel:DWORD src1_sel:WORD_1
	v_add_co_u32_e32 v3, vcc, s8, v4
	v_addc_co_u32_e32 v4, vcc, 0, v5, vcc
	s_cbranch_scc1 .LBB77_1900
; %bb.1823:
	s_and_b32 s17, 0xffff, s16
	s_mov_b64 s[10:11], -1
	s_mov_b64 s[2:3], 0
	s_cmp_gt_i32 s17, 25
	s_mov_b64 s[4:5], 0
	s_mov_b64 s[0:1], 0
	s_cbranch_scc0 .LBB77_1856
; %bb.1824:
	s_cmp_gt_i32 s17, 28
	s_cbranch_scc0 .LBB77_1839
; %bb.1825:
	s_cmp_gt_i32 s17, 43
	;; [unrolled: 3-line block ×3, first 2 shown]
	s_cbranch_scc0 .LBB77_1829
; %bb.1827:
	s_mov_b64 s[0:1], -1
	s_mov_b64 s[10:11], 0
	s_cmp_eq_u32 s17, 46
	s_cbranch_scc0 .LBB77_1829
; %bb.1828:
	v_and_b32_e32 v5, 0xffff, v1
	global_store_dword v[3:4], v5, off
	s_mov_b64 s[0:1], 0
	s_mov_b64 s[4:5], -1
.LBB77_1829:
	s_and_b64 vcc, exec, s[10:11]
	s_cbranch_vccz .LBB77_1834
; %bb.1830:
	s_cmp_eq_u32 s17, 44
	s_mov_b64 s[0:1], -1
	s_cbranch_scc0 .LBB77_1834
; %bb.1831:
	v_and_b32_e32 v6, 0xffff, v1
	v_bfe_u32 v5, v6, 7, 8
	s_movk_i32 s0, 0xff
	v_cmp_ne_u32_e32 vcc, s0, v5
	v_mov_b32_e32 v10, 0xff
	s_and_saveexec_b64 s[4:5], vcc
	s_cbranch_execz .LBB77_1833
; %bb.1832:
	v_lshlrev_b32_e32 v11, 16, v6
	s_mov_b32 s0, 0x3f0000
	v_lshrrev_b32_e32 v10, 7, v6
	v_and_b32_e32 v6, 64, v6
	v_and_or_b32 v5, v11, s0, v5
	v_cmp_ne_u32_e32 vcc, 0, v6
	v_cmp_ne_u32_e64 s[0:1], 0, v5
	s_and_b64 s[0:1], vcc, s[0:1]
	v_cndmask_b32_e64 v5, 0, 1, s[0:1]
	v_add_u32_e32 v10, v10, v5
.LBB77_1833:
	s_or_b64 exec, exec, s[4:5]
	s_mov_b64 s[0:1], 0
	s_mov_b64 s[4:5], -1
	global_store_byte v[3:4], v10, off
.LBB77_1834:
	s_mov_b64 s[10:11], 0
.LBB77_1835:
	s_and_b64 vcc, exec, s[10:11]
	s_cbranch_vccz .LBB77_1838
; %bb.1836:
	s_cmp_eq_u32 s17, 29
	s_mov_b64 s[0:1], -1
	s_cbranch_scc0 .LBB77_1838
; %bb.1837:
	v_lshlrev_b32_e32 v5, 16, v1
	v_trunc_f32_e32 v5, v5
	v_mul_f32_e32 v6, 0x2f800000, v5
	v_floor_f32_e32 v10, v6
	v_fmac_f32_e32 v5, 0xcf800000, v10
	v_cvt_u32_f32_e32 v6, v10
	v_cvt_u32_f32_e32 v5, v5
	s_mov_b64 s[0:1], 0
	s_mov_b64 s[4:5], -1
	global_store_dwordx2 v[3:4], v[5:6], off
.LBB77_1838:
	s_mov_b64 s[10:11], 0
.LBB77_1839:
	s_and_b64 vcc, exec, s[10:11]
	s_cbranch_vccz .LBB77_1855
; %bb.1840:
	s_cmp_lt_i32 s17, 27
	s_mov_b64 s[4:5], -1
	s_cbranch_scc1 .LBB77_1846
; %bb.1841:
	s_cmp_gt_i32 s17, 27
	s_cbranch_scc0 .LBB77_1843
; %bb.1842:
	v_lshlrev_b32_e32 v5, 16, v1
	v_cvt_u32_f32_e32 v5, v5
	s_mov_b64 s[4:5], 0
	global_store_dword v[3:4], v5, off
.LBB77_1843:
	s_andn2_b64 vcc, exec, s[4:5]
	s_cbranch_vccnz .LBB77_1845
; %bb.1844:
	v_lshlrev_b32_e32 v5, 16, v1
	v_cvt_u32_f32_e32 v5, v5
	global_store_short v[3:4], v5, off
.LBB77_1845:
	s_mov_b64 s[4:5], 0
.LBB77_1846:
	s_andn2_b64 vcc, exec, s[4:5]
	s_cbranch_vccnz .LBB77_1854
; %bb.1847:
	v_lshlrev_b32_e32 v10, 16, v1
	v_and_b32_e32 v6, 0x7fffffff, v10
	s_mov_b32 s4, 0x43800000
	v_cmp_gt_u32_e32 vcc, s4, v6
	v_mov_b32_e32 v11, 0x80
	s_and_saveexec_b64 s[4:5], vcc
	s_cbranch_execz .LBB77_1853
; %bb.1848:
	s_mov_b32 s10, 0x3bffffff
	v_and_b32_e32 v5, 0xffff, v1
	v_cmp_lt_u32_e32 vcc, s10, v6
	s_mov_b64 s[10:11], 0
                                        ; implicit-def: $vgpr6
	s_and_saveexec_b64 s[14:15], vcc
	s_xor_b64 s[14:15], exec, s[14:15]
	s_cbranch_execz .LBB77_2188
; %bb.1849:
	v_bfe_u32 v6, v5, 4, 1
	s_mov_b32 s18, 0x487ffff
	v_add3_u32 v6, v10, v6, s18
	s_mov_b64 s[10:11], exec
	v_lshrrev_b32_e32 v6, 20, v6
                                        ; implicit-def: $vgpr10
	s_andn2_saveexec_b64 s[14:15], s[14:15]
	s_cbranch_execnz .LBB77_2189
.LBB77_1850:
	s_or_b64 exec, exec, s[14:15]
	v_mov_b32_e32 v11, 0
	s_and_saveexec_b64 s[14:15], s[10:11]
.LBB77_1851:
	v_lshrrev_b32_e32 v5, 8, v5
	s_movk_i32 s10, 0x80
	v_and_or_b32 v11, v5, s10, v6
.LBB77_1852:
	s_or_b64 exec, exec, s[14:15]
.LBB77_1853:
	s_or_b64 exec, exec, s[4:5]
	global_store_byte v[3:4], v11, off
.LBB77_1854:
	s_mov_b64 s[4:5], -1
.LBB77_1855:
	s_mov_b64 s[10:11], 0
.LBB77_1856:
	s_and_b64 vcc, exec, s[10:11]
	s_cbranch_vccz .LBB77_1896
; %bb.1857:
	s_cmp_gt_i32 s17, 22
	s_mov_b64 s[2:3], -1
	s_cbranch_scc0 .LBB77_1889
; %bb.1858:
	s_cmp_lt_i32 s17, 24
	s_cbranch_scc1 .LBB77_1878
; %bb.1859:
	s_cmp_gt_i32 s17, 24
	s_cbranch_scc0 .LBB77_1867
; %bb.1860:
	v_lshlrev_b32_e32 v10, 16, v1
	v_and_b32_e32 v6, 0x7fffffff, v10
	s_mov_b32 s2, 0x47800000
	v_cmp_gt_u32_e32 vcc, s2, v6
	v_mov_b32_e32 v11, 0x80
	s_and_saveexec_b64 s[2:3], vcc
	s_cbranch_execz .LBB77_1866
; %bb.1861:
	s_mov_b32 s4, 0x37ffffff
	v_and_b32_e32 v5, 0xffff, v1
	v_cmp_lt_u32_e32 vcc, s4, v6
	s_mov_b64 s[4:5], 0
                                        ; implicit-def: $vgpr6
	s_and_saveexec_b64 s[10:11], vcc
	s_xor_b64 s[10:11], exec, s[10:11]
	s_cbranch_execz .LBB77_2191
; %bb.1862:
	v_bfe_u32 v6, v5, 5, 1
	s_mov_b32 s14, 0x88fffff
	v_add3_u32 v6, v10, v6, s14
	s_mov_b64 s[4:5], exec
	v_lshrrev_b32_e32 v6, 21, v6
                                        ; implicit-def: $vgpr10
	s_andn2_saveexec_b64 s[10:11], s[10:11]
	s_cbranch_execnz .LBB77_2192
.LBB77_1863:
	s_or_b64 exec, exec, s[10:11]
	v_mov_b32_e32 v11, 0
	s_and_saveexec_b64 s[10:11], s[4:5]
.LBB77_1864:
	v_lshrrev_b32_e32 v5, 8, v5
	s_movk_i32 s4, 0x80
	v_and_or_b32 v11, v5, s4, v6
.LBB77_1865:
	s_or_b64 exec, exec, s[10:11]
.LBB77_1866:
	s_or_b64 exec, exec, s[2:3]
	s_mov_b64 s[2:3], 0
	global_store_byte v[3:4], v11, off
.LBB77_1867:
	s_and_b64 vcc, exec, s[2:3]
	s_cbranch_vccz .LBB77_1877
; %bb.1868:
	v_lshlrev_b32_e32 v10, 16, v1
	v_and_b32_e32 v11, 0x7fffffff, v10
	s_mov_b32 s2, 0x43f00000
	v_and_b32_e32 v5, 0xffff, v1
	v_cmp_gt_u32_e32 vcc, s2, v11
                                        ; implicit-def: $vgpr6
	s_and_saveexec_b64 s[2:3], vcc
	s_xor_b64 s[2:3], exec, s[2:3]
	s_cbranch_execz .LBB77_1874
; %bb.1869:
	s_mov_b32 s4, 0x3c7fffff
	v_cmp_lt_u32_e32 vcc, s4, v11
                                        ; implicit-def: $vgpr6
	s_and_saveexec_b64 s[4:5], vcc
	s_xor_b64 s[4:5], exec, s[4:5]
; %bb.1870:
	v_bfe_u32 v6, v5, 4, 1
	s_mov_b32 s10, 0x407ffff
	v_add3_u32 v6, v10, v6, s10
	v_lshrrev_b32_e32 v10, 20, v6
	v_and_b32_e32 v6, 0xff00000, v6
	s_mov_b32 s10, 0x7f00000
	v_mov_b32_e32 v11, 0x7e
	v_cmp_ne_u32_e32 vcc, s10, v6
	v_cndmask_b32_e32 v6, v11, v10, vcc
                                        ; implicit-def: $vgpr10
; %bb.1871:
	s_andn2_saveexec_b64 s[4:5], s[4:5]
; %bb.1872:
	s_mov_b32 s10, 0x46800000
	v_add_f32_e64 v6, |v10|, s10
; %bb.1873:
	s_or_b64 exec, exec, s[4:5]
                                        ; implicit-def: $vgpr11
.LBB77_1874:
	s_andn2_saveexec_b64 s[2:3], s[2:3]
; %bb.1875:
	s_mov_b32 s4, 0x7f800000
	v_mov_b32_e32 v6, 0x7e
	v_mov_b32_e32 v10, 0x7f
	v_cmp_lt_u32_e32 vcc, s4, v11
	v_cndmask_b32_e32 v6, v6, v10, vcc
; %bb.1876:
	s_or_b64 exec, exec, s[2:3]
	v_lshrrev_b32_e32 v5, 8, v5
	s_movk_i32 s2, 0x80
	v_and_or_b32 v5, v5, s2, v6
	global_store_byte v[3:4], v5, off
.LBB77_1877:
	s_mov_b64 s[2:3], 0
.LBB77_1878:
	s_andn2_b64 vcc, exec, s[2:3]
	s_cbranch_vccnz .LBB77_1888
; %bb.1879:
	v_lshlrev_b32_e32 v10, 16, v1
	v_and_b32_e32 v11, 0x7fffffff, v10
	s_mov_b32 s2, 0x47800000
	v_and_b32_e32 v5, 0xffff, v1
	v_cmp_gt_u32_e32 vcc, s2, v11
                                        ; implicit-def: $vgpr6
	s_and_saveexec_b64 s[2:3], vcc
	s_xor_b64 s[2:3], exec, s[2:3]
	s_cbranch_execz .LBB77_1885
; %bb.1880:
	s_mov_b32 s4, 0x387fffff
	v_cmp_lt_u32_e32 vcc, s4, v11
                                        ; implicit-def: $vgpr6
	s_and_saveexec_b64 s[4:5], vcc
	s_xor_b64 s[4:5], exec, s[4:5]
; %bb.1881:
	v_bfe_u32 v6, v5, 5, 1
	s_mov_b32 s10, 0x80fffff
	v_add3_u32 v6, v10, v6, s10
	v_lshrrev_b32_e32 v6, 21, v6
                                        ; implicit-def: $vgpr10
; %bb.1882:
	s_andn2_saveexec_b64 s[4:5], s[4:5]
; %bb.1883:
	s_mov_b32 s10, 0x43000000
	v_add_f32_e64 v6, |v10|, s10
; %bb.1884:
	s_or_b64 exec, exec, s[4:5]
                                        ; implicit-def: $vgpr11
.LBB77_1885:
	s_andn2_saveexec_b64 s[2:3], s[2:3]
; %bb.1886:
	s_mov_b32 s4, 0x7f800000
	v_mov_b32_e32 v6, 0x7c
	v_mov_b32_e32 v10, 0x7f
	v_cmp_lt_u32_e32 vcc, s4, v11
	v_cndmask_b32_e32 v6, v6, v10, vcc
; %bb.1887:
	s_or_b64 exec, exec, s[2:3]
	v_lshrrev_b32_e32 v5, 8, v5
	s_movk_i32 s2, 0x80
	v_and_or_b32 v5, v5, s2, v6
	global_store_byte v[3:4], v5, off
.LBB77_1888:
	s_mov_b64 s[2:3], 0
	s_mov_b64 s[4:5], -1
.LBB77_1889:
	s_andn2_b64 vcc, exec, s[2:3]
	s_mov_b64 s[2:3], 0
	s_cbranch_vccnz .LBB77_1896
; %bb.1890:
	s_cmp_gt_i32 s17, 14
	s_mov_b64 s[10:11], -1
	s_cbranch_scc0 .LBB77_1894
; %bb.1891:
	s_cmp_eq_u32 s17, 15
	s_mov_b64 s[0:1], -1
	s_cbranch_scc0 .LBB77_1893
; %bb.1892:
	global_store_short v[3:4], v1, off
	s_mov_b64 s[0:1], 0
	s_mov_b64 s[4:5], -1
.LBB77_1893:
	s_mov_b64 s[10:11], 0
.LBB77_1894:
	s_and_b64 vcc, exec, s[10:11]
	s_cbranch_vccz .LBB77_1896
; %bb.1895:
	s_cmp_lg_u32 s17, 11
	s_mov_b64 s[2:3], -1
	s_cselect_b64 s[0:1], -1, 0
.LBB77_1896:
	s_and_b64 vcc, exec, s[0:1]
	s_cbranch_vccnz .LBB77_2190
; %bb.1897:
	s_andn2_b64 vcc, exec, s[2:3]
	s_cbranch_vccnz .LBB77_1899
.LBB77_1898:
	v_and_b32_e32 v5, 0x7fff, v1
	v_cmp_ne_u16_e32 vcc, 0, v5
	v_cndmask_b32_e64 v5, 0, 1, vcc
	s_mov_b64 s[4:5], -1
	global_store_byte v[3:4], v5, off
.LBB77_1899:
	s_mov_b64 s[0:1], 0
	s_branch .LBB77_1901
.LBB77_1900:
	s_mov_b64 s[0:1], -1
	s_mov_b64 s[4:5], 0
.LBB77_1901:
	s_and_b64 vcc, exec, s[0:1]
	s_cbranch_vccz .LBB77_1940
; %bb.1902:
	s_and_b32 s2, 0xffff, s16
	s_cmp_lt_i32 s2, 5
	s_mov_b64 s[0:1], -1
	s_cbranch_scc1 .LBB77_1923
; %bb.1903:
	s_cmp_lt_i32 s2, 8
	s_cbranch_scc1 .LBB77_1913
; %bb.1904:
	s_cmp_lt_i32 s2, 9
	s_cbranch_scc1 .LBB77_1910
; %bb.1905:
	s_cmp_gt_i32 s2, 9
	s_cbranch_scc0 .LBB77_1907
; %bb.1906:
	v_lshlrev_b32_e32 v5, 16, v1
	v_cvt_f64_f32_e32 v[16:17], v5
	v_mov_b32_e32 v18, 0
	v_mov_b32_e32 v19, v18
	s_mov_b64 s[0:1], 0
	global_store_dwordx4 v[3:4], v[16:19], off
.LBB77_1907:
	s_andn2_b64 vcc, exec, s[0:1]
	s_cbranch_vccnz .LBB77_1909
; %bb.1908:
	v_lshlrev_b32_e32 v5, 16, v1
	v_mov_b32_e32 v6, 0
	global_store_dwordx2 v[3:4], v[5:6], off
.LBB77_1909:
	s_mov_b64 s[0:1], 0
.LBB77_1910:
	s_andn2_b64 vcc, exec, s[0:1]
	s_cbranch_vccnz .LBB77_1912
; %bb.1911:
	v_lshlrev_b32_e32 v5, 16, v1
	v_cvt_f16_f32_e32 v5, v5
	global_store_dword v[3:4], v5, off
.LBB77_1912:
	s_mov_b64 s[0:1], 0
.LBB77_1913:
	s_andn2_b64 vcc, exec, s[0:1]
	s_cbranch_vccnz .LBB77_1922
; %bb.1914:
	s_cmp_lt_i32 s2, 6
	s_mov_b64 s[0:1], -1
	s_cbranch_scc1 .LBB77_1920
; %bb.1915:
	s_cmp_gt_i32 s2, 6
	s_cbranch_scc0 .LBB77_1917
; %bb.1916:
	v_lshlrev_b32_e32 v5, 16, v1
	v_cvt_f64_f32_e32 v[5:6], v5
	s_mov_b64 s[0:1], 0
	global_store_dwordx2 v[3:4], v[5:6], off
.LBB77_1917:
	s_andn2_b64 vcc, exec, s[0:1]
	s_cbranch_vccnz .LBB77_1919
; %bb.1918:
	v_lshlrev_b32_e32 v5, 16, v1
	global_store_dword v[3:4], v5, off
.LBB77_1919:
	s_mov_b64 s[0:1], 0
.LBB77_1920:
	s_andn2_b64 vcc, exec, s[0:1]
	s_cbranch_vccnz .LBB77_1922
; %bb.1921:
	v_lshlrev_b32_e32 v5, 16, v1
	v_cvt_f16_f32_e32 v5, v5
	global_store_short v[3:4], v5, off
.LBB77_1922:
	s_mov_b64 s[0:1], 0
.LBB77_1923:
	s_andn2_b64 vcc, exec, s[0:1]
	s_cbranch_vccnz .LBB77_1939
; %bb.1924:
	s_cmp_lt_i32 s2, 2
	s_mov_b64 s[0:1], -1
	s_cbranch_scc1 .LBB77_1934
; %bb.1925:
	s_cmp_lt_i32 s2, 3
	s_cbranch_scc1 .LBB77_1931
; %bb.1926:
	s_cmp_gt_i32 s2, 3
	s_cbranch_scc0 .LBB77_1928
; %bb.1927:
	v_lshlrev_b32_e32 v5, 16, v1
	v_trunc_f32_e32 v5, v5
	s_mov_b32 s0, 0x2f800000
	v_mul_f32_e64 v6, |v5|, s0
	v_floor_f32_e32 v6, v6
	s_mov_b32 s0, 0xcf800000
	v_cvt_u32_f32_e32 v10, v6
	v_fma_f32 v6, v6, s0, |v5|
	v_cvt_u32_f32_e32 v6, v6
	v_ashrrev_i32_e32 v11, 31, v5
	v_xor_b32_e32 v10, v10, v11
	s_mov_b64 s[0:1], 0
	v_xor_b32_e32 v5, v6, v11
	v_sub_co_u32_e32 v5, vcc, v5, v11
	v_subb_co_u32_e32 v6, vcc, v10, v11, vcc
	global_store_dwordx2 v[3:4], v[5:6], off
.LBB77_1928:
	s_andn2_b64 vcc, exec, s[0:1]
	s_cbranch_vccnz .LBB77_1930
; %bb.1929:
	v_lshlrev_b32_e32 v5, 16, v1
	v_cvt_i32_f32_e32 v5, v5
	global_store_dword v[3:4], v5, off
.LBB77_1930:
	s_mov_b64 s[0:1], 0
.LBB77_1931:
	s_andn2_b64 vcc, exec, s[0:1]
	s_cbranch_vccnz .LBB77_1933
; %bb.1932:
	v_lshlrev_b32_e32 v5, 16, v1
	v_cvt_i32_f32_e32 v5, v5
	global_store_short v[3:4], v5, off
.LBB77_1933:
	s_mov_b64 s[0:1], 0
.LBB77_1934:
	s_andn2_b64 vcc, exec, s[0:1]
	s_cbranch_vccnz .LBB77_1939
; %bb.1935:
	s_mov_b64 s[0:1], -1
	s_cmp_gt_i32 s2, 0
	v_lshlrev_b32_e32 v1, 16, v1
	s_cbranch_scc0 .LBB77_1937
; %bb.1936:
	v_cvt_i32_f32_e32 v5, v1
	s_mov_b64 s[0:1], 0
	global_store_byte v[3:4], v5, off
.LBB77_1937:
	s_andn2_b64 vcc, exec, s[0:1]
	s_cbranch_vccnz .LBB77_1939
; %bb.1938:
	v_trunc_f32_e32 v1, v1
	s_mov_b32 s0, 0x2f800000
	v_mul_f32_e64 v5, |v1|, s0
	v_floor_f32_e32 v5, v5
	s_mov_b32 s0, 0xcf800000
	v_fma_f32 v5, v5, s0, |v1|
	v_cvt_u32_f32_e32 v5, v5
	v_ashrrev_i32_e32 v1, 31, v1
	v_xor_b32_e32 v5, v5, v1
	v_sub_u32_e32 v1, v5, v1
	global_store_byte v[3:4], v1, off
.LBB77_1939:
	s_mov_b64 s[4:5], -1
.LBB77_1940:
	s_andn2_b64 vcc, exec, s[4:5]
	s_cbranch_vccnz .LBB77_2136
; %bb.1941:
	v_mul_f32_e32 v1, v9, v9
	v_div_scale_f32 v5, s[0:1], v1, v1, 1.0
	v_add_f32_e32 v4, 1.0, v9
	v_mul_f32_e32 v3, v4, v4
	v_div_scale_f32 v9, s[0:1], v3, v3, 1.0
	v_div_scale_f32 v6, vcc, 1.0, v1, 1.0
	v_add_f32_e32 v10, 1.0, v4
	v_div_scale_f32 v11, s[0:1], 1.0, v3, 1.0
	v_mul_f32_e32 v4, v10, v10
	v_div_scale_f32 v12, s[2:3], v4, v4, 1.0
	v_div_scale_f32 v18, s[2:3], 1.0, v4, 1.0
	v_rcp_f32_e32 v16, v5
	v_add_f32_e32 v10, 1.0, v10
	s_cmp_lt_i32 s16, 11
	v_rcp_f32_e32 v17, v9
	v_fma_f32 v19, -v5, v16, 1.0
	v_fmac_f32_e32 v16, v19, v16
	v_mul_f32_e32 v20, v6, v16
	v_fma_f32 v21, -v5, v20, v6
	v_fma_f32 v19, -v9, v17, 1.0
	v_fmac_f32_e32 v20, v21, v16
	v_fma_f32 v5, -v5, v20, v6
	v_fmac_f32_e32 v17, v19, v17
	v_div_fmas_f32 v5, v5, v16, v20
	v_mul_f32_e32 v16, v11, v17
	v_fma_f32 v6, -v9, v16, v11
	v_rcp_f32_e32 v19, v12
	v_fmac_f32_e32 v16, v6, v17
	v_mul_f32_e32 v6, v10, v10
	v_div_scale_f32 v20, s[4:5], v6, v6, 1.0
	v_fma_f32 v9, -v9, v16, v11
	v_fma_f32 v11, -v12, v19, 1.0
	v_fmac_f32_e32 v19, v11, v19
	s_mov_b64 vcc, s[0:1]
	v_mul_f32_e32 v11, v18, v19
	v_div_fmas_f32 v9, v9, v17, v16
	v_fma_f32 v16, -v12, v11, v18
	v_fmac_f32_e32 v11, v16, v19
	v_div_scale_f32 v16, s[0:1], 1.0, v6, 1.0
	v_add_f32_e32 v17, 1.0, v10
	v_mul_f32_e32 v10, v17, v17
	v_div_scale_f32 v21, s[4:5], v10, v10, 1.0
	v_fma_f32 v12, -v12, v11, v18
	s_mov_b64 vcc, s[2:3]
	v_div_fmas_f32 v11, v12, v19, v11
	v_div_scale_f32 v12, s[2:3], 1.0, v10, 1.0
	v_rcp_f32_e32 v18, v20
	v_add_f32_e32 v17, 1.0, v17
	v_mul_f32_e32 v22, v17, v17
	v_div_scale_f32 v23, s[4:5], v22, v22, 1.0
	v_fma_f32 v19, -v20, v18, 1.0
	v_fmac_f32_e32 v18, v19, v18
	v_mul_f32_e32 v19, v16, v18
	v_fma_f32 v24, -v20, v19, v16
	v_fmac_f32_e32 v19, v24, v18
	v_rcp_f32_e32 v24, v21
	v_fma_f32 v16, -v20, v19, v16
	s_mov_b64 vcc, s[0:1]
	v_div_fmas_f32 v16, v16, v18, v19
	v_fma_f32 v18, -v21, v24, 1.0
	v_fmac_f32_e32 v24, v18, v24
	v_mul_f32_e32 v18, v12, v24
	v_fma_f32 v19, -v21, v18, v12
	v_fmac_f32_e32 v18, v19, v24
	v_div_scale_f32 v19, s[0:1], 1.0, v22, 1.0
	v_add_f32_e32 v17, 1.0, v17
	v_mul_f32_e32 v25, v17, v17
	v_div_scale_f32 v26, s[4:5], v25, v25, 1.0
	v_rcp_f32_e32 v20, v23
	v_fma_f32 v12, -v21, v18, v12
	s_mov_b64 vcc, s[2:3]
	v_div_scale_f32 v21, s[2:3], 1.0, v25, 1.0
	v_div_fmas_f32 v12, v12, v24, v18
	v_add_f32_e32 v24, v17, v17
	v_div_scale_f32 v27, s[4:5], v24, v24, 1.0
	v_fma_f32 v18, -v23, v20, 1.0
	v_fmac_f32_e32 v20, v18, v20
	v_mul_f32_e32 v18, v19, v20
	v_fma_f32 v28, -v23, v18, v19
	v_fmac_f32_e32 v18, v28, v20
	v_div_scale_f32 v28, s[4:5], 1.0, v24, 1.0
	v_rcp_f32_e32 v29, v26
	v_fma_f32 v19, -v23, v18, v19
	s_mov_b64 vcc, s[0:1]
	v_div_fmas_f32 v18, v19, v20, v18
	v_fma_f32 v19, -v26, v29, 1.0
	v_fmac_f32_e32 v29, v19, v29
	v_mul_f32_e32 v19, v21, v29
	v_fma_f32 v20, -v26, v19, v21
	v_fmac_f32_e32 v19, v20, v29
	v_rcp_f32_e32 v20, v27
	v_fma_f32 v21, -v26, v19, v21
	s_mov_b64 vcc, s[2:3]
	v_div_fmas_f32 v19, v21, v29, v19
	v_fma_f32 v21, -v27, v20, 1.0
	v_fmac_f32_e32 v20, v21, v20
	v_mul_f32_e32 v21, v28, v20
	v_fma_f32 v23, -v27, v21, v28
	v_fmac_f32_e32 v21, v23, v20
	v_fma_f32 v23, -v27, v21, v28
	s_mov_b64 vcc, s[4:5]
	v_div_fmas_f32 v20, v23, v20, v21
	v_mov_b32_e32 v21, 0x3d088889
	s_mov_b32 s0, 0x3e2aaaab
	v_div_fixup_f32 v1, v5, v1, 1.0
	v_add_f32_e32 v1, v14, v1
	v_div_fixup_f32 v3, v9, v3, 1.0
	v_add_f32_e32 v1, v1, v3
	v_div_fixup_f32 v3, v11, v4, 1.0
	v_div_fixup_f32 v19, v19, v25, 1.0
	v_fmac_f32_e32 v21, 0xbcc30c31, v19
	v_fma_f32 v21, -v19, v21, s0
	v_add_f32_e32 v1, v1, v3
	v_div_fixup_f32 v3, v16, v6, 1.0
	v_add_f32_e32 v1, v1, v3
	v_div_fixup_f32 v3, v12, v10, 1.0
	;; [unrolled: 2-line block ×3, first 2 shown]
	v_add_f32_e32 v20, 1.0, v20
	v_fmac_f32_e32 v20, v19, v21
	v_div_scale_f32 v19, s[0:1], v17, v17, v20
	v_div_scale_f32 v21, vcc, v20, v17, v20
	v_div_fixup_f32 v3, v18, v22, 1.0
	v_add_f32_e32 v1, v1, v3
	s_movk_i32 s0, 0x7fff
	v_mov_b32_e32 v4, s9
	v_rcp_f32_e32 v23, v19
	v_fma_f32 v24, -v19, v23, 1.0
	v_fmac_f32_e32 v23, v24, v23
	v_mul_f32_e32 v24, v21, v23
	v_fma_f32 v25, -v19, v24, v21
	v_fmac_f32_e32 v24, v25, v23
	v_fma_f32 v19, -v19, v24, v21
	v_div_fmas_f32 v19, v19, v23, v24
	v_div_fixup_f32 v3, v19, v17, v20
	v_add_f32_e32 v1, v1, v3
	v_mul_f32_e32 v1, v13, v1
	v_bfe_u32 v3, v1, 16, 1
	v_add3_u32 v3, v1, v3, s0
	v_cmp_o_f32_e32 vcc, v1, v1
	v_mov_b32_e32 v1, 0x7fc0
	v_cndmask_b32_sdwa v3, v1, v3, vcc dst_sel:DWORD dst_unused:UNUSED_PAD src0_sel:DWORD src1_sel:WORD_1
	v_add_co_u32_e32 v1, vcc, s8, v2
	v_addc_co_u32_e32 v2, vcc, 0, v4, vcc
	s_cbranch_scc1 .LBB77_2019
; %bb.1942:
	s_and_b32 s17, 0xffff, s16
	s_mov_b64 s[10:11], -1
	s_mov_b64 s[2:3], 0
	s_cmp_gt_i32 s17, 25
	s_mov_b64 s[4:5], 0
	s_mov_b64 s[0:1], 0
	s_cbranch_scc0 .LBB77_1975
; %bb.1943:
	s_cmp_gt_i32 s17, 28
	s_cbranch_scc0 .LBB77_1958
; %bb.1944:
	s_cmp_gt_i32 s17, 43
	;; [unrolled: 3-line block ×3, first 2 shown]
	s_cbranch_scc0 .LBB77_1948
; %bb.1946:
	s_mov_b64 s[0:1], -1
	s_mov_b64 s[10:11], 0
	s_cmp_eq_u32 s17, 46
	s_cbranch_scc0 .LBB77_1948
; %bb.1947:
	v_and_b32_e32 v4, 0xffff, v3
	global_store_dword v[1:2], v4, off
	s_mov_b64 s[0:1], 0
	s_mov_b64 s[4:5], -1
.LBB77_1948:
	s_and_b64 vcc, exec, s[10:11]
	s_cbranch_vccz .LBB77_1953
; %bb.1949:
	s_cmp_eq_u32 s17, 44
	s_mov_b64 s[0:1], -1
	s_cbranch_scc0 .LBB77_1953
; %bb.1950:
	v_and_b32_e32 v5, 0xffff, v3
	v_bfe_u32 v4, v5, 7, 8
	s_movk_i32 s0, 0xff
	v_cmp_ne_u32_e32 vcc, s0, v4
	v_mov_b32_e32 v6, 0xff
	s_and_saveexec_b64 s[4:5], vcc
	s_cbranch_execz .LBB77_1952
; %bb.1951:
	v_lshlrev_b32_e32 v9, 16, v5
	s_mov_b32 s0, 0x3f0000
	v_lshrrev_b32_e32 v6, 7, v5
	v_and_b32_e32 v5, 64, v5
	v_and_or_b32 v4, v9, s0, v4
	v_cmp_ne_u32_e32 vcc, 0, v5
	v_cmp_ne_u32_e64 s[0:1], 0, v4
	s_and_b64 s[0:1], vcc, s[0:1]
	v_cndmask_b32_e64 v4, 0, 1, s[0:1]
	v_add_u32_e32 v6, v6, v4
.LBB77_1952:
	s_or_b64 exec, exec, s[4:5]
	s_mov_b64 s[0:1], 0
	s_mov_b64 s[4:5], -1
	global_store_byte v[1:2], v6, off
.LBB77_1953:
	s_mov_b64 s[10:11], 0
.LBB77_1954:
	s_and_b64 vcc, exec, s[10:11]
	s_cbranch_vccz .LBB77_1957
; %bb.1955:
	s_cmp_eq_u32 s17, 29
	s_mov_b64 s[0:1], -1
	s_cbranch_scc0 .LBB77_1957
; %bb.1956:
	v_lshlrev_b32_e32 v4, 16, v3
	v_trunc_f32_e32 v4, v4
	v_mul_f32_e32 v5, 0x2f800000, v4
	v_floor_f32_e32 v6, v5
	v_fmac_f32_e32 v4, 0xcf800000, v6
	v_cvt_u32_f32_e32 v5, v6
	v_cvt_u32_f32_e32 v4, v4
	s_mov_b64 s[0:1], 0
	s_mov_b64 s[4:5], -1
	global_store_dwordx2 v[1:2], v[4:5], off
.LBB77_1957:
	s_mov_b64 s[10:11], 0
.LBB77_1958:
	s_and_b64 vcc, exec, s[10:11]
	s_cbranch_vccz .LBB77_1974
; %bb.1959:
	s_cmp_lt_i32 s17, 27
	s_mov_b64 s[4:5], -1
	s_cbranch_scc1 .LBB77_1965
; %bb.1960:
	s_cmp_gt_i32 s17, 27
	s_cbranch_scc0 .LBB77_1962
; %bb.1961:
	v_lshlrev_b32_e32 v4, 16, v3
	v_cvt_u32_f32_e32 v4, v4
	s_mov_b64 s[4:5], 0
	global_store_dword v[1:2], v4, off
.LBB77_1962:
	s_andn2_b64 vcc, exec, s[4:5]
	s_cbranch_vccnz .LBB77_1964
; %bb.1963:
	v_lshlrev_b32_e32 v4, 16, v3
	v_cvt_u32_f32_e32 v4, v4
	global_store_short v[1:2], v4, off
.LBB77_1964:
	s_mov_b64 s[4:5], 0
.LBB77_1965:
	s_andn2_b64 vcc, exec, s[4:5]
	s_cbranch_vccnz .LBB77_1973
; %bb.1966:
	v_lshlrev_b32_e32 v6, 16, v3
	v_and_b32_e32 v5, 0x7fffffff, v6
	s_mov_b32 s4, 0x43800000
	v_cmp_gt_u32_e32 vcc, s4, v5
	v_mov_b32_e32 v9, 0x80
	s_and_saveexec_b64 s[4:5], vcc
	s_cbranch_execz .LBB77_1972
; %bb.1967:
	s_mov_b32 s10, 0x3bffffff
	v_and_b32_e32 v4, 0xffff, v3
	v_cmp_lt_u32_e32 vcc, s10, v5
	s_mov_b64 s[10:11], 0
                                        ; implicit-def: $vgpr5
	s_and_saveexec_b64 s[14:15], vcc
	s_xor_b64 s[14:15], exec, s[14:15]
	s_cbranch_execz .LBB77_2193
; %bb.1968:
	v_bfe_u32 v5, v4, 4, 1
	s_mov_b32 s18, 0x487ffff
	v_add3_u32 v5, v6, v5, s18
	s_mov_b64 s[10:11], exec
	v_lshrrev_b32_e32 v5, 20, v5
                                        ; implicit-def: $vgpr6
	s_andn2_saveexec_b64 s[14:15], s[14:15]
	s_cbranch_execnz .LBB77_2194
.LBB77_1969:
	s_or_b64 exec, exec, s[14:15]
	v_mov_b32_e32 v9, 0
	s_and_saveexec_b64 s[14:15], s[10:11]
.LBB77_1970:
	v_lshrrev_b32_e32 v4, 8, v4
	s_movk_i32 s10, 0x80
	v_and_or_b32 v9, v4, s10, v5
.LBB77_1971:
	s_or_b64 exec, exec, s[14:15]
.LBB77_1972:
	s_or_b64 exec, exec, s[4:5]
	global_store_byte v[1:2], v9, off
.LBB77_1973:
	s_mov_b64 s[4:5], -1
.LBB77_1974:
	s_mov_b64 s[10:11], 0
.LBB77_1975:
	s_and_b64 vcc, exec, s[10:11]
	s_cbranch_vccz .LBB77_2015
; %bb.1976:
	s_cmp_gt_i32 s17, 22
	s_mov_b64 s[2:3], -1
	s_cbranch_scc0 .LBB77_2008
; %bb.1977:
	s_cmp_lt_i32 s17, 24
	s_cbranch_scc1 .LBB77_1997
; %bb.1978:
	s_cmp_gt_i32 s17, 24
	s_cbranch_scc0 .LBB77_1986
; %bb.1979:
	v_lshlrev_b32_e32 v6, 16, v3
	v_and_b32_e32 v5, 0x7fffffff, v6
	s_mov_b32 s2, 0x47800000
	v_cmp_gt_u32_e32 vcc, s2, v5
	v_mov_b32_e32 v9, 0x80
	s_and_saveexec_b64 s[2:3], vcc
	s_cbranch_execz .LBB77_1985
; %bb.1980:
	s_mov_b32 s4, 0x37ffffff
	v_and_b32_e32 v4, 0xffff, v3
	v_cmp_lt_u32_e32 vcc, s4, v5
	s_mov_b64 s[4:5], 0
                                        ; implicit-def: $vgpr5
	s_and_saveexec_b64 s[10:11], vcc
	s_xor_b64 s[10:11], exec, s[10:11]
	s_cbranch_execz .LBB77_2196
; %bb.1981:
	v_bfe_u32 v5, v4, 5, 1
	s_mov_b32 s14, 0x88fffff
	v_add3_u32 v5, v6, v5, s14
	s_mov_b64 s[4:5], exec
	v_lshrrev_b32_e32 v5, 21, v5
                                        ; implicit-def: $vgpr6
	s_andn2_saveexec_b64 s[10:11], s[10:11]
	s_cbranch_execnz .LBB77_2197
.LBB77_1982:
	s_or_b64 exec, exec, s[10:11]
	v_mov_b32_e32 v9, 0
	s_and_saveexec_b64 s[10:11], s[4:5]
.LBB77_1983:
	v_lshrrev_b32_e32 v4, 8, v4
	s_movk_i32 s4, 0x80
	v_and_or_b32 v9, v4, s4, v5
.LBB77_1984:
	s_or_b64 exec, exec, s[10:11]
.LBB77_1985:
	s_or_b64 exec, exec, s[2:3]
	s_mov_b64 s[2:3], 0
	global_store_byte v[1:2], v9, off
.LBB77_1986:
	s_and_b64 vcc, exec, s[2:3]
	s_cbranch_vccz .LBB77_1996
; %bb.1987:
	v_lshlrev_b32_e32 v6, 16, v3
	v_and_b32_e32 v9, 0x7fffffff, v6
	s_mov_b32 s2, 0x43f00000
	v_and_b32_e32 v4, 0xffff, v3
	v_cmp_gt_u32_e32 vcc, s2, v9
                                        ; implicit-def: $vgpr5
	s_and_saveexec_b64 s[2:3], vcc
	s_xor_b64 s[2:3], exec, s[2:3]
	s_cbranch_execz .LBB77_1993
; %bb.1988:
	s_mov_b32 s4, 0x3c7fffff
	v_cmp_lt_u32_e32 vcc, s4, v9
                                        ; implicit-def: $vgpr5
	s_and_saveexec_b64 s[4:5], vcc
	s_xor_b64 s[4:5], exec, s[4:5]
; %bb.1989:
	v_bfe_u32 v5, v4, 4, 1
	s_mov_b32 s10, 0x407ffff
	v_add3_u32 v5, v6, v5, s10
	v_lshrrev_b32_e32 v6, 20, v5
	v_and_b32_e32 v5, 0xff00000, v5
	s_mov_b32 s10, 0x7f00000
	v_mov_b32_e32 v9, 0x7e
	v_cmp_ne_u32_e32 vcc, s10, v5
	v_cndmask_b32_e32 v5, v9, v6, vcc
                                        ; implicit-def: $vgpr6
; %bb.1990:
	s_andn2_saveexec_b64 s[4:5], s[4:5]
; %bb.1991:
	s_mov_b32 s10, 0x46800000
	v_add_f32_e64 v5, |v6|, s10
; %bb.1992:
	s_or_b64 exec, exec, s[4:5]
                                        ; implicit-def: $vgpr9
.LBB77_1993:
	s_andn2_saveexec_b64 s[2:3], s[2:3]
; %bb.1994:
	s_mov_b32 s4, 0x7f800000
	v_mov_b32_e32 v5, 0x7e
	v_mov_b32_e32 v6, 0x7f
	v_cmp_lt_u32_e32 vcc, s4, v9
	v_cndmask_b32_e32 v5, v5, v6, vcc
; %bb.1995:
	s_or_b64 exec, exec, s[2:3]
	v_lshrrev_b32_e32 v4, 8, v4
	s_movk_i32 s2, 0x80
	v_and_or_b32 v4, v4, s2, v5
	global_store_byte v[1:2], v4, off
.LBB77_1996:
	s_mov_b64 s[2:3], 0
.LBB77_1997:
	s_andn2_b64 vcc, exec, s[2:3]
	s_cbranch_vccnz .LBB77_2007
; %bb.1998:
	v_lshlrev_b32_e32 v6, 16, v3
	v_and_b32_e32 v9, 0x7fffffff, v6
	s_mov_b32 s2, 0x47800000
	v_and_b32_e32 v4, 0xffff, v3
	v_cmp_gt_u32_e32 vcc, s2, v9
                                        ; implicit-def: $vgpr5
	s_and_saveexec_b64 s[2:3], vcc
	s_xor_b64 s[2:3], exec, s[2:3]
	s_cbranch_execz .LBB77_2004
; %bb.1999:
	s_mov_b32 s4, 0x387fffff
	v_cmp_lt_u32_e32 vcc, s4, v9
                                        ; implicit-def: $vgpr5
	s_and_saveexec_b64 s[4:5], vcc
	s_xor_b64 s[4:5], exec, s[4:5]
; %bb.2000:
	v_bfe_u32 v5, v4, 5, 1
	s_mov_b32 s10, 0x80fffff
	v_add3_u32 v5, v6, v5, s10
	v_lshrrev_b32_e32 v5, 21, v5
                                        ; implicit-def: $vgpr6
; %bb.2001:
	s_andn2_saveexec_b64 s[4:5], s[4:5]
; %bb.2002:
	s_mov_b32 s10, 0x43000000
	v_add_f32_e64 v5, |v6|, s10
; %bb.2003:
	s_or_b64 exec, exec, s[4:5]
                                        ; implicit-def: $vgpr9
.LBB77_2004:
	s_andn2_saveexec_b64 s[2:3], s[2:3]
; %bb.2005:
	s_mov_b32 s4, 0x7f800000
	v_mov_b32_e32 v5, 0x7c
	v_mov_b32_e32 v6, 0x7f
	v_cmp_lt_u32_e32 vcc, s4, v9
	v_cndmask_b32_e32 v5, v5, v6, vcc
; %bb.2006:
	s_or_b64 exec, exec, s[2:3]
	v_lshrrev_b32_e32 v4, 8, v4
	s_movk_i32 s2, 0x80
	v_and_or_b32 v4, v4, s2, v5
	global_store_byte v[1:2], v4, off
.LBB77_2007:
	s_mov_b64 s[2:3], 0
	s_mov_b64 s[4:5], -1
.LBB77_2008:
	s_andn2_b64 vcc, exec, s[2:3]
	s_mov_b64 s[2:3], 0
	s_cbranch_vccnz .LBB77_2015
; %bb.2009:
	s_cmp_gt_i32 s17, 14
	s_mov_b64 s[10:11], -1
	s_cbranch_scc0 .LBB77_2013
; %bb.2010:
	s_cmp_eq_u32 s17, 15
	s_mov_b64 s[0:1], -1
	s_cbranch_scc0 .LBB77_2012
; %bb.2011:
	global_store_short v[1:2], v3, off
	s_mov_b64 s[0:1], 0
	s_mov_b64 s[4:5], -1
.LBB77_2012:
	s_mov_b64 s[10:11], 0
.LBB77_2013:
	s_and_b64 vcc, exec, s[10:11]
	s_cbranch_vccz .LBB77_2015
; %bb.2014:
	s_cmp_lg_u32 s17, 11
	s_mov_b64 s[2:3], -1
	s_cselect_b64 s[0:1], -1, 0
.LBB77_2015:
	s_and_b64 vcc, exec, s[0:1]
	s_cbranch_vccnz .LBB77_2195
; %bb.2016:
	s_andn2_b64 vcc, exec, s[2:3]
	s_cbranch_vccnz .LBB77_2018
.LBB77_2017:
	v_and_b32_e32 v4, 0x7fff, v3
	v_cmp_ne_u16_e32 vcc, 0, v4
	v_cndmask_b32_e64 v4, 0, 1, vcc
	s_mov_b64 s[4:5], -1
	global_store_byte v[1:2], v4, off
.LBB77_2018:
	s_mov_b64 s[0:1], 0
	s_branch .LBB77_2020
.LBB77_2019:
	s_mov_b64 s[0:1], -1
	s_mov_b64 s[4:5], 0
.LBB77_2020:
	s_and_b64 vcc, exec, s[0:1]
	s_cbranch_vccz .LBB77_2059
; %bb.2021:
	s_and_b32 s2, 0xffff, s16
	s_cmp_lt_i32 s2, 5
	s_mov_b64 s[0:1], -1
	s_cbranch_scc1 .LBB77_2042
; %bb.2022:
	s_cmp_lt_i32 s2, 8
	s_cbranch_scc1 .LBB77_2032
; %bb.2023:
	s_cmp_lt_i32 s2, 9
	s_cbranch_scc1 .LBB77_2029
; %bb.2024:
	s_cmp_gt_i32 s2, 9
	s_cbranch_scc0 .LBB77_2026
; %bb.2025:
	v_lshlrev_b32_e32 v4, 16, v3
	v_cvt_f64_f32_e32 v[9:10], v4
	v_mov_b32_e32 v11, 0
	v_mov_b32_e32 v12, v11
	s_mov_b64 s[0:1], 0
	global_store_dwordx4 v[1:2], v[9:12], off
.LBB77_2026:
	s_andn2_b64 vcc, exec, s[0:1]
	s_cbranch_vccnz .LBB77_2028
; %bb.2027:
	v_lshlrev_b32_e32 v4, 16, v3
	v_mov_b32_e32 v5, 0
	global_store_dwordx2 v[1:2], v[4:5], off
.LBB77_2028:
	s_mov_b64 s[0:1], 0
.LBB77_2029:
	s_andn2_b64 vcc, exec, s[0:1]
	s_cbranch_vccnz .LBB77_2031
; %bb.2030:
	v_lshlrev_b32_e32 v4, 16, v3
	v_cvt_f16_f32_e32 v4, v4
	global_store_dword v[1:2], v4, off
.LBB77_2031:
	s_mov_b64 s[0:1], 0
.LBB77_2032:
	s_andn2_b64 vcc, exec, s[0:1]
	s_cbranch_vccnz .LBB77_2041
; %bb.2033:
	s_cmp_lt_i32 s2, 6
	s_mov_b64 s[0:1], -1
	s_cbranch_scc1 .LBB77_2039
; %bb.2034:
	s_cmp_gt_i32 s2, 6
	s_cbranch_scc0 .LBB77_2036
; %bb.2035:
	v_lshlrev_b32_e32 v4, 16, v3
	v_cvt_f64_f32_e32 v[4:5], v4
	s_mov_b64 s[0:1], 0
	global_store_dwordx2 v[1:2], v[4:5], off
.LBB77_2036:
	s_andn2_b64 vcc, exec, s[0:1]
	s_cbranch_vccnz .LBB77_2038
; %bb.2037:
	v_lshlrev_b32_e32 v4, 16, v3
	global_store_dword v[1:2], v4, off
.LBB77_2038:
	s_mov_b64 s[0:1], 0
.LBB77_2039:
	s_andn2_b64 vcc, exec, s[0:1]
	s_cbranch_vccnz .LBB77_2041
; %bb.2040:
	v_lshlrev_b32_e32 v4, 16, v3
	v_cvt_f16_f32_e32 v4, v4
	global_store_short v[1:2], v4, off
.LBB77_2041:
	s_mov_b64 s[0:1], 0
.LBB77_2042:
	s_andn2_b64 vcc, exec, s[0:1]
	s_cbranch_vccnz .LBB77_2058
; %bb.2043:
	s_cmp_lt_i32 s2, 2
	s_mov_b64 s[0:1], -1
	s_cbranch_scc1 .LBB77_2053
; %bb.2044:
	s_cmp_lt_i32 s2, 3
	s_cbranch_scc1 .LBB77_2050
; %bb.2045:
	s_cmp_gt_i32 s2, 3
	s_cbranch_scc0 .LBB77_2047
; %bb.2046:
	v_lshlrev_b32_e32 v4, 16, v3
	v_trunc_f32_e32 v4, v4
	s_mov_b32 s0, 0x2f800000
	v_mul_f32_e64 v5, |v4|, s0
	v_floor_f32_e32 v5, v5
	s_mov_b32 s0, 0xcf800000
	v_cvt_u32_f32_e32 v6, v5
	v_fma_f32 v5, v5, s0, |v4|
	v_cvt_u32_f32_e32 v5, v5
	v_ashrrev_i32_e32 v9, 31, v4
	v_xor_b32_e32 v6, v6, v9
	s_mov_b64 s[0:1], 0
	v_xor_b32_e32 v4, v5, v9
	v_sub_co_u32_e32 v4, vcc, v4, v9
	v_subb_co_u32_e32 v5, vcc, v6, v9, vcc
	global_store_dwordx2 v[1:2], v[4:5], off
.LBB77_2047:
	s_andn2_b64 vcc, exec, s[0:1]
	s_cbranch_vccnz .LBB77_2049
; %bb.2048:
	v_lshlrev_b32_e32 v4, 16, v3
	v_cvt_i32_f32_e32 v4, v4
	global_store_dword v[1:2], v4, off
.LBB77_2049:
	s_mov_b64 s[0:1], 0
.LBB77_2050:
	s_andn2_b64 vcc, exec, s[0:1]
	s_cbranch_vccnz .LBB77_2052
; %bb.2051:
	v_lshlrev_b32_e32 v4, 16, v3
	v_cvt_i32_f32_e32 v4, v4
	global_store_short v[1:2], v4, off
.LBB77_2052:
	s_mov_b64 s[0:1], 0
.LBB77_2053:
	s_andn2_b64 vcc, exec, s[0:1]
	s_cbranch_vccnz .LBB77_2058
; %bb.2054:
	s_cmp_gt_i32 s2, 0
	s_mov_b64 s[0:1], -1
	s_cbranch_scc0 .LBB77_2056
; %bb.2055:
	v_lshlrev_b32_e32 v4, 16, v3
	v_cvt_i32_f32_e32 v4, v4
	s_mov_b64 s[0:1], 0
	global_store_byte v[1:2], v4, off
.LBB77_2056:
	s_andn2_b64 vcc, exec, s[0:1]
	s_cbranch_vccnz .LBB77_2058
; %bb.2057:
	v_lshlrev_b32_e32 v3, 16, v3
	v_trunc_f32_e32 v3, v3
	s_mov_b32 s0, 0x2f800000
	v_mul_f32_e64 v4, |v3|, s0
	v_floor_f32_e32 v4, v4
	s_mov_b32 s0, 0xcf800000
	v_fma_f32 v4, v4, s0, |v3|
	v_cvt_u32_f32_e32 v4, v4
	v_ashrrev_i32_e32 v3, 31, v3
	v_xor_b32_e32 v4, v4, v3
	v_sub_u32_e32 v3, v4, v3
	global_store_byte v[1:2], v3, off
.LBB77_2058:
	s_mov_b64 s[4:5], -1
.LBB77_2059:
	s_andn2_b64 vcc, exec, s[4:5]
	s_cbranch_vccnz .LBB77_2136
; %bb.2060:
	v_mul_f32_e32 v1, v7, v7
	v_div_scale_f32 v4, s[0:1], v1, v1, 1.0
	v_add_f32_e32 v3, 1.0, v7
	v_mul_f32_e32 v2, v3, v3
	v_div_scale_f32 v6, s[0:1], v2, v2, 1.0
	v_div_scale_f32 v5, vcc, 1.0, v1, 1.0
	v_add_f32_e32 v7, 1.0, v3
	v_div_scale_f32 v9, s[0:1], 1.0, v2, 1.0
	v_mul_f32_e32 v3, v7, v7
	v_div_scale_f32 v10, s[2:3], v3, v3, 1.0
	v_div_scale_f32 v13, s[2:3], 1.0, v3, 1.0
	v_rcp_f32_e32 v11, v4
	v_add_f32_e32 v7, 1.0, v7
	s_cmp_lt_i32 s16, 11
	v_rcp_f32_e32 v12, v6
	v_fma_f32 v14, -v4, v11, 1.0
	v_fmac_f32_e32 v11, v14, v11
	v_mul_f32_e32 v16, v5, v11
	v_fma_f32 v17, -v4, v16, v5
	v_fma_f32 v14, -v6, v12, 1.0
	v_fmac_f32_e32 v16, v17, v11
	v_fma_f32 v4, -v4, v16, v5
	v_fmac_f32_e32 v12, v14, v12
	v_div_fmas_f32 v4, v4, v11, v16
	v_mul_f32_e32 v11, v9, v12
	v_fma_f32 v5, -v6, v11, v9
	v_rcp_f32_e32 v14, v10
	v_fmac_f32_e32 v11, v5, v12
	v_mul_f32_e32 v5, v7, v7
	v_div_scale_f32 v16, s[4:5], v5, v5, 1.0
	v_fma_f32 v6, -v6, v11, v9
	v_fma_f32 v9, -v10, v14, 1.0
	v_fmac_f32_e32 v14, v9, v14
	s_mov_b64 vcc, s[0:1]
	v_mul_f32_e32 v9, v13, v14
	v_div_fmas_f32 v6, v6, v12, v11
	v_fma_f32 v11, -v10, v9, v13
	v_fmac_f32_e32 v9, v11, v14
	v_div_scale_f32 v11, s[0:1], 1.0, v5, 1.0
	v_add_f32_e32 v12, 1.0, v7
	v_mul_f32_e32 v7, v12, v12
	v_div_scale_f32 v17, s[4:5], v7, v7, 1.0
	v_fma_f32 v10, -v10, v9, v13
	s_mov_b64 vcc, s[2:3]
	v_div_fmas_f32 v9, v10, v14, v9
	v_div_scale_f32 v10, s[2:3], 1.0, v7, 1.0
	v_rcp_f32_e32 v13, v16
	v_add_f32_e32 v12, 1.0, v12
	v_mul_f32_e32 v18, v12, v12
	v_div_scale_f32 v19, s[4:5], v18, v18, 1.0
	v_fma_f32 v14, -v16, v13, 1.0
	v_fmac_f32_e32 v13, v14, v13
	v_mul_f32_e32 v14, v11, v13
	v_fma_f32 v20, -v16, v14, v11
	v_fmac_f32_e32 v14, v20, v13
	v_rcp_f32_e32 v20, v17
	v_fma_f32 v11, -v16, v14, v11
	s_mov_b64 vcc, s[0:1]
	v_div_fmas_f32 v11, v11, v13, v14
	v_fma_f32 v13, -v17, v20, 1.0
	v_fmac_f32_e32 v20, v13, v20
	v_mul_f32_e32 v13, v10, v20
	v_fma_f32 v14, -v17, v13, v10
	v_fmac_f32_e32 v13, v14, v20
	v_div_scale_f32 v14, s[0:1], 1.0, v18, 1.0
	v_add_f32_e32 v12, 1.0, v12
	v_mul_f32_e32 v21, v12, v12
	v_div_scale_f32 v22, s[4:5], v21, v21, 1.0
	v_rcp_f32_e32 v16, v19
	v_fma_f32 v10, -v17, v13, v10
	s_mov_b64 vcc, s[2:3]
	v_div_scale_f32 v17, s[2:3], 1.0, v21, 1.0
	v_div_fmas_f32 v10, v10, v20, v13
	v_add_f32_e32 v20, v12, v12
	v_div_scale_f32 v23, s[4:5], v20, v20, 1.0
	v_fma_f32 v13, -v19, v16, 1.0
	v_fmac_f32_e32 v16, v13, v16
	v_mul_f32_e32 v13, v14, v16
	v_fma_f32 v24, -v19, v13, v14
	v_fmac_f32_e32 v13, v24, v16
	v_div_scale_f32 v24, s[4:5], 1.0, v20, 1.0
	v_rcp_f32_e32 v25, v22
	v_fma_f32 v14, -v19, v13, v14
	s_mov_b64 vcc, s[0:1]
	v_div_fmas_f32 v13, v14, v16, v13
	v_fma_f32 v14, -v22, v25, 1.0
	v_fmac_f32_e32 v25, v14, v25
	v_mul_f32_e32 v14, v17, v25
	v_fma_f32 v16, -v22, v14, v17
	v_fmac_f32_e32 v14, v16, v25
	v_rcp_f32_e32 v16, v23
	v_fma_f32 v17, -v22, v14, v17
	s_mov_b64 vcc, s[2:3]
	v_div_fmas_f32 v14, v17, v25, v14
	v_fma_f32 v17, -v23, v16, 1.0
	v_fmac_f32_e32 v16, v17, v16
	v_mul_f32_e32 v17, v24, v16
	v_fma_f32 v19, -v23, v17, v24
	v_fmac_f32_e32 v17, v19, v16
	v_fma_f32 v19, -v23, v17, v24
	s_mov_b64 vcc, s[4:5]
	v_div_fmas_f32 v16, v19, v16, v17
	v_mov_b32_e32 v17, 0x3d088889
	s_mov_b32 s0, 0x3e2aaaab
	v_div_fixup_f32 v1, v4, v1, 1.0
	v_add_f32_e32 v1, v15, v1
	v_div_fixup_f32 v2, v6, v2, 1.0
	v_add_f32_e32 v1, v1, v2
	v_div_fixup_f32 v2, v9, v3, 1.0
	v_div_fixup_f32 v14, v14, v21, 1.0
	v_fmac_f32_e32 v17, 0xbcc30c31, v14
	v_fma_f32 v17, -v14, v17, s0
	v_add_f32_e32 v1, v1, v2
	v_div_fixup_f32 v2, v11, v5, 1.0
	v_add_f32_e32 v1, v1, v2
	v_div_fixup_f32 v2, v10, v7, 1.0
	;; [unrolled: 2-line block ×3, first 2 shown]
	v_add_f32_e32 v16, 1.0, v16
	v_fmac_f32_e32 v16, v14, v17
	v_div_scale_f32 v14, s[0:1], v12, v12, v16
	v_div_scale_f32 v17, vcc, v16, v12, v16
	v_div_fixup_f32 v2, v13, v18, 1.0
	v_add_f32_e32 v1, v1, v2
	s_movk_i32 s0, 0x7fff
	v_rcp_f32_e32 v19, v14
	v_fma_f32 v20, -v14, v19, 1.0
	v_fmac_f32_e32 v19, v20, v19
	v_mul_f32_e32 v20, v17, v19
	v_fma_f32 v21, -v14, v20, v17
	v_fmac_f32_e32 v20, v21, v19
	v_fma_f32 v14, -v14, v20, v17
	v_div_fmas_f32 v14, v14, v19, v20
	v_div_fixup_f32 v2, v14, v12, v16
	v_add_f32_e32 v1, v1, v2
	v_mul_f32_e32 v1, v8, v1
	v_bfe_u32 v2, v1, 16, 1
	v_add3_u32 v2, v1, v2, s0
	v_cmp_o_f32_e32 vcc, v1, v1
	v_mov_b32_e32 v1, 0x7fc0
	v_cndmask_b32_sdwa v2, v1, v2, vcc dst_sel:DWORD dst_unused:UNUSED_PAD src0_sel:DWORD src1_sel:WORD_1
	v_mov_b32_e32 v1, s9
	v_add_co_u32_e32 v0, vcc, s8, v0
	v_addc_co_u32_e32 v1, vcc, 0, v1, vcc
	s_cbranch_scc1 .LBB77_2181
; %bb.2061:
	s_and_b32 s14, 0xffff, s16
	s_mov_b64 s[4:5], -1
	s_mov_b64 s[2:3], 0
	s_cmp_gt_i32 s14, 25
	s_mov_b64 s[0:1], 0
	s_cbranch_scc0 .LBB77_2094
; %bb.2062:
	s_cmp_gt_i32 s14, 28
	s_cbranch_scc0 .LBB77_2078
; %bb.2063:
	s_cmp_gt_i32 s14, 43
	;; [unrolled: 3-line block ×3, first 2 shown]
	s_cbranch_scc0 .LBB77_2068
; %bb.2065:
	s_cmp_eq_u32 s14, 46
	s_mov_b64 s[0:1], -1
	s_cbranch_scc0 .LBB77_2067
; %bb.2066:
	v_and_b32_e32 v3, 0xffff, v2
	global_store_dword v[0:1], v3, off
	s_mov_b64 s[0:1], 0
.LBB77_2067:
	s_mov_b64 s[4:5], 0
.LBB77_2068:
	s_and_b64 vcc, exec, s[4:5]
	s_cbranch_vccz .LBB77_2073
; %bb.2069:
	s_cmp_eq_u32 s14, 44
	s_mov_b64 s[0:1], -1
	s_cbranch_scc0 .LBB77_2073
; %bb.2070:
	v_and_b32_e32 v4, 0xffff, v2
	v_bfe_u32 v3, v4, 7, 8
	s_movk_i32 s0, 0xff
	v_cmp_ne_u32_e32 vcc, s0, v3
	v_mov_b32_e32 v5, 0xff
	s_and_saveexec_b64 s[4:5], vcc
	s_cbranch_execz .LBB77_2072
; %bb.2071:
	v_lshlrev_b32_e32 v6, 16, v4
	s_mov_b32 s0, 0x3f0000
	v_lshrrev_b32_e32 v5, 7, v4
	v_and_b32_e32 v4, 64, v4
	v_and_or_b32 v3, v6, s0, v3
	v_cmp_ne_u32_e32 vcc, 0, v4
	v_cmp_ne_u32_e64 s[0:1], 0, v3
	s_and_b64 s[0:1], vcc, s[0:1]
	v_cndmask_b32_e64 v3, 0, 1, s[0:1]
	v_add_u32_e32 v5, v5, v3
.LBB77_2072:
	s_or_b64 exec, exec, s[4:5]
	s_mov_b64 s[0:1], 0
	global_store_byte v[0:1], v5, off
.LBB77_2073:
	s_mov_b64 s[4:5], 0
.LBB77_2074:
	s_and_b64 vcc, exec, s[4:5]
	s_cbranch_vccz .LBB77_2077
; %bb.2075:
	s_cmp_eq_u32 s14, 29
	s_mov_b64 s[0:1], -1
	s_cbranch_scc0 .LBB77_2077
; %bb.2076:
	v_lshlrev_b32_e32 v3, 16, v2
	v_trunc_f32_e32 v3, v3
	v_mul_f32_e32 v4, 0x2f800000, v3
	v_floor_f32_e32 v5, v4
	v_fmac_f32_e32 v3, 0xcf800000, v5
	v_cvt_u32_f32_e32 v4, v5
	v_cvt_u32_f32_e32 v3, v3
	s_mov_b64 s[0:1], 0
	global_store_dwordx2 v[0:1], v[3:4], off
.LBB77_2077:
	s_mov_b64 s[4:5], 0
.LBB77_2078:
	s_and_b64 vcc, exec, s[4:5]
	s_cbranch_vccz .LBB77_2093
; %bb.2079:
	s_cmp_lt_i32 s14, 27
	s_mov_b64 s[4:5], -1
	s_cbranch_scc1 .LBB77_2085
; %bb.2080:
	s_cmp_gt_i32 s14, 27
	s_cbranch_scc0 .LBB77_2082
; %bb.2081:
	v_lshlrev_b32_e32 v3, 16, v2
	v_cvt_u32_f32_e32 v3, v3
	s_mov_b64 s[4:5], 0
	global_store_dword v[0:1], v3, off
.LBB77_2082:
	s_andn2_b64 vcc, exec, s[4:5]
	s_cbranch_vccnz .LBB77_2084
; %bb.2083:
	v_lshlrev_b32_e32 v3, 16, v2
	v_cvt_u32_f32_e32 v3, v3
	global_store_short v[0:1], v3, off
.LBB77_2084:
	s_mov_b64 s[4:5], 0
.LBB77_2085:
	s_andn2_b64 vcc, exec, s[4:5]
	s_cbranch_vccnz .LBB77_2093
; %bb.2086:
	v_lshlrev_b32_e32 v5, 16, v2
	v_and_b32_e32 v4, 0x7fffffff, v5
	s_mov_b32 s4, 0x43800000
	v_cmp_gt_u32_e32 vcc, s4, v4
	v_mov_b32_e32 v6, 0x80
	s_and_saveexec_b64 s[4:5], vcc
	s_cbranch_execz .LBB77_2092
; %bb.2087:
	s_mov_b32 s8, 0x3bffffff
	v_and_b32_e32 v3, 0xffff, v2
	v_cmp_lt_u32_e32 vcc, s8, v4
	s_mov_b64 s[8:9], 0
                                        ; implicit-def: $vgpr4
	s_and_saveexec_b64 s[10:11], vcc
	s_xor_b64 s[10:11], exec, s[10:11]
	s_cbranch_execz .LBB77_2198
; %bb.2088:
	v_bfe_u32 v4, v3, 4, 1
	s_mov_b32 s15, 0x487ffff
	v_add3_u32 v4, v5, v4, s15
	s_mov_b64 s[8:9], exec
	v_lshrrev_b32_e32 v4, 20, v4
                                        ; implicit-def: $vgpr5
	s_andn2_saveexec_b64 s[10:11], s[10:11]
	s_cbranch_execnz .LBB77_2199
.LBB77_2089:
	s_or_b64 exec, exec, s[10:11]
	v_mov_b32_e32 v6, 0
	s_and_saveexec_b64 s[10:11], s[8:9]
.LBB77_2090:
	v_lshrrev_b32_e32 v3, 8, v3
	s_movk_i32 s8, 0x80
	v_and_or_b32 v6, v3, s8, v4
.LBB77_2091:
	s_or_b64 exec, exec, s[10:11]
.LBB77_2092:
	s_or_b64 exec, exec, s[4:5]
	global_store_byte v[0:1], v6, off
.LBB77_2093:
	s_mov_b64 s[4:5], 0
.LBB77_2094:
	s_and_b64 vcc, exec, s[4:5]
	s_cbranch_vccz .LBB77_2134
; %bb.2095:
	s_cmp_gt_i32 s14, 22
	s_mov_b64 s[2:3], -1
	s_cbranch_scc0 .LBB77_2127
; %bb.2096:
	s_cmp_lt_i32 s14, 24
	s_cbranch_scc1 .LBB77_2116
; %bb.2097:
	s_cmp_gt_i32 s14, 24
	s_cbranch_scc0 .LBB77_2105
; %bb.2098:
	v_lshlrev_b32_e32 v5, 16, v2
	v_and_b32_e32 v4, 0x7fffffff, v5
	s_mov_b32 s2, 0x47800000
	v_cmp_gt_u32_e32 vcc, s2, v4
	v_mov_b32_e32 v6, 0x80
	s_and_saveexec_b64 s[2:3], vcc
	s_cbranch_execz .LBB77_2104
; %bb.2099:
	s_mov_b32 s4, 0x37ffffff
	v_and_b32_e32 v3, 0xffff, v2
	v_cmp_lt_u32_e32 vcc, s4, v4
	s_mov_b64 s[4:5], 0
                                        ; implicit-def: $vgpr4
	s_and_saveexec_b64 s[8:9], vcc
	s_xor_b64 s[8:9], exec, s[8:9]
	s_cbranch_execz .LBB77_2201
; %bb.2100:
	v_bfe_u32 v4, v3, 5, 1
	s_mov_b32 s10, 0x88fffff
	v_add3_u32 v4, v5, v4, s10
	s_mov_b64 s[4:5], exec
	v_lshrrev_b32_e32 v4, 21, v4
                                        ; implicit-def: $vgpr5
	s_andn2_saveexec_b64 s[8:9], s[8:9]
	s_cbranch_execnz .LBB77_2202
.LBB77_2101:
	s_or_b64 exec, exec, s[8:9]
	v_mov_b32_e32 v6, 0
	s_and_saveexec_b64 s[8:9], s[4:5]
.LBB77_2102:
	v_lshrrev_b32_e32 v3, 8, v3
	s_movk_i32 s4, 0x80
	v_and_or_b32 v6, v3, s4, v4
.LBB77_2103:
	s_or_b64 exec, exec, s[8:9]
.LBB77_2104:
	s_or_b64 exec, exec, s[2:3]
	s_mov_b64 s[2:3], 0
	global_store_byte v[0:1], v6, off
.LBB77_2105:
	s_and_b64 vcc, exec, s[2:3]
	s_cbranch_vccz .LBB77_2115
; %bb.2106:
	v_lshlrev_b32_e32 v5, 16, v2
	v_and_b32_e32 v6, 0x7fffffff, v5
	s_mov_b32 s2, 0x43f00000
	v_and_b32_e32 v3, 0xffff, v2
	v_cmp_gt_u32_e32 vcc, s2, v6
                                        ; implicit-def: $vgpr4
	s_and_saveexec_b64 s[2:3], vcc
	s_xor_b64 s[2:3], exec, s[2:3]
	s_cbranch_execz .LBB77_2112
; %bb.2107:
	s_mov_b32 s4, 0x3c7fffff
	v_cmp_lt_u32_e32 vcc, s4, v6
                                        ; implicit-def: $vgpr4
	s_and_saveexec_b64 s[4:5], vcc
	s_xor_b64 s[4:5], exec, s[4:5]
; %bb.2108:
	v_bfe_u32 v4, v3, 4, 1
	s_mov_b32 s8, 0x407ffff
	v_add3_u32 v4, v5, v4, s8
	v_lshrrev_b32_e32 v5, 20, v4
	v_and_b32_e32 v4, 0xff00000, v4
	s_mov_b32 s8, 0x7f00000
	v_mov_b32_e32 v6, 0x7e
	v_cmp_ne_u32_e32 vcc, s8, v4
	v_cndmask_b32_e32 v4, v6, v5, vcc
                                        ; implicit-def: $vgpr5
; %bb.2109:
	s_andn2_saveexec_b64 s[4:5], s[4:5]
; %bb.2110:
	s_mov_b32 s8, 0x46800000
	v_add_f32_e64 v4, |v5|, s8
; %bb.2111:
	s_or_b64 exec, exec, s[4:5]
                                        ; implicit-def: $vgpr6
.LBB77_2112:
	s_andn2_saveexec_b64 s[2:3], s[2:3]
; %bb.2113:
	s_mov_b32 s4, 0x7f800000
	v_mov_b32_e32 v4, 0x7e
	v_mov_b32_e32 v5, 0x7f
	v_cmp_lt_u32_e32 vcc, s4, v6
	v_cndmask_b32_e32 v4, v4, v5, vcc
; %bb.2114:
	s_or_b64 exec, exec, s[2:3]
	v_lshrrev_b32_e32 v3, 8, v3
	s_movk_i32 s2, 0x80
	v_and_or_b32 v3, v3, s2, v4
	global_store_byte v[0:1], v3, off
.LBB77_2115:
	s_mov_b64 s[2:3], 0
.LBB77_2116:
	s_andn2_b64 vcc, exec, s[2:3]
	s_cbranch_vccnz .LBB77_2126
; %bb.2117:
	v_lshlrev_b32_e32 v5, 16, v2
	v_and_b32_e32 v6, 0x7fffffff, v5
	s_mov_b32 s2, 0x47800000
	v_and_b32_e32 v3, 0xffff, v2
	v_cmp_gt_u32_e32 vcc, s2, v6
                                        ; implicit-def: $vgpr4
	s_and_saveexec_b64 s[2:3], vcc
	s_xor_b64 s[2:3], exec, s[2:3]
	s_cbranch_execz .LBB77_2123
; %bb.2118:
	s_mov_b32 s4, 0x387fffff
	v_cmp_lt_u32_e32 vcc, s4, v6
                                        ; implicit-def: $vgpr4
	s_and_saveexec_b64 s[4:5], vcc
	s_xor_b64 s[4:5], exec, s[4:5]
; %bb.2119:
	v_bfe_u32 v4, v3, 5, 1
	s_mov_b32 s8, 0x80fffff
	v_add3_u32 v4, v5, v4, s8
	v_lshrrev_b32_e32 v4, 21, v4
                                        ; implicit-def: $vgpr5
; %bb.2120:
	s_andn2_saveexec_b64 s[4:5], s[4:5]
; %bb.2121:
	s_mov_b32 s8, 0x43000000
	v_add_f32_e64 v4, |v5|, s8
; %bb.2122:
	s_or_b64 exec, exec, s[4:5]
                                        ; implicit-def: $vgpr6
.LBB77_2123:
	s_andn2_saveexec_b64 s[2:3], s[2:3]
; %bb.2124:
	s_mov_b32 s4, 0x7f800000
	v_mov_b32_e32 v4, 0x7c
	v_mov_b32_e32 v5, 0x7f
	v_cmp_lt_u32_e32 vcc, s4, v6
	v_cndmask_b32_e32 v4, v4, v5, vcc
; %bb.2125:
	s_or_b64 exec, exec, s[2:3]
	v_lshrrev_b32_e32 v3, 8, v3
	s_movk_i32 s2, 0x80
	v_and_or_b32 v3, v3, s2, v4
	global_store_byte v[0:1], v3, off
.LBB77_2126:
	s_mov_b64 s[2:3], 0
.LBB77_2127:
	s_andn2_b64 vcc, exec, s[2:3]
	s_mov_b64 s[2:3], 0
	s_cbranch_vccnz .LBB77_2134
; %bb.2128:
	s_cmp_gt_i32 s14, 14
	s_mov_b64 s[4:5], -1
	s_cbranch_scc0 .LBB77_2132
; %bb.2129:
	s_cmp_eq_u32 s14, 15
	s_mov_b64 s[0:1], -1
	s_cbranch_scc0 .LBB77_2131
; %bb.2130:
	global_store_short v[0:1], v2, off
	s_mov_b64 s[0:1], 0
.LBB77_2131:
	s_mov_b64 s[4:5], 0
.LBB77_2132:
	s_and_b64 vcc, exec, s[4:5]
	s_cbranch_vccz .LBB77_2134
; %bb.2133:
	s_cmp_lg_u32 s14, 11
	s_mov_b64 s[2:3], -1
	s_cselect_b64 s[0:1], -1, 0
.LBB77_2134:
	s_and_b64 vcc, exec, s[0:1]
	s_cbranch_vccnz .LBB77_2200
.LBB77_2135:
	s_mov_b64 s[0:1], 0
	s_branch .LBB77_2137
.LBB77_2136:
	s_mov_b64 s[0:1], 0
	s_mov_b64 s[2:3], 0
                                        ; implicit-def: $vgpr0_vgpr1
                                        ; implicit-def: $sgpr16
                                        ; implicit-def: $vgpr2
.LBB77_2137:
	s_and_b64 s[40:41], s[2:3], exec
	s_andn2_b64 s[2:3], s[6:7], exec
	s_and_b64 s[4:5], s[12:13], exec
	s_and_b64 s[0:1], s[0:1], exec
	s_or_b64 s[6:7], s[2:3], s[4:5]
.LBB77_2138:
	s_or_b64 exec, exec, s[28:29]
	s_and_saveexec_b64 s[2:3], s[6:7]
	s_cbranch_execz .LBB77_2141
; %bb.2139:
	; divergent unreachable
	s_or_b64 exec, exec, s[2:3]
	s_and_saveexec_b64 s[2:3], s[40:41]
	s_xor_b64 s[2:3], exec, s[2:3]
	s_cbranch_execnz .LBB77_2142
.LBB77_2140:
	s_or_b64 exec, exec, s[2:3]
	s_and_saveexec_b64 s[2:3], s[0:1]
	s_cbranch_execnz .LBB77_2143
	s_branch .LBB77_2180
.LBB77_2141:
	s_or_b64 exec, exec, s[2:3]
	s_and_saveexec_b64 s[2:3], s[40:41]
	s_xor_b64 s[2:3], exec, s[2:3]
	s_cbranch_execz .LBB77_2140
.LBB77_2142:
	s_waitcnt vmcnt(0)
	v_and_b32_e32 v3, 0x7fff, v2
	v_cmp_ne_u16_e32 vcc, 0, v3
	v_cndmask_b32_e64 v3, 0, 1, vcc
	global_store_byte v[0:1], v3, off
	s_or_b64 exec, exec, s[2:3]
	s_and_saveexec_b64 s[2:3], s[0:1]
	s_cbranch_execz .LBB77_2180
.LBB77_2143:
	s_sext_i32_i16 s2, s16
	s_cmp_lt_i32 s2, 5
	s_mov_b64 s[0:1], -1
	s_cbranch_scc1 .LBB77_2164
; %bb.2144:
	s_cmp_lt_i32 s2, 8
	s_cbranch_scc1 .LBB77_2154
; %bb.2145:
	s_cmp_lt_i32 s2, 9
	s_cbranch_scc1 .LBB77_2151
; %bb.2146:
	s_cmp_gt_i32 s2, 9
	s_cbranch_scc0 .LBB77_2148
; %bb.2147:
	s_waitcnt vmcnt(0)
	v_lshlrev_b32_e32 v3, 16, v2
	v_cvt_f64_f32_e32 v[3:4], v3
	v_mov_b32_e32 v5, 0
	v_mov_b32_e32 v6, v5
	s_mov_b64 s[0:1], 0
	global_store_dwordx4 v[0:1], v[3:6], off
.LBB77_2148:
	s_andn2_b64 vcc, exec, s[0:1]
	s_cbranch_vccnz .LBB77_2150
; %bb.2149:
	s_waitcnt vmcnt(0)
	v_lshlrev_b32_e32 v3, 16, v2
	v_mov_b32_e32 v4, 0
	global_store_dwordx2 v[0:1], v[3:4], off
.LBB77_2150:
	s_mov_b64 s[0:1], 0
.LBB77_2151:
	s_andn2_b64 vcc, exec, s[0:1]
	s_cbranch_vccnz .LBB77_2153
; %bb.2152:
	s_waitcnt vmcnt(0)
	v_lshlrev_b32_e32 v3, 16, v2
	v_cvt_f16_f32_e32 v3, v3
	global_store_dword v[0:1], v3, off
.LBB77_2153:
	s_mov_b64 s[0:1], 0
.LBB77_2154:
	s_andn2_b64 vcc, exec, s[0:1]
	s_cbranch_vccnz .LBB77_2163
; %bb.2155:
	s_sext_i32_i16 s2, s16
	s_cmp_lt_i32 s2, 6
	s_mov_b64 s[0:1], -1
	s_cbranch_scc1 .LBB77_2161
; %bb.2156:
	s_cmp_gt_i32 s2, 6
	s_cbranch_scc0 .LBB77_2158
; %bb.2157:
	s_waitcnt vmcnt(0)
	v_lshlrev_b32_e32 v3, 16, v2
	v_cvt_f64_f32_e32 v[3:4], v3
	s_mov_b64 s[0:1], 0
	global_store_dwordx2 v[0:1], v[3:4], off
.LBB77_2158:
	s_andn2_b64 vcc, exec, s[0:1]
	s_cbranch_vccnz .LBB77_2160
; %bb.2159:
	s_waitcnt vmcnt(0)
	v_lshlrev_b32_e32 v3, 16, v2
	global_store_dword v[0:1], v3, off
.LBB77_2160:
	s_mov_b64 s[0:1], 0
.LBB77_2161:
	s_andn2_b64 vcc, exec, s[0:1]
	s_cbranch_vccnz .LBB77_2163
; %bb.2162:
	s_waitcnt vmcnt(0)
	v_lshlrev_b32_e32 v3, 16, v2
	v_cvt_f16_f32_e32 v3, v3
	global_store_short v[0:1], v3, off
.LBB77_2163:
	s_mov_b64 s[0:1], 0
.LBB77_2164:
	s_andn2_b64 vcc, exec, s[0:1]
	s_cbranch_vccnz .LBB77_2180
; %bb.2165:
	s_sext_i32_i16 s2, s16
	s_cmp_lt_i32 s2, 2
	s_mov_b64 s[0:1], -1
	s_cbranch_scc1 .LBB77_2175
; %bb.2166:
	s_cmp_lt_i32 s2, 3
	s_cbranch_scc1 .LBB77_2172
; %bb.2167:
	s_cmp_gt_i32 s2, 3
	s_cbranch_scc0 .LBB77_2169
; %bb.2168:
	s_waitcnt vmcnt(0)
	v_lshlrev_b32_e32 v3, 16, v2
	v_trunc_f32_e32 v3, v3
	s_mov_b32 s0, 0x2f800000
	v_mul_f32_e64 v4, |v3|, s0
	v_floor_f32_e32 v4, v4
	s_mov_b32 s0, 0xcf800000
	v_cvt_u32_f32_e32 v5, v4
	v_fma_f32 v4, v4, s0, |v3|
	v_cvt_u32_f32_e32 v4, v4
	v_ashrrev_i32_e32 v6, 31, v3
	v_xor_b32_e32 v5, v5, v6
	s_mov_b64 s[0:1], 0
	v_xor_b32_e32 v3, v4, v6
	v_sub_co_u32_e32 v3, vcc, v3, v6
	v_subb_co_u32_e32 v4, vcc, v5, v6, vcc
	global_store_dwordx2 v[0:1], v[3:4], off
.LBB77_2169:
	s_andn2_b64 vcc, exec, s[0:1]
	s_cbranch_vccnz .LBB77_2171
; %bb.2170:
	s_waitcnt vmcnt(0)
	v_lshlrev_b32_e32 v3, 16, v2
	v_cvt_i32_f32_e32 v3, v3
	global_store_dword v[0:1], v3, off
.LBB77_2171:
	s_mov_b64 s[0:1], 0
.LBB77_2172:
	s_andn2_b64 vcc, exec, s[0:1]
	s_cbranch_vccnz .LBB77_2174
; %bb.2173:
	s_waitcnt vmcnt(0)
	v_lshlrev_b32_e32 v3, 16, v2
	v_cvt_i32_f32_e32 v3, v3
	global_store_short v[0:1], v3, off
.LBB77_2174:
	s_mov_b64 s[0:1], 0
.LBB77_2175:
	s_andn2_b64 vcc, exec, s[0:1]
	s_cbranch_vccnz .LBB77_2180
; %bb.2176:
	s_sext_i32_i16 s0, s16
	s_cmp_gt_i32 s0, 0
	s_mov_b64 s[0:1], -1
	s_cbranch_scc0 .LBB77_2178
; %bb.2177:
	s_waitcnt vmcnt(0)
	v_lshlrev_b32_e32 v3, 16, v2
	v_cvt_i32_f32_e32 v3, v3
	s_mov_b64 s[0:1], 0
	global_store_byte v[0:1], v3, off
.LBB77_2178:
	s_andn2_b64 vcc, exec, s[0:1]
	s_cbranch_vccnz .LBB77_2180
; %bb.2179:
	v_lshlrev_b32_e32 v2, 16, v2
	v_trunc_f32_e32 v2, v2
	s_mov_b32 s0, 0x2f800000
	s_waitcnt vmcnt(0)
	v_mul_f32_e64 v3, |v2|, s0
	v_floor_f32_e32 v3, v3
	s_mov_b32 s0, 0xcf800000
	v_fma_f32 v3, v3, s0, |v2|
	v_cvt_u32_f32_e32 v3, v3
	v_ashrrev_i32_e32 v2, 31, v2
	v_xor_b32_e32 v3, v3, v2
	v_sub_u32_e32 v2, v3, v2
	global_store_byte v[0:1], v2, off
	s_endpgm
.LBB77_2180:
	s_endpgm
.LBB77_2181:
	s_mov_b64 s[2:3], 0
	s_mov_b64 s[0:1], -1
	s_branch .LBB77_2137
.LBB77_2182:
	s_trap 2
	s_or_b64 s[12:13], s[12:13], exec
	s_cbranch_execz .LBB77_1645
	s_branch .LBB77_1646
.LBB77_2183:
	s_andn2_saveexec_b64 s[14:15], s[14:15]
	s_cbranch_execz .LBB77_1731
.LBB77_2184:
	s_mov_b32 s19, 0x46000000
	v_add_f32_e64 v16, |v17|, s19
	v_and_b32_e32 v16, 0xff, v16
	v_cmp_ne_u32_e32 vcc, 0, v16
	s_andn2_b64 s[10:11], s[10:11], exec
	s_and_b64 s[20:21], vcc, exec
	s_or_b64 s[10:11], s[10:11], s[20:21]
	s_or_b64 exec, exec, s[14:15]
	v_mov_b32_e32 v18, 0
	s_and_saveexec_b64 s[14:15], s[10:11]
	s_cbranch_execnz .LBB77_1732
	s_branch .LBB77_1733
.LBB77_2185:
	s_trap 2
	s_or_b64 s[12:13], s[12:13], exec
	s_cbranch_execz .LBB77_1779
	s_branch .LBB77_1780
.LBB77_2186:
	s_andn2_saveexec_b64 s[10:11], s[10:11]
	s_cbranch_execz .LBB77_1744
.LBB77_2187:
	s_mov_b32 s14, 0x42800000
	v_add_f32_e64 v16, |v17|, s14
	v_and_b32_e32 v16, 0xff, v16
	v_cmp_ne_u32_e32 vcc, 0, v16
	s_andn2_b64 s[4:5], s[4:5], exec
	s_and_b64 s[14:15], vcc, exec
	s_or_b64 s[4:5], s[4:5], s[14:15]
	s_or_b64 exec, exec, s[10:11]
	v_mov_b32_e32 v18, 0
	s_and_saveexec_b64 s[10:11], s[4:5]
	s_cbranch_execnz .LBB77_1745
	s_branch .LBB77_1746
.LBB77_2188:
	s_andn2_saveexec_b64 s[14:15], s[14:15]
	s_cbranch_execz .LBB77_1850
.LBB77_2189:
	s_mov_b32 s18, 0x46000000
	v_add_f32_e64 v6, |v10|, s18
	v_and_b32_e32 v6, 0xff, v6
	v_cmp_ne_u32_e32 vcc, 0, v6
	s_andn2_b64 s[10:11], s[10:11], exec
	s_and_b64 s[18:19], vcc, exec
	s_or_b64 s[10:11], s[10:11], s[18:19]
	s_or_b64 exec, exec, s[14:15]
	v_mov_b32_e32 v11, 0
	s_and_saveexec_b64 s[14:15], s[10:11]
	s_cbranch_execnz .LBB77_1851
	s_branch .LBB77_1852
.LBB77_2190:
	s_trap 2
	s_or_b64 s[12:13], s[12:13], exec
	s_cbranch_execz .LBB77_1898
	s_branch .LBB77_1899
.LBB77_2191:
	s_andn2_saveexec_b64 s[10:11], s[10:11]
	s_cbranch_execz .LBB77_1863
.LBB77_2192:
	s_mov_b32 s14, 0x42800000
	v_add_f32_e64 v6, |v10|, s14
	v_and_b32_e32 v6, 0xff, v6
	v_cmp_ne_u32_e32 vcc, 0, v6
	s_andn2_b64 s[4:5], s[4:5], exec
	s_and_b64 s[14:15], vcc, exec
	s_or_b64 s[4:5], s[4:5], s[14:15]
	s_or_b64 exec, exec, s[10:11]
	v_mov_b32_e32 v11, 0
	s_and_saveexec_b64 s[10:11], s[4:5]
	s_cbranch_execnz .LBB77_1864
	s_branch .LBB77_1865
.LBB77_2193:
	s_andn2_saveexec_b64 s[14:15], s[14:15]
	s_cbranch_execz .LBB77_1969
.LBB77_2194:
	s_mov_b32 s18, 0x46000000
	v_add_f32_e64 v5, |v6|, s18
	v_and_b32_e32 v5, 0xff, v5
	v_cmp_ne_u32_e32 vcc, 0, v5
	s_andn2_b64 s[10:11], s[10:11], exec
	s_and_b64 s[18:19], vcc, exec
	s_or_b64 s[10:11], s[10:11], s[18:19]
	s_or_b64 exec, exec, s[14:15]
	v_mov_b32_e32 v9, 0
	s_and_saveexec_b64 s[14:15], s[10:11]
	s_cbranch_execnz .LBB77_1970
	s_branch .LBB77_1971
.LBB77_2195:
	s_trap 2
	s_or_b64 s[12:13], s[12:13], exec
	s_cbranch_execz .LBB77_2017
	s_branch .LBB77_2018
.LBB77_2196:
	s_andn2_saveexec_b64 s[10:11], s[10:11]
	s_cbranch_execz .LBB77_1982
.LBB77_2197:
	s_mov_b32 s14, 0x42800000
	v_add_f32_e64 v5, |v6|, s14
	v_and_b32_e32 v5, 0xff, v5
	v_cmp_ne_u32_e32 vcc, 0, v5
	s_andn2_b64 s[4:5], s[4:5], exec
	s_and_b64 s[14:15], vcc, exec
	s_or_b64 s[4:5], s[4:5], s[14:15]
	s_or_b64 exec, exec, s[10:11]
	v_mov_b32_e32 v9, 0
	s_and_saveexec_b64 s[10:11], s[4:5]
	s_cbranch_execnz .LBB77_1983
	s_branch .LBB77_1984
.LBB77_2198:
	s_andn2_saveexec_b64 s[10:11], s[10:11]
	s_cbranch_execz .LBB77_2089
.LBB77_2199:
	s_mov_b32 s15, 0x46000000
	v_add_f32_e64 v4, |v5|, s15
	v_and_b32_e32 v4, 0xff, v4
	v_cmp_ne_u32_e32 vcc, 0, v4
	s_andn2_b64 s[8:9], s[8:9], exec
	s_and_b64 s[18:19], vcc, exec
	s_or_b64 s[8:9], s[8:9], s[18:19]
	s_or_b64 exec, exec, s[10:11]
	v_mov_b32_e32 v6, 0
	s_and_saveexec_b64 s[10:11], s[8:9]
	s_cbranch_execnz .LBB77_2090
	s_branch .LBB77_2091
.LBB77_2200:
	s_mov_b64 s[2:3], 0
	s_or_b64 s[12:13], s[12:13], exec
	s_trap 2
	s_branch .LBB77_2135
.LBB77_2201:
	s_andn2_saveexec_b64 s[8:9], s[8:9]
	s_cbranch_execz .LBB77_2101
.LBB77_2202:
	s_mov_b32 s10, 0x42800000
	v_add_f32_e64 v4, |v5|, s10
	v_and_b32_e32 v4, 0xff, v4
	v_cmp_ne_u32_e32 vcc, 0, v4
	s_andn2_b64 s[4:5], s[4:5], exec
	s_and_b64 s[10:11], vcc, exec
	s_or_b64 s[4:5], s[4:5], s[10:11]
	s_or_b64 exec, exec, s[8:9]
	v_mov_b32_e32 v6, 0
	s_and_saveexec_b64 s[8:9], s[4:5]
	s_cbranch_execnz .LBB77_2102
	s_branch .LBB77_2103
	.section	.rodata,"a",@progbits
	.p2align	6, 0x0
	.amdhsa_kernel _ZN2at6native32elementwise_kernel_manual_unrollILi128ELi4EZNS0_15gpu_kernel_implIZZZNS0_20trigamma_kernel_cudaERNS_18TensorIteratorBaseEENKUlvE_clEvENKUlvE2_clEvEUlN3c108BFloat16EE_EEvS4_RKT_EUlibE0_EEviT1_
		.amdhsa_group_segment_fixed_size 0
		.amdhsa_private_segment_fixed_size 0
		.amdhsa_kernarg_size 360
		.amdhsa_user_sgpr_count 6
		.amdhsa_user_sgpr_private_segment_buffer 1
		.amdhsa_user_sgpr_dispatch_ptr 0
		.amdhsa_user_sgpr_queue_ptr 0
		.amdhsa_user_sgpr_kernarg_segment_ptr 1
		.amdhsa_user_sgpr_dispatch_id 0
		.amdhsa_user_sgpr_flat_scratch_init 0
		.amdhsa_user_sgpr_private_segment_size 0
		.amdhsa_uses_dynamic_stack 0
		.amdhsa_system_sgpr_private_segment_wavefront_offset 0
		.amdhsa_system_sgpr_workgroup_id_x 1
		.amdhsa_system_sgpr_workgroup_id_y 0
		.amdhsa_system_sgpr_workgroup_id_z 0
		.amdhsa_system_sgpr_workgroup_info 0
		.amdhsa_system_vgpr_workitem_id 0
		.amdhsa_next_free_vgpr 38
		.amdhsa_next_free_sgpr 78
		.amdhsa_reserve_vcc 1
		.amdhsa_reserve_flat_scratch 0
		.amdhsa_float_round_mode_32 0
		.amdhsa_float_round_mode_16_64 0
		.amdhsa_float_denorm_mode_32 3
		.amdhsa_float_denorm_mode_16_64 3
		.amdhsa_dx10_clamp 1
		.amdhsa_ieee_mode 1
		.amdhsa_fp16_overflow 0
		.amdhsa_exception_fp_ieee_invalid_op 0
		.amdhsa_exception_fp_denorm_src 0
		.amdhsa_exception_fp_ieee_div_zero 0
		.amdhsa_exception_fp_ieee_overflow 0
		.amdhsa_exception_fp_ieee_underflow 0
		.amdhsa_exception_fp_ieee_inexact 0
		.amdhsa_exception_int_div_zero 0
	.end_amdhsa_kernel
	.section	.text._ZN2at6native32elementwise_kernel_manual_unrollILi128ELi4EZNS0_15gpu_kernel_implIZZZNS0_20trigamma_kernel_cudaERNS_18TensorIteratorBaseEENKUlvE_clEvENKUlvE2_clEvEUlN3c108BFloat16EE_EEvS4_RKT_EUlibE0_EEviT1_,"axG",@progbits,_ZN2at6native32elementwise_kernel_manual_unrollILi128ELi4EZNS0_15gpu_kernel_implIZZZNS0_20trigamma_kernel_cudaERNS_18TensorIteratorBaseEENKUlvE_clEvENKUlvE2_clEvEUlN3c108BFloat16EE_EEvS4_RKT_EUlibE0_EEviT1_,comdat
.Lfunc_end77:
	.size	_ZN2at6native32elementwise_kernel_manual_unrollILi128ELi4EZNS0_15gpu_kernel_implIZZZNS0_20trigamma_kernel_cudaERNS_18TensorIteratorBaseEENKUlvE_clEvENKUlvE2_clEvEUlN3c108BFloat16EE_EEvS4_RKT_EUlibE0_EEviT1_, .Lfunc_end77-_ZN2at6native32elementwise_kernel_manual_unrollILi128ELi4EZNS0_15gpu_kernel_implIZZZNS0_20trigamma_kernel_cudaERNS_18TensorIteratorBaseEENKUlvE_clEvENKUlvE2_clEvEUlN3c108BFloat16EE_EEvS4_RKT_EUlibE0_EEviT1_
                                        ; -- End function
	.set _ZN2at6native32elementwise_kernel_manual_unrollILi128ELi4EZNS0_15gpu_kernel_implIZZZNS0_20trigamma_kernel_cudaERNS_18TensorIteratorBaseEENKUlvE_clEvENKUlvE2_clEvEUlN3c108BFloat16EE_EEvS4_RKT_EUlibE0_EEviT1_.num_vgpr, 38
	.set _ZN2at6native32elementwise_kernel_manual_unrollILi128ELi4EZNS0_15gpu_kernel_implIZZZNS0_20trigamma_kernel_cudaERNS_18TensorIteratorBaseEENKUlvE_clEvENKUlvE2_clEvEUlN3c108BFloat16EE_EEvS4_RKT_EUlibE0_EEviT1_.num_agpr, 0
	.set _ZN2at6native32elementwise_kernel_manual_unrollILi128ELi4EZNS0_15gpu_kernel_implIZZZNS0_20trigamma_kernel_cudaERNS_18TensorIteratorBaseEENKUlvE_clEvENKUlvE2_clEvEUlN3c108BFloat16EE_EEvS4_RKT_EUlibE0_EEviT1_.numbered_sgpr, 78
	.set _ZN2at6native32elementwise_kernel_manual_unrollILi128ELi4EZNS0_15gpu_kernel_implIZZZNS0_20trigamma_kernel_cudaERNS_18TensorIteratorBaseEENKUlvE_clEvENKUlvE2_clEvEUlN3c108BFloat16EE_EEvS4_RKT_EUlibE0_EEviT1_.num_named_barrier, 0
	.set _ZN2at6native32elementwise_kernel_manual_unrollILi128ELi4EZNS0_15gpu_kernel_implIZZZNS0_20trigamma_kernel_cudaERNS_18TensorIteratorBaseEENKUlvE_clEvENKUlvE2_clEvEUlN3c108BFloat16EE_EEvS4_RKT_EUlibE0_EEviT1_.private_seg_size, 0
	.set _ZN2at6native32elementwise_kernel_manual_unrollILi128ELi4EZNS0_15gpu_kernel_implIZZZNS0_20trigamma_kernel_cudaERNS_18TensorIteratorBaseEENKUlvE_clEvENKUlvE2_clEvEUlN3c108BFloat16EE_EEvS4_RKT_EUlibE0_EEviT1_.uses_vcc, 1
	.set _ZN2at6native32elementwise_kernel_manual_unrollILi128ELi4EZNS0_15gpu_kernel_implIZZZNS0_20trigamma_kernel_cudaERNS_18TensorIteratorBaseEENKUlvE_clEvENKUlvE2_clEvEUlN3c108BFloat16EE_EEvS4_RKT_EUlibE0_EEviT1_.uses_flat_scratch, 0
	.set _ZN2at6native32elementwise_kernel_manual_unrollILi128ELi4EZNS0_15gpu_kernel_implIZZZNS0_20trigamma_kernel_cudaERNS_18TensorIteratorBaseEENKUlvE_clEvENKUlvE2_clEvEUlN3c108BFloat16EE_EEvS4_RKT_EUlibE0_EEviT1_.has_dyn_sized_stack, 0
	.set _ZN2at6native32elementwise_kernel_manual_unrollILi128ELi4EZNS0_15gpu_kernel_implIZZZNS0_20trigamma_kernel_cudaERNS_18TensorIteratorBaseEENKUlvE_clEvENKUlvE2_clEvEUlN3c108BFloat16EE_EEvS4_RKT_EUlibE0_EEviT1_.has_recursion, 0
	.set _ZN2at6native32elementwise_kernel_manual_unrollILi128ELi4EZNS0_15gpu_kernel_implIZZZNS0_20trigamma_kernel_cudaERNS_18TensorIteratorBaseEENKUlvE_clEvENKUlvE2_clEvEUlN3c108BFloat16EE_EEvS4_RKT_EUlibE0_EEviT1_.has_indirect_call, 0
	.section	.AMDGPU.csdata,"",@progbits
; Kernel info:
; codeLenInByte = 57452
; TotalNumSgprs: 82
; NumVgprs: 38
; ScratchSize: 0
; MemoryBound: 0
; FloatMode: 240
; IeeeMode: 1
; LDSByteSize: 0 bytes/workgroup (compile time only)
; SGPRBlocks: 10
; VGPRBlocks: 9
; NumSGPRsForWavesPerEU: 82
; NumVGPRsForWavesPerEU: 38
; Occupancy: 6
; WaveLimiterHint : 1
; COMPUTE_PGM_RSRC2:SCRATCH_EN: 0
; COMPUTE_PGM_RSRC2:USER_SGPR: 6
; COMPUTE_PGM_RSRC2:TRAP_HANDLER: 0
; COMPUTE_PGM_RSRC2:TGID_X_EN: 1
; COMPUTE_PGM_RSRC2:TGID_Y_EN: 0
; COMPUTE_PGM_RSRC2:TGID_Z_EN: 0
; COMPUTE_PGM_RSRC2:TIDIG_COMP_CNT: 0
	.text
	.p2align	2                               ; -- Begin function _ZZZZN2at6native21polygamma_kernel_cudaERNS_18TensorIteratorBaseElENKUlvE_clEvENKUlvE_clEvENKUldE_clEd
	.type	_ZZZZN2at6native21polygamma_kernel_cudaERNS_18TensorIteratorBaseElENKUlvE_clEvENKUlvE_clEvENKUldE_clEd,@function
_ZZZZN2at6native21polygamma_kernel_cudaERNS_18TensorIteratorBaseElENKUlvE_clEvENKUlvE_clEvENKUldE_clEd: ; @_ZZZZN2at6native21polygamma_kernel_cudaERNS_18TensorIteratorBaseElENKUlvE_clEvENKUlvE_clEvENKUldE_clEd
; %bb.0:
	s_waitcnt vmcnt(0) expcnt(0) lgkmcnt(0)
	s_or_saveexec_b64 s[4:5], -1
	buffer_store_dword v40, off, s[0:3], s32 ; 4-byte Folded Spill
	s_mov_b64 exec, s[4:5]
	v_writelane_b32 v40, s34, 0
	v_writelane_b32 v40, s35, 1
	;; [unrolled: 1-line block ×30, first 2 shown]
	v_cvt_f64_i32_e32 v[8:9], v0
	s_mov_b32 s4, 0x3f6fffff
                                        ; implicit-def: $vgpr10_vgpr11
	v_add_f64 v[6:7], v[8:9], 1.0
	v_and_b32_e32 v5, 0x7fffffff, v7
	v_mov_b32_e32 v4, v6
	v_cmp_lt_u32_e32 vcc, s4, v5
	s_and_saveexec_b64 s[4:5], vcc
	s_xor_b64 s[8:9], exec, s[4:5]
	s_cbranch_execz .LBB78_26
; %bb.1:
	s_brev_b32 s4, -4
	v_cmp_lt_u32_e32 vcc, s4, v5
                                        ; implicit-def: $vgpr10_vgpr11
	s_and_saveexec_b64 s[4:5], vcc
	s_xor_b64 s[6:7], exec, s[4:5]
	s_cbranch_execz .LBB78_11
; %bb.2:
	s_mov_b32 s4, 0x401fffff
	v_cmp_lt_u32_e32 vcc, s4, v5
                                        ; implicit-def: $vgpr10_vgpr11
	s_and_saveexec_b64 s[4:5], vcc
	s_xor_b64 s[10:11], exec, s[4:5]
	s_cbranch_execz .LBB78_8
; %bb.3:
	s_mov_b32 s4, 0x438fffff
	v_cmp_lt_u32_e32 vcc, s4, v5
                                        ; implicit-def: $vgpr10_vgpr11
	s_and_saveexec_b64 s[4:5], vcc
	s_xor_b64 s[12:13], exec, s[4:5]
	s_cbranch_execz .LBB78_5
; %bb.4:
	v_frexp_mant_f64_e64 v[10:11], |v[6:7]|
	s_mov_b32 s5, 0x3fe55555
	s_mov_b32 s4, 0x55555555
	;; [unrolled: 1-line block ×4, first 2 shown]
	v_mov_b32_e32 v4, 0xfff00000
	v_cmp_gt_f64_e32 vcc, s[4:5], v[10:11]
	s_mov_b32 s4, 0x55555780
	v_cndmask_b32_e64 v1, 0, 1, vcc
	v_ldexp_f64 v[10:11], v[10:11], v1
	v_frexp_exp_i32_f64_e32 v1, v[6:7]
	v_add_f64 v[12:13], v[10:11], 1.0
	v_add_f64 v[18:19], v[10:11], -1.0
	v_subbrev_co_u32_e32 v1, vcc, 0, v1, vcc
	v_rcp_f64_e32 v[14:15], v[12:13]
	v_add_f64 v[20:21], v[12:13], -1.0
	v_add_f64 v[10:11], v[10:11], -v[20:21]
	v_fma_f64 v[16:17], -v[12:13], v[14:15], 1.0
	v_fma_f64 v[14:15], v[16:17], v[14:15], v[14:15]
	v_fma_f64 v[16:17], -v[12:13], v[14:15], 1.0
	v_fma_f64 v[14:15], v[16:17], v[14:15], v[14:15]
	v_mul_f64 v[16:17], v[18:19], v[14:15]
	v_mul_f64 v[22:23], v[12:13], v[16:17]
	v_fma_f64 v[12:13], v[16:17], v[12:13], -v[22:23]
	v_fma_f64 v[10:11], v[16:17], v[10:11], v[12:13]
	v_add_f64 v[12:13], v[22:23], v[10:11]
	v_add_f64 v[20:21], v[18:19], -v[12:13]
	v_add_f64 v[22:23], v[12:13], -v[22:23]
	;; [unrolled: 1-line block ×5, first 2 shown]
	v_mov_b32_e32 v18, 0x6b47b09a
	v_mov_b32_e32 v19, 0x3fc38538
	v_add_f64 v[10:11], v[10:11], v[12:13]
	v_add_f64 v[10:11], v[20:21], v[10:11]
	v_mul_f64 v[10:11], v[14:15], v[10:11]
	v_add_f64 v[12:13], v[16:17], v[10:11]
	v_mul_f64 v[14:15], v[12:13], v[12:13]
	v_fma_f64 v[18:19], v[14:15], s[14:15], v[18:19]
	s_mov_b32 s14, 0xd7f4df2e
	s_mov_b32 s15, 0x3fc7474d
	v_mul_f64 v[20:21], v[12:13], v[14:15]
	v_fma_f64 v[18:19], v[14:15], v[18:19], s[14:15]
	s_mov_b32 s14, 0x16291751
	s_mov_b32 s15, 0x3fcc71c0
	v_fma_f64 v[18:19], v[14:15], v[18:19], s[14:15]
	s_mov_b32 s14, 0x9b27acf1
	s_mov_b32 s15, 0x3fd24924
	;; [unrolled: 3-line block ×3, first 2 shown]
	v_fma_f64 v[18:19], v[14:15], v[18:19], s[14:15]
	v_fma_f64 v[14:15], v[14:15], v[18:19], s[4:5]
	v_ldexp_f64 v[18:19], v[12:13], 1
	v_add_f64 v[12:13], v[12:13], -v[16:17]
	s_mov_b32 s4, 0xfefa39ef
	s_mov_b32 s5, 0x3fe62e42
	v_mul_f64 v[14:15], v[20:21], v[14:15]
	v_cvt_f64_i32_e32 v[20:21], v1
	v_add_f64 v[10:11], v[10:11], -v[12:13]
	v_mov_b32_e32 v1, 0x7ff00000
	v_mul_f64 v[22:23], v[20:21], s[4:5]
	v_add_f64 v[16:17], v[18:19], v[14:15]
	v_ldexp_f64 v[10:11], v[10:11], 1
	v_add_f64 v[12:13], v[16:17], -v[18:19]
	v_fma_f64 v[18:19], v[20:21], s[4:5], -v[22:23]
	s_mov_b32 s4, 0x3b39803f
	s_mov_b32 s5, 0x3c7abc9e
	v_add_f64 v[12:13], v[14:15], -v[12:13]
	v_fma_f64 v[14:15], v[20:21], s[4:5], v[18:19]
	s_mov_b32 s4, 0
	s_mov_b32 s5, 0x7ff00000
	v_cmp_neq_f64_e64 vcc, |v[6:7]|, s[4:5]
	v_cmp_neq_f64_e64 s[4:5], 0, v[6:7]
	v_add_f64 v[10:11], v[10:11], v[12:13]
	v_add_f64 v[12:13], v[22:23], v[14:15]
	;; [unrolled: 1-line block ×3, first 2 shown]
	v_add_f64 v[22:23], v[12:13], -v[22:23]
	v_add_f64 v[20:21], v[12:13], v[18:19]
	v_add_f64 v[16:17], v[18:19], -v[16:17]
	v_add_f64 v[14:15], v[14:15], -v[22:23]
	;; [unrolled: 1-line block ×6, first 2 shown]
	v_add_f64 v[18:19], v[14:15], v[10:11]
	v_add_f64 v[12:13], v[12:13], -v[26:27]
	v_add_f64 v[12:13], v[16:17], v[12:13]
	v_add_f64 v[16:17], v[18:19], -v[14:15]
	;; [unrolled: 2-line block ×3, first 2 shown]
	v_add_f64 v[10:11], v[10:11], -v[16:17]
	v_add_f64 v[22:23], v[20:21], v[12:13]
	v_add_f64 v[14:15], v[14:15], -v[18:19]
	v_add_f64 v[16:17], v[22:23], -v[20:21]
	v_add_f64 v[10:11], v[10:11], v[14:15]
	v_add_f64 v[12:13], v[12:13], -v[16:17]
	v_add_f64 v[10:11], v[10:11], v[12:13]
	v_add_f64 v[10:11], v[22:23], v[10:11]
	v_cndmask_b32_e32 v1, v1, v11, vcc
	s_and_b64 vcc, s[4:5], vcc
	v_cndmask_b32_e64 v11, v4, v1, s[4:5]
	v_cndmask_b32_e32 v10, 0, v10, vcc
	v_fma_f64 v[10:11], |v[6:7]|, v[10:11], -|v[6:7]|
.LBB78_5:
	s_andn2_saveexec_b64 s[12:13], s[12:13]
	s_cbranch_execz .LBB78_7
; %bb.6:
	v_and_b32_e32 v11, 0x7fffffff, v7
	v_mov_b32_e32 v10, v6
	v_div_scale_f64 v[12:13], s[4:5], v[10:11], v[10:11], 1.0
	v_div_scale_f64 v[10:11], vcc, 1.0, v[10:11], 1.0
	s_mov_b32 s4, 0xb9e43e4
	s_mov_b32 s5, 0xbf5ab89d
	;; [unrolled: 1-line block ×4, first 2 shown]
	v_frexp_exp_i32_f64_e32 v1, v[6:7]
	v_rcp_f64_e32 v[14:15], v[12:13]
	v_fma_f64 v[16:17], -v[12:13], v[14:15], 1.0
	v_fma_f64 v[14:15], v[14:15], v[16:17], v[14:15]
	v_fma_f64 v[16:17], -v[12:13], v[14:15], 1.0
	v_fma_f64 v[14:15], v[14:15], v[16:17], v[14:15]
	v_mul_f64 v[16:17], v[10:11], v[14:15]
	v_fma_f64 v[10:11], -v[12:13], v[16:17], v[10:11]
	v_div_fmas_f64 v[10:11], v[10:11], v[14:15], v[16:17]
	v_mov_b32_e32 v14, 0x4cdad5d1
	v_mov_b32_e32 v15, 0x3f4b67ba
	v_div_fixup_f64 v[10:11], v[10:11], |v[6:7]|, 1.0
	v_mul_f64 v[12:13], v[10:11], v[10:11]
	v_fma_f64 v[14:15], v[12:13], s[4:5], v[14:15]
	s_mov_b32 s4, 0x8c0fe741
	s_mov_b32 s5, 0xbf4380cb
	v_fma_f64 v[14:15], v[12:13], v[14:15], s[4:5]
	s_mov_b32 s4, 0x98cf38b6
	s_mov_b32 s5, 0x3f4a019f
	;; [unrolled: 3-line block ×4, first 2 shown]
	v_fma_f64 v[12:13], v[12:13], v[14:15], s[4:5]
	v_frexp_mant_f64_e64 v[14:15], |v[6:7]|
	s_mov_b32 s4, 0x90c97d69
	s_mov_b32 s5, 0x3fdacfe3
	v_fma_f64 v[10:11], v[10:11], v[12:13], s[4:5]
	s_mov_b32 s5, 0x3fe55555
	s_mov_b32 s4, 0x55555555
	v_cmp_gt_f64_e32 vcc, s[4:5], v[14:15]
	s_mov_b32 s4, 0x55555780
	v_add_f64 v[12:13], |v[6:7]|, -0.5
	v_cndmask_b32_e64 v4, 0, 1, vcc
	v_ldexp_f64 v[14:15], v[14:15], v4
	v_subbrev_co_u32_e32 v1, vcc, 0, v1, vcc
	v_mov_b32_e32 v4, 0xfff00000
	v_add_f64 v[18:19], v[14:15], 1.0
	v_add_f64 v[16:17], v[14:15], -1.0
	v_add_f64 v[20:21], v[18:19], -1.0
	v_add_f64 v[14:15], v[14:15], -v[20:21]
	v_rcp_f64_e32 v[20:21], v[18:19]
	v_fma_f64 v[22:23], -v[18:19], v[20:21], 1.0
	v_fma_f64 v[20:21], v[22:23], v[20:21], v[20:21]
	v_fma_f64 v[22:23], -v[18:19], v[20:21], 1.0
	v_fma_f64 v[20:21], v[22:23], v[20:21], v[20:21]
	v_mul_f64 v[22:23], v[16:17], v[20:21]
	v_mul_f64 v[24:25], v[18:19], v[22:23]
	v_fma_f64 v[18:19], v[22:23], v[18:19], -v[24:25]
	v_fma_f64 v[14:15], v[22:23], v[14:15], v[18:19]
	v_add_f64 v[18:19], v[24:25], v[14:15]
	v_add_f64 v[26:27], v[16:17], -v[18:19]
	v_add_f64 v[24:25], v[18:19], -v[24:25]
	v_add_f64 v[16:17], v[16:17], -v[26:27]
	v_add_f64 v[14:15], v[24:25], -v[14:15]
	v_add_f64 v[16:17], v[16:17], -v[18:19]
	v_add_f64 v[14:15], v[14:15], v[16:17]
	v_add_f64 v[14:15], v[26:27], v[14:15]
	v_mul_f64 v[14:15], v[20:21], v[14:15]
	v_mov_b32_e32 v20, 0x6b47b09a
	v_mov_b32_e32 v21, 0x3fc38538
	v_add_f64 v[16:17], v[22:23], v[14:15]
	v_add_f64 v[18:19], v[16:17], -v[22:23]
	v_ldexp_f64 v[22:23], v[16:17], 1
	v_add_f64 v[14:15], v[14:15], -v[18:19]
	v_mul_f64 v[18:19], v[16:17], v[16:17]
	v_ldexp_f64 v[14:15], v[14:15], 1
	v_fma_f64 v[20:21], v[18:19], s[14:15], v[20:21]
	s_mov_b32 s14, 0xd7f4df2e
	s_mov_b32 s15, 0x3fc7474d
	v_mul_f64 v[16:17], v[16:17], v[18:19]
	v_fma_f64 v[20:21], v[18:19], v[20:21], s[14:15]
	s_mov_b32 s14, 0x16291751
	s_mov_b32 s15, 0x3fcc71c0
	v_fma_f64 v[20:21], v[18:19], v[20:21], s[14:15]
	s_mov_b32 s14, 0x9b27acf1
	s_mov_b32 s15, 0x3fd24924
	;; [unrolled: 3-line block ×3, first 2 shown]
	v_fma_f64 v[20:21], v[18:19], v[20:21], s[14:15]
	v_fma_f64 v[20:21], v[18:19], v[20:21], s[4:5]
	s_mov_b32 s4, 0xfefa39ef
	s_mov_b32 s5, 0x3fe62e42
	v_mul_f64 v[16:17], v[16:17], v[20:21]
	v_add_f64 v[18:19], v[22:23], v[16:17]
	v_add_f64 v[20:21], v[18:19], -v[22:23]
	v_add_f64 v[16:17], v[16:17], -v[20:21]
	v_add_f64 v[14:15], v[14:15], v[16:17]
	v_add_f64 v[16:17], v[18:19], v[14:15]
	v_add_f64 v[18:19], v[16:17], -v[18:19]
	v_add_f64 v[14:15], v[14:15], -v[18:19]
	v_cvt_f64_i32_e32 v[18:19], v1
	v_mov_b32_e32 v1, 0x7ff00000
	v_mul_f64 v[20:21], v[18:19], s[4:5]
	v_fma_f64 v[22:23], v[18:19], s[4:5], -v[20:21]
	s_mov_b32 s4, 0x3b39803f
	s_mov_b32 s5, 0x3c7abc9e
	v_fma_f64 v[18:19], v[18:19], s[4:5], v[22:23]
	s_mov_b32 s4, 0
	s_mov_b32 s5, 0x7ff00000
	v_cmp_neq_f64_e64 vcc, |v[6:7]|, s[4:5]
	v_cmp_neq_f64_e64 s[4:5], 0, v[6:7]
	v_add_f64 v[22:23], v[20:21], v[18:19]
	v_add_f64 v[20:21], v[22:23], -v[20:21]
	v_add_f64 v[18:19], v[18:19], -v[20:21]
	v_add_f64 v[20:21], v[22:23], v[16:17]
	v_add_f64 v[24:25], v[20:21], -v[22:23]
	v_add_f64 v[26:27], v[20:21], -v[24:25]
	;; [unrolled: 1-line block ×4, first 2 shown]
	v_add_f64 v[16:17], v[16:17], v[22:23]
	v_add_f64 v[22:23], v[18:19], v[14:15]
	v_add_f64 v[24:25], v[22:23], -v[18:19]
	v_add_f64 v[16:17], v[22:23], v[16:17]
	v_add_f64 v[26:27], v[22:23], -v[24:25]
	v_add_f64 v[14:15], v[14:15], -v[24:25]
	;; [unrolled: 1-line block ×3, first 2 shown]
	v_add_f64 v[14:15], v[14:15], v[18:19]
	v_add_f64 v[18:19], v[20:21], v[16:17]
	v_add_f64 v[20:21], v[18:19], -v[20:21]
	v_add_f64 v[16:17], v[16:17], -v[20:21]
	v_add_f64 v[14:15], v[14:15], v[16:17]
	v_add_f64 v[14:15], v[18:19], v[14:15]
	v_add_f64 v[14:15], v[14:15], -1.0
	v_cndmask_b32_e32 v1, v1, v15, vcc
	s_and_b64 vcc, s[4:5], vcc
	v_cndmask_b32_e32 v14, 0, v14, vcc
	v_cndmask_b32_e64 v15, v4, v1, s[4:5]
	v_fma_f64 v[10:11], v[12:13], v[14:15], v[10:11]
.LBB78_7:
	s_or_b64 exec, exec, s[12:13]
.LBB78_8:
	s_andn2_saveexec_b64 s[4:5], s[10:11]
	s_cbranch_execz .LBB78_10
; %bb.9:
	v_cvt_i32_f64_e32 v1, v[4:5]
	s_mov_b32 s10, 0
	s_mov_b32 s11, 0x40080000
	v_mov_b32_e32 v4, 0x3ff00000
	v_cvt_f64_i32_e32 v[10:11], v1
	v_cmp_lt_i32_e32 vcc, 2, v1
	s_mov_b32 s12, 0xbf559e2b
	s_mov_b32 s13, 0x3fc3ab76
	v_add_f64 v[10:11], |v[6:7]|, -v[10:11]
	s_mov_b32 s14, 0xdd17e945
	s_mov_b32 s15, 0x3f00bfec
	;; [unrolled: 1-line block ×7, first 2 shown]
	v_add_f64 v[12:13], v[10:11], 2.0
	v_add_f64 v[14:15], v[10:11], s[10:11]
	v_add_f64 v[16:17], v[10:11], 4.0
	s_mov_b32 s10, 0
	s_mov_b32 s11, 0x40140000
	;; [unrolled: 1-line block ×5, first 2 shown]
	v_cndmask_b32_e32 v13, v4, v13, vcc
	v_cndmask_b32_e32 v12, 0, v12, vcc
	v_cmp_lt_i32_e32 vcc, 3, v1
	v_cndmask_b32_e32 v15, v4, v15, vcc
	v_cndmask_b32_e32 v14, 0, v14, vcc
	v_mul_f64 v[12:13], v[12:13], v[14:15]
	v_cmp_lt_i32_e32 vcc, 4, v1
	v_add_f64 v[14:15], v[10:11], s[10:11]
	v_cndmask_b32_e32 v17, v4, v17, vcc
	v_cndmask_b32_e32 v16, 0, v16, vcc
	s_mov_b32 s10, 0
	s_mov_b32 s11, 0x40180000
	v_cmp_lt_i32_e32 vcc, 5, v1
	v_mul_f64 v[12:13], v[16:17], v[12:13]
	v_add_f64 v[16:17], v[10:11], s[10:11]
	v_cndmask_b32_e32 v15, v4, v15, vcc
	v_cndmask_b32_e32 v14, 0, v14, vcc
	v_cmp_lt_i32_e32 vcc, 6, v1
	s_mov_b32 s11, 0x3fe55555
	s_mov_b32 s10, 0x55555555
	v_mul_f64 v[12:13], v[14:15], v[12:13]
	v_cndmask_b32_e32 v15, v4, v17, vcc
	v_cndmask_b32_e32 v14, 0, v16, vcc
	v_mov_b32_e32 v4, 0xfff00000
	v_mul_f64 v[12:13], v[14:15], v[12:13]
	v_frexp_mant_f64_e32 v[14:15], v[12:13]
	v_cmp_gt_f64_e32 vcc, s[10:11], v[14:15]
	s_mov_b32 s10, 0x55555780
	v_cndmask_b32_e64 v1, 0, 1, vcc
	v_ldexp_f64 v[14:15], v[14:15], v1
	v_frexp_exp_i32_f64_e32 v1, v[12:13]
	v_add_f64 v[16:17], v[14:15], 1.0
	v_add_f64 v[22:23], v[14:15], -1.0
	v_subbrev_co_u32_e32 v1, vcc, 0, v1, vcc
	v_rcp_f64_e32 v[18:19], v[16:17]
	v_add_f64 v[24:25], v[16:17], -1.0
	v_add_f64 v[14:15], v[14:15], -v[24:25]
	v_fma_f64 v[20:21], -v[16:17], v[18:19], 1.0
	v_fma_f64 v[18:19], v[20:21], v[18:19], v[18:19]
	v_fma_f64 v[20:21], -v[16:17], v[18:19], 1.0
	v_fma_f64 v[18:19], v[20:21], v[18:19], v[18:19]
	v_mul_f64 v[20:21], v[22:23], v[18:19]
	v_mul_f64 v[26:27], v[16:17], v[20:21]
	v_fma_f64 v[16:17], v[20:21], v[16:17], -v[26:27]
	v_fma_f64 v[14:15], v[20:21], v[14:15], v[16:17]
	v_add_f64 v[16:17], v[26:27], v[14:15]
	v_add_f64 v[24:25], v[22:23], -v[16:17]
	v_add_f64 v[26:27], v[16:17], -v[26:27]
	;; [unrolled: 1-line block ×4, first 2 shown]
	v_mov_b32_e32 v26, 0xca41a95b
	v_mov_b32_e32 v27, 0x3f497dda
	v_add_f64 v[16:17], v[22:23], -v[16:17]
	v_mov_b32_e32 v22, 0x6b47b09a
	v_mov_b32_e32 v23, 0x3fc38538
	v_add_f64 v[14:15], v[14:15], v[16:17]
	v_add_f64 v[14:15], v[24:25], v[14:15]
	v_mov_b32_e32 v24, 0x7368f239
	v_mov_b32_e32 v25, 0x3f5e26b6
	v_fma_f64 v[24:25], v[10:11], s[14:15], v[24:25]
	s_mov_b32 s14, 0x9b27acf1
	s_mov_b32 s15, 0x3fd24924
	v_mul_f64 v[14:15], v[18:19], v[14:15]
	v_fma_f64 v[24:25], v[10:11], v[24:25], s[16:17]
	v_add_f64 v[16:17], v[20:21], v[14:15]
	v_fma_f64 v[24:25], v[10:11], v[24:25], s[18:19]
	v_mul_f64 v[18:19], v[16:17], v[16:17]
	v_fma_f64 v[24:25], v[10:11], v[24:25], s[20:21]
	v_fma_f64 v[22:23], v[18:19], s[12:13], v[22:23]
	s_mov_b32 s12, 0xd7f4df2e
	s_mov_b32 s13, 0x3fc7474d
	v_mul_f64 v[28:29], v[16:17], v[18:19]
	v_fma_f64 v[24:25], v[10:11], v[24:25], s[22:23]
	v_fma_f64 v[22:23], v[18:19], v[22:23], s[12:13]
	s_mov_b32 s12, 0x16291751
	s_mov_b32 s13, 0x3fcc71c0
	v_fma_f64 v[22:23], v[18:19], v[22:23], s[12:13]
	s_mov_b32 s12, 0xe37db0c8
	s_mov_b32 s13, 0xbfb3c467
	v_fma_f64 v[24:25], v[10:11], v[24:25], s[12:13]
	v_fma_f64 v[22:23], v[18:19], v[22:23], s[14:15]
	s_mov_b32 s14, 0xa5b38140
	s_mov_b32 s15, 0x3edebaf7
	v_fma_f64 v[26:27], v[10:11], s[14:15], v[26:27]
	s_mov_b32 s14, 0x998ef7b6
	s_mov_b32 s15, 0x3fd99999
	v_mul_f64 v[24:25], v[10:11], v[24:25]
	v_fma_f64 v[22:23], v[18:19], v[22:23], s[14:15]
	s_mov_b32 s14, 0x742ed475
	s_mov_b32 s15, 0x3f9317ea
	v_fma_f64 v[26:27], v[10:11], v[26:27], s[14:15]
	s_mov_b32 s14, 0x93d3dcdc
	s_mov_b32 s15, 0x3fe71a18
	;; [unrolled: 3-line block ×3, first 2 shown]
	v_fma_f64 v[22:23], v[10:11], v[26:27], s[10:11]
	v_ldexp_f64 v[26:27], v[16:17], 1
	v_add_f64 v[16:17], v[16:17], -v[20:21]
	s_mov_b32 s10, 0x62c4ab74
	s_mov_b32 s11, 0x3ff645a7
	v_mul_f64 v[18:19], v[28:29], v[18:19]
	v_cvt_f64_i32_e32 v[28:29], v1
	v_mov_b32_e32 v1, 0x7ff80000
	v_fma_f64 v[22:23], v[10:11], v[22:23], s[14:15]
	s_mov_b32 s14, 0xfefa39ef
	s_mov_b32 s15, 0x3fe62e42
	v_mul_f64 v[30:31], v[28:29], s[14:15]
	v_add_f64 v[14:15], v[14:15], -v[16:17]
	v_add_f64 v[20:21], v[26:27], v[18:19]
	v_fma_f64 v[22:23], v[10:11], v[22:23], s[10:11]
	v_ldexp_f64 v[14:15], v[14:15], 1
	v_add_f64 v[16:17], v[20:21], -v[26:27]
	v_fma_f64 v[26:27], v[28:29], s[14:15], -v[30:31]
	v_fma_f64 v[22:23], v[10:11], v[22:23], 1.0
	v_add_f64 v[16:17], v[18:19], -v[16:17]
	v_div_scale_f64 v[18:19], s[10:11], v[22:23], v[22:23], v[24:25]
	s_mov_b32 s10, 0x3b39803f
	s_mov_b32 s11, 0x3c7abc9e
	v_fma_f64 v[26:27], v[28:29], s[10:11], v[26:27]
	v_add_f64 v[14:15], v[14:15], v[16:17]
	s_movk_i32 s10, 0x204
	v_add_f64 v[16:17], v[30:31], v[26:27]
	v_add_f64 v[28:29], v[20:21], v[14:15]
	v_rcp_f64_e32 v[32:33], v[18:19]
	v_add_f64 v[30:31], v[16:17], -v[30:31]
	v_add_f64 v[34:35], v[16:17], v[28:29]
	v_add_f64 v[20:21], v[28:29], -v[20:21]
	v_add_f64 v[26:27], v[26:27], -v[30:31]
	;; [unrolled: 1-line block ×4, first 2 shown]
	v_fma_f64 v[38:39], -v[18:19], v[32:33], 1.0
	v_add_f64 v[48:49], v[34:35], -v[36:37]
	v_add_f64 v[20:21], v[28:29], -v[36:37]
	v_div_scale_f64 v[28:29], vcc, v[24:25], v[22:23], v[24:25]
	v_fma_f64 v[32:33], v[32:33], v[38:39], v[32:33]
	v_add_f64 v[36:37], v[26:27], v[14:15]
	v_add_f64 v[16:17], v[16:17], -v[48:49]
	v_fma_f64 v[30:31], -v[18:19], v[32:33], 1.0
	v_add_f64 v[16:17], v[20:21], v[16:17]
	v_fma_f64 v[20:21], v[32:33], v[30:31], v[32:33]
	v_add_f64 v[30:31], v[36:37], -v[26:27]
	v_add_f64 v[16:17], v[36:37], v[16:17]
	v_mul_f64 v[32:33], v[28:29], v[20:21]
	v_add_f64 v[36:37], v[36:37], -v[30:31]
	v_add_f64 v[14:15], v[14:15], -v[30:31]
	v_add_f64 v[38:39], v[34:35], v[16:17]
	v_fma_f64 v[18:19], -v[18:19], v[32:33], v[28:29]
	v_add_f64 v[26:27], v[26:27], -v[36:37]
	v_add_f64 v[28:29], v[38:39], -v[34:35]
	v_div_fmas_f64 v[18:19], v[18:19], v[20:21], v[32:33]
	v_add_f64 v[14:15], v[14:15], v[26:27]
	v_cmp_class_f64_e64 vcc, v[12:13], s10
	v_add_f64 v[16:17], v[16:17], -v[28:29]
	v_add_f64 v[14:15], v[14:15], v[16:17]
	v_div_fixup_f64 v[16:17], v[18:19], v[22:23], v[24:25]
	v_add_f64 v[14:15], v[38:39], v[14:15]
	v_fma_f64 v[10:11], v[10:11], 0.5, v[16:17]
	v_cndmask_b32_e32 v14, v14, v12, vcc
	v_cndmask_b32_e32 v15, v15, v13, vcc
	v_cmp_ngt_f64_e32 vcc, 0, v[12:13]
	v_cndmask_b32_e32 v1, v1, v15, vcc
	v_cmp_nge_f64_e32 vcc, 0, v[12:13]
	v_cndmask_b32_e32 v14, 0, v14, vcc
	v_cmp_neq_f64_e32 vcc, 0, v[12:13]
	v_cndmask_b32_e32 v15, v4, v1, vcc
	v_add_f64 v[10:11], v[10:11], v[14:15]
.LBB78_10:
	s_or_b64 exec, exec, s[4:5]
.LBB78_11:
	s_andn2_saveexec_b64 s[10:11], s[6:7]
	s_cbranch_execz .LBB78_25
; %bb.12:
	s_mov_b32 s4, 0x3feccccc
	v_cmp_lt_u32_e32 vcc, s4, v5
                                        ; implicit-def: $vgpr1
                                        ; implicit-def: $vgpr12_vgpr13
	s_and_saveexec_b64 s[4:5], vcc
	s_xor_b64 s[4:5], exec, s[4:5]
	s_cbranch_execz .LBB78_14
; %bb.13:
	s_mov_b32 s6, 0x6356be3f
	s_mov_b32 s7, 0xbff762d8
	v_add_f64 v[10:11], -|v[6:7]|, 2.0
	v_add_f64 v[12:13], |v[6:7]|, s[6:7]
	v_add_f64 v[14:15], |v[6:7]|, -1.0
	s_mov_b32 s6, 0x3ffbb4c3
	v_cmp_gt_u32_e32 vcc, s6, v5
	s_mov_b32 s6, 0x3ff3b4c4
	v_cndmask_b32_e32 v1, v10, v12, vcc
	v_cndmask_b32_e32 v4, v11, v13, vcc
	v_cndmask_b32_e64 v10, 0, 1, vcc
	v_cmp_gt_u32_e32 vcc, s6, v5
	v_cndmask_b32_e32 v13, v4, v15, vcc
	v_cndmask_b32_e32 v12, v1, v14, vcc
	v_cndmask_b32_e64 v1, v10, 2, vcc
.LBB78_14:
	s_or_saveexec_b64 s[12:13], s[4:5]
	v_mov_b32_e32 v10, 0
	v_mov_b32_e32 v11, 0
	s_xor_b64 exec, exec, s[12:13]
	s_cbranch_execz .LBB78_16
; %bb.15:
	v_frexp_mant_f64_e64 v[10:11], |v[6:7]|
	s_mov_b32 s5, 0x3fe55555
	s_mov_b32 s4, 0x55555555
	;; [unrolled: 1-line block ×4, first 2 shown]
	v_mov_b32_e32 v4, 0xfff00000
	s_mov_b32 s14, 0x3fcda661
	v_cmp_gt_f64_e32 vcc, s[4:5], v[10:11]
	s_mov_b32 s4, 0x55555780
	v_cndmask_b32_e64 v1, 0, 1, vcc
	v_ldexp_f64 v[10:11], v[10:11], v1
	v_frexp_exp_i32_f64_e32 v1, v[6:7]
	v_add_f64 v[12:13], v[10:11], 1.0
	v_add_f64 v[18:19], v[10:11], -1.0
	v_subbrev_co_u32_e32 v1, vcc, 0, v1, vcc
	v_rcp_f64_e32 v[14:15], v[12:13]
	v_add_f64 v[20:21], v[12:13], -1.0
	v_add_f64 v[10:11], v[10:11], -v[20:21]
	v_fma_f64 v[16:17], -v[12:13], v[14:15], 1.0
	v_fma_f64 v[14:15], v[16:17], v[14:15], v[14:15]
	v_fma_f64 v[16:17], -v[12:13], v[14:15], 1.0
	v_fma_f64 v[14:15], v[16:17], v[14:15], v[14:15]
	v_mul_f64 v[16:17], v[18:19], v[14:15]
	v_mul_f64 v[22:23], v[12:13], v[16:17]
	v_fma_f64 v[12:13], v[16:17], v[12:13], -v[22:23]
	v_fma_f64 v[10:11], v[16:17], v[10:11], v[12:13]
	v_add_f64 v[12:13], v[22:23], v[10:11]
	v_add_f64 v[20:21], v[18:19], -v[12:13]
	v_add_f64 v[22:23], v[12:13], -v[22:23]
	;; [unrolled: 1-line block ×5, first 2 shown]
	v_mov_b32_e32 v18, 0x6b47b09a
	v_mov_b32_e32 v19, 0x3fc38538
	v_add_f64 v[10:11], v[10:11], v[12:13]
	v_add_f64 v[10:11], v[20:21], v[10:11]
	v_mul_f64 v[10:11], v[14:15], v[10:11]
	v_add_f64 v[12:13], v[16:17], v[10:11]
	v_mul_f64 v[14:15], v[12:13], v[12:13]
	v_fma_f64 v[18:19], v[14:15], s[6:7], v[18:19]
	s_mov_b32 s6, 0xd7f4df2e
	s_mov_b32 s7, 0x3fc7474d
	v_mul_f64 v[20:21], v[12:13], v[14:15]
	v_fma_f64 v[18:19], v[14:15], v[18:19], s[6:7]
	s_mov_b32 s6, 0x16291751
	s_mov_b32 s7, 0x3fcc71c0
	v_fma_f64 v[18:19], v[14:15], v[18:19], s[6:7]
	s_mov_b32 s6, 0x9b27acf1
	s_mov_b32 s7, 0x3fd24924
	;; [unrolled: 3-line block ×4, first 2 shown]
	v_fma_f64 v[14:15], v[14:15], v[18:19], s[4:5]
	v_ldexp_f64 v[18:19], v[12:13], 1
	v_add_f64 v[12:13], v[12:13], -v[16:17]
	s_mov_b32 s4, 0xfefa39ef
	s_mov_b32 s5, 0x3fe62e42
	v_mul_f64 v[14:15], v[20:21], v[14:15]
	v_cvt_f64_i32_e32 v[20:21], v1
	v_add_f64 v[10:11], v[10:11], -v[12:13]
	v_and_b32_e32 v1, 0x7fffffff, v7
	v_mul_f64 v[22:23], v[20:21], s[4:5]
	v_add_f64 v[16:17], v[18:19], v[14:15]
	v_ldexp_f64 v[10:11], v[10:11], 1
	v_add_f64 v[12:13], v[16:17], -v[18:19]
	v_fma_f64 v[18:19], v[20:21], s[4:5], -v[22:23]
	s_mov_b32 s4, 0x3b39803f
	s_mov_b32 s5, 0x3c7abc9e
	v_add_f64 v[12:13], v[14:15], -v[12:13]
	v_fma_f64 v[14:15], v[20:21], s[4:5], v[18:19]
	s_mov_b32 s4, 0
	s_mov_b32 s5, 0x7ff00000
	v_cmp_neq_f64_e64 vcc, |v[6:7]|, s[4:5]
	v_cmp_neq_f64_e64 s[4:5], 0, v[6:7]
	v_add_f64 v[10:11], v[10:11], v[12:13]
	v_add_f64 v[12:13], v[22:23], v[14:15]
	;; [unrolled: 1-line block ×3, first 2 shown]
	v_add_f64 v[22:23], v[12:13], -v[22:23]
	v_add_f64 v[20:21], v[12:13], v[18:19]
	v_add_f64 v[16:17], v[18:19], -v[16:17]
	v_add_f64 v[14:15], v[14:15], -v[22:23]
	;; [unrolled: 1-line block ×6, first 2 shown]
	v_add_f64 v[18:19], v[14:15], v[10:11]
	v_add_f64 v[12:13], v[12:13], -v[26:27]
	v_add_f64 v[12:13], v[16:17], v[12:13]
	v_add_f64 v[16:17], v[18:19], -v[14:15]
	;; [unrolled: 2-line block ×3, first 2 shown]
	v_add_f64 v[10:11], v[10:11], -v[16:17]
	v_add_f64 v[22:23], v[20:21], v[12:13]
	v_add_f64 v[14:15], v[14:15], -v[18:19]
	v_add_f64 v[16:17], v[22:23], -v[20:21]
	v_add_f64 v[10:11], v[10:11], v[14:15]
	v_add_f64 v[14:15], |v[6:7]|, s[6:7]
	s_mov_b32 s6, 0x3fe76944
	v_cmp_gt_u32_e64 s[6:7], s6, v5
	v_add_f64 v[12:13], v[12:13], -v[16:17]
	v_mov_b32_e32 v16, 0x7ff00000
	v_add_f64 v[10:11], v[10:11], v[12:13]
	v_add_f64 v[12:13], -|v[6:7]|, 1.0
	v_add_f64 v[10:11], v[22:23], v[10:11]
	v_xor_b32_e32 v11, 0x80000000, v11
	v_cndmask_b32_e32 v4, v4, v11, vcc
	v_cndmask_b32_e64 v11, v12, v14, s[6:7]
	v_cndmask_b32_e64 v12, v13, v15, s[6:7]
	;; [unrolled: 1-line block ×3, first 2 shown]
	v_cmp_gt_u32_e64 s[6:7], s14, v5
	s_and_b64 vcc, s[4:5], vcc
	v_cndmask_b32_e64 v13, v12, v1, s[6:7]
	v_cndmask_b32_e64 v12, v11, v6, s[6:7]
	;; [unrolled: 1-line block ×3, first 2 shown]
	v_cndmask_b32_e32 v10, 0, v10, vcc
	v_cndmask_b32_e64 v1, v14, 2, s[6:7]
.LBB78_16:
	s_or_b64 exec, exec, s[12:13]
	v_cmp_lt_i32_e32 vcc, 1, v1
                                        ; implicit-def: $vgpr16_vgpr17
	s_and_saveexec_b64 s[4:5], vcc
	s_xor_b64 s[4:5], exec, s[4:5]
	s_cbranch_execz .LBB78_18
; %bb.17:
	s_mov_b32 s6, 0xbf2bab09
	v_mov_b32_e32 v14, 0xf6010924
	v_mov_b32_e32 v15, 0x3fcd4eae
	s_mov_b32 s7, 0x3f8b678b
	v_fma_f64 v[14:15], v[12:13], s[6:7], v[14:15]
	s_mov_b32 s6, 0x44ea8450
	s_mov_b32 s12, 0x57d0cf61
	s_mov_b32 s7, 0x3fef4976
	v_mov_b32_e32 v16, 0xd6537c88
	v_mov_b32_e32 v17, 0x3fbaae55
	s_mov_b32 s13, 0x3f6a5abb
	v_fma_f64 v[16:17], v[12:13], s[12:13], v[16:17]
	v_fma_f64 v[14:15], v[12:13], v[14:15], s[6:7]
	s_mov_b32 s6, 0xd119bd6f
	s_mov_b32 s12, 0xe45050af
	;; [unrolled: 1-line block ×4, first 2 shown]
                                        ; implicit-def: $vgpr1
	v_fma_f64 v[16:17], v[12:13], v[16:17], s[12:13]
	v_fma_f64 v[14:15], v[12:13], v[14:15], s[6:7]
	s_mov_b32 s6, 0x8b005dff
	s_mov_b32 s12, 0xa42b18f5
	;; [unrolled: 1-line block ×4, first 2 shown]
	v_fma_f64 v[16:17], v[12:13], v[16:17], s[12:13]
	v_fma_f64 v[14:15], v[12:13], v[14:15], s[6:7]
	s_mov_b32 s6, 0xe37db0c8
	s_mov_b32 s12, 0xc2bd619c
	;; [unrolled: 1-line block ×4, first 2 shown]
	v_fma_f64 v[16:17], v[12:13], v[16:17], s[12:13]
	v_fma_f64 v[14:15], v[12:13], v[14:15], s[6:7]
	v_fma_f64 v[16:17], v[12:13], v[16:17], 1.0
	v_mul_f64 v[14:15], v[12:13], v[14:15]
	v_div_scale_f64 v[18:19], s[6:7], v[16:17], v[16:17], v[14:15]
	v_div_scale_f64 v[24:25], vcc, v[14:15], v[16:17], v[14:15]
	v_rcp_f64_e32 v[20:21], v[18:19]
	v_fma_f64 v[22:23], -v[18:19], v[20:21], 1.0
	v_fma_f64 v[20:21], v[20:21], v[22:23], v[20:21]
	v_fma_f64 v[22:23], -v[18:19], v[20:21], 1.0
	v_fma_f64 v[20:21], v[20:21], v[22:23], v[20:21]
	v_mul_f64 v[22:23], v[24:25], v[20:21]
	v_fma_f64 v[18:19], -v[18:19], v[22:23], v[24:25]
	v_div_fmas_f64 v[18:19], v[18:19], v[20:21], v[22:23]
	v_div_fixup_f64 v[14:15], v[18:19], v[16:17], v[14:15]
	v_fma_f64 v[16:17], v[12:13], -0.5, v[14:15]
                                        ; implicit-def: $vgpr12_vgpr13
.LBB78_18:
	s_andn2_saveexec_b64 s[4:5], s[4:5]
	s_cbranch_execz .LBB78_24
; %bb.19:
	v_mul_f64 v[14:15], v[12:13], v[12:13]
	v_cmp_ne_u32_e32 vcc, 1, v1
                                        ; implicit-def: $vgpr16_vgpr17
	s_and_saveexec_b64 s[6:7], vcc
	s_xor_b64 s[6:7], exec, s[6:7]
	s_cbranch_execz .LBB78_21
; %bb.20:
	s_mov_b32 s12, 0x90a45837
	v_mov_b32_e32 v16, 0x987dfb07
	v_mov_b32_e32 v17, 0x3f1c5088
	s_mov_b32 s13, 0x3f07858e
	v_fma_f64 v[16:17], v[14:15], s[12:13], v[16:17]
	s_mov_b32 s12, 0x428cfa52
	v_mov_b32_e32 v18, 0xed10e54d
	v_mov_b32_e32 v19, 0x3f2cf2ec
	s_mov_b32 s13, 0x3efa7074
	v_fma_f64 v[18:19], v[14:15], s[12:13], v[18:19]
	s_mov_b32 s12, 0x89b99c00
	s_mov_b32 s13, 0x3f40b6c6
	v_fma_f64 v[16:17], v[14:15], v[16:17], s[12:13]
	s_mov_b32 s12, 0x116f3f5d
	;; [unrolled: 3-line block ×8, first 2 shown]
	s_mov_b32 s13, 0x3fb3c467
	v_fma_f64 v[18:19], v[14:15], v[18:19], s[12:13]
	v_mul_f64 v[14:15], v[14:15], v[16:17]
	v_fma_f64 v[14:15], v[12:13], v[18:19], v[14:15]
	v_fma_f64 v[16:17], v[12:13], -0.5, v[14:15]
                                        ; implicit-def: $vgpr12_vgpr13
                                        ; implicit-def: $vgpr14_vgpr15
.LBB78_21:
	s_andn2_saveexec_b64 s[6:7], s[6:7]
	s_cbranch_execz .LBB78_23
; %bb.22:
	v_mul_f64 v[16:17], v[12:13], v[14:15]
	s_mov_b32 s12, 0xecc38c38
	v_mov_b32_e32 v20, 0xef61a8e9
	v_mov_b32_e32 v21, 0x3f4cdf0c
	s_mov_b32 s13, 0xbf347f24
	v_mov_b32_e32 v22, 0x9c73e0ec
	v_mov_b32_e32 v23, 0xbf41a610
	s_mov_b32 s14, 0xb3e914d7
	v_fma_f64 v[20:21], v[16:17], s[12:13], v[20:21]
	s_mov_b32 s12, 0xe8c2d3f4
	s_mov_b32 s13, 0x3f35fd3e
	v_fma_f64 v[22:23], v[16:17], s[12:13], v[22:23]
	s_mov_b32 s15, 0xbf6e2eff
	s_mov_b32 s12, 0x6c0ebbf7
	v_mov_b32_e32 v18, 0xbf2d1af1
	v_mov_b32_e32 v19, 0xbf56fe8e
	v_fma_f64 v[20:21], v[16:17], v[20:21], s[14:15]
	s_mov_b32 s14, 0x2e15c915
	s_mov_b32 s15, 0x3f6282d3
	v_fma_f64 v[22:23], v[16:17], v[22:23], s[14:15]
	s_mov_b32 s13, 0x3f34af6d
	v_fma_f64 v[18:19], v[16:17], s[12:13], v[18:19]
	s_mov_b32 s14, 0x970af9ec
	s_mov_b32 s15, 0x3f9266e7
	v_fma_f64 v[20:21], v[16:17], v[20:21], s[14:15]
	s_mov_b32 s14, 0xba91ec6a
	s_mov_b32 s15, 0xbf851f9f
	v_fma_f64 v[22:23], v[16:17], v[22:23], s[14:15]
	s_mov_b32 s12, 0xe370e344
	s_mov_b32 s13, 0x3f78fce0
	v_fma_f64 v[18:19], v[16:17], v[18:19], s[12:13]
	s_mov_b32 s12, 0x8dc6c509
	s_mov_b32 s13, 0xbfc2e427
	v_fma_f64 v[20:21], v[16:17], v[20:21], s[12:13]
	s_mov_b32 s12, 0x94d5419b
	s_mov_b32 s13, 0x3fb08b42
	v_fma_f64 v[22:23], v[16:17], v[22:23], s[12:13]
	s_mov_b32 s12, 0xdf35b713
	s_mov_b32 s13, 0xbfa0c9a8
	v_fma_f64 v[18:19], v[16:17], v[18:19], s[12:13]
	s_mov_b32 s12, 0xc8ee38a2
	s_mov_b32 s13, 0x3fdef72b
	v_fma_f64 v[12:13], v[12:13], v[22:23], v[20:21]
	v_fma_f64 v[18:19], v[16:17], v[18:19], s[12:13]
	s_mov_b32 s12, 0xa48a971f
	s_mov_b32 s13, 0xbc50c7ca
	v_fma_f64 v[12:13], v[16:17], -v[12:13], s[12:13]
	s_mov_b32 s12, 0xbcc38a42
	s_mov_b32 s13, 0xbfbf19b9
	v_fma_f64 v[12:13], v[14:15], v[18:19], -v[12:13]
	v_add_f64 v[16:17], v[12:13], s[12:13]
.LBB78_23:
	s_or_b64 exec, exec, s[6:7]
.LBB78_24:
	s_or_b64 exec, exec, s[4:5]
	v_add_f64 v[10:11], v[10:11], v[16:17]
.LBB78_25:
	s_or_b64 exec, exec, s[10:11]
.LBB78_26:
	s_andn2_saveexec_b64 s[6:7], s[8:9]
	s_cbranch_execz .LBB78_28
; %bb.27:
	v_frexp_mant_f64_e64 v[10:11], |v[6:7]|
	s_mov_b32 s5, 0x3fe55555
	s_mov_b32 s4, 0x55555555
	s_mov_b32 s8, 0xbf559e2b
	s_mov_b32 s9, 0x3fc3ab76
	s_mov_b32 s10, 0
	s_mov_b32 s11, 0x7ff00000
	v_mov_b32_e32 v4, 0x7ff00000
	v_cmp_gt_f64_e32 vcc, s[4:5], v[10:11]
	s_mov_b32 s4, 0x55555780
	v_cndmask_b32_e64 v1, 0, 1, vcc
	v_ldexp_f64 v[10:11], v[10:11], v1
	v_frexp_exp_i32_f64_e32 v1, v[6:7]
	v_add_f64 v[12:13], v[10:11], 1.0
	v_add_f64 v[18:19], v[10:11], -1.0
	v_subbrev_co_u32_e32 v1, vcc, 0, v1, vcc
	v_cmp_neq_f64_e64 vcc, |v[6:7]|, s[10:11]
	v_rcp_f64_e32 v[14:15], v[12:13]
	v_add_f64 v[20:21], v[12:13], -1.0
	v_add_f64 v[10:11], v[10:11], -v[20:21]
	v_fma_f64 v[16:17], -v[12:13], v[14:15], 1.0
	v_fma_f64 v[14:15], v[16:17], v[14:15], v[14:15]
	v_fma_f64 v[16:17], -v[12:13], v[14:15], 1.0
	v_fma_f64 v[14:15], v[16:17], v[14:15], v[14:15]
	v_mul_f64 v[16:17], v[18:19], v[14:15]
	v_mul_f64 v[22:23], v[12:13], v[16:17]
	v_fma_f64 v[12:13], v[16:17], v[12:13], -v[22:23]
	v_fma_f64 v[10:11], v[16:17], v[10:11], v[12:13]
	v_add_f64 v[12:13], v[22:23], v[10:11]
	v_add_f64 v[20:21], v[18:19], -v[12:13]
	v_add_f64 v[22:23], v[12:13], -v[22:23]
	;; [unrolled: 1-line block ×5, first 2 shown]
	v_mov_b32_e32 v18, 0x6b47b09a
	v_mov_b32_e32 v19, 0x3fc38538
	v_add_f64 v[10:11], v[10:11], v[12:13]
	v_add_f64 v[10:11], v[20:21], v[10:11]
	v_mul_f64 v[10:11], v[14:15], v[10:11]
	v_add_f64 v[12:13], v[16:17], v[10:11]
	v_mul_f64 v[14:15], v[12:13], v[12:13]
	v_fma_f64 v[18:19], v[14:15], s[8:9], v[18:19]
	s_mov_b32 s8, 0xd7f4df2e
	s_mov_b32 s9, 0x3fc7474d
	v_mul_f64 v[20:21], v[12:13], v[14:15]
	v_fma_f64 v[18:19], v[14:15], v[18:19], s[8:9]
	s_mov_b32 s8, 0x16291751
	s_mov_b32 s9, 0x3fcc71c0
	v_fma_f64 v[18:19], v[14:15], v[18:19], s[8:9]
	s_mov_b32 s8, 0x9b27acf1
	s_mov_b32 s9, 0x3fd24924
	;; [unrolled: 3-line block ×4, first 2 shown]
	v_fma_f64 v[14:15], v[14:15], v[18:19], s[4:5]
	v_ldexp_f64 v[18:19], v[12:13], 1
	v_add_f64 v[12:13], v[12:13], -v[16:17]
	s_mov_b32 s4, 0xfefa39ef
	s_mov_b32 s5, 0x3fe62e42
	v_mul_f64 v[14:15], v[20:21], v[14:15]
	v_cvt_f64_i32_e32 v[20:21], v1
	v_add_f64 v[10:11], v[10:11], -v[12:13]
	v_mov_b32_e32 v1, 0xfff00000
	v_mul_f64 v[22:23], v[20:21], s[4:5]
	v_add_f64 v[16:17], v[18:19], v[14:15]
	v_ldexp_f64 v[10:11], v[10:11], 1
	v_add_f64 v[12:13], v[16:17], -v[18:19]
	v_fma_f64 v[18:19], v[20:21], s[4:5], -v[22:23]
	s_mov_b32 s4, 0x3b39803f
	s_mov_b32 s5, 0x3c7abc9e
	v_add_f64 v[12:13], v[14:15], -v[12:13]
	v_fma_f64 v[14:15], v[20:21], s[4:5], v[18:19]
	s_mov_b32 s4, 0x17aa6149
	s_mov_b32 s5, 0xbfca8b9c
	v_add_f64 v[10:11], v[10:11], v[12:13]
	v_add_f64 v[12:13], v[22:23], v[14:15]
	;; [unrolled: 1-line block ×3, first 2 shown]
	v_add_f64 v[22:23], v[12:13], -v[22:23]
	v_add_f64 v[20:21], v[12:13], v[18:19]
	v_add_f64 v[16:17], v[18:19], -v[16:17]
	v_add_f64 v[14:15], v[14:15], -v[22:23]
	;; [unrolled: 1-line block ×6, first 2 shown]
	v_add_f64 v[18:19], v[14:15], v[10:11]
	v_add_f64 v[12:13], v[12:13], -v[26:27]
	v_add_f64 v[12:13], v[16:17], v[12:13]
	v_add_f64 v[16:17], v[18:19], -v[14:15]
	;; [unrolled: 2-line block ×3, first 2 shown]
	v_add_f64 v[10:11], v[10:11], -v[16:17]
	v_add_f64 v[22:23], v[20:21], v[12:13]
	v_add_f64 v[14:15], v[14:15], -v[18:19]
	v_add_f64 v[16:17], v[22:23], -v[20:21]
	v_add_f64 v[10:11], v[10:11], v[14:15]
	v_mov_b32_e32 v14, 0x2ac7d848
	v_mov_b32_e32 v15, 0x3fd15132
	v_fma_f64 v[14:15], |v[6:7]|, s[4:5], v[14:15]
	s_mov_b32 s4, 0x5beab2d7
	s_mov_b32 s5, 0xbfd9a4d5
	v_add_f64 v[12:13], v[12:13], -v[16:17]
	v_add_f64 v[10:11], v[10:11], v[12:13]
	v_fma_f64 v[12:13], |v[6:7]|, v[14:15], s[4:5]
	s_mov_b32 s4, 0x625307d3
	s_mov_b32 s5, 0x3fea51a6
	v_add_f64 v[10:11], v[22:23], v[10:11]
	v_fma_f64 v[12:13], |v[6:7]|, v[12:13], s[4:5]
	v_cmp_neq_f64_e64 s[4:5], 0, v[6:7]
	v_xor_b32_e32 v11, 0x80000000, v11
	v_cndmask_b32_e32 v1, v1, v11, vcc
	v_fma_f64 v[11:12], |v[6:7]|, v[12:13], s[8:9]
	s_and_b64 vcc, s[4:5], vcc
	v_cndmask_b32_e64 v14, v4, v1, s[4:5]
	v_cndmask_b32_e32 v13, 0, v10, vcc
	v_fma_f64 v[10:11], |v[6:7]|, v[11:12], v[13:14]
.LBB78_28:
	s_or_b64 exec, exec, s[6:7]
	v_cmp_le_f64_e32 vcc, 0, v[6:7]
	s_and_saveexec_b64 s[4:5], vcc
	s_xor_b64 s[6:7], exec, s[4:5]
	s_cbranch_execz .LBB78_30
; %bb.29:
	v_cmp_eq_f64_e32 vcc, 1.0, v[6:7]
	v_cmp_eq_f64_e64 s[4:5], 2.0, v[6:7]
	s_or_b64 s[4:5], vcc, s[4:5]
	v_cndmask_b32_e64 v11, v11, 0, s[4:5]
	v_cndmask_b32_e64 v10, v10, 0, s[4:5]
.LBB78_30:
	s_andn2_saveexec_b64 s[6:7], s[6:7]
	s_cbranch_execz .LBB78_34
; %bb.31:
	v_add_u32_e32 v1, 0xc32fffff, v5
	s_mov_b32 s4, 0x65fffff
	v_cmp_gt_u32_e32 vcc, s4, v1
	s_and_saveexec_b64 s[8:9], vcc
	s_cbranch_execz .LBB78_33
; %bb.32:
	v_mul_f64 v[12:13], |v[6:7]|, 0.5
	s_mov_b32 s4, 0
	s_mov_b32 s5, 0x7ff00000
	v_and_b32_e32 v1, 0x7fffffff, v7
	s_mov_b32 s10, 0x2e21c33
	v_mov_b32_e32 v16, 0x6fdffd2b
	v_mov_b32_e32 v17, 0xbf7e2fe7
	;; [unrolled: 1-line block ×3, first 2 shown]
	v_fract_f64_e32 v[14:15], v[12:13]
	v_cmp_neq_f64_e32 vcc, s[4:5], v[12:13]
	s_mov_b32 s4, 0xf99eb0bb
	s_mov_b32 s5, 0x3f3e357e
	v_mov_b32_e32 v21, 0x3f5f9c89
	s_mov_b32 s11, 0xbf1b1673
	v_add_f64 v[14:15], v[14:15], v[14:15]
	v_cndmask_b32_e32 v4, 0, v14, vcc
	v_cndmask_b32_e32 v12, 0, v15, vcc
	v_cmp_gt_f64_e64 vcc, |v[6:7]|, 1.0
	v_cndmask_b32_e32 v13, v1, v12, vcc
	v_cndmask_b32_e32 v12, v6, v4, vcc
	v_add_f64 v[14:15], v[12:13], v[12:13]
	v_rndne_f64_e32 v[14:15], v[14:15]
	v_fma_f64 v[12:13], v[14:15], -0.5, v[12:13]
	v_cvt_i32_f64_e32 v1, v[14:15]
	v_mov_b32_e32 v14, 0x7ff80000
	v_and_b32_e32 v4, 1, v1
	v_lshlrev_b32_e32 v1, 30, v1
	v_cmp_eq_u32_e32 vcc, 0, v4
	v_mul_f64 v[18:19], v[12:13], v[12:13]
	v_xor_b32_e32 v1, v1, v7
	v_and_b32_e32 v1, 0x80000000, v1
	v_fma_f64 v[16:17], v[18:19], s[4:5], v[16:17]
	v_fma_f64 v[20:21], v[18:19], s[10:11], v[20:21]
	s_mov_b32 s4, 0xd5f14825
	s_mov_b32 s10, 0x7294bff9
	;; [unrolled: 1-line block ×4, first 2 shown]
	v_mul_f64 v[22:23], v[12:13], v[18:19]
	v_fma_f64 v[16:17], v[18:19], v[16:17], s[4:5]
	v_fma_f64 v[20:21], v[18:19], v[20:21], s[10:11]
	s_mov_b32 s4, 0xcdfe9424
	s_mov_b32 s10, 0x67b90b37
	s_mov_b32 s5, 0xbfe32d2c
	s_mov_b32 s11, 0x3fce1f50
	v_fma_f64 v[16:17], v[18:19], v[16:17], s[4:5]
	v_fma_f64 v[20:21], v[18:19], v[20:21], s[10:11]
	s_mov_b32 s4, 0x67754fff
	s_mov_b32 s10, 0x7e3c325b
	s_mov_b32 s5, 0x400466bc
	s_mov_b32 s11, 0xbff55d3c
	;; [unrolled: 6-line block ×4, first 2 shown]
	v_mul_f64 v[16:17], v[22:23], v[16:17]
	v_fma_f64 v[20:21], v[18:19], v[20:21], s[4:5]
	s_movk_i32 s4, 0x1f8
	v_cmp_class_f64_e64 s[4:5], v[6:7], s4
	v_fma_f64 v[12:13], v[12:13], s[10:11], v[16:17]
	v_fma_f64 v[16:17], v[18:19], v[20:21], 1.0
	v_cndmask_b32_e32 v4, v16, v12, vcc
	v_cndmask_b32_e32 v12, v17, v13, vcc
	v_xor_b32_e32 v1, v12, v1
	v_cndmask_b32_e64 v12, 0, v4, s[4:5]
	v_cndmask_b32_e64 v13, v14, v1, s[4:5]
	v_mul_f64 v[12:13], v[6:7], v[12:13]
	v_and_b32_e32 v15, 0x7fffffff, v13
	v_mov_b32_e32 v14, v12
	v_div_scale_f64 v[16:17], s[4:5], v[14:15], v[14:15], s[10:11]
	v_div_scale_f64 v[14:15], vcc, s[10:11], v[14:15], s[10:11]
	s_mov_b32 s5, 0x3fe55555
	s_mov_b32 s4, 0x55555555
	v_rcp_f64_e32 v[18:19], v[16:17]
	v_fma_f64 v[20:21], -v[16:17], v[18:19], 1.0
	v_fma_f64 v[18:19], v[18:19], v[20:21], v[18:19]
	v_fma_f64 v[20:21], -v[16:17], v[18:19], 1.0
	v_fma_f64 v[18:19], v[18:19], v[20:21], v[18:19]
	v_mul_f64 v[20:21], v[14:15], v[18:19]
	v_fma_f64 v[14:15], -v[16:17], v[20:21], v[14:15]
	v_div_fmas_f64 v[14:15], v[14:15], v[18:19], v[20:21]
	v_div_fixup_f64 v[12:13], v[14:15], |v[12:13]|, s[10:11]
	s_mov_b32 s10, 0xbf559e2b
	s_mov_b32 s11, 0x3fc3ab76
	v_frexp_mant_f64_e32 v[14:15], v[12:13]
	v_cmp_gt_f64_e32 vcc, s[4:5], v[14:15]
	s_mov_b32 s4, 0x55555780
	v_cndmask_b32_e64 v1, 0, 1, vcc
	v_ldexp_f64 v[14:15], v[14:15], v1
	v_frexp_exp_i32_f64_e32 v1, v[12:13]
	v_add_f64 v[16:17], v[14:15], 1.0
	v_add_f64 v[22:23], v[14:15], -1.0
	v_subbrev_co_u32_e32 v1, vcc, 0, v1, vcc
	v_rcp_f64_e32 v[18:19], v[16:17]
	v_add_f64 v[24:25], v[16:17], -1.0
	v_add_f64 v[14:15], v[14:15], -v[24:25]
	v_fma_f64 v[20:21], -v[16:17], v[18:19], 1.0
	v_fma_f64 v[18:19], v[20:21], v[18:19], v[18:19]
	v_fma_f64 v[20:21], -v[16:17], v[18:19], 1.0
	v_fma_f64 v[18:19], v[20:21], v[18:19], v[18:19]
	v_mul_f64 v[20:21], v[22:23], v[18:19]
	v_mul_f64 v[26:27], v[16:17], v[20:21]
	v_fma_f64 v[16:17], v[20:21], v[16:17], -v[26:27]
	v_fma_f64 v[14:15], v[20:21], v[14:15], v[16:17]
	v_add_f64 v[16:17], v[26:27], v[14:15]
	v_add_f64 v[24:25], v[22:23], -v[16:17]
	v_add_f64 v[26:27], v[16:17], -v[26:27]
	;; [unrolled: 1-line block ×5, first 2 shown]
	v_mov_b32_e32 v22, 0x6b47b09a
	v_mov_b32_e32 v23, 0x3fc38538
	v_add_f64 v[14:15], v[14:15], v[16:17]
	v_add_f64 v[14:15], v[24:25], v[14:15]
	v_mul_f64 v[14:15], v[18:19], v[14:15]
	v_add_f64 v[16:17], v[20:21], v[14:15]
	v_mul_f64 v[18:19], v[16:17], v[16:17]
	v_fma_f64 v[22:23], v[18:19], s[10:11], v[22:23]
	s_mov_b32 s10, 0xd7f4df2e
	s_mov_b32 s11, 0x3fc7474d
	v_mul_f64 v[24:25], v[16:17], v[18:19]
	v_fma_f64 v[22:23], v[18:19], v[22:23], s[10:11]
	s_mov_b32 s10, 0x16291751
	s_mov_b32 s11, 0x3fcc71c0
	v_fma_f64 v[22:23], v[18:19], v[22:23], s[10:11]
	s_mov_b32 s10, 0x9b27acf1
	s_mov_b32 s11, 0x3fd24924
	;; [unrolled: 3-line block ×3, first 2 shown]
	v_fma_f64 v[22:23], v[18:19], v[22:23], s[10:11]
	v_fma_f64 v[18:19], v[18:19], v[22:23], s[4:5]
	v_ldexp_f64 v[22:23], v[16:17], 1
	v_add_f64 v[16:17], v[16:17], -v[20:21]
	s_mov_b32 s4, 0xfefa39ef
	s_mov_b32 s5, 0x3fe62e42
	v_mul_f64 v[18:19], v[24:25], v[18:19]
	v_cvt_f64_i32_e32 v[24:25], v1
	v_add_f64 v[14:15], v[14:15], -v[16:17]
	v_mov_b32_e32 v1, 0xfff00000
	v_mul_f64 v[26:27], v[24:25], s[4:5]
	v_add_f64 v[20:21], v[22:23], v[18:19]
	v_ldexp_f64 v[14:15], v[14:15], 1
	v_add_f64 v[16:17], v[20:21], -v[22:23]
	v_fma_f64 v[22:23], v[24:25], s[4:5], -v[26:27]
	s_mov_b32 s4, 0x3b39803f
	s_mov_b32 s5, 0x3c7abc9e
	v_add_f64 v[16:17], v[18:19], -v[16:17]
	v_fma_f64 v[18:19], v[24:25], s[4:5], v[22:23]
	s_movk_i32 s4, 0x204
	v_cmp_class_f64_e64 vcc, v[12:13], s4
	v_cmp_class_f64_e64 s[10:11], v[6:7], s4
	v_add_f64 v[14:15], v[14:15], v[16:17]
	v_add_f64 v[16:17], v[26:27], v[18:19]
	;; [unrolled: 1-line block ×3, first 2 shown]
	v_add_f64 v[26:27], v[16:17], -v[26:27]
	v_add_f64 v[24:25], v[16:17], v[22:23]
	v_add_f64 v[20:21], v[22:23], -v[20:21]
	v_add_f64 v[18:19], v[18:19], -v[26:27]
	;; [unrolled: 1-line block ×6, first 2 shown]
	v_add_f64 v[22:23], v[18:19], v[14:15]
	v_add_f64 v[16:17], v[16:17], -v[30:31]
	v_add_f64 v[16:17], v[20:21], v[16:17]
	v_add_f64 v[20:21], v[22:23], -v[18:19]
	;; [unrolled: 2-line block ×3, first 2 shown]
	v_add_f64 v[14:15], v[14:15], -v[20:21]
	v_add_f64 v[26:27], v[24:25], v[16:17]
	v_add_f64 v[18:19], v[18:19], -v[22:23]
	v_add_f64 v[20:21], v[26:27], -v[24:25]
	v_add_f64 v[14:15], v[14:15], v[18:19]
	v_add_f64 v[16:17], v[16:17], -v[20:21]
	v_add_f64 v[14:15], v[14:15], v[16:17]
	v_fract_f64_e32 v[16:17], v[6:7]
	v_add_f64 v[14:15], v[26:27], v[14:15]
	v_cmp_eq_f64_e64 s[4:5], 0, v[16:17]
	v_cndmask_b32_e32 v4, v14, v12, vcc
	v_cndmask_b32_e32 v14, v15, v13, vcc
	v_cmp_neq_f64_e32 vcc, 0, v[12:13]
	v_cndmask_b32_e32 v13, v1, v14, vcc
	v_cndmask_b32_e32 v12, 0, v4, vcc
	v_add_f64 v[10:11], v[12:13], -v[10:11]
	v_mov_b32_e32 v1, 0x7ff00000
	s_or_b64 vcc, s[10:11], s[4:5]
	v_cndmask_b32_e32 v11, v11, v1, vcc
	v_cndmask_b32_e64 v10, v10, 0, vcc
.LBB78_33:
	s_or_b64 exec, exec, s[8:9]
.LBB78_34:
	s_or_b64 exec, exec, s[6:7]
	v_mov_b32_e32 v16, 0
	v_mov_b32_e32 v17, 0x7ff00000
	v_cmp_ne_u32_e32 vcc, 0, v0
	s_and_saveexec_b64 s[12:13], vcc
	s_cbranch_execz .LBB78_50
; %bb.35:
	v_mov_b32_e32 v16, 0
	v_mov_b32_e32 v17, 0x7ff80000
	v_cmp_lt_i32_e32 vcc, -1, v0
	s_and_saveexec_b64 s[14:15], vcc
	s_cbranch_execz .LBB78_49
; %bb.36:
	v_floor_f64_e32 v[12:13], v[2:3]
	v_cmp_nge_f64_e32 vcc, 0, v[2:3]
	v_mov_b32_e32 v16, 0
	s_mov_b64 s[18:19], 0
	v_mov_b32_e32 v17, 0x7ff00000
	v_cmp_neq_f64_e64 s[4:5], v[2:3], v[12:13]
	s_or_b64 s[4:5], vcc, s[4:5]
	s_and_saveexec_b64 s[16:17], s[4:5]
	s_cbranch_execz .LBB78_48
; %bb.37:
	v_frexp_mant_f64_e64 v[12:13], |v[2:3]|
	s_mov_b32 s20, 0x55555555
	s_mov_b32 s21, 0x3fe55555
	;; [unrolled: 1-line block ×7, first 2 shown]
	v_cmp_gt_f64_e32 vcc, s[20:21], v[12:13]
	s_mov_b32 s27, 0x3fc110ef
	s_mov_b32 s28, 0xcfa74449
	;; [unrolled: 1-line block ×7, first 2 shown]
	v_cndmask_b32_e64 v1, 0, 1, vcc
	v_ldexp_f64 v[12:13], v[12:13], v1
	s_mov_b32 s44, 0x924920da
	s_mov_b32 s45, 0x3fd24924
	;; [unrolled: 1-line block ×7, first 2 shown]
	v_add_f64 v[14:15], v[12:13], 1.0
	v_add_f64 v[20:21], v[12:13], -1.0
	s_mov_b32 s59, 0x3c8543b0
	v_frexp_exp_i32_f64_e32 v1, v[2:3]
	s_mov_b32 s60, 0xfefa39ef
	s_mov_b32 s61, 0x3fe62e42
	;; [unrolled: 1-line block ×4, first 2 shown]
	v_rcp_f64_e32 v[16:17], v[14:15]
	v_add_f64 v[22:23], v[14:15], -1.0
	v_add_u32_e32 v4, 1, v0
	v_subbrev_co_u32_e32 v1, vcc, 0, v1, vcc
	v_cmp_neq_f64_e32 vcc, 1.0, v[2:3]
	s_movk_i32 s80, 0x204
	s_mov_b32 s72, 0x652b82fe
	s_mov_b32 s73, 0x3ff71547
	v_add_f64 v[12:13], v[12:13], -v[22:23]
	s_mov_b32 s75, 0xbfe62e42
	s_mov_b32 s74, s60
	;; [unrolled: 1-line block ×6, first 2 shown]
	v_fma_f64 v[18:19], -v[14:15], v[16:17], 1.0
	s_mov_b32 s88, 0x623fde64
	s_mov_b32 s89, 0x3ec71dee
	;; [unrolled: 1-line block ×7, first 2 shown]
	v_fma_f64 v[16:17], v[18:19], v[16:17], v[16:17]
	s_mov_b32 s95, 0x3f56c16c
	s_mov_b32 s30, 0x11122322
	;; [unrolled: 1-line block ×7, first 2 shown]
	v_fma_f64 v[18:19], -v[14:15], v[16:17], 1.0
	s_mov_b32 s38, 11
	s_mov_b32 s39, 0x3fe00000
	;; [unrolled: 1-line block ×7, first 2 shown]
	v_fma_f64 v[16:17], v[18:19], v[16:17], v[16:17]
	s_mov_b32 s53, 0xc090cc00
	s_mov_b32 s54, 0
	s_brev_b32 s55, 1
	s_brev_b32 s81, -2
	s_mov_b32 s64, 0
	s_mov_b32 s83, 0
	;; [unrolled: 1-line block ×3, first 2 shown]
	v_mul_f64 v[18:19], v[20:21], v[16:17]
	s_movk_i32 s82, 0xffcb
                                        ; implicit-def: $sgpr66_sgpr67
                                        ; implicit-def: $sgpr70_sgpr71
                                        ; implicit-def: $sgpr68_sgpr69
	v_mul_f64 v[24:25], v[14:15], v[18:19]
	v_fma_f64 v[14:15], v[18:19], v[14:15], -v[24:25]
	v_fma_f64 v[12:13], v[18:19], v[12:13], v[14:15]
	v_add_f64 v[14:15], v[24:25], v[12:13]
	v_add_f64 v[22:23], v[20:21], -v[14:15]
	v_add_f64 v[24:25], v[14:15], -v[24:25]
	;; [unrolled: 1-line block ×5, first 2 shown]
	v_add_f64 v[12:13], v[12:13], v[14:15]
	v_add_f64 v[12:13], v[22:23], v[12:13]
	v_mul_f64 v[12:13], v[16:17], v[12:13]
	v_add_f64 v[14:15], v[18:19], v[12:13]
	v_add_f64 v[16:17], v[14:15], -v[18:19]
	v_mul_f64 v[18:19], v[14:15], v[14:15]
	v_add_f64 v[16:17], v[12:13], -v[16:17]
	v_fma_f64 v[12:13], v[14:15], v[14:15], -v[18:19]
	v_add_f64 v[20:21], v[16:17], v[16:17]
	v_fma_f64 v[20:21], v[14:15], v[20:21], v[12:13]
	v_mov_b32_e32 v12, 0x968915a9
	v_mov_b32_e32 v13, 0x3fba6564
	v_add_f64 v[22:23], v[18:19], v[20:21]
	v_fma_f64 v[24:25], v[22:23], s[22:23], v[12:13]
	v_add_f64 v[18:19], v[22:23], -v[18:19]
	v_mul_f64 v[30:31], v[14:15], v[22:23]
	v_fma_f64 v[24:25], v[22:23], v[24:25], s[24:25]
	v_add_f64 v[18:19], v[20:21], -v[18:19]
	v_fma_f64 v[24:25], v[22:23], v[24:25], s[26:27]
	v_fma_f64 v[24:25], v[22:23], v[24:25], s[28:29]
	;; [unrolled: 1-line block ×6, first 2 shown]
	v_mul_f64 v[26:27], v[22:23], v[24:25]
	v_fma_f64 v[20:21], v[22:23], v[24:25], -v[26:27]
	v_fma_f64 v[20:21], v[18:19], v[24:25], v[20:21]
	v_add_f64 v[24:25], v[26:27], v[20:21]
	v_add_f64 v[28:29], v[24:25], s[20:21]
	v_add_f64 v[26:27], v[24:25], -v[26:27]
	v_add_f64 v[32:33], v[28:29], s[56:57]
	v_add_f64 v[20:21], v[20:21], -v[26:27]
	v_fma_f64 v[26:27], v[22:23], v[14:15], -v[30:31]
	v_add_f64 v[24:25], v[24:25], -v[32:33]
	v_add_f64 v[20:21], v[20:21], s[58:59]
	v_fma_f64 v[22:23], v[22:23], v[16:17], v[26:27]
	v_ldexp_f64 v[16:17], v[16:17], 1
	v_add_f64 v[20:21], v[20:21], v[24:25]
	v_fma_f64 v[18:19], v[18:19], v[14:15], v[22:23]
	v_ldexp_f64 v[14:15], v[14:15], 1
	v_add_f64 v[22:23], v[28:29], v[20:21]
	v_add_f64 v[24:25], v[30:31], v[18:19]
	v_add_f64 v[26:27], v[28:29], -v[22:23]
	v_mul_f64 v[28:29], v[24:25], v[22:23]
	v_add_f64 v[30:31], v[24:25], -v[30:31]
	v_add_f64 v[20:21], v[20:21], v[26:27]
	v_fma_f64 v[26:27], v[24:25], v[22:23], -v[28:29]
	v_add_f64 v[18:19], v[18:19], -v[30:31]
	v_fma_f64 v[20:21], v[24:25], v[20:21], v[26:27]
	v_cvt_f64_i32_e32 v[26:27], v1
	v_mov_b32_e32 v1, 0xbff00000
	v_fma_f64 v[18:19], v[18:19], v[22:23], v[20:21]
	v_add_f64 v[20:21], v[28:29], v[18:19]
	v_add_f64 v[22:23], v[14:15], v[20:21]
	v_add_f64 v[24:25], v[20:21], -v[28:29]
	v_mul_f64 v[28:29], v[26:27], s[60:61]
	v_add_f64 v[14:15], v[22:23], -v[14:15]
	v_add_f64 v[18:19], v[18:19], -v[24:25]
	v_fma_f64 v[24:25], v[26:27], s[60:61], -v[28:29]
	v_add_f64 v[14:15], v[20:21], -v[14:15]
	v_add_f64 v[16:17], v[16:17], v[18:19]
	v_fma_f64 v[18:19], v[26:27], s[62:63], v[24:25]
	v_add_f64 v[14:15], v[16:17], v[14:15]
	v_add_f64 v[16:17], v[28:29], v[18:19]
	;; [unrolled: 1-line block ×3, first 2 shown]
	v_add_f64 v[28:29], v[16:17], -v[28:29]
	v_add_f64 v[24:25], v[16:17], v[20:21]
	v_add_f64 v[22:23], v[20:21], -v[22:23]
	v_add_f64 v[18:19], v[18:19], -v[28:29]
	v_add_f64 v[26:27], v[24:25], -v[16:17]
	v_add_f64 v[14:15], v[14:15], -v[22:23]
	v_add_f64 v[30:31], v[24:25], -v[26:27]
	v_add_f64 v[20:21], v[20:21], -v[26:27]
	v_add_f64 v[22:23], v[18:19], v[14:15]
	v_add_f64 v[16:17], v[16:17], -v[30:31]
	v_add_f64 v[16:17], v[20:21], v[16:17]
	v_add_f64 v[20:21], v[22:23], -v[18:19]
	;; [unrolled: 2-line block ×3, first 2 shown]
	v_add_f64 v[14:15], v[14:15], -v[20:21]
	v_add_f64 v[26:27], v[24:25], v[16:17]
	v_add_f64 v[18:19], v[18:19], -v[22:23]
	v_add_f64 v[20:21], v[26:27], -v[24:25]
	v_add_f64 v[14:15], v[14:15], v[18:19]
	v_add_f64 v[16:17], v[16:17], -v[20:21]
	v_add_f64 v[16:17], v[14:15], v[16:17]
	v_cvt_f64_i32_e32 v[14:15], v4
	v_mov_b32_e32 v4, 0x7ff00000
	v_cndmask_b32_e32 v21, v1, v15, vcc
	v_cndmask_b32_e32 v20, 0, v14, vcc
	v_add_f64 v[18:19], v[26:27], v[16:17]
	v_add_f64 v[22:23], v[18:19], -v[26:27]
	v_mul_f64 v[24:25], -v[20:21], v[18:19]
	v_add_f64 v[16:17], v[16:17], -v[22:23]
	v_fma_f64 v[18:19], -v[20:21], v[18:19], -v[24:25]
	v_cmp_class_f64_e64 vcc, v[24:25], s80
	v_fma_f64 v[16:17], -v[20:21], v[16:17], v[18:19]
	v_add_f64 v[22:23], v[24:25], v[16:17]
	v_cndmask_b32_e32 v27, v23, v25, vcc
	v_cndmask_b32_e32 v26, v22, v24, vcc
	v_mul_f64 v[18:19], v[26:27], s[72:73]
	v_add_f64 v[23:24], v[22:23], -v[24:25]
	v_cmp_neq_f64_e64 vcc, |v[26:27]|, s[48:49]
	v_cmp_nlt_f64_e64 s[4:5], s[50:51], v[26:27]
	v_cmp_ngt_f64_e64 s[6:7], s[52:53], v[26:27]
	v_mov_b32_e32 v22, 0x3ff00000
	v_rndne_f64_e32 v[28:29], v[18:19]
	v_add_f64 v[16:17], v[16:17], -v[23:24]
	v_mov_b32_e32 v23, 0x7ff80000
	v_fma_f64 v[18:19], v[28:29], s[74:75], v[26:27]
	v_cndmask_b32_e32 v17, 0, v17, vcc
	v_cndmask_b32_e32 v16, 0, v16, vcc
	s_and_b64 vcc, s[6:7], s[4:5]
	v_fma_f64 v[30:31], v[28:29], s[76:77], v[18:19]
	v_mov_b32_e32 v18, 0xfca7ab0c
	v_mov_b32_e32 v19, 0x3e928af3
	v_fma_f64 v[32:33], v[30:31], s[78:79], v[18:19]
	v_fma_f64 v[32:33], v[30:31], v[32:33], s[88:89]
	;; [unrolled: 1-line block ×9, first 2 shown]
	v_fma_f64 v[32:33], v[30:31], v[32:33], 1.0
	v_fma_f64 v[30:31], v[30:31], v[32:33], 1.0
	v_cvt_i32_f64_e32 v32, v[28:29]
	v_mul_f64 v[28:29], v[20:21], -0.5
	v_ldexp_f64 v[30:31], v[30:31], v32
	v_trunc_f64_e64 v[32:33], -v[20:21]
	v_trunc_f64_e32 v[34:35], v[28:29]
	v_cndmask_b32_e64 v24, v4, v31, s[4:5]
	v_cmp_eq_f64_e64 s[8:9], v[32:33], -v[20:21]
	v_cmp_neq_f64_e64 s[10:11], v[34:35], v[28:29]
	v_cndmask_b32_e64 v25, 0, v24, s[6:7]
	v_cndmask_b32_e32 v24, 0, v30, vcc
	v_fma_f64 v[16:17], v[24:25], v[16:17], v[24:25]
	v_cmp_class_f64_e64 vcc, v[24:25], s80
	v_cmp_eq_f64_e64 s[4:5], 0, v[2:3]
	v_cmp_lt_f64_e64 s[6:7], s[54:55], v[20:21]
	s_and_b64 s[10:11], s[8:9], s[10:11]
	v_cndmask_b32_e64 v20, v22, v3, s[10:11]
	v_cndmask_b32_e32 v17, v17, v25, vcc
	v_cndmask_b32_e32 v16, v16, v24, vcc
	v_bfi_b32 v17, s81, v17, v20
	v_cndmask_b32_e64 v20, v23, v17, s[8:9]
	v_cndmask_b32_e64 v21, 0, v16, s[8:9]
	v_cmp_gt_f64_e32 vcc, 0, v[2:3]
	v_cmp_class_f64_e64 s[8:9], v[2:3], s80
	s_xor_b64 s[6:7], s[4:5], s[6:7]
	v_cndmask_b32_e64 v24, v4, 0, s[6:7]
	v_cndmask_b32_e64 v25, 0, v3, s[10:11]
	v_bfi_b32 v24, s81, v24, v25
	v_cndmask_b32_e32 v16, v16, v21, vcc
	v_cndmask_b32_e32 v17, v17, v20, vcc
	s_or_b64 vcc, s[4:5], s[8:9]
	v_cndmask_b32_e32 v17, v17, v24, vcc
	v_cndmask_b32_e64 v16, v16, 0, vcc
	v_cmp_o_f64_e32 vcc, v[2:3], v[2:3]
	v_cndmask_b32_e32 v16, 0, v16, vcc
	v_cndmask_b32_e32 v17, v23, v17, vcc
	s_branch .LBB78_39
.LBB78_38:                              ;   in Loop: Header=BB78_39 Depth=1
	s_or_b64 exec, exec, s[4:5]
	s_and_b64 s[4:5], exec, s[70:71]
	s_or_b64 s[18:19], s[4:5], s[18:19]
	s_andn2_b64 s[4:5], s[66:67], exec
	s_and_b64 s[6:7], s[68:69], exec
	s_or_b64 s[66:67], s[4:5], s[6:7]
	s_andn2_b64 exec, exec, s[18:19]
	s_cbranch_execz .LBB78_41
.LBB78_39:                              ; =>This Inner Loop Header: Depth=1
	v_add_f64 v[2:3], v[2:3], 1.0
	s_or_b64 s[68:69], s[68:69], exec
	s_or_b64 s[70:71], s[70:71], exec
	v_frexp_mant_f64_e64 v[20:21], |v[2:3]|
	v_cmp_eq_f64_e64 s[8:9], 0, v[2:3]
	v_cmp_class_f64_e64 s[84:85], v[2:3], s80
	v_cmp_gt_f64_e32 vcc, s[20:21], v[20:21]
	v_cndmask_b32_e64 v24, 0, 1, vcc
	v_ldexp_f64 v[20:21], v[20:21], v24
	v_add_f64 v[24:25], v[20:21], 1.0
	v_add_f64 v[30:31], v[20:21], -1.0
	v_rcp_f64_e32 v[26:27], v[24:25]
	v_add_f64 v[32:33], v[24:25], -1.0
	v_add_f64 v[20:21], v[20:21], -v[32:33]
	v_fma_f64 v[28:29], -v[24:25], v[26:27], 1.0
	v_fma_f64 v[26:27], v[28:29], v[26:27], v[26:27]
	v_fma_f64 v[28:29], -v[24:25], v[26:27], 1.0
	v_fma_f64 v[26:27], v[28:29], v[26:27], v[26:27]
	v_mul_f64 v[28:29], v[30:31], v[26:27]
	v_mul_f64 v[34:35], v[24:25], v[28:29]
	v_fma_f64 v[24:25], v[28:29], v[24:25], -v[34:35]
	v_fma_f64 v[20:21], v[28:29], v[20:21], v[24:25]
	v_add_f64 v[24:25], v[34:35], v[20:21]
	v_add_f64 v[32:33], v[30:31], -v[24:25]
	v_add_f64 v[34:35], v[24:25], -v[34:35]
	;; [unrolled: 1-line block ×5, first 2 shown]
	v_add_f64 v[20:21], v[20:21], v[24:25]
	v_add_f64 v[20:21], v[32:33], v[20:21]
	v_mul_f64 v[20:21], v[26:27], v[20:21]
	v_add_f64 v[24:25], v[28:29], v[20:21]
	v_add_f64 v[26:27], v[24:25], -v[28:29]
	v_mul_f64 v[28:29], v[24:25], v[24:25]
	v_add_f64 v[20:21], v[20:21], -v[26:27]
	v_fma_f64 v[26:27], v[24:25], v[24:25], -v[28:29]
	v_add_f64 v[30:31], v[20:21], v[20:21]
	v_fma_f64 v[26:27], v[24:25], v[30:31], v[26:27]
	v_add_f64 v[30:31], v[28:29], v[26:27]
	v_fma_f64 v[32:33], v[30:31], s[22:23], v[12:13]
	v_add_f64 v[28:29], v[30:31], -v[28:29]
	v_mul_f64 v[38:39], v[24:25], v[30:31]
	v_fma_f64 v[32:33], v[30:31], v[32:33], s[24:25]
	v_add_f64 v[26:27], v[26:27], -v[28:29]
	v_fma_f64 v[32:33], v[30:31], v[32:33], s[26:27]
	v_fma_f64 v[32:33], v[30:31], v[32:33], s[28:29]
	v_fma_f64 v[32:33], v[30:31], v[32:33], s[40:41]
	v_fma_f64 v[32:33], v[30:31], v[32:33], s[42:43]
	v_fma_f64 v[32:33], v[30:31], v[32:33], s[44:45]
	v_fma_f64 v[32:33], v[30:31], v[32:33], s[46:47]
	v_mul_f64 v[34:35], v[30:31], v[32:33]
	v_fma_f64 v[28:29], v[30:31], v[32:33], -v[34:35]
	v_fma_f64 v[28:29], v[26:27], v[32:33], v[28:29]
	v_add_f64 v[32:33], v[34:35], v[28:29]
	v_add_f64 v[36:37], v[32:33], s[20:21]
	v_add_f64 v[34:35], v[32:33], -v[34:35]
	v_add_f64 v[48:49], v[36:37], s[56:57]
	v_add_f64 v[28:29], v[28:29], -v[34:35]
	v_fma_f64 v[34:35], v[30:31], v[24:25], -v[38:39]
	v_add_f64 v[32:33], v[32:33], -v[48:49]
	v_add_f64 v[28:29], v[28:29], s[58:59]
	v_fma_f64 v[30:31], v[30:31], v[20:21], v[34:35]
	v_ldexp_f64 v[20:21], v[20:21], 1
	v_add_f64 v[28:29], v[28:29], v[32:33]
	v_fma_f64 v[26:27], v[26:27], v[24:25], v[30:31]
	v_ldexp_f64 v[24:25], v[24:25], 1
	v_add_f64 v[30:31], v[36:37], v[28:29]
	v_add_f64 v[32:33], v[38:39], v[26:27]
	v_add_f64 v[34:35], v[36:37], -v[30:31]
	v_mul_f64 v[36:37], v[32:33], v[30:31]
	v_add_f64 v[38:39], v[32:33], -v[38:39]
	v_add_f64 v[28:29], v[28:29], v[34:35]
	v_fma_f64 v[34:35], v[32:33], v[30:31], -v[36:37]
	v_add_f64 v[26:27], v[26:27], -v[38:39]
	v_fma_f64 v[28:29], v[32:33], v[28:29], v[34:35]
	v_fma_f64 v[26:27], v[26:27], v[30:31], v[28:29]
	v_frexp_exp_i32_f64_e32 v30, v[2:3]
	v_add_f64 v[28:29], v[36:37], v[26:27]
	v_subbrev_co_u32_e32 v34, vcc, 0, v30, vcc
	v_cvt_f64_i32_e32 v[34:35], v34
	v_cmp_neq_f64_e32 vcc, 1.0, v[2:3]
	v_add_f64 v[30:31], v[24:25], v[28:29]
	v_add_f64 v[32:33], v[28:29], -v[36:37]
	v_mul_f64 v[36:37], v[34:35], s[60:61]
	v_add_f64 v[24:25], v[30:31], -v[24:25]
	v_add_f64 v[26:27], v[26:27], -v[32:33]
	v_fma_f64 v[32:33], v[34:35], s[60:61], -v[36:37]
	v_add_f64 v[24:25], v[28:29], -v[24:25]
	v_add_f64 v[20:21], v[20:21], v[26:27]
	v_fma_f64 v[26:27], v[34:35], s[62:63], v[32:33]
	v_add_f64 v[20:21], v[20:21], v[24:25]
	v_add_f64 v[24:25], v[36:37], v[26:27]
	;; [unrolled: 1-line block ×3, first 2 shown]
	v_add_f64 v[36:37], v[24:25], -v[36:37]
	v_add_f64 v[32:33], v[24:25], v[28:29]
	v_add_f64 v[30:31], v[28:29], -v[30:31]
	v_add_f64 v[26:27], v[26:27], -v[36:37]
	v_add_f64 v[34:35], v[32:33], -v[24:25]
	v_add_f64 v[20:21], v[20:21], -v[30:31]
	v_add_f64 v[38:39], v[32:33], -v[34:35]
	v_add_f64 v[28:29], v[28:29], -v[34:35]
	v_add_f64 v[30:31], v[26:27], v[20:21]
	v_add_f64 v[24:25], v[24:25], -v[38:39]
	v_add_f64 v[24:25], v[28:29], v[24:25]
	v_add_f64 v[28:29], v[30:31], -v[26:27]
	;; [unrolled: 2-line block ×3, first 2 shown]
	v_add_f64 v[20:21], v[20:21], -v[28:29]
	v_add_f64 v[34:35], v[32:33], v[24:25]
	v_add_f64 v[26:27], v[26:27], -v[30:31]
	v_add_f64 v[28:29], v[34:35], -v[32:33]
	v_add_f64 v[20:21], v[20:21], v[26:27]
	v_cndmask_b32_e32 v27, v1, v15, vcc
	v_cndmask_b32_e32 v26, 0, v14, vcc
	v_cmp_lt_f64_e64 s[10:11], s[54:55], v[26:27]
	v_add_f64 v[24:25], v[24:25], -v[28:29]
	v_add_f64 v[20:21], v[20:21], v[24:25]
	v_add_f64 v[24:25], v[34:35], v[20:21]
	v_add_f64 v[28:29], v[24:25], -v[34:35]
	v_mul_f64 v[30:31], -v[26:27], v[24:25]
	v_add_f64 v[20:21], v[20:21], -v[28:29]
	v_fma_f64 v[24:25], -v[26:27], v[24:25], -v[30:31]
	v_cmp_class_f64_e64 vcc, v[30:31], s80
	v_fma_f64 v[20:21], -v[26:27], v[20:21], v[24:25]
	v_add_f64 v[24:25], v[30:31], v[20:21]
	v_cndmask_b32_e32 v29, v25, v31, vcc
	v_cndmask_b32_e32 v28, v24, v30, vcc
	v_mul_f64 v[32:33], v[28:29], s[72:73]
	v_add_f64 v[24:25], v[24:25], -v[30:31]
	v_cmp_neq_f64_e64 vcc, |v[28:29]|, s[48:49]
	v_cmp_nlt_f64_e64 s[4:5], s[50:51], v[28:29]
	v_cmp_ngt_f64_e64 s[6:7], s[52:53], v[28:29]
	v_rndne_f64_e32 v[32:33], v[32:33]
	v_add_f64 v[20:21], v[20:21], -v[24:25]
	v_fma_f64 v[34:35], v[32:33], s[74:75], v[28:29]
	v_cndmask_b32_e32 v21, 0, v21, vcc
	v_cndmask_b32_e32 v20, 0, v20, vcc
	s_and_b64 vcc, s[6:7], s[4:5]
	v_fma_f64 v[34:35], v[32:33], s[76:77], v[34:35]
	v_cvt_i32_f64_e32 v32, v[32:33]
	v_fma_f64 v[36:37], v[34:35], s[78:79], v[18:19]
	v_fma_f64 v[36:37], v[34:35], v[36:37], s[88:89]
	;; [unrolled: 1-line block ×9, first 2 shown]
	v_fma_f64 v[36:37], v[34:35], v[36:37], 1.0
	v_fma_f64 v[34:35], v[34:35], v[36:37], 1.0
	v_ldexp_f64 v[30:31], v[34:35], v32
	v_mul_f64 v[32:33], v[26:27], -0.5
	v_cndmask_b32_e64 v31, v4, v31, s[4:5]
	v_cndmask_b32_e64 v29, 0, v31, s[6:7]
	v_cndmask_b32_e32 v28, 0, v30, vcc
	v_trunc_f64_e32 v[24:25], v[32:33]
	v_fma_f64 v[20:21], v[28:29], v[20:21], v[28:29]
	v_cmp_class_f64_e64 vcc, v[28:29], s80
	v_trunc_f64_e64 v[30:31], -v[26:27]
	s_xor_b64 s[4:5], s[8:9], s[10:11]
	v_cndmask_b32_e64 v34, v4, 0, s[4:5]
	v_cmp_gt_f64_e64 s[6:7], 0, v[2:3]
	v_cmp_o_f64_e64 s[10:11], v[2:3], v[2:3]
	v_cmp_neq_f64_e64 s[4:5], v[24:25], v[32:33]
	s_or_b64 s[8:9], s[8:9], s[84:85]
	v_cndmask_b32_e32 v20, v20, v28, vcc
	v_cndmask_b32_e32 v21, v21, v29, vcc
	v_cmp_eq_f64_e64 vcc, v[30:31], -v[26:27]
	v_cndmask_b32_e32 v24, 0, v20, vcc
	s_and_b64 s[4:5], vcc, s[4:5]
	v_cndmask_b32_e64 v20, v20, v24, s[6:7]
	v_cndmask_b32_e64 v24, v22, v3, s[4:5]
	;; [unrolled: 1-line block ×3, first 2 shown]
	v_bfi_b32 v21, s81, v21, v24
	v_bfi_b32 v24, s81, v34, v25
	v_cndmask_b32_e32 v25, v23, v21, vcc
	v_cndmask_b32_e64 v21, v21, v25, s[6:7]
	v_cndmask_b32_e64 v20, v20, 0, s[8:9]
	;; [unrolled: 1-line block ×5, first 2 shown]
	v_add_f64 v[16:17], v[16:17], v[20:21]
	v_ldexp_f64 v[24:25], -v[16:17], s82
	v_ldexp_f64 v[26:27], v[16:17], s82
	v_cmp_nlt_f64_e32 vcc, v[24:25], v[20:21]
	v_cmp_nlt_f64_e64 s[4:5], v[20:21], v[26:27]
	s_or_b64 s[6:7], vcc, s[4:5]
	s_and_saveexec_b64 s[4:5], s[6:7]
	s_cbranch_execz .LBB78_38
; %bb.40:                               ;   in Loop: Header=BB78_39 Depth=1
	v_cmp_nge_f64_e32 vcc, s[64:65], v[2:3]
	s_add_i32 s10, s83, 1
	s_cmp_gt_u32 s83, 7
	s_cselect_b64 s[6:7], -1, 0
	s_andn2_b64 s[8:9], s[70:71], exec
	s_andn2_b64 s[68:69], s[68:69], exec
	s_mov_b32 s83, s10
	s_and_b64 s[6:7], s[6:7], vcc
	s_and_b64 s[6:7], s[6:7], exec
	s_or_b64 s[70:71], s[8:9], s[6:7]
	s_branch .LBB78_38
.LBB78_41:
	s_or_b64 exec, exec, s[18:19]
	s_xor_b64 s[4:5], s[66:67], -1
	s_and_saveexec_b64 s[6:7], s[4:5]
	s_xor_b64 s[4:5], exec, s[6:7]
	s_cbranch_execz .LBB78_47
; %bb.42:
	v_mul_f64 v[12:13], v[2:3], v[20:21]
	s_mov_b32 s8, 0
	s_mov_b32 s9, 0x3ca00000
	s_mov_b64 s[18:19], 0
                                        ; implicit-def: $sgpr10_sgpr11
	v_div_scale_f64 v[18:19], s[6:7], v[8:9], v[8:9], v[12:13]
	v_div_scale_f64 v[26:27], vcc, v[12:13], v[8:9], v[12:13]
	s_mov_b64 s[6:7], 0
	v_rcp_f64_e32 v[22:23], v[18:19]
	v_fma_f64 v[24:25], -v[18:19], v[22:23], 1.0
	v_fma_f64 v[22:23], v[22:23], v[24:25], v[22:23]
	v_fma_f64 v[24:25], -v[18:19], v[22:23], 1.0
	v_fma_f64 v[22:23], v[22:23], v[24:25], v[22:23]
	v_mul_f64 v[24:25], v[26:27], v[22:23]
	v_fma_f64 v[18:19], -v[18:19], v[24:25], v[26:27]
	v_div_fmas_f64 v[18:19], v[18:19], v[22:23], v[24:25]
	v_div_fixup_f64 v[8:9], v[18:19], v[8:9], v[12:13]
	v_mov_b32_e32 v12, 0
	v_mov_b32_e32 v13, 0x3ff00000
	v_add_f64 v[8:9], v[16:17], v[8:9]
	v_fma_f64 v[16:17], v[20:21], -0.5, v[8:9]
	v_mov_b32_e32 v8, 0
	v_mov_b32_e32 v9, 0
	s_branch .LBB78_44
.LBB78_43:                              ;   in Loop: Header=BB78_44 Depth=1
	s_or_b64 exec, exec, s[20:21]
	s_and_b64 s[20:21], exec, s[10:11]
	s_or_b64 s[6:7], s[20:21], s[6:7]
	s_andn2_b64 exec, exec, s[6:7]
	s_cbranch_execz .LBB78_46
.LBB78_44:                              ; =>This Inner Loop Header: Depth=1
	v_div_scale_f64 v[18:19], s[20:21], v[2:3], v[2:3], v[20:21]
	s_getpc_b64 s[20:21]
	s_add_u32 s20, s20, _ZZ4zetaIdLb1EET_S0_S0_E1A@rel32@lo+4
	s_addc_u32 s21, s21, _ZZ4zetaIdLb1EET_S0_S0_E1A@rel32@hi+12
	s_add_u32 s20, s20, s18
	s_addc_u32 s21, s21, s19
	s_load_dwordx2 s[20:21], s[20:21], 0x0
	s_or_b64 s[10:11], s[10:11], exec
	v_rcp_f64_e32 v[22:23], v[18:19]
	v_fma_f64 v[24:25], -v[18:19], v[22:23], 1.0
	v_fma_f64 v[22:23], v[22:23], v[24:25], v[22:23]
	v_div_scale_f64 v[24:25], vcc, v[20:21], v[2:3], v[20:21]
	v_fma_f64 v[26:27], -v[18:19], v[22:23], 1.0
	v_fma_f64 v[22:23], v[22:23], v[26:27], v[22:23]
	v_mul_f64 v[26:27], v[24:25], v[22:23]
	v_fma_f64 v[18:19], -v[18:19], v[26:27], v[24:25]
	v_div_fmas_f64 v[22:23], v[18:19], v[22:23], v[26:27]
	v_add_f64 v[18:19], v[8:9], v[14:15]
	v_mul_f64 v[18:19], v[12:13], v[18:19]
	v_div_fixup_f64 v[22:23], v[22:23], v[2:3], v[20:21]
	v_mul_f64 v[12:13], v[22:23], v[18:19]
	s_waitcnt lgkmcnt(0)
	v_div_scale_f64 v[20:21], s[22:23], s[20:21], s[20:21], v[12:13]
	v_rcp_f64_e32 v[24:25], v[20:21]
	v_fma_f64 v[26:27], -v[20:21], v[24:25], 1.0
	v_fma_f64 v[24:25], v[24:25], v[26:27], v[24:25]
	v_div_scale_f64 v[26:27], vcc, v[12:13], s[20:21], v[12:13]
	v_fma_f64 v[28:29], -v[20:21], v[24:25], 1.0
	v_fma_f64 v[24:25], v[24:25], v[28:29], v[24:25]
	v_mul_f64 v[28:29], v[26:27], v[24:25]
	v_fma_f64 v[20:21], -v[20:21], v[28:29], v[26:27]
	v_div_fmas_f64 v[20:21], v[20:21], v[24:25], v[28:29]
	v_div_fixup_f64 v[12:13], v[20:21], s[20:21], v[12:13]
	v_add_f64 v[16:17], v[16:17], v[12:13]
	v_div_scale_f64 v[20:21], s[20:21], v[16:17], v[16:17], v[12:13]
	v_div_scale_f64 v[28:29], vcc, v[12:13], v[16:17], v[12:13]
	v_rcp_f64_e32 v[24:25], v[20:21]
	v_fma_f64 v[26:27], -v[20:21], v[24:25], 1.0
	v_fma_f64 v[24:25], v[24:25], v[26:27], v[24:25]
	v_fma_f64 v[26:27], -v[20:21], v[24:25], 1.0
	v_fma_f64 v[24:25], v[24:25], v[26:27], v[24:25]
	v_mul_f64 v[26:27], v[28:29], v[24:25]
	v_fma_f64 v[20:21], -v[20:21], v[26:27], v[28:29]
	v_div_fmas_f64 v[20:21], v[20:21], v[24:25], v[26:27]
	v_div_fixup_f64 v[12:13], v[20:21], v[16:17], v[12:13]
                                        ; implicit-def: $vgpr20_vgpr21
	v_cmp_nlt_f64_e64 s[22:23], |v[12:13]|, s[8:9]
                                        ; implicit-def: $vgpr12_vgpr13
	s_and_saveexec_b64 s[20:21], s[22:23]
	s_cbranch_execz .LBB78_43
; %bb.45:                               ;   in Loop: Header=BB78_44 Depth=1
	v_div_scale_f64 v[12:13], s[22:23], v[2:3], v[2:3], v[22:23]
	v_add_f64 v[8:9], v[8:9], 1.0
	s_add_u32 s18, s18, 8
	s_addc_u32 s19, s19, 0
	s_cmpk_eq_i32 s18, 0x60
	s_cselect_b64 s[22:23], -1, 0
	s_andn2_b64 s[10:11], s[10:11], exec
	s_and_b64 s[22:23], s[22:23], exec
	s_or_b64 s[10:11], s[10:11], s[22:23]
	v_rcp_f64_e32 v[20:21], v[12:13]
	v_fma_f64 v[24:25], -v[12:13], v[20:21], 1.0
	v_fma_f64 v[20:21], v[20:21], v[24:25], v[20:21]
	v_div_scale_f64 v[24:25], vcc, v[22:23], v[2:3], v[22:23]
	v_fma_f64 v[26:27], -v[12:13], v[20:21], 1.0
	v_fma_f64 v[20:21], v[20:21], v[26:27], v[20:21]
	v_mul_f64 v[26:27], v[24:25], v[20:21]
	v_fma_f64 v[12:13], -v[12:13], v[26:27], v[24:25]
	v_div_fmas_f64 v[20:21], v[12:13], v[20:21], v[26:27]
	v_add_f64 v[12:13], v[8:9], v[14:15]
	v_add_f64 v[8:9], v[8:9], 1.0
	v_mul_f64 v[12:13], v[12:13], v[18:19]
	v_div_fixup_f64 v[20:21], v[20:21], v[2:3], v[22:23]
	s_branch .LBB78_43
.LBB78_46:
	s_or_b64 exec, exec, s[6:7]
.LBB78_47:
	s_or_b64 exec, exec, s[4:5]
.LBB78_48:
	s_or_b64 exec, exec, s[16:17]
.LBB78_49:
	s_or_b64 exec, exec, s[14:15]
.LBB78_50:
	s_or_b64 exec, exec, s[12:13]
	v_mov_b32_e32 v1, 0x244
	v_cmp_gt_f64_e32 vcc, 0, v[6:7]
	v_cmp_class_f64_e64 s[4:5], v[6:7], v1
	s_mov_b32 s6, 0x432fffff
	v_cmp_lt_u32_e64 s[6:7], s6, v5
	v_mov_b32_e32 v9, 0x7ff00000
	s_mov_b32 s8, 0x652b82fe
	s_mov_b32 s9, 0x3ff71547
	v_mov_b32_e32 v7, 0xfca7ab0c
	s_and_b64 s[6:7], vcc, s[6:7]
	s_or_b64 vcc, s[4:5], s[6:7]
	v_cndmask_b32_e32 v2, v11, v9, vcc
	v_cndmask_b32_e64 v1, v10, 0, vcc
	v_mul_f64 v[3:4], v[1:2], s[8:9]
	s_mov_b32 s4, 0xfefa39ef
	s_mov_b32 s5, 0xbfe62e42
	v_mov_b32_e32 v8, 0x3e928af3
	s_mov_b32 s6, 0
	s_mov_b32 s7, 0xc090cc00
	v_and_b32_e32 v0, 1, v0
	v_readlane_b32 s30, v40, 28
	v_rndne_f64_e32 v[3:4], v[3:4]
	v_readlane_b32 s31, v40, 29
	v_readlane_b32 s85, v40, 27
	;; [unrolled: 1-line block ×7, first 2 shown]
	v_fma_f64 v[5:6], v[3:4], s[4:5], v[1:2]
	s_mov_b32 s4, 0x3b39803f
	s_mov_b32 s5, 0xbc7abc9e
	v_readlane_b32 s71, v40, 21
	v_readlane_b32 s70, v40, 20
	;; [unrolled: 1-line block ×5, first 2 shown]
	v_fma_f64 v[5:6], v[3:4], s[4:5], v[5:6]
	s_mov_b32 s4, 0x6a5dcb37
	s_mov_b32 s5, 0x3e5ade15
	v_cvt_i32_f64_e32 v3, v[3:4]
	v_readlane_b32 s66, v40, 16
	v_readlane_b32 s65, v40, 15
	v_readlane_b32 s64, v40, 14
	v_readlane_b32 s55, v40, 13
	v_fma_f64 v[7:8], v[5:6], s[4:5], v[7:8]
	s_mov_b32 s4, 0x623fde64
	s_mov_b32 s5, 0x3ec71dee
	v_readlane_b32 s54, v40, 12
	v_readlane_b32 s53, v40, 11
	v_readlane_b32 s52, v40, 10
	v_readlane_b32 s51, v40, 9
	v_readlane_b32 s50, v40, 8
	v_fma_f64 v[7:8], v[5:6], v[7:8], s[4:5]
	s_mov_b32 s4, 0x7c89e6b0
	s_mov_b32 s5, 0x3efa0199
	v_readlane_b32 s49, v40, 7
	;; [unrolled: 8-line block ×3, first 2 shown]
	v_readlane_b32 s35, v40, 1
	v_readlane_b32 s34, v40, 0
	v_fma_f64 v[7:8], v[5:6], v[7:8], s[4:5]
	s_mov_b32 s4, 0x1852b7b0
	s_mov_b32 s5, 0x3f56c16c
	v_fma_f64 v[7:8], v[5:6], v[7:8], s[4:5]
	s_mov_b32 s4, 0x11122322
	s_mov_b32 s5, 0x3f811111
	;; [unrolled: 3-line block ×6, first 2 shown]
	v_cmp_nlt_f64_e32 vcc, s[4:5], v[1:2]
	v_cmp_ngt_f64_e64 s[4:5], s[6:7], v[1:2]
	v_cmp_eq_u32_e64 s[6:7], 0, v0
	v_fma_f64 v[7:8], v[5:6], v[7:8], 1.0
	v_fma_f64 v[5:6], v[5:6], v[7:8], 1.0
	v_ldexp_f64 v[3:4], v[5:6], v3
	v_cndmask_b32_e32 v4, v9, v4, vcc
	v_cndmask_b32_e64 v1, 0, v4, s[4:5]
	v_xor_b32_e32 v2, 0x80000000, v1
	s_and_b64 vcc, s[4:5], vcc
	v_cndmask_b32_e64 v1, v1, v2, s[6:7]
	v_cndmask_b32_e32 v0, 0, v3, vcc
	v_mul_f64 v[0:1], v[0:1], v[16:17]
	s_or_saveexec_b64 s[4:5], -1
	buffer_load_dword v40, off, s[0:3], s32 ; 4-byte Folded Reload
	s_mov_b64 exec, s[4:5]
	s_waitcnt vmcnt(0)
	s_setpc_b64 s[30:31]
.Lfunc_end78:
	.size	_ZZZZN2at6native21polygamma_kernel_cudaERNS_18TensorIteratorBaseElENKUlvE_clEvENKUlvE_clEvENKUldE_clEd, .Lfunc_end78-_ZZZZN2at6native21polygamma_kernel_cudaERNS_18TensorIteratorBaseElENKUlvE_clEvENKUlvE_clEvENKUldE_clEd
                                        ; -- End function
	.set .L_ZZZZN2at6native21polygamma_kernel_cudaERNS_18TensorIteratorBaseElENKUlvE_clEvENKUlvE_clEvENKUldE_clEd.num_vgpr, 50
	.set .L_ZZZZN2at6native21polygamma_kernel_cudaERNS_18TensorIteratorBaseElENKUlvE_clEvENKUlvE_clEvENKUldE_clEd.num_agpr, 0
	.set .L_ZZZZN2at6native21polygamma_kernel_cudaERNS_18TensorIteratorBaseElENKUlvE_clEvENKUlvE_clEvENKUldE_clEd.numbered_sgpr, 96
	.set .L_ZZZZN2at6native21polygamma_kernel_cudaERNS_18TensorIteratorBaseElENKUlvE_clEvENKUlvE_clEvENKUldE_clEd.num_named_barrier, 0
	.set .L_ZZZZN2at6native21polygamma_kernel_cudaERNS_18TensorIteratorBaseElENKUlvE_clEvENKUlvE_clEvENKUldE_clEd.private_seg_size, 8
	.set .L_ZZZZN2at6native21polygamma_kernel_cudaERNS_18TensorIteratorBaseElENKUlvE_clEvENKUlvE_clEvENKUldE_clEd.uses_vcc, 1
	.set .L_ZZZZN2at6native21polygamma_kernel_cudaERNS_18TensorIteratorBaseElENKUlvE_clEvENKUlvE_clEvENKUldE_clEd.uses_flat_scratch, 0
	.set .L_ZZZZN2at6native21polygamma_kernel_cudaERNS_18TensorIteratorBaseElENKUlvE_clEvENKUlvE_clEvENKUldE_clEd.has_dyn_sized_stack, 0
	.set .L_ZZZZN2at6native21polygamma_kernel_cudaERNS_18TensorIteratorBaseElENKUlvE_clEvENKUlvE_clEvENKUldE_clEd.has_recursion, 0
	.set .L_ZZZZN2at6native21polygamma_kernel_cudaERNS_18TensorIteratorBaseElENKUlvE_clEvENKUlvE_clEvENKUldE_clEd.has_indirect_call, 0
	.section	.AMDGPU.csdata,"",@progbits
; Function info:
; codeLenInByte = 13184
; TotalNumSgprs: 100
; NumVgprs: 50
; ScratchSize: 8
; MemoryBound: 0
	.section	.text._ZN2at6native29vectorized_elementwise_kernelILi16EZZZNS0_21polygamma_kernel_cudaERNS_18TensorIteratorBaseElENKUlvE_clEvENKUlvE_clEvEUldE_St5arrayIPcLm2EEEEviT0_T1_,"axG",@progbits,_ZN2at6native29vectorized_elementwise_kernelILi16EZZZNS0_21polygamma_kernel_cudaERNS_18TensorIteratorBaseElENKUlvE_clEvENKUlvE_clEvEUldE_St5arrayIPcLm2EEEEviT0_T1_,comdat
	.globl	_ZN2at6native29vectorized_elementwise_kernelILi16EZZZNS0_21polygamma_kernel_cudaERNS_18TensorIteratorBaseElENKUlvE_clEvENKUlvE_clEvEUldE_St5arrayIPcLm2EEEEviT0_T1_ ; -- Begin function _ZN2at6native29vectorized_elementwise_kernelILi16EZZZNS0_21polygamma_kernel_cudaERNS_18TensorIteratorBaseElENKUlvE_clEvENKUlvE_clEvEUldE_St5arrayIPcLm2EEEEviT0_T1_
	.p2align	8
	.type	_ZN2at6native29vectorized_elementwise_kernelILi16EZZZNS0_21polygamma_kernel_cudaERNS_18TensorIteratorBaseElENKUlvE_clEvENKUlvE_clEvEUldE_St5arrayIPcLm2EEEEviT0_T1_,@function
_ZN2at6native29vectorized_elementwise_kernelILi16EZZZNS0_21polygamma_kernel_cudaERNS_18TensorIteratorBaseElENKUlvE_clEvENKUlvE_clEvEUldE_St5arrayIPcLm2EEEEviT0_T1_: ; @_ZN2at6native29vectorized_elementwise_kernelILi16EZZZNS0_21polygamma_kernel_cudaERNS_18TensorIteratorBaseElENKUlvE_clEvENKUlvE_clEvEUldE_St5arrayIPcLm2EEEEviT0_T1_
; %bb.0:
	s_add_u32 s0, s0, s7
	s_load_dword s7, s[4:5], 0x0
	s_load_dwordx4 s[96:99], s[4:5], 0x8
	s_load_dwordx2 s[10:11], s[4:5], 0x18
	s_addc_u32 s1, s1, 0
	s_lshl_b32 s8, s6, 10
	s_waitcnt lgkmcnt(0)
	s_sub_i32 s33, s7, s8
	v_mov_b32_e32 v47, v0
	s_cmpk_gt_i32 s33, 0x3ff
	s_mov_b64 s[4:5], -1
	s_mov_b32 s32, 0
                                        ; implicit-def: $vgpr61 : SGPR spill to VGPR lane
	s_cbranch_scc0 .LBB79_2
; %bb.1:
	s_ashr_i32 s9, s8, 31
	v_writelane_b32 v61, s8, 2
	v_writelane_b32 v61, s9, 3
	s_lshl_b64 s[4:5], s[8:9], 3
	v_writelane_b32 v61, s4, 4
	v_writelane_b32 v61, s5, 5
	s_add_u32 s4, s10, s4
	s_addc_u32 s5, s11, s5
	v_lshlrev_b32_e32 v45, 5, v47
	s_nop 0
	global_load_dwordx4 v[41:44], v45, s[4:5]
	global_load_dwordx4 v[50:53], v45, s[4:5] offset:16
	s_getpc_b64 s[86:87]
	s_add_u32 s86, s86, _ZZZZN2at6native21polygamma_kernel_cudaERNS_18TensorIteratorBaseElENKUlvE_clEvENKUlvE_clEvENKUldE_clEd@rel32@lo+4
	s_addc_u32 s87, s87, _ZZZZN2at6native21polygamma_kernel_cudaERNS_18TensorIteratorBaseElENKUlvE_clEvENKUlvE_clEvENKUldE_clEd@rel32@hi+12
	v_mov_b32_e32 v0, s96
	v_mov_b32_e32 v1, s97
	v_writelane_b32 v61, s10, 0
	v_writelane_b32 v61, s11, 1
	s_waitcnt vmcnt(1)
	v_mov_b32_e32 v2, v41
	v_mov_b32_e32 v3, v42
	s_swappc_b64 s[30:31], s[86:87]
	v_mov_b32_e32 v41, v0
	v_mov_b32_e32 v42, v1
	v_mov_b32_e32 v0, s96
	v_mov_b32_e32 v1, s97
	v_mov_b32_e32 v2, v43
	v_mov_b32_e32 v3, v44
	s_swappc_b64 s[30:31], s[86:87]
	v_mov_b32_e32 v43, v0
	v_mov_b32_e32 v44, v1
	v_mov_b32_e32 v0, s96
	v_mov_b32_e32 v1, s97
	;; [unrolled: 7-line block ×3, first 2 shown]
	v_mov_b32_e32 v2, v52
	v_mov_b32_e32 v3, v53
	s_swappc_b64 s[30:31], s[86:87]
	v_readlane_b32 s4, v61, 4
	v_readlane_b32 s5, v61, 5
	s_add_u32 s4, s98, s4
	v_readlane_b32 s10, v61, 0
	v_readlane_b32 s8, v61, 2
	s_addc_u32 s5, s99, s5
	v_readlane_b32 s11, v61, 1
	v_readlane_b32 s9, v61, 3
	v_mov_b32_e32 v52, v0
	v_mov_b32_e32 v53, v1
	global_store_dwordx4 v45, v[41:44], s[4:5]
	global_store_dwordx4 v45, v[50:53], s[4:5] offset:16
	s_mov_b64 s[4:5], 0
.LBB79_2:
	s_andn2_b64 vcc, exec, s[4:5]
	s_cbranch_vccnz .LBB79_24
; %bb.3:
	v_mov_b32_e32 v43, 0
	v_mov_b32_e32 v2, 0
	;; [unrolled: 1-line block ×3, first 2 shown]
	v_or_b32_e32 v58, s8, v47
	v_mov_b32_e32 v3, 0
	v_mov_b32_e32 v0, v47
	v_cmp_gt_i32_e64 s[6:7], s33, v47
	s_mov_b64 s[4:5], exec
	v_writelane_b32 v61, s6, 0
	v_writelane_b32 v61, s7, 1
	s_and_b64 s[6:7], s[4:5], s[6:7]
	s_mov_b64 exec, s[6:7]
	s_cbranch_execz .LBB79_5
; %bb.4:
	v_mov_b32_e32 v59, 0
	v_lshlrev_b64 v[0:1], 3, v[58:59]
	v_mov_b32_e32 v2, s11
	v_add_co_u32_e32 v0, vcc, s10, v0
	v_addc_co_u32_e32 v1, vcc, v2, v1, vcc
	global_load_dwordx2 v[2:3], v[0:1], off
	v_or_b32_e32 v0, 0x100, v47
.LBB79_5:
	s_or_b64 exec, exec, s[4:5]
	v_cmp_gt_i32_e32 vcc, s33, v0
	s_and_saveexec_b64 s[4:5], vcc
	s_cbranch_execz .LBB79_7
; %bb.6:
	v_add_u32_e32 v4, s8, v0
	v_mov_b32_e32 v5, 0
	v_lshlrev_b64 v[4:5], 3, v[4:5]
	v_mov_b32_e32 v1, s11
	v_add_co_u32_e32 v4, vcc, s10, v4
	v_addc_co_u32_e32 v5, vcc, v1, v5, vcc
	global_load_dwordx2 v[43:44], v[4:5], off
	v_add_u32_e32 v0, 0x100, v0
.LBB79_7:
	s_or_b64 exec, exec, s[4:5]
	v_mov_b32_e32 v41, 0
	v_mov_b32_e32 v45, 0
	;; [unrolled: 1-line block ×4, first 2 shown]
	v_cmp_gt_i32_e32 vcc, s33, v0
	s_and_saveexec_b64 s[4:5], vcc
	s_cbranch_execz .LBB79_9
; %bb.8:
	v_add_u32_e32 v4, s8, v0
	v_mov_b32_e32 v5, 0
	v_lshlrev_b64 v[4:5], 3, v[4:5]
	v_mov_b32_e32 v1, s11
	v_add_co_u32_e32 v4, vcc, s10, v4
	v_addc_co_u32_e32 v5, vcc, v1, v5, vcc
	global_load_dwordx2 v[45:46], v[4:5], off
	v_add_u32_e32 v0, 0x100, v0
.LBB79_9:
	s_or_b64 exec, exec, s[4:5]
	v_cmp_gt_i32_e32 vcc, s33, v0
	s_and_saveexec_b64 s[4:5], vcc
	s_cbranch_execz .LBB79_11
; %bb.10:
	v_add_u32_e32 v0, s8, v0
	v_mov_b32_e32 v1, 0
	v_lshlrev_b64 v[0:1], 3, v[0:1]
	v_mov_b32_e32 v4, s11
	v_add_co_u32_e32 v0, vcc, s10, v0
	v_addc_co_u32_e32 v1, vcc, v4, v1, vcc
	global_load_dwordx2 v[41:42], v[0:1], off
.LBB79_11:
	s_or_b64 exec, exec, s[4:5]
	v_mov_b32_e32 v50, 0
	v_mov_b32_e32 v51, v50
	;; [unrolled: 1-line block ×8, first 2 shown]
	s_mov_b64 s[86:87], exec
	v_readlane_b32 s4, v61, 0
	v_readlane_b32 s5, v61, 1
	s_mov_b32 s6, s8
	s_and_b64 s[4:5], s[86:87], s[4:5]
	v_writelane_b32 v61, s6, 2
	v_writelane_b32 v61, s7, 3
	s_mov_b64 exec, s[4:5]
	s_cbranch_execz .LBB79_13
; %bb.12:
	s_getpc_b64 s[4:5]
	s_add_u32 s4, s4, _ZZZZN2at6native21polygamma_kernel_cudaERNS_18TensorIteratorBaseElENKUlvE_clEvENKUlvE_clEvENKUldE_clEd@rel32@lo+4
	s_addc_u32 s5, s5, _ZZZZN2at6native21polygamma_kernel_cudaERNS_18TensorIteratorBaseElENKUlvE_clEvENKUlvE_clEvENKUldE_clEd@rel32@hi+12
	v_mov_b32_e32 v0, s96
	v_mov_b32_e32 v1, s97
	s_swappc_b64 s[30:31], s[4:5]
	v_mov_b32_e32 v7, v50
	v_mov_b32_e32 v2, v50
	;; [unrolled: 1-line block ×7, first 2 shown]
	v_readlane_b32 s8, v61, 2
	v_mov_b32_e32 v56, v6
	v_mov_b32_e32 v55, v5
	;; [unrolled: 1-line block ×7, first 2 shown]
	v_readlane_b32 s9, v61, 3
.LBB79_13:
	s_or_b64 exec, exec, s[86:87]
	v_or_b32_e32 v60, 0x100, v47
	v_cmp_gt_i32_e32 vcc, s33, v60
	s_and_saveexec_b64 s[86:87], vcc
	s_cbranch_execz .LBB79_15
; %bb.14:
	s_getpc_b64 s[4:5]
	s_add_u32 s4, s4, _ZZZZN2at6native21polygamma_kernel_cudaERNS_18TensorIteratorBaseElENKUlvE_clEvENKUlvE_clEvENKUldE_clEd@rel32@lo+4
	s_addc_u32 s5, s5, _ZZZZN2at6native21polygamma_kernel_cudaERNS_18TensorIteratorBaseElENKUlvE_clEvENKUlvE_clEvENKUldE_clEd@rel32@hi+12
	v_mov_b32_e32 v0, s96
	v_mov_b32_e32 v1, s97
	s_waitcnt vmcnt(0)
	v_mov_b32_e32 v2, v43
	v_mov_b32_e32 v3, v44
	s_swappc_b64 s[30:31], s[4:5]
	v_readlane_b32 s8, v61, 2
	v_mov_b32_e32 v52, v0
	v_mov_b32_e32 v53, v1
	v_readlane_b32 s9, v61, 3
.LBB79_15:
	s_or_b64 exec, exec, s[86:87]
	v_or_b32_e32 v0, 0x200, v47
	v_cmp_gt_i32_e32 vcc, s33, v0
	s_and_saveexec_b64 s[86:87], vcc
	s_cbranch_execz .LBB79_17
; %bb.16:
	s_getpc_b64 s[4:5]
	s_add_u32 s4, s4, _ZZZZN2at6native21polygamma_kernel_cudaERNS_18TensorIteratorBaseElENKUlvE_clEvENKUlvE_clEvENKUldE_clEd@rel32@lo+4
	s_addc_u32 s5, s5, _ZZZZN2at6native21polygamma_kernel_cudaERNS_18TensorIteratorBaseElENKUlvE_clEvENKUlvE_clEvENKUldE_clEd@rel32@hi+12
	v_mov_b32_e32 v0, s96
	v_mov_b32_e32 v1, s97
	s_waitcnt vmcnt(0)
	v_mov_b32_e32 v2, v45
	v_mov_b32_e32 v3, v46
	s_swappc_b64 s[30:31], s[4:5]
	v_readlane_b32 s8, v61, 2
	v_mov_b32_e32 v54, v0
	v_mov_b32_e32 v55, v1
	v_readlane_b32 s9, v61, 3
.LBB79_17:
	;; [unrolled: 20-line block ×3, first 2 shown]
	s_or_b64 exec, exec, s[86:87]
	s_mov_b64 s[4:5], exec
	v_readlane_b32 s6, v61, 0
	v_readlane_b32 s7, v61, 1
	s_and_b64 s[6:7], s[4:5], s[6:7]
	s_xor_b64 s[4:5], s[6:7], s[4:5]
	s_mov_b64 exec, s[6:7]
	s_cbranch_execnz .LBB79_25
; %bb.20:
	s_or_b64 exec, exec, s[4:5]
	v_cmp_gt_i32_e32 vcc, s33, v47
	s_and_saveexec_b64 s[4:5], vcc
	s_cbranch_execnz .LBB79_26
.LBB79_21:
	s_or_b64 exec, exec, s[4:5]
	v_cmp_gt_i32_e32 vcc, s33, v47
	s_and_saveexec_b64 s[4:5], vcc
	s_cbranch_execnz .LBB79_27
.LBB79_22:
	s_or_b64 exec, exec, s[4:5]
	v_cmp_gt_i32_e32 vcc, s33, v47
	s_and_saveexec_b64 s[4:5], vcc
	s_cbranch_execz .LBB79_24
.LBB79_23:
	v_add_u32_e32 v0, s8, v47
	v_mov_b32_e32 v1, 0
	v_lshlrev_b64 v[0:1], 3, v[0:1]
	s_waitcnt vmcnt(0)
	v_mov_b32_e32 v2, s99
	v_add_co_u32_e32 v0, vcc, s98, v0
	v_addc_co_u32_e32 v1, vcc, v2, v1, vcc
	global_store_dwordx2 v[0:1], v[56:57], off
.LBB79_24:
	s_endpgm
.LBB79_25:
	v_mov_b32_e32 v59, 0
	v_lshlrev_b64 v[0:1], 3, v[58:59]
	s_waitcnt vmcnt(0)
	v_mov_b32_e32 v2, s99
	v_add_co_u32_e32 v0, vcc, s98, v0
	v_addc_co_u32_e32 v1, vcc, v2, v1, vcc
	v_mov_b32_e32 v47, v60
	global_store_dwordx2 v[0:1], v[50:51], off
	s_or_b64 exec, exec, s[4:5]
	v_cmp_gt_i32_e32 vcc, s33, v47
	s_and_saveexec_b64 s[4:5], vcc
	s_cbranch_execz .LBB79_21
.LBB79_26:
	v_add_u32_e32 v0, s8, v47
	v_mov_b32_e32 v1, 0
	v_lshlrev_b64 v[0:1], 3, v[0:1]
	s_waitcnt vmcnt(0)
	v_mov_b32_e32 v2, s99
	v_add_co_u32_e32 v0, vcc, s98, v0
	v_addc_co_u32_e32 v1, vcc, v2, v1, vcc
	v_add_u32_e32 v47, 0x100, v47
	global_store_dwordx2 v[0:1], v[52:53], off
	s_or_b64 exec, exec, s[4:5]
	v_cmp_gt_i32_e32 vcc, s33, v47
	s_and_saveexec_b64 s[4:5], vcc
	s_cbranch_execz .LBB79_22
.LBB79_27:
	v_add_u32_e32 v0, s8, v47
	v_mov_b32_e32 v1, 0
	v_lshlrev_b64 v[0:1], 3, v[0:1]
	s_waitcnt vmcnt(0)
	v_mov_b32_e32 v2, s99
	v_add_co_u32_e32 v0, vcc, s98, v0
	v_addc_co_u32_e32 v1, vcc, v2, v1, vcc
	v_add_u32_e32 v47, 0x100, v47
	global_store_dwordx2 v[0:1], v[54:55], off
	s_or_b64 exec, exec, s[4:5]
	v_cmp_gt_i32_e32 vcc, s33, v47
	s_and_saveexec_b64 s[4:5], vcc
	s_cbranch_execnz .LBB79_23
	s_branch .LBB79_24
	.section	.rodata,"a",@progbits
	.p2align	6, 0x0
	.amdhsa_kernel _ZN2at6native29vectorized_elementwise_kernelILi16EZZZNS0_21polygamma_kernel_cudaERNS_18TensorIteratorBaseElENKUlvE_clEvENKUlvE_clEvEUldE_St5arrayIPcLm2EEEEviT0_T1_
		.amdhsa_group_segment_fixed_size 0
		.amdhsa_private_segment_fixed_size 8
		.amdhsa_kernarg_size 32
		.amdhsa_user_sgpr_count 6
		.amdhsa_user_sgpr_private_segment_buffer 1
		.amdhsa_user_sgpr_dispatch_ptr 0
		.amdhsa_user_sgpr_queue_ptr 0
		.amdhsa_user_sgpr_kernarg_segment_ptr 1
		.amdhsa_user_sgpr_dispatch_id 0
		.amdhsa_user_sgpr_flat_scratch_init 0
		.amdhsa_user_sgpr_private_segment_size 0
		.amdhsa_uses_dynamic_stack 0
		.amdhsa_system_sgpr_private_segment_wavefront_offset 1
		.amdhsa_system_sgpr_workgroup_id_x 1
		.amdhsa_system_sgpr_workgroup_id_y 0
		.amdhsa_system_sgpr_workgroup_id_z 0
		.amdhsa_system_sgpr_workgroup_info 0
		.amdhsa_system_vgpr_workitem_id 0
		.amdhsa_next_free_vgpr 62
		.amdhsa_next_free_sgpr 100
		.amdhsa_reserve_vcc 1
		.amdhsa_reserve_flat_scratch 0
		.amdhsa_float_round_mode_32 0
		.amdhsa_float_round_mode_16_64 0
		.amdhsa_float_denorm_mode_32 3
		.amdhsa_float_denorm_mode_16_64 3
		.amdhsa_dx10_clamp 1
		.amdhsa_ieee_mode 1
		.amdhsa_fp16_overflow 0
		.amdhsa_exception_fp_ieee_invalid_op 0
		.amdhsa_exception_fp_denorm_src 0
		.amdhsa_exception_fp_ieee_div_zero 0
		.amdhsa_exception_fp_ieee_overflow 0
		.amdhsa_exception_fp_ieee_underflow 0
		.amdhsa_exception_fp_ieee_inexact 0
		.amdhsa_exception_int_div_zero 0
	.end_amdhsa_kernel
	.section	.text._ZN2at6native29vectorized_elementwise_kernelILi16EZZZNS0_21polygamma_kernel_cudaERNS_18TensorIteratorBaseElENKUlvE_clEvENKUlvE_clEvEUldE_St5arrayIPcLm2EEEEviT0_T1_,"axG",@progbits,_ZN2at6native29vectorized_elementwise_kernelILi16EZZZNS0_21polygamma_kernel_cudaERNS_18TensorIteratorBaseElENKUlvE_clEvENKUlvE_clEvEUldE_St5arrayIPcLm2EEEEviT0_T1_,comdat
.Lfunc_end79:
	.size	_ZN2at6native29vectorized_elementwise_kernelILi16EZZZNS0_21polygamma_kernel_cudaERNS_18TensorIteratorBaseElENKUlvE_clEvENKUlvE_clEvEUldE_St5arrayIPcLm2EEEEviT0_T1_, .Lfunc_end79-_ZN2at6native29vectorized_elementwise_kernelILi16EZZZNS0_21polygamma_kernel_cudaERNS_18TensorIteratorBaseElENKUlvE_clEvENKUlvE_clEvEUldE_St5arrayIPcLm2EEEEviT0_T1_
                                        ; -- End function
	.set _ZN2at6native29vectorized_elementwise_kernelILi16EZZZNS0_21polygamma_kernel_cudaERNS_18TensorIteratorBaseElENKUlvE_clEvENKUlvE_clEvEUldE_St5arrayIPcLm2EEEEviT0_T1_.num_vgpr, max(62, .L_ZZZZN2at6native21polygamma_kernel_cudaERNS_18TensorIteratorBaseElENKUlvE_clEvENKUlvE_clEvENKUldE_clEd.num_vgpr)
	.set _ZN2at6native29vectorized_elementwise_kernelILi16EZZZNS0_21polygamma_kernel_cudaERNS_18TensorIteratorBaseElENKUlvE_clEvENKUlvE_clEvEUldE_St5arrayIPcLm2EEEEviT0_T1_.num_agpr, max(0, .L_ZZZZN2at6native21polygamma_kernel_cudaERNS_18TensorIteratorBaseElENKUlvE_clEvENKUlvE_clEvENKUldE_clEd.num_agpr)
	.set _ZN2at6native29vectorized_elementwise_kernelILi16EZZZNS0_21polygamma_kernel_cudaERNS_18TensorIteratorBaseElENKUlvE_clEvENKUlvE_clEvEUldE_St5arrayIPcLm2EEEEviT0_T1_.numbered_sgpr, max(100, .L_ZZZZN2at6native21polygamma_kernel_cudaERNS_18TensorIteratorBaseElENKUlvE_clEvENKUlvE_clEvENKUldE_clEd.numbered_sgpr)
	.set _ZN2at6native29vectorized_elementwise_kernelILi16EZZZNS0_21polygamma_kernel_cudaERNS_18TensorIteratorBaseElENKUlvE_clEvENKUlvE_clEvEUldE_St5arrayIPcLm2EEEEviT0_T1_.num_named_barrier, max(0, .L_ZZZZN2at6native21polygamma_kernel_cudaERNS_18TensorIteratorBaseElENKUlvE_clEvENKUlvE_clEvENKUldE_clEd.num_named_barrier)
	.set _ZN2at6native29vectorized_elementwise_kernelILi16EZZZNS0_21polygamma_kernel_cudaERNS_18TensorIteratorBaseElENKUlvE_clEvENKUlvE_clEvEUldE_St5arrayIPcLm2EEEEviT0_T1_.private_seg_size, 0+max(.L_ZZZZN2at6native21polygamma_kernel_cudaERNS_18TensorIteratorBaseElENKUlvE_clEvENKUlvE_clEvENKUldE_clEd.private_seg_size)
	.set _ZN2at6native29vectorized_elementwise_kernelILi16EZZZNS0_21polygamma_kernel_cudaERNS_18TensorIteratorBaseElENKUlvE_clEvENKUlvE_clEvEUldE_St5arrayIPcLm2EEEEviT0_T1_.uses_vcc, or(1, .L_ZZZZN2at6native21polygamma_kernel_cudaERNS_18TensorIteratorBaseElENKUlvE_clEvENKUlvE_clEvENKUldE_clEd.uses_vcc)
	.set _ZN2at6native29vectorized_elementwise_kernelILi16EZZZNS0_21polygamma_kernel_cudaERNS_18TensorIteratorBaseElENKUlvE_clEvENKUlvE_clEvEUldE_St5arrayIPcLm2EEEEviT0_T1_.uses_flat_scratch, or(0, .L_ZZZZN2at6native21polygamma_kernel_cudaERNS_18TensorIteratorBaseElENKUlvE_clEvENKUlvE_clEvENKUldE_clEd.uses_flat_scratch)
	.set _ZN2at6native29vectorized_elementwise_kernelILi16EZZZNS0_21polygamma_kernel_cudaERNS_18TensorIteratorBaseElENKUlvE_clEvENKUlvE_clEvEUldE_St5arrayIPcLm2EEEEviT0_T1_.has_dyn_sized_stack, or(0, .L_ZZZZN2at6native21polygamma_kernel_cudaERNS_18TensorIteratorBaseElENKUlvE_clEvENKUlvE_clEvENKUldE_clEd.has_dyn_sized_stack)
	.set _ZN2at6native29vectorized_elementwise_kernelILi16EZZZNS0_21polygamma_kernel_cudaERNS_18TensorIteratorBaseElENKUlvE_clEvENKUlvE_clEvEUldE_St5arrayIPcLm2EEEEviT0_T1_.has_recursion, or(0, .L_ZZZZN2at6native21polygamma_kernel_cudaERNS_18TensorIteratorBaseElENKUlvE_clEvENKUlvE_clEvENKUldE_clEd.has_recursion)
	.set _ZN2at6native29vectorized_elementwise_kernelILi16EZZZNS0_21polygamma_kernel_cudaERNS_18TensorIteratorBaseElENKUlvE_clEvENKUlvE_clEvEUldE_St5arrayIPcLm2EEEEviT0_T1_.has_indirect_call, or(0, .L_ZZZZN2at6native21polygamma_kernel_cudaERNS_18TensorIteratorBaseElENKUlvE_clEvENKUlvE_clEvENKUldE_clEd.has_indirect_call)
	.section	.AMDGPU.csdata,"",@progbits
; Kernel info:
; codeLenInByte = 1452
; TotalNumSgprs: 104
; NumVgprs: 62
; ScratchSize: 8
; MemoryBound: 0
; FloatMode: 240
; IeeeMode: 1
; LDSByteSize: 0 bytes/workgroup (compile time only)
; SGPRBlocks: 12
; VGPRBlocks: 15
; NumSGPRsForWavesPerEU: 104
; NumVGPRsForWavesPerEU: 62
; Occupancy: 4
; WaveLimiterHint : 0
; COMPUTE_PGM_RSRC2:SCRATCH_EN: 1
; COMPUTE_PGM_RSRC2:USER_SGPR: 6
; COMPUTE_PGM_RSRC2:TRAP_HANDLER: 0
; COMPUTE_PGM_RSRC2:TGID_X_EN: 1
; COMPUTE_PGM_RSRC2:TGID_Y_EN: 0
; COMPUTE_PGM_RSRC2:TGID_Z_EN: 0
; COMPUTE_PGM_RSRC2:TIDIG_COMP_CNT: 0
	.section	.text._ZN2at6native29vectorized_elementwise_kernelILi8EZZZNS0_21polygamma_kernel_cudaERNS_18TensorIteratorBaseElENKUlvE_clEvENKUlvE_clEvEUldE_St5arrayIPcLm2EEEEviT0_T1_,"axG",@progbits,_ZN2at6native29vectorized_elementwise_kernelILi8EZZZNS0_21polygamma_kernel_cudaERNS_18TensorIteratorBaseElENKUlvE_clEvENKUlvE_clEvEUldE_St5arrayIPcLm2EEEEviT0_T1_,comdat
	.globl	_ZN2at6native29vectorized_elementwise_kernelILi8EZZZNS0_21polygamma_kernel_cudaERNS_18TensorIteratorBaseElENKUlvE_clEvENKUlvE_clEvEUldE_St5arrayIPcLm2EEEEviT0_T1_ ; -- Begin function _ZN2at6native29vectorized_elementwise_kernelILi8EZZZNS0_21polygamma_kernel_cudaERNS_18TensorIteratorBaseElENKUlvE_clEvENKUlvE_clEvEUldE_St5arrayIPcLm2EEEEviT0_T1_
	.p2align	8
	.type	_ZN2at6native29vectorized_elementwise_kernelILi8EZZZNS0_21polygamma_kernel_cudaERNS_18TensorIteratorBaseElENKUlvE_clEvENKUlvE_clEvEUldE_St5arrayIPcLm2EEEEviT0_T1_,@function
_ZN2at6native29vectorized_elementwise_kernelILi8EZZZNS0_21polygamma_kernel_cudaERNS_18TensorIteratorBaseElENKUlvE_clEvENKUlvE_clEvEUldE_St5arrayIPcLm2EEEEviT0_T1_: ; @_ZN2at6native29vectorized_elementwise_kernelILi8EZZZNS0_21polygamma_kernel_cudaERNS_18TensorIteratorBaseElENKUlvE_clEvENKUlvE_clEvEUldE_St5arrayIPcLm2EEEEviT0_T1_
; %bb.0:
	s_add_u32 s0, s0, s7
	s_load_dword s7, s[4:5], 0x0
	s_load_dwordx4 s[96:99], s[4:5], 0x8
	s_load_dwordx2 s[10:11], s[4:5], 0x18
	s_addc_u32 s1, s1, 0
	s_lshl_b32 s8, s6, 10
	s_waitcnt lgkmcnt(0)
	s_sub_i32 s33, s7, s8
	v_mov_b32_e32 v47, v0
	s_cmpk_gt_i32 s33, 0x3ff
	s_mov_b64 s[4:5], -1
	s_mov_b32 s32, 0
                                        ; implicit-def: $vgpr61 : SGPR spill to VGPR lane
	s_cbranch_scc0 .LBB80_2
; %bb.1:
	s_ashr_i32 s9, s8, 31
	v_writelane_b32 v61, s8, 2
	v_writelane_b32 v61, s9, 3
	s_lshl_b64 s[4:5], s[8:9], 3
	v_writelane_b32 v61, s4, 4
	v_writelane_b32 v61, s5, 5
	s_add_u32 s4, s10, s4
	s_addc_u32 s5, s11, s5
	v_lshlrev_b32_e32 v45, 5, v47
	s_nop 0
	global_load_dwordx4 v[41:44], v45, s[4:5]
	global_load_dwordx4 v[50:53], v45, s[4:5] offset:16
	s_getpc_b64 s[86:87]
	s_add_u32 s86, s86, _ZZZZN2at6native21polygamma_kernel_cudaERNS_18TensorIteratorBaseElENKUlvE_clEvENKUlvE_clEvENKUldE_clEd@rel32@lo+4
	s_addc_u32 s87, s87, _ZZZZN2at6native21polygamma_kernel_cudaERNS_18TensorIteratorBaseElENKUlvE_clEvENKUlvE_clEvENKUldE_clEd@rel32@hi+12
	v_mov_b32_e32 v0, s96
	v_mov_b32_e32 v1, s97
	v_writelane_b32 v61, s10, 0
	v_writelane_b32 v61, s11, 1
	s_waitcnt vmcnt(1)
	v_mov_b32_e32 v2, v41
	v_mov_b32_e32 v3, v42
	s_swappc_b64 s[30:31], s[86:87]
	v_mov_b32_e32 v41, v0
	v_mov_b32_e32 v42, v1
	v_mov_b32_e32 v0, s96
	v_mov_b32_e32 v1, s97
	v_mov_b32_e32 v2, v43
	v_mov_b32_e32 v3, v44
	s_swappc_b64 s[30:31], s[86:87]
	v_mov_b32_e32 v43, v0
	v_mov_b32_e32 v44, v1
	v_mov_b32_e32 v0, s96
	v_mov_b32_e32 v1, s97
	;; [unrolled: 7-line block ×3, first 2 shown]
	v_mov_b32_e32 v2, v52
	v_mov_b32_e32 v3, v53
	s_swappc_b64 s[30:31], s[86:87]
	v_readlane_b32 s4, v61, 4
	v_readlane_b32 s5, v61, 5
	s_add_u32 s4, s98, s4
	v_readlane_b32 s10, v61, 0
	v_readlane_b32 s8, v61, 2
	s_addc_u32 s5, s99, s5
	v_readlane_b32 s11, v61, 1
	v_readlane_b32 s9, v61, 3
	v_mov_b32_e32 v52, v0
	v_mov_b32_e32 v53, v1
	global_store_dwordx4 v45, v[41:44], s[4:5]
	global_store_dwordx4 v45, v[50:53], s[4:5] offset:16
	s_mov_b64 s[4:5], 0
.LBB80_2:
	s_andn2_b64 vcc, exec, s[4:5]
	s_cbranch_vccnz .LBB80_24
; %bb.3:
	v_mov_b32_e32 v43, 0
	v_mov_b32_e32 v2, 0
	;; [unrolled: 1-line block ×3, first 2 shown]
	v_or_b32_e32 v58, s8, v47
	v_mov_b32_e32 v3, 0
	v_mov_b32_e32 v0, v47
	v_cmp_gt_i32_e64 s[6:7], s33, v47
	s_mov_b64 s[4:5], exec
	v_writelane_b32 v61, s6, 0
	v_writelane_b32 v61, s7, 1
	s_and_b64 s[6:7], s[4:5], s[6:7]
	s_mov_b64 exec, s[6:7]
	s_cbranch_execz .LBB80_5
; %bb.4:
	v_mov_b32_e32 v59, 0
	v_lshlrev_b64 v[0:1], 3, v[58:59]
	v_mov_b32_e32 v2, s11
	v_add_co_u32_e32 v0, vcc, s10, v0
	v_addc_co_u32_e32 v1, vcc, v2, v1, vcc
	global_load_dwordx2 v[2:3], v[0:1], off
	v_or_b32_e32 v0, 0x100, v47
.LBB80_5:
	s_or_b64 exec, exec, s[4:5]
	v_cmp_gt_i32_e32 vcc, s33, v0
	s_and_saveexec_b64 s[4:5], vcc
	s_cbranch_execz .LBB80_7
; %bb.6:
	v_add_u32_e32 v4, s8, v0
	v_mov_b32_e32 v5, 0
	v_lshlrev_b64 v[4:5], 3, v[4:5]
	v_mov_b32_e32 v1, s11
	v_add_co_u32_e32 v4, vcc, s10, v4
	v_addc_co_u32_e32 v5, vcc, v1, v5, vcc
	global_load_dwordx2 v[43:44], v[4:5], off
	v_add_u32_e32 v0, 0x100, v0
.LBB80_7:
	s_or_b64 exec, exec, s[4:5]
	v_mov_b32_e32 v41, 0
	v_mov_b32_e32 v45, 0
	;; [unrolled: 1-line block ×4, first 2 shown]
	v_cmp_gt_i32_e32 vcc, s33, v0
	s_and_saveexec_b64 s[4:5], vcc
	s_cbranch_execz .LBB80_9
; %bb.8:
	v_add_u32_e32 v4, s8, v0
	v_mov_b32_e32 v5, 0
	v_lshlrev_b64 v[4:5], 3, v[4:5]
	v_mov_b32_e32 v1, s11
	v_add_co_u32_e32 v4, vcc, s10, v4
	v_addc_co_u32_e32 v5, vcc, v1, v5, vcc
	global_load_dwordx2 v[45:46], v[4:5], off
	v_add_u32_e32 v0, 0x100, v0
.LBB80_9:
	s_or_b64 exec, exec, s[4:5]
	v_cmp_gt_i32_e32 vcc, s33, v0
	s_and_saveexec_b64 s[4:5], vcc
	s_cbranch_execz .LBB80_11
; %bb.10:
	v_add_u32_e32 v0, s8, v0
	v_mov_b32_e32 v1, 0
	v_lshlrev_b64 v[0:1], 3, v[0:1]
	v_mov_b32_e32 v4, s11
	v_add_co_u32_e32 v0, vcc, s10, v0
	v_addc_co_u32_e32 v1, vcc, v4, v1, vcc
	global_load_dwordx2 v[41:42], v[0:1], off
.LBB80_11:
	s_or_b64 exec, exec, s[4:5]
	v_mov_b32_e32 v50, 0
	v_mov_b32_e32 v51, v50
	;; [unrolled: 1-line block ×8, first 2 shown]
	s_mov_b64 s[86:87], exec
	v_readlane_b32 s4, v61, 0
	v_readlane_b32 s5, v61, 1
	s_mov_b32 s6, s8
	s_and_b64 s[4:5], s[86:87], s[4:5]
	v_writelane_b32 v61, s6, 2
	v_writelane_b32 v61, s7, 3
	s_mov_b64 exec, s[4:5]
	s_cbranch_execz .LBB80_13
; %bb.12:
	s_getpc_b64 s[4:5]
	s_add_u32 s4, s4, _ZZZZN2at6native21polygamma_kernel_cudaERNS_18TensorIteratorBaseElENKUlvE_clEvENKUlvE_clEvENKUldE_clEd@rel32@lo+4
	s_addc_u32 s5, s5, _ZZZZN2at6native21polygamma_kernel_cudaERNS_18TensorIteratorBaseElENKUlvE_clEvENKUlvE_clEvENKUldE_clEd@rel32@hi+12
	v_mov_b32_e32 v0, s96
	v_mov_b32_e32 v1, s97
	s_swappc_b64 s[30:31], s[4:5]
	v_mov_b32_e32 v7, v50
	v_mov_b32_e32 v2, v50
	;; [unrolled: 1-line block ×7, first 2 shown]
	v_readlane_b32 s8, v61, 2
	v_mov_b32_e32 v56, v6
	v_mov_b32_e32 v55, v5
	;; [unrolled: 1-line block ×7, first 2 shown]
	v_readlane_b32 s9, v61, 3
.LBB80_13:
	s_or_b64 exec, exec, s[86:87]
	v_or_b32_e32 v60, 0x100, v47
	v_cmp_gt_i32_e32 vcc, s33, v60
	s_and_saveexec_b64 s[86:87], vcc
	s_cbranch_execz .LBB80_15
; %bb.14:
	s_getpc_b64 s[4:5]
	s_add_u32 s4, s4, _ZZZZN2at6native21polygamma_kernel_cudaERNS_18TensorIteratorBaseElENKUlvE_clEvENKUlvE_clEvENKUldE_clEd@rel32@lo+4
	s_addc_u32 s5, s5, _ZZZZN2at6native21polygamma_kernel_cudaERNS_18TensorIteratorBaseElENKUlvE_clEvENKUlvE_clEvENKUldE_clEd@rel32@hi+12
	v_mov_b32_e32 v0, s96
	v_mov_b32_e32 v1, s97
	s_waitcnt vmcnt(0)
	v_mov_b32_e32 v2, v43
	v_mov_b32_e32 v3, v44
	s_swappc_b64 s[30:31], s[4:5]
	v_readlane_b32 s8, v61, 2
	v_mov_b32_e32 v52, v0
	v_mov_b32_e32 v53, v1
	v_readlane_b32 s9, v61, 3
.LBB80_15:
	s_or_b64 exec, exec, s[86:87]
	v_or_b32_e32 v0, 0x200, v47
	v_cmp_gt_i32_e32 vcc, s33, v0
	s_and_saveexec_b64 s[86:87], vcc
	s_cbranch_execz .LBB80_17
; %bb.16:
	s_getpc_b64 s[4:5]
	s_add_u32 s4, s4, _ZZZZN2at6native21polygamma_kernel_cudaERNS_18TensorIteratorBaseElENKUlvE_clEvENKUlvE_clEvENKUldE_clEd@rel32@lo+4
	s_addc_u32 s5, s5, _ZZZZN2at6native21polygamma_kernel_cudaERNS_18TensorIteratorBaseElENKUlvE_clEvENKUlvE_clEvENKUldE_clEd@rel32@hi+12
	v_mov_b32_e32 v0, s96
	v_mov_b32_e32 v1, s97
	s_waitcnt vmcnt(0)
	v_mov_b32_e32 v2, v45
	v_mov_b32_e32 v3, v46
	s_swappc_b64 s[30:31], s[4:5]
	v_readlane_b32 s8, v61, 2
	v_mov_b32_e32 v54, v0
	v_mov_b32_e32 v55, v1
	v_readlane_b32 s9, v61, 3
.LBB80_17:
	;; [unrolled: 20-line block ×3, first 2 shown]
	s_or_b64 exec, exec, s[86:87]
	s_mov_b64 s[4:5], exec
	v_readlane_b32 s6, v61, 0
	v_readlane_b32 s7, v61, 1
	s_and_b64 s[6:7], s[4:5], s[6:7]
	s_xor_b64 s[4:5], s[6:7], s[4:5]
	s_mov_b64 exec, s[6:7]
	s_cbranch_execnz .LBB80_25
; %bb.20:
	s_or_b64 exec, exec, s[4:5]
	v_cmp_gt_i32_e32 vcc, s33, v47
	s_and_saveexec_b64 s[4:5], vcc
	s_cbranch_execnz .LBB80_26
.LBB80_21:
	s_or_b64 exec, exec, s[4:5]
	v_cmp_gt_i32_e32 vcc, s33, v47
	s_and_saveexec_b64 s[4:5], vcc
	s_cbranch_execnz .LBB80_27
.LBB80_22:
	s_or_b64 exec, exec, s[4:5]
	v_cmp_gt_i32_e32 vcc, s33, v47
	s_and_saveexec_b64 s[4:5], vcc
	s_cbranch_execz .LBB80_24
.LBB80_23:
	v_add_u32_e32 v0, s8, v47
	v_mov_b32_e32 v1, 0
	v_lshlrev_b64 v[0:1], 3, v[0:1]
	s_waitcnt vmcnt(0)
	v_mov_b32_e32 v2, s99
	v_add_co_u32_e32 v0, vcc, s98, v0
	v_addc_co_u32_e32 v1, vcc, v2, v1, vcc
	global_store_dwordx2 v[0:1], v[56:57], off
.LBB80_24:
	s_endpgm
.LBB80_25:
	v_mov_b32_e32 v59, 0
	v_lshlrev_b64 v[0:1], 3, v[58:59]
	s_waitcnt vmcnt(0)
	v_mov_b32_e32 v2, s99
	v_add_co_u32_e32 v0, vcc, s98, v0
	v_addc_co_u32_e32 v1, vcc, v2, v1, vcc
	v_mov_b32_e32 v47, v60
	global_store_dwordx2 v[0:1], v[50:51], off
	s_or_b64 exec, exec, s[4:5]
	v_cmp_gt_i32_e32 vcc, s33, v47
	s_and_saveexec_b64 s[4:5], vcc
	s_cbranch_execz .LBB80_21
.LBB80_26:
	v_add_u32_e32 v0, s8, v47
	v_mov_b32_e32 v1, 0
	v_lshlrev_b64 v[0:1], 3, v[0:1]
	s_waitcnt vmcnt(0)
	v_mov_b32_e32 v2, s99
	v_add_co_u32_e32 v0, vcc, s98, v0
	v_addc_co_u32_e32 v1, vcc, v2, v1, vcc
	v_add_u32_e32 v47, 0x100, v47
	global_store_dwordx2 v[0:1], v[52:53], off
	s_or_b64 exec, exec, s[4:5]
	v_cmp_gt_i32_e32 vcc, s33, v47
	s_and_saveexec_b64 s[4:5], vcc
	s_cbranch_execz .LBB80_22
.LBB80_27:
	v_add_u32_e32 v0, s8, v47
	v_mov_b32_e32 v1, 0
	v_lshlrev_b64 v[0:1], 3, v[0:1]
	s_waitcnt vmcnt(0)
	v_mov_b32_e32 v2, s99
	v_add_co_u32_e32 v0, vcc, s98, v0
	v_addc_co_u32_e32 v1, vcc, v2, v1, vcc
	v_add_u32_e32 v47, 0x100, v47
	global_store_dwordx2 v[0:1], v[54:55], off
	s_or_b64 exec, exec, s[4:5]
	v_cmp_gt_i32_e32 vcc, s33, v47
	s_and_saveexec_b64 s[4:5], vcc
	s_cbranch_execnz .LBB80_23
	s_branch .LBB80_24
	.section	.rodata,"a",@progbits
	.p2align	6, 0x0
	.amdhsa_kernel _ZN2at6native29vectorized_elementwise_kernelILi8EZZZNS0_21polygamma_kernel_cudaERNS_18TensorIteratorBaseElENKUlvE_clEvENKUlvE_clEvEUldE_St5arrayIPcLm2EEEEviT0_T1_
		.amdhsa_group_segment_fixed_size 0
		.amdhsa_private_segment_fixed_size 8
		.amdhsa_kernarg_size 32
		.amdhsa_user_sgpr_count 6
		.amdhsa_user_sgpr_private_segment_buffer 1
		.amdhsa_user_sgpr_dispatch_ptr 0
		.amdhsa_user_sgpr_queue_ptr 0
		.amdhsa_user_sgpr_kernarg_segment_ptr 1
		.amdhsa_user_sgpr_dispatch_id 0
		.amdhsa_user_sgpr_flat_scratch_init 0
		.amdhsa_user_sgpr_private_segment_size 0
		.amdhsa_uses_dynamic_stack 0
		.amdhsa_system_sgpr_private_segment_wavefront_offset 1
		.amdhsa_system_sgpr_workgroup_id_x 1
		.amdhsa_system_sgpr_workgroup_id_y 0
		.amdhsa_system_sgpr_workgroup_id_z 0
		.amdhsa_system_sgpr_workgroup_info 0
		.amdhsa_system_vgpr_workitem_id 0
		.amdhsa_next_free_vgpr 62
		.amdhsa_next_free_sgpr 100
		.amdhsa_reserve_vcc 1
		.amdhsa_reserve_flat_scratch 0
		.amdhsa_float_round_mode_32 0
		.amdhsa_float_round_mode_16_64 0
		.amdhsa_float_denorm_mode_32 3
		.amdhsa_float_denorm_mode_16_64 3
		.amdhsa_dx10_clamp 1
		.amdhsa_ieee_mode 1
		.amdhsa_fp16_overflow 0
		.amdhsa_exception_fp_ieee_invalid_op 0
		.amdhsa_exception_fp_denorm_src 0
		.amdhsa_exception_fp_ieee_div_zero 0
		.amdhsa_exception_fp_ieee_overflow 0
		.amdhsa_exception_fp_ieee_underflow 0
		.amdhsa_exception_fp_ieee_inexact 0
		.amdhsa_exception_int_div_zero 0
	.end_amdhsa_kernel
	.section	.text._ZN2at6native29vectorized_elementwise_kernelILi8EZZZNS0_21polygamma_kernel_cudaERNS_18TensorIteratorBaseElENKUlvE_clEvENKUlvE_clEvEUldE_St5arrayIPcLm2EEEEviT0_T1_,"axG",@progbits,_ZN2at6native29vectorized_elementwise_kernelILi8EZZZNS0_21polygamma_kernel_cudaERNS_18TensorIteratorBaseElENKUlvE_clEvENKUlvE_clEvEUldE_St5arrayIPcLm2EEEEviT0_T1_,comdat
.Lfunc_end80:
	.size	_ZN2at6native29vectorized_elementwise_kernelILi8EZZZNS0_21polygamma_kernel_cudaERNS_18TensorIteratorBaseElENKUlvE_clEvENKUlvE_clEvEUldE_St5arrayIPcLm2EEEEviT0_T1_, .Lfunc_end80-_ZN2at6native29vectorized_elementwise_kernelILi8EZZZNS0_21polygamma_kernel_cudaERNS_18TensorIteratorBaseElENKUlvE_clEvENKUlvE_clEvEUldE_St5arrayIPcLm2EEEEviT0_T1_
                                        ; -- End function
	.set _ZN2at6native29vectorized_elementwise_kernelILi8EZZZNS0_21polygamma_kernel_cudaERNS_18TensorIteratorBaseElENKUlvE_clEvENKUlvE_clEvEUldE_St5arrayIPcLm2EEEEviT0_T1_.num_vgpr, max(62, .L_ZZZZN2at6native21polygamma_kernel_cudaERNS_18TensorIteratorBaseElENKUlvE_clEvENKUlvE_clEvENKUldE_clEd.num_vgpr)
	.set _ZN2at6native29vectorized_elementwise_kernelILi8EZZZNS0_21polygamma_kernel_cudaERNS_18TensorIteratorBaseElENKUlvE_clEvENKUlvE_clEvEUldE_St5arrayIPcLm2EEEEviT0_T1_.num_agpr, max(0, .L_ZZZZN2at6native21polygamma_kernel_cudaERNS_18TensorIteratorBaseElENKUlvE_clEvENKUlvE_clEvENKUldE_clEd.num_agpr)
	.set _ZN2at6native29vectorized_elementwise_kernelILi8EZZZNS0_21polygamma_kernel_cudaERNS_18TensorIteratorBaseElENKUlvE_clEvENKUlvE_clEvEUldE_St5arrayIPcLm2EEEEviT0_T1_.numbered_sgpr, max(100, .L_ZZZZN2at6native21polygamma_kernel_cudaERNS_18TensorIteratorBaseElENKUlvE_clEvENKUlvE_clEvENKUldE_clEd.numbered_sgpr)
	.set _ZN2at6native29vectorized_elementwise_kernelILi8EZZZNS0_21polygamma_kernel_cudaERNS_18TensorIteratorBaseElENKUlvE_clEvENKUlvE_clEvEUldE_St5arrayIPcLm2EEEEviT0_T1_.num_named_barrier, max(0, .L_ZZZZN2at6native21polygamma_kernel_cudaERNS_18TensorIteratorBaseElENKUlvE_clEvENKUlvE_clEvENKUldE_clEd.num_named_barrier)
	.set _ZN2at6native29vectorized_elementwise_kernelILi8EZZZNS0_21polygamma_kernel_cudaERNS_18TensorIteratorBaseElENKUlvE_clEvENKUlvE_clEvEUldE_St5arrayIPcLm2EEEEviT0_T1_.private_seg_size, 0+max(.L_ZZZZN2at6native21polygamma_kernel_cudaERNS_18TensorIteratorBaseElENKUlvE_clEvENKUlvE_clEvENKUldE_clEd.private_seg_size)
	.set _ZN2at6native29vectorized_elementwise_kernelILi8EZZZNS0_21polygamma_kernel_cudaERNS_18TensorIteratorBaseElENKUlvE_clEvENKUlvE_clEvEUldE_St5arrayIPcLm2EEEEviT0_T1_.uses_vcc, or(1, .L_ZZZZN2at6native21polygamma_kernel_cudaERNS_18TensorIteratorBaseElENKUlvE_clEvENKUlvE_clEvENKUldE_clEd.uses_vcc)
	.set _ZN2at6native29vectorized_elementwise_kernelILi8EZZZNS0_21polygamma_kernel_cudaERNS_18TensorIteratorBaseElENKUlvE_clEvENKUlvE_clEvEUldE_St5arrayIPcLm2EEEEviT0_T1_.uses_flat_scratch, or(0, .L_ZZZZN2at6native21polygamma_kernel_cudaERNS_18TensorIteratorBaseElENKUlvE_clEvENKUlvE_clEvENKUldE_clEd.uses_flat_scratch)
	.set _ZN2at6native29vectorized_elementwise_kernelILi8EZZZNS0_21polygamma_kernel_cudaERNS_18TensorIteratorBaseElENKUlvE_clEvENKUlvE_clEvEUldE_St5arrayIPcLm2EEEEviT0_T1_.has_dyn_sized_stack, or(0, .L_ZZZZN2at6native21polygamma_kernel_cudaERNS_18TensorIteratorBaseElENKUlvE_clEvENKUlvE_clEvENKUldE_clEd.has_dyn_sized_stack)
	.set _ZN2at6native29vectorized_elementwise_kernelILi8EZZZNS0_21polygamma_kernel_cudaERNS_18TensorIteratorBaseElENKUlvE_clEvENKUlvE_clEvEUldE_St5arrayIPcLm2EEEEviT0_T1_.has_recursion, or(0, .L_ZZZZN2at6native21polygamma_kernel_cudaERNS_18TensorIteratorBaseElENKUlvE_clEvENKUlvE_clEvENKUldE_clEd.has_recursion)
	.set _ZN2at6native29vectorized_elementwise_kernelILi8EZZZNS0_21polygamma_kernel_cudaERNS_18TensorIteratorBaseElENKUlvE_clEvENKUlvE_clEvEUldE_St5arrayIPcLm2EEEEviT0_T1_.has_indirect_call, or(0, .L_ZZZZN2at6native21polygamma_kernel_cudaERNS_18TensorIteratorBaseElENKUlvE_clEvENKUlvE_clEvENKUldE_clEd.has_indirect_call)
	.section	.AMDGPU.csdata,"",@progbits
; Kernel info:
; codeLenInByte = 1452
; TotalNumSgprs: 104
; NumVgprs: 62
; ScratchSize: 8
; MemoryBound: 0
; FloatMode: 240
; IeeeMode: 1
; LDSByteSize: 0 bytes/workgroup (compile time only)
; SGPRBlocks: 12
; VGPRBlocks: 15
; NumSGPRsForWavesPerEU: 104
; NumVGPRsForWavesPerEU: 62
; Occupancy: 4
; WaveLimiterHint : 0
; COMPUTE_PGM_RSRC2:SCRATCH_EN: 1
; COMPUTE_PGM_RSRC2:USER_SGPR: 6
; COMPUTE_PGM_RSRC2:TRAP_HANDLER: 0
; COMPUTE_PGM_RSRC2:TGID_X_EN: 1
; COMPUTE_PGM_RSRC2:TGID_Y_EN: 0
; COMPUTE_PGM_RSRC2:TGID_Z_EN: 0
; COMPUTE_PGM_RSRC2:TIDIG_COMP_CNT: 0
	.section	.text._ZN2at6native29vectorized_elementwise_kernelILi4EZZZNS0_21polygamma_kernel_cudaERNS_18TensorIteratorBaseElENKUlvE_clEvENKUlvE_clEvEUldE_St5arrayIPcLm2EEEEviT0_T1_,"axG",@progbits,_ZN2at6native29vectorized_elementwise_kernelILi4EZZZNS0_21polygamma_kernel_cudaERNS_18TensorIteratorBaseElENKUlvE_clEvENKUlvE_clEvEUldE_St5arrayIPcLm2EEEEviT0_T1_,comdat
	.globl	_ZN2at6native29vectorized_elementwise_kernelILi4EZZZNS0_21polygamma_kernel_cudaERNS_18TensorIteratorBaseElENKUlvE_clEvENKUlvE_clEvEUldE_St5arrayIPcLm2EEEEviT0_T1_ ; -- Begin function _ZN2at6native29vectorized_elementwise_kernelILi4EZZZNS0_21polygamma_kernel_cudaERNS_18TensorIteratorBaseElENKUlvE_clEvENKUlvE_clEvEUldE_St5arrayIPcLm2EEEEviT0_T1_
	.p2align	8
	.type	_ZN2at6native29vectorized_elementwise_kernelILi4EZZZNS0_21polygamma_kernel_cudaERNS_18TensorIteratorBaseElENKUlvE_clEvENKUlvE_clEvEUldE_St5arrayIPcLm2EEEEviT0_T1_,@function
_ZN2at6native29vectorized_elementwise_kernelILi4EZZZNS0_21polygamma_kernel_cudaERNS_18TensorIteratorBaseElENKUlvE_clEvENKUlvE_clEvEUldE_St5arrayIPcLm2EEEEviT0_T1_: ; @_ZN2at6native29vectorized_elementwise_kernelILi4EZZZNS0_21polygamma_kernel_cudaERNS_18TensorIteratorBaseElENKUlvE_clEvENKUlvE_clEvEUldE_St5arrayIPcLm2EEEEviT0_T1_
; %bb.0:
	s_add_u32 s0, s0, s7
	s_load_dword s7, s[4:5], 0x0
	s_load_dwordx4 s[96:99], s[4:5], 0x8
	s_load_dwordx2 s[10:11], s[4:5], 0x18
	s_addc_u32 s1, s1, 0
	s_lshl_b32 s8, s6, 10
	s_waitcnt lgkmcnt(0)
	s_sub_i32 s33, s7, s8
	v_mov_b32_e32 v47, v0
	s_cmpk_gt_i32 s33, 0x3ff
	s_mov_b64 s[4:5], -1
	s_mov_b32 s32, 0
                                        ; implicit-def: $vgpr61 : SGPR spill to VGPR lane
	s_cbranch_scc0 .LBB81_2
; %bb.1:
	s_ashr_i32 s9, s8, 31
	v_writelane_b32 v61, s8, 2
	v_writelane_b32 v61, s9, 3
	s_lshl_b64 s[4:5], s[8:9], 3
	v_writelane_b32 v61, s4, 4
	v_writelane_b32 v61, s5, 5
	s_add_u32 s4, s10, s4
	s_addc_u32 s5, s11, s5
	v_lshlrev_b32_e32 v45, 5, v47
	s_nop 0
	global_load_dwordx4 v[41:44], v45, s[4:5]
	global_load_dwordx4 v[50:53], v45, s[4:5] offset:16
	s_getpc_b64 s[86:87]
	s_add_u32 s86, s86, _ZZZZN2at6native21polygamma_kernel_cudaERNS_18TensorIteratorBaseElENKUlvE_clEvENKUlvE_clEvENKUldE_clEd@rel32@lo+4
	s_addc_u32 s87, s87, _ZZZZN2at6native21polygamma_kernel_cudaERNS_18TensorIteratorBaseElENKUlvE_clEvENKUlvE_clEvENKUldE_clEd@rel32@hi+12
	v_mov_b32_e32 v0, s96
	v_mov_b32_e32 v1, s97
	v_writelane_b32 v61, s10, 0
	v_writelane_b32 v61, s11, 1
	s_waitcnt vmcnt(1)
	v_mov_b32_e32 v2, v41
	v_mov_b32_e32 v3, v42
	s_swappc_b64 s[30:31], s[86:87]
	v_mov_b32_e32 v41, v0
	v_mov_b32_e32 v42, v1
	v_mov_b32_e32 v0, s96
	v_mov_b32_e32 v1, s97
	v_mov_b32_e32 v2, v43
	v_mov_b32_e32 v3, v44
	s_swappc_b64 s[30:31], s[86:87]
	v_mov_b32_e32 v43, v0
	v_mov_b32_e32 v44, v1
	v_mov_b32_e32 v0, s96
	v_mov_b32_e32 v1, s97
	;; [unrolled: 7-line block ×3, first 2 shown]
	v_mov_b32_e32 v2, v52
	v_mov_b32_e32 v3, v53
	s_swappc_b64 s[30:31], s[86:87]
	v_readlane_b32 s4, v61, 4
	v_readlane_b32 s5, v61, 5
	s_add_u32 s4, s98, s4
	v_readlane_b32 s10, v61, 0
	v_readlane_b32 s8, v61, 2
	s_addc_u32 s5, s99, s5
	v_readlane_b32 s11, v61, 1
	v_readlane_b32 s9, v61, 3
	v_mov_b32_e32 v52, v0
	v_mov_b32_e32 v53, v1
	global_store_dwordx4 v45, v[41:44], s[4:5]
	global_store_dwordx4 v45, v[50:53], s[4:5] offset:16
	s_mov_b64 s[4:5], 0
.LBB81_2:
	s_andn2_b64 vcc, exec, s[4:5]
	s_cbranch_vccnz .LBB81_24
; %bb.3:
	v_mov_b32_e32 v43, 0
	v_mov_b32_e32 v2, 0
	;; [unrolled: 1-line block ×3, first 2 shown]
	v_or_b32_e32 v58, s8, v47
	v_mov_b32_e32 v3, 0
	v_mov_b32_e32 v0, v47
	v_cmp_gt_i32_e64 s[6:7], s33, v47
	s_mov_b64 s[4:5], exec
	v_writelane_b32 v61, s6, 0
	v_writelane_b32 v61, s7, 1
	s_and_b64 s[6:7], s[4:5], s[6:7]
	s_mov_b64 exec, s[6:7]
	s_cbranch_execz .LBB81_5
; %bb.4:
	v_mov_b32_e32 v59, 0
	v_lshlrev_b64 v[0:1], 3, v[58:59]
	v_mov_b32_e32 v2, s11
	v_add_co_u32_e32 v0, vcc, s10, v0
	v_addc_co_u32_e32 v1, vcc, v2, v1, vcc
	global_load_dwordx2 v[2:3], v[0:1], off
	v_or_b32_e32 v0, 0x100, v47
.LBB81_5:
	s_or_b64 exec, exec, s[4:5]
	v_cmp_gt_i32_e32 vcc, s33, v0
	s_and_saveexec_b64 s[4:5], vcc
	s_cbranch_execz .LBB81_7
; %bb.6:
	v_add_u32_e32 v4, s8, v0
	v_mov_b32_e32 v5, 0
	v_lshlrev_b64 v[4:5], 3, v[4:5]
	v_mov_b32_e32 v1, s11
	v_add_co_u32_e32 v4, vcc, s10, v4
	v_addc_co_u32_e32 v5, vcc, v1, v5, vcc
	global_load_dwordx2 v[43:44], v[4:5], off
	v_add_u32_e32 v0, 0x100, v0
.LBB81_7:
	s_or_b64 exec, exec, s[4:5]
	v_mov_b32_e32 v41, 0
	v_mov_b32_e32 v45, 0
	v_mov_b32_e32 v42, 0
	v_mov_b32_e32 v46, 0
	v_cmp_gt_i32_e32 vcc, s33, v0
	s_and_saveexec_b64 s[4:5], vcc
	s_cbranch_execz .LBB81_9
; %bb.8:
	v_add_u32_e32 v4, s8, v0
	v_mov_b32_e32 v5, 0
	v_lshlrev_b64 v[4:5], 3, v[4:5]
	v_mov_b32_e32 v1, s11
	v_add_co_u32_e32 v4, vcc, s10, v4
	v_addc_co_u32_e32 v5, vcc, v1, v5, vcc
	global_load_dwordx2 v[45:46], v[4:5], off
	v_add_u32_e32 v0, 0x100, v0
.LBB81_9:
	s_or_b64 exec, exec, s[4:5]
	v_cmp_gt_i32_e32 vcc, s33, v0
	s_and_saveexec_b64 s[4:5], vcc
	s_cbranch_execz .LBB81_11
; %bb.10:
	v_add_u32_e32 v0, s8, v0
	v_mov_b32_e32 v1, 0
	v_lshlrev_b64 v[0:1], 3, v[0:1]
	v_mov_b32_e32 v4, s11
	v_add_co_u32_e32 v0, vcc, s10, v0
	v_addc_co_u32_e32 v1, vcc, v4, v1, vcc
	global_load_dwordx2 v[41:42], v[0:1], off
.LBB81_11:
	s_or_b64 exec, exec, s[4:5]
	v_mov_b32_e32 v50, 0
	v_mov_b32_e32 v51, v50
	;; [unrolled: 1-line block ×8, first 2 shown]
	s_mov_b64 s[86:87], exec
	v_readlane_b32 s4, v61, 0
	v_readlane_b32 s5, v61, 1
	s_mov_b32 s6, s8
	s_and_b64 s[4:5], s[86:87], s[4:5]
	v_writelane_b32 v61, s6, 2
	v_writelane_b32 v61, s7, 3
	s_mov_b64 exec, s[4:5]
	s_cbranch_execz .LBB81_13
; %bb.12:
	s_getpc_b64 s[4:5]
	s_add_u32 s4, s4, _ZZZZN2at6native21polygamma_kernel_cudaERNS_18TensorIteratorBaseElENKUlvE_clEvENKUlvE_clEvENKUldE_clEd@rel32@lo+4
	s_addc_u32 s5, s5, _ZZZZN2at6native21polygamma_kernel_cudaERNS_18TensorIteratorBaseElENKUlvE_clEvENKUlvE_clEvENKUldE_clEd@rel32@hi+12
	v_mov_b32_e32 v0, s96
	v_mov_b32_e32 v1, s97
	s_swappc_b64 s[30:31], s[4:5]
	v_mov_b32_e32 v7, v50
	v_mov_b32_e32 v2, v50
	;; [unrolled: 1-line block ×7, first 2 shown]
	v_readlane_b32 s8, v61, 2
	v_mov_b32_e32 v56, v6
	v_mov_b32_e32 v55, v5
	;; [unrolled: 1-line block ×7, first 2 shown]
	v_readlane_b32 s9, v61, 3
.LBB81_13:
	s_or_b64 exec, exec, s[86:87]
	v_or_b32_e32 v60, 0x100, v47
	v_cmp_gt_i32_e32 vcc, s33, v60
	s_and_saveexec_b64 s[86:87], vcc
	s_cbranch_execz .LBB81_15
; %bb.14:
	s_getpc_b64 s[4:5]
	s_add_u32 s4, s4, _ZZZZN2at6native21polygamma_kernel_cudaERNS_18TensorIteratorBaseElENKUlvE_clEvENKUlvE_clEvENKUldE_clEd@rel32@lo+4
	s_addc_u32 s5, s5, _ZZZZN2at6native21polygamma_kernel_cudaERNS_18TensorIteratorBaseElENKUlvE_clEvENKUlvE_clEvENKUldE_clEd@rel32@hi+12
	v_mov_b32_e32 v0, s96
	v_mov_b32_e32 v1, s97
	s_waitcnt vmcnt(0)
	v_mov_b32_e32 v2, v43
	v_mov_b32_e32 v3, v44
	s_swappc_b64 s[30:31], s[4:5]
	v_readlane_b32 s8, v61, 2
	v_mov_b32_e32 v52, v0
	v_mov_b32_e32 v53, v1
	v_readlane_b32 s9, v61, 3
.LBB81_15:
	s_or_b64 exec, exec, s[86:87]
	v_or_b32_e32 v0, 0x200, v47
	v_cmp_gt_i32_e32 vcc, s33, v0
	s_and_saveexec_b64 s[86:87], vcc
	s_cbranch_execz .LBB81_17
; %bb.16:
	s_getpc_b64 s[4:5]
	s_add_u32 s4, s4, _ZZZZN2at6native21polygamma_kernel_cudaERNS_18TensorIteratorBaseElENKUlvE_clEvENKUlvE_clEvENKUldE_clEd@rel32@lo+4
	s_addc_u32 s5, s5, _ZZZZN2at6native21polygamma_kernel_cudaERNS_18TensorIteratorBaseElENKUlvE_clEvENKUlvE_clEvENKUldE_clEd@rel32@hi+12
	v_mov_b32_e32 v0, s96
	v_mov_b32_e32 v1, s97
	s_waitcnt vmcnt(0)
	v_mov_b32_e32 v2, v45
	v_mov_b32_e32 v3, v46
	s_swappc_b64 s[30:31], s[4:5]
	v_readlane_b32 s8, v61, 2
	v_mov_b32_e32 v54, v0
	v_mov_b32_e32 v55, v1
	v_readlane_b32 s9, v61, 3
.LBB81_17:
	;; [unrolled: 20-line block ×3, first 2 shown]
	s_or_b64 exec, exec, s[86:87]
	s_mov_b64 s[4:5], exec
	v_readlane_b32 s6, v61, 0
	v_readlane_b32 s7, v61, 1
	s_and_b64 s[6:7], s[4:5], s[6:7]
	s_xor_b64 s[4:5], s[6:7], s[4:5]
	s_mov_b64 exec, s[6:7]
	s_cbranch_execnz .LBB81_25
; %bb.20:
	s_or_b64 exec, exec, s[4:5]
	v_cmp_gt_i32_e32 vcc, s33, v47
	s_and_saveexec_b64 s[4:5], vcc
	s_cbranch_execnz .LBB81_26
.LBB81_21:
	s_or_b64 exec, exec, s[4:5]
	v_cmp_gt_i32_e32 vcc, s33, v47
	s_and_saveexec_b64 s[4:5], vcc
	s_cbranch_execnz .LBB81_27
.LBB81_22:
	s_or_b64 exec, exec, s[4:5]
	v_cmp_gt_i32_e32 vcc, s33, v47
	s_and_saveexec_b64 s[4:5], vcc
	s_cbranch_execz .LBB81_24
.LBB81_23:
	v_add_u32_e32 v0, s8, v47
	v_mov_b32_e32 v1, 0
	v_lshlrev_b64 v[0:1], 3, v[0:1]
	s_waitcnt vmcnt(0)
	v_mov_b32_e32 v2, s99
	v_add_co_u32_e32 v0, vcc, s98, v0
	v_addc_co_u32_e32 v1, vcc, v2, v1, vcc
	global_store_dwordx2 v[0:1], v[56:57], off
.LBB81_24:
	s_endpgm
.LBB81_25:
	v_mov_b32_e32 v59, 0
	v_lshlrev_b64 v[0:1], 3, v[58:59]
	s_waitcnt vmcnt(0)
	v_mov_b32_e32 v2, s99
	v_add_co_u32_e32 v0, vcc, s98, v0
	v_addc_co_u32_e32 v1, vcc, v2, v1, vcc
	v_mov_b32_e32 v47, v60
	global_store_dwordx2 v[0:1], v[50:51], off
	s_or_b64 exec, exec, s[4:5]
	v_cmp_gt_i32_e32 vcc, s33, v47
	s_and_saveexec_b64 s[4:5], vcc
	s_cbranch_execz .LBB81_21
.LBB81_26:
	v_add_u32_e32 v0, s8, v47
	v_mov_b32_e32 v1, 0
	v_lshlrev_b64 v[0:1], 3, v[0:1]
	s_waitcnt vmcnt(0)
	v_mov_b32_e32 v2, s99
	v_add_co_u32_e32 v0, vcc, s98, v0
	v_addc_co_u32_e32 v1, vcc, v2, v1, vcc
	v_add_u32_e32 v47, 0x100, v47
	global_store_dwordx2 v[0:1], v[52:53], off
	s_or_b64 exec, exec, s[4:5]
	v_cmp_gt_i32_e32 vcc, s33, v47
	s_and_saveexec_b64 s[4:5], vcc
	s_cbranch_execz .LBB81_22
.LBB81_27:
	v_add_u32_e32 v0, s8, v47
	v_mov_b32_e32 v1, 0
	v_lshlrev_b64 v[0:1], 3, v[0:1]
	s_waitcnt vmcnt(0)
	v_mov_b32_e32 v2, s99
	v_add_co_u32_e32 v0, vcc, s98, v0
	v_addc_co_u32_e32 v1, vcc, v2, v1, vcc
	v_add_u32_e32 v47, 0x100, v47
	global_store_dwordx2 v[0:1], v[54:55], off
	s_or_b64 exec, exec, s[4:5]
	v_cmp_gt_i32_e32 vcc, s33, v47
	s_and_saveexec_b64 s[4:5], vcc
	s_cbranch_execnz .LBB81_23
	s_branch .LBB81_24
	.section	.rodata,"a",@progbits
	.p2align	6, 0x0
	.amdhsa_kernel _ZN2at6native29vectorized_elementwise_kernelILi4EZZZNS0_21polygamma_kernel_cudaERNS_18TensorIteratorBaseElENKUlvE_clEvENKUlvE_clEvEUldE_St5arrayIPcLm2EEEEviT0_T1_
		.amdhsa_group_segment_fixed_size 0
		.amdhsa_private_segment_fixed_size 8
		.amdhsa_kernarg_size 32
		.amdhsa_user_sgpr_count 6
		.amdhsa_user_sgpr_private_segment_buffer 1
		.amdhsa_user_sgpr_dispatch_ptr 0
		.amdhsa_user_sgpr_queue_ptr 0
		.amdhsa_user_sgpr_kernarg_segment_ptr 1
		.amdhsa_user_sgpr_dispatch_id 0
		.amdhsa_user_sgpr_flat_scratch_init 0
		.amdhsa_user_sgpr_private_segment_size 0
		.amdhsa_uses_dynamic_stack 0
		.amdhsa_system_sgpr_private_segment_wavefront_offset 1
		.amdhsa_system_sgpr_workgroup_id_x 1
		.amdhsa_system_sgpr_workgroup_id_y 0
		.amdhsa_system_sgpr_workgroup_id_z 0
		.amdhsa_system_sgpr_workgroup_info 0
		.amdhsa_system_vgpr_workitem_id 0
		.amdhsa_next_free_vgpr 62
		.amdhsa_next_free_sgpr 100
		.amdhsa_reserve_vcc 1
		.amdhsa_reserve_flat_scratch 0
		.amdhsa_float_round_mode_32 0
		.amdhsa_float_round_mode_16_64 0
		.amdhsa_float_denorm_mode_32 3
		.amdhsa_float_denorm_mode_16_64 3
		.amdhsa_dx10_clamp 1
		.amdhsa_ieee_mode 1
		.amdhsa_fp16_overflow 0
		.amdhsa_exception_fp_ieee_invalid_op 0
		.amdhsa_exception_fp_denorm_src 0
		.amdhsa_exception_fp_ieee_div_zero 0
		.amdhsa_exception_fp_ieee_overflow 0
		.amdhsa_exception_fp_ieee_underflow 0
		.amdhsa_exception_fp_ieee_inexact 0
		.amdhsa_exception_int_div_zero 0
	.end_amdhsa_kernel
	.section	.text._ZN2at6native29vectorized_elementwise_kernelILi4EZZZNS0_21polygamma_kernel_cudaERNS_18TensorIteratorBaseElENKUlvE_clEvENKUlvE_clEvEUldE_St5arrayIPcLm2EEEEviT0_T1_,"axG",@progbits,_ZN2at6native29vectorized_elementwise_kernelILi4EZZZNS0_21polygamma_kernel_cudaERNS_18TensorIteratorBaseElENKUlvE_clEvENKUlvE_clEvEUldE_St5arrayIPcLm2EEEEviT0_T1_,comdat
.Lfunc_end81:
	.size	_ZN2at6native29vectorized_elementwise_kernelILi4EZZZNS0_21polygamma_kernel_cudaERNS_18TensorIteratorBaseElENKUlvE_clEvENKUlvE_clEvEUldE_St5arrayIPcLm2EEEEviT0_T1_, .Lfunc_end81-_ZN2at6native29vectorized_elementwise_kernelILi4EZZZNS0_21polygamma_kernel_cudaERNS_18TensorIteratorBaseElENKUlvE_clEvENKUlvE_clEvEUldE_St5arrayIPcLm2EEEEviT0_T1_
                                        ; -- End function
	.set _ZN2at6native29vectorized_elementwise_kernelILi4EZZZNS0_21polygamma_kernel_cudaERNS_18TensorIteratorBaseElENKUlvE_clEvENKUlvE_clEvEUldE_St5arrayIPcLm2EEEEviT0_T1_.num_vgpr, max(62, .L_ZZZZN2at6native21polygamma_kernel_cudaERNS_18TensorIteratorBaseElENKUlvE_clEvENKUlvE_clEvENKUldE_clEd.num_vgpr)
	.set _ZN2at6native29vectorized_elementwise_kernelILi4EZZZNS0_21polygamma_kernel_cudaERNS_18TensorIteratorBaseElENKUlvE_clEvENKUlvE_clEvEUldE_St5arrayIPcLm2EEEEviT0_T1_.num_agpr, max(0, .L_ZZZZN2at6native21polygamma_kernel_cudaERNS_18TensorIteratorBaseElENKUlvE_clEvENKUlvE_clEvENKUldE_clEd.num_agpr)
	.set _ZN2at6native29vectorized_elementwise_kernelILi4EZZZNS0_21polygamma_kernel_cudaERNS_18TensorIteratorBaseElENKUlvE_clEvENKUlvE_clEvEUldE_St5arrayIPcLm2EEEEviT0_T1_.numbered_sgpr, max(100, .L_ZZZZN2at6native21polygamma_kernel_cudaERNS_18TensorIteratorBaseElENKUlvE_clEvENKUlvE_clEvENKUldE_clEd.numbered_sgpr)
	.set _ZN2at6native29vectorized_elementwise_kernelILi4EZZZNS0_21polygamma_kernel_cudaERNS_18TensorIteratorBaseElENKUlvE_clEvENKUlvE_clEvEUldE_St5arrayIPcLm2EEEEviT0_T1_.num_named_barrier, max(0, .L_ZZZZN2at6native21polygamma_kernel_cudaERNS_18TensorIteratorBaseElENKUlvE_clEvENKUlvE_clEvENKUldE_clEd.num_named_barrier)
	.set _ZN2at6native29vectorized_elementwise_kernelILi4EZZZNS0_21polygamma_kernel_cudaERNS_18TensorIteratorBaseElENKUlvE_clEvENKUlvE_clEvEUldE_St5arrayIPcLm2EEEEviT0_T1_.private_seg_size, 0+max(.L_ZZZZN2at6native21polygamma_kernel_cudaERNS_18TensorIteratorBaseElENKUlvE_clEvENKUlvE_clEvENKUldE_clEd.private_seg_size)
	.set _ZN2at6native29vectorized_elementwise_kernelILi4EZZZNS0_21polygamma_kernel_cudaERNS_18TensorIteratorBaseElENKUlvE_clEvENKUlvE_clEvEUldE_St5arrayIPcLm2EEEEviT0_T1_.uses_vcc, or(1, .L_ZZZZN2at6native21polygamma_kernel_cudaERNS_18TensorIteratorBaseElENKUlvE_clEvENKUlvE_clEvENKUldE_clEd.uses_vcc)
	.set _ZN2at6native29vectorized_elementwise_kernelILi4EZZZNS0_21polygamma_kernel_cudaERNS_18TensorIteratorBaseElENKUlvE_clEvENKUlvE_clEvEUldE_St5arrayIPcLm2EEEEviT0_T1_.uses_flat_scratch, or(0, .L_ZZZZN2at6native21polygamma_kernel_cudaERNS_18TensorIteratorBaseElENKUlvE_clEvENKUlvE_clEvENKUldE_clEd.uses_flat_scratch)
	.set _ZN2at6native29vectorized_elementwise_kernelILi4EZZZNS0_21polygamma_kernel_cudaERNS_18TensorIteratorBaseElENKUlvE_clEvENKUlvE_clEvEUldE_St5arrayIPcLm2EEEEviT0_T1_.has_dyn_sized_stack, or(0, .L_ZZZZN2at6native21polygamma_kernel_cudaERNS_18TensorIteratorBaseElENKUlvE_clEvENKUlvE_clEvENKUldE_clEd.has_dyn_sized_stack)
	.set _ZN2at6native29vectorized_elementwise_kernelILi4EZZZNS0_21polygamma_kernel_cudaERNS_18TensorIteratorBaseElENKUlvE_clEvENKUlvE_clEvEUldE_St5arrayIPcLm2EEEEviT0_T1_.has_recursion, or(0, .L_ZZZZN2at6native21polygamma_kernel_cudaERNS_18TensorIteratorBaseElENKUlvE_clEvENKUlvE_clEvENKUldE_clEd.has_recursion)
	.set _ZN2at6native29vectorized_elementwise_kernelILi4EZZZNS0_21polygamma_kernel_cudaERNS_18TensorIteratorBaseElENKUlvE_clEvENKUlvE_clEvEUldE_St5arrayIPcLm2EEEEviT0_T1_.has_indirect_call, or(0, .L_ZZZZN2at6native21polygamma_kernel_cudaERNS_18TensorIteratorBaseElENKUlvE_clEvENKUlvE_clEvENKUldE_clEd.has_indirect_call)
	.section	.AMDGPU.csdata,"",@progbits
; Kernel info:
; codeLenInByte = 1452
; TotalNumSgprs: 104
; NumVgprs: 62
; ScratchSize: 8
; MemoryBound: 0
; FloatMode: 240
; IeeeMode: 1
; LDSByteSize: 0 bytes/workgroup (compile time only)
; SGPRBlocks: 12
; VGPRBlocks: 15
; NumSGPRsForWavesPerEU: 104
; NumVGPRsForWavesPerEU: 62
; Occupancy: 4
; WaveLimiterHint : 0
; COMPUTE_PGM_RSRC2:SCRATCH_EN: 1
; COMPUTE_PGM_RSRC2:USER_SGPR: 6
; COMPUTE_PGM_RSRC2:TRAP_HANDLER: 0
; COMPUTE_PGM_RSRC2:TGID_X_EN: 1
; COMPUTE_PGM_RSRC2:TGID_Y_EN: 0
; COMPUTE_PGM_RSRC2:TGID_Z_EN: 0
; COMPUTE_PGM_RSRC2:TIDIG_COMP_CNT: 0
	.section	.text._ZN2at6native29vectorized_elementwise_kernelILi2EZZZNS0_21polygamma_kernel_cudaERNS_18TensorIteratorBaseElENKUlvE_clEvENKUlvE_clEvEUldE_St5arrayIPcLm2EEEEviT0_T1_,"axG",@progbits,_ZN2at6native29vectorized_elementwise_kernelILi2EZZZNS0_21polygamma_kernel_cudaERNS_18TensorIteratorBaseElENKUlvE_clEvENKUlvE_clEvEUldE_St5arrayIPcLm2EEEEviT0_T1_,comdat
	.globl	_ZN2at6native29vectorized_elementwise_kernelILi2EZZZNS0_21polygamma_kernel_cudaERNS_18TensorIteratorBaseElENKUlvE_clEvENKUlvE_clEvEUldE_St5arrayIPcLm2EEEEviT0_T1_ ; -- Begin function _ZN2at6native29vectorized_elementwise_kernelILi2EZZZNS0_21polygamma_kernel_cudaERNS_18TensorIteratorBaseElENKUlvE_clEvENKUlvE_clEvEUldE_St5arrayIPcLm2EEEEviT0_T1_
	.p2align	8
	.type	_ZN2at6native29vectorized_elementwise_kernelILi2EZZZNS0_21polygamma_kernel_cudaERNS_18TensorIteratorBaseElENKUlvE_clEvENKUlvE_clEvEUldE_St5arrayIPcLm2EEEEviT0_T1_,@function
_ZN2at6native29vectorized_elementwise_kernelILi2EZZZNS0_21polygamma_kernel_cudaERNS_18TensorIteratorBaseElENKUlvE_clEvENKUlvE_clEvEUldE_St5arrayIPcLm2EEEEviT0_T1_: ; @_ZN2at6native29vectorized_elementwise_kernelILi2EZZZNS0_21polygamma_kernel_cudaERNS_18TensorIteratorBaseElENKUlvE_clEvENKUlvE_clEvEUldE_St5arrayIPcLm2EEEEviT0_T1_
; %bb.0:
	s_add_u32 s0, s0, s7
	s_load_dword s7, s[4:5], 0x0
	s_load_dwordx4 s[96:99], s[4:5], 0x8
	s_load_dwordx2 s[10:11], s[4:5], 0x18
	s_addc_u32 s1, s1, 0
	s_lshl_b32 s8, s6, 10
	s_waitcnt lgkmcnt(0)
	s_sub_i32 s33, s7, s8
	v_mov_b32_e32 v47, v0
	s_cmpk_gt_i32 s33, 0x3ff
	s_mov_b64 s[4:5], -1
	s_mov_b32 s32, 0
                                        ; implicit-def: $vgpr61 : SGPR spill to VGPR lane
	s_cbranch_scc0 .LBB82_2
; %bb.1:
	s_ashr_i32 s9, s8, 31
	v_writelane_b32 v61, s8, 2
	v_writelane_b32 v61, s9, 3
	s_lshl_b64 s[4:5], s[8:9], 3
	v_writelane_b32 v61, s4, 4
	v_writelane_b32 v61, s5, 5
	s_add_u32 s4, s10, s4
	s_addc_u32 s5, s11, s5
	v_lshlrev_b32_e32 v45, 4, v47
	v_mov_b32_e32 v0, s5
	v_add_co_u32_e32 v1, vcc, s4, v45
	v_addc_co_u32_e32 v2, vcc, 0, v0, vcc
	global_load_dwordx4 v[41:44], v45, s[4:5]
	v_add_co_u32_e32 v0, vcc, 0x1000, v1
	v_addc_co_u32_e32 v1, vcc, 0, v2, vcc
	global_load_dwordx4 v[50:53], v[0:1], off
	s_getpc_b64 s[86:87]
	s_add_u32 s86, s86, _ZZZZN2at6native21polygamma_kernel_cudaERNS_18TensorIteratorBaseElENKUlvE_clEvENKUlvE_clEvENKUldE_clEd@rel32@lo+4
	s_addc_u32 s87, s87, _ZZZZN2at6native21polygamma_kernel_cudaERNS_18TensorIteratorBaseElENKUlvE_clEvENKUlvE_clEvENKUldE_clEd@rel32@hi+12
	v_mov_b32_e32 v0, s96
	v_mov_b32_e32 v1, s97
	v_writelane_b32 v61, s10, 0
	v_writelane_b32 v61, s11, 1
	s_waitcnt vmcnt(1)
	v_mov_b32_e32 v2, v41
	v_mov_b32_e32 v3, v42
	s_swappc_b64 s[30:31], s[86:87]
	v_mov_b32_e32 v41, v0
	v_mov_b32_e32 v42, v1
	v_mov_b32_e32 v0, s96
	v_mov_b32_e32 v1, s97
	v_mov_b32_e32 v2, v43
	v_mov_b32_e32 v3, v44
	s_swappc_b64 s[30:31], s[86:87]
	v_mov_b32_e32 v43, v0
	v_mov_b32_e32 v44, v1
	v_mov_b32_e32 v0, s96
	v_mov_b32_e32 v1, s97
	;; [unrolled: 7-line block ×3, first 2 shown]
	v_mov_b32_e32 v2, v52
	v_mov_b32_e32 v3, v53
	s_swappc_b64 s[30:31], s[86:87]
	v_readlane_b32 s4, v61, 4
	v_readlane_b32 s5, v61, 5
	s_add_u32 s4, s98, s4
	s_addc_u32 s5, s99, s5
	v_mov_b32_e32 v52, v0
	v_mov_b32_e32 v53, v1
	;; [unrolled: 1-line block ×3, first 2 shown]
	v_add_co_u32_e32 v1, vcc, s4, v45
	v_addc_co_u32_e32 v2, vcc, 0, v0, vcc
	v_add_co_u32_e32 v0, vcc, 0x1000, v1
	v_readlane_b32 s10, v61, 0
	v_readlane_b32 s8, v61, 2
	v_addc_co_u32_e32 v1, vcc, 0, v2, vcc
	v_readlane_b32 s11, v61, 1
	v_readlane_b32 s9, v61, 3
	global_store_dwordx4 v45, v[41:44], s[4:5]
	global_store_dwordx4 v[0:1], v[50:53], off
	s_mov_b64 s[4:5], 0
.LBB82_2:
	s_andn2_b64 vcc, exec, s[4:5]
	s_cbranch_vccnz .LBB82_24
; %bb.3:
	v_mov_b32_e32 v43, 0
	v_mov_b32_e32 v2, 0
	;; [unrolled: 1-line block ×3, first 2 shown]
	v_or_b32_e32 v58, s8, v47
	v_mov_b32_e32 v3, 0
	v_mov_b32_e32 v0, v47
	v_cmp_gt_i32_e64 s[6:7], s33, v47
	s_mov_b64 s[4:5], exec
	v_writelane_b32 v61, s6, 0
	v_writelane_b32 v61, s7, 1
	s_and_b64 s[6:7], s[4:5], s[6:7]
	s_mov_b64 exec, s[6:7]
	s_cbranch_execz .LBB82_5
; %bb.4:
	v_mov_b32_e32 v59, 0
	v_lshlrev_b64 v[0:1], 3, v[58:59]
	v_mov_b32_e32 v2, s11
	v_add_co_u32_e32 v0, vcc, s10, v0
	v_addc_co_u32_e32 v1, vcc, v2, v1, vcc
	global_load_dwordx2 v[2:3], v[0:1], off
	v_or_b32_e32 v0, 0x100, v47
.LBB82_5:
	s_or_b64 exec, exec, s[4:5]
	v_cmp_gt_i32_e32 vcc, s33, v0
	s_and_saveexec_b64 s[4:5], vcc
	s_cbranch_execz .LBB82_7
; %bb.6:
	v_add_u32_e32 v4, s8, v0
	v_mov_b32_e32 v5, 0
	v_lshlrev_b64 v[4:5], 3, v[4:5]
	v_mov_b32_e32 v1, s11
	v_add_co_u32_e32 v4, vcc, s10, v4
	v_addc_co_u32_e32 v5, vcc, v1, v5, vcc
	global_load_dwordx2 v[43:44], v[4:5], off
	v_add_u32_e32 v0, 0x100, v0
.LBB82_7:
	s_or_b64 exec, exec, s[4:5]
	v_mov_b32_e32 v41, 0
	v_mov_b32_e32 v45, 0
	;; [unrolled: 1-line block ×4, first 2 shown]
	v_cmp_gt_i32_e32 vcc, s33, v0
	s_and_saveexec_b64 s[4:5], vcc
	s_cbranch_execz .LBB82_9
; %bb.8:
	v_add_u32_e32 v4, s8, v0
	v_mov_b32_e32 v5, 0
	v_lshlrev_b64 v[4:5], 3, v[4:5]
	v_mov_b32_e32 v1, s11
	v_add_co_u32_e32 v4, vcc, s10, v4
	v_addc_co_u32_e32 v5, vcc, v1, v5, vcc
	global_load_dwordx2 v[45:46], v[4:5], off
	v_add_u32_e32 v0, 0x100, v0
.LBB82_9:
	s_or_b64 exec, exec, s[4:5]
	v_cmp_gt_i32_e32 vcc, s33, v0
	s_and_saveexec_b64 s[4:5], vcc
	s_cbranch_execz .LBB82_11
; %bb.10:
	v_add_u32_e32 v0, s8, v0
	v_mov_b32_e32 v1, 0
	v_lshlrev_b64 v[0:1], 3, v[0:1]
	v_mov_b32_e32 v4, s11
	v_add_co_u32_e32 v0, vcc, s10, v0
	v_addc_co_u32_e32 v1, vcc, v4, v1, vcc
	global_load_dwordx2 v[41:42], v[0:1], off
.LBB82_11:
	s_or_b64 exec, exec, s[4:5]
	v_mov_b32_e32 v50, 0
	v_mov_b32_e32 v51, v50
	;; [unrolled: 1-line block ×8, first 2 shown]
	s_mov_b64 s[86:87], exec
	v_readlane_b32 s4, v61, 0
	v_readlane_b32 s5, v61, 1
	s_mov_b32 s6, s8
	s_and_b64 s[4:5], s[86:87], s[4:5]
	v_writelane_b32 v61, s6, 2
	v_writelane_b32 v61, s7, 3
	s_mov_b64 exec, s[4:5]
	s_cbranch_execz .LBB82_13
; %bb.12:
	s_getpc_b64 s[4:5]
	s_add_u32 s4, s4, _ZZZZN2at6native21polygamma_kernel_cudaERNS_18TensorIteratorBaseElENKUlvE_clEvENKUlvE_clEvENKUldE_clEd@rel32@lo+4
	s_addc_u32 s5, s5, _ZZZZN2at6native21polygamma_kernel_cudaERNS_18TensorIteratorBaseElENKUlvE_clEvENKUlvE_clEvENKUldE_clEd@rel32@hi+12
	v_mov_b32_e32 v0, s96
	v_mov_b32_e32 v1, s97
	s_swappc_b64 s[30:31], s[4:5]
	v_mov_b32_e32 v7, v50
	v_mov_b32_e32 v2, v50
	;; [unrolled: 1-line block ×7, first 2 shown]
	v_readlane_b32 s8, v61, 2
	v_mov_b32_e32 v56, v6
	v_mov_b32_e32 v55, v5
	;; [unrolled: 1-line block ×7, first 2 shown]
	v_readlane_b32 s9, v61, 3
.LBB82_13:
	s_or_b64 exec, exec, s[86:87]
	v_or_b32_e32 v60, 0x100, v47
	v_cmp_gt_i32_e32 vcc, s33, v60
	s_and_saveexec_b64 s[86:87], vcc
	s_cbranch_execz .LBB82_15
; %bb.14:
	s_getpc_b64 s[4:5]
	s_add_u32 s4, s4, _ZZZZN2at6native21polygamma_kernel_cudaERNS_18TensorIteratorBaseElENKUlvE_clEvENKUlvE_clEvENKUldE_clEd@rel32@lo+4
	s_addc_u32 s5, s5, _ZZZZN2at6native21polygamma_kernel_cudaERNS_18TensorIteratorBaseElENKUlvE_clEvENKUlvE_clEvENKUldE_clEd@rel32@hi+12
	v_mov_b32_e32 v0, s96
	v_mov_b32_e32 v1, s97
	s_waitcnt vmcnt(0)
	v_mov_b32_e32 v2, v43
	v_mov_b32_e32 v3, v44
	s_swappc_b64 s[30:31], s[4:5]
	v_readlane_b32 s8, v61, 2
	v_mov_b32_e32 v52, v0
	v_mov_b32_e32 v53, v1
	v_readlane_b32 s9, v61, 3
.LBB82_15:
	s_or_b64 exec, exec, s[86:87]
	v_or_b32_e32 v0, 0x200, v47
	v_cmp_gt_i32_e32 vcc, s33, v0
	s_and_saveexec_b64 s[86:87], vcc
	s_cbranch_execz .LBB82_17
; %bb.16:
	s_getpc_b64 s[4:5]
	s_add_u32 s4, s4, _ZZZZN2at6native21polygamma_kernel_cudaERNS_18TensorIteratorBaseElENKUlvE_clEvENKUlvE_clEvENKUldE_clEd@rel32@lo+4
	s_addc_u32 s5, s5, _ZZZZN2at6native21polygamma_kernel_cudaERNS_18TensorIteratorBaseElENKUlvE_clEvENKUlvE_clEvENKUldE_clEd@rel32@hi+12
	v_mov_b32_e32 v0, s96
	v_mov_b32_e32 v1, s97
	s_waitcnt vmcnt(0)
	v_mov_b32_e32 v2, v45
	v_mov_b32_e32 v3, v46
	s_swappc_b64 s[30:31], s[4:5]
	v_readlane_b32 s8, v61, 2
	v_mov_b32_e32 v54, v0
	v_mov_b32_e32 v55, v1
	v_readlane_b32 s9, v61, 3
.LBB82_17:
	;; [unrolled: 20-line block ×3, first 2 shown]
	s_or_b64 exec, exec, s[86:87]
	s_mov_b64 s[4:5], exec
	v_readlane_b32 s6, v61, 0
	v_readlane_b32 s7, v61, 1
	s_and_b64 s[6:7], s[4:5], s[6:7]
	s_xor_b64 s[4:5], s[6:7], s[4:5]
	s_mov_b64 exec, s[6:7]
	s_cbranch_execnz .LBB82_25
; %bb.20:
	s_or_b64 exec, exec, s[4:5]
	v_cmp_gt_i32_e32 vcc, s33, v47
	s_and_saveexec_b64 s[4:5], vcc
	s_cbranch_execnz .LBB82_26
.LBB82_21:
	s_or_b64 exec, exec, s[4:5]
	v_cmp_gt_i32_e32 vcc, s33, v47
	s_and_saveexec_b64 s[4:5], vcc
	s_cbranch_execnz .LBB82_27
.LBB82_22:
	s_or_b64 exec, exec, s[4:5]
	v_cmp_gt_i32_e32 vcc, s33, v47
	s_and_saveexec_b64 s[4:5], vcc
	s_cbranch_execz .LBB82_24
.LBB82_23:
	v_add_u32_e32 v0, s8, v47
	v_mov_b32_e32 v1, 0
	v_lshlrev_b64 v[0:1], 3, v[0:1]
	s_waitcnt vmcnt(0)
	v_mov_b32_e32 v2, s99
	v_add_co_u32_e32 v0, vcc, s98, v0
	v_addc_co_u32_e32 v1, vcc, v2, v1, vcc
	global_store_dwordx2 v[0:1], v[56:57], off
.LBB82_24:
	s_endpgm
.LBB82_25:
	v_mov_b32_e32 v59, 0
	v_lshlrev_b64 v[0:1], 3, v[58:59]
	s_waitcnt vmcnt(0)
	v_mov_b32_e32 v2, s99
	v_add_co_u32_e32 v0, vcc, s98, v0
	v_addc_co_u32_e32 v1, vcc, v2, v1, vcc
	v_mov_b32_e32 v47, v60
	global_store_dwordx2 v[0:1], v[50:51], off
	s_or_b64 exec, exec, s[4:5]
	v_cmp_gt_i32_e32 vcc, s33, v47
	s_and_saveexec_b64 s[4:5], vcc
	s_cbranch_execz .LBB82_21
.LBB82_26:
	v_add_u32_e32 v0, s8, v47
	v_mov_b32_e32 v1, 0
	v_lshlrev_b64 v[0:1], 3, v[0:1]
	s_waitcnt vmcnt(0)
	v_mov_b32_e32 v2, s99
	v_add_co_u32_e32 v0, vcc, s98, v0
	v_addc_co_u32_e32 v1, vcc, v2, v1, vcc
	v_add_u32_e32 v47, 0x100, v47
	global_store_dwordx2 v[0:1], v[52:53], off
	s_or_b64 exec, exec, s[4:5]
	v_cmp_gt_i32_e32 vcc, s33, v47
	s_and_saveexec_b64 s[4:5], vcc
	s_cbranch_execz .LBB82_22
.LBB82_27:
	v_add_u32_e32 v0, s8, v47
	v_mov_b32_e32 v1, 0
	v_lshlrev_b64 v[0:1], 3, v[0:1]
	s_waitcnt vmcnt(0)
	v_mov_b32_e32 v2, s99
	v_add_co_u32_e32 v0, vcc, s98, v0
	v_addc_co_u32_e32 v1, vcc, v2, v1, vcc
	v_add_u32_e32 v47, 0x100, v47
	global_store_dwordx2 v[0:1], v[54:55], off
	s_or_b64 exec, exec, s[4:5]
	v_cmp_gt_i32_e32 vcc, s33, v47
	s_and_saveexec_b64 s[4:5], vcc
	s_cbranch_execnz .LBB82_23
	s_branch .LBB82_24
	.section	.rodata,"a",@progbits
	.p2align	6, 0x0
	.amdhsa_kernel _ZN2at6native29vectorized_elementwise_kernelILi2EZZZNS0_21polygamma_kernel_cudaERNS_18TensorIteratorBaseElENKUlvE_clEvENKUlvE_clEvEUldE_St5arrayIPcLm2EEEEviT0_T1_
		.amdhsa_group_segment_fixed_size 0
		.amdhsa_private_segment_fixed_size 8
		.amdhsa_kernarg_size 32
		.amdhsa_user_sgpr_count 6
		.amdhsa_user_sgpr_private_segment_buffer 1
		.amdhsa_user_sgpr_dispatch_ptr 0
		.amdhsa_user_sgpr_queue_ptr 0
		.amdhsa_user_sgpr_kernarg_segment_ptr 1
		.amdhsa_user_sgpr_dispatch_id 0
		.amdhsa_user_sgpr_flat_scratch_init 0
		.amdhsa_user_sgpr_private_segment_size 0
		.amdhsa_uses_dynamic_stack 0
		.amdhsa_system_sgpr_private_segment_wavefront_offset 1
		.amdhsa_system_sgpr_workgroup_id_x 1
		.amdhsa_system_sgpr_workgroup_id_y 0
		.amdhsa_system_sgpr_workgroup_id_z 0
		.amdhsa_system_sgpr_workgroup_info 0
		.amdhsa_system_vgpr_workitem_id 0
		.amdhsa_next_free_vgpr 62
		.amdhsa_next_free_sgpr 100
		.amdhsa_reserve_vcc 1
		.amdhsa_reserve_flat_scratch 0
		.amdhsa_float_round_mode_32 0
		.amdhsa_float_round_mode_16_64 0
		.amdhsa_float_denorm_mode_32 3
		.amdhsa_float_denorm_mode_16_64 3
		.amdhsa_dx10_clamp 1
		.amdhsa_ieee_mode 1
		.amdhsa_fp16_overflow 0
		.amdhsa_exception_fp_ieee_invalid_op 0
		.amdhsa_exception_fp_denorm_src 0
		.amdhsa_exception_fp_ieee_div_zero 0
		.amdhsa_exception_fp_ieee_overflow 0
		.amdhsa_exception_fp_ieee_underflow 0
		.amdhsa_exception_fp_ieee_inexact 0
		.amdhsa_exception_int_div_zero 0
	.end_amdhsa_kernel
	.section	.text._ZN2at6native29vectorized_elementwise_kernelILi2EZZZNS0_21polygamma_kernel_cudaERNS_18TensorIteratorBaseElENKUlvE_clEvENKUlvE_clEvEUldE_St5arrayIPcLm2EEEEviT0_T1_,"axG",@progbits,_ZN2at6native29vectorized_elementwise_kernelILi2EZZZNS0_21polygamma_kernel_cudaERNS_18TensorIteratorBaseElENKUlvE_clEvENKUlvE_clEvEUldE_St5arrayIPcLm2EEEEviT0_T1_,comdat
.Lfunc_end82:
	.size	_ZN2at6native29vectorized_elementwise_kernelILi2EZZZNS0_21polygamma_kernel_cudaERNS_18TensorIteratorBaseElENKUlvE_clEvENKUlvE_clEvEUldE_St5arrayIPcLm2EEEEviT0_T1_, .Lfunc_end82-_ZN2at6native29vectorized_elementwise_kernelILi2EZZZNS0_21polygamma_kernel_cudaERNS_18TensorIteratorBaseElENKUlvE_clEvENKUlvE_clEvEUldE_St5arrayIPcLm2EEEEviT0_T1_
                                        ; -- End function
	.set _ZN2at6native29vectorized_elementwise_kernelILi2EZZZNS0_21polygamma_kernel_cudaERNS_18TensorIteratorBaseElENKUlvE_clEvENKUlvE_clEvEUldE_St5arrayIPcLm2EEEEviT0_T1_.num_vgpr, max(62, .L_ZZZZN2at6native21polygamma_kernel_cudaERNS_18TensorIteratorBaseElENKUlvE_clEvENKUlvE_clEvENKUldE_clEd.num_vgpr)
	.set _ZN2at6native29vectorized_elementwise_kernelILi2EZZZNS0_21polygamma_kernel_cudaERNS_18TensorIteratorBaseElENKUlvE_clEvENKUlvE_clEvEUldE_St5arrayIPcLm2EEEEviT0_T1_.num_agpr, max(0, .L_ZZZZN2at6native21polygamma_kernel_cudaERNS_18TensorIteratorBaseElENKUlvE_clEvENKUlvE_clEvENKUldE_clEd.num_agpr)
	.set _ZN2at6native29vectorized_elementwise_kernelILi2EZZZNS0_21polygamma_kernel_cudaERNS_18TensorIteratorBaseElENKUlvE_clEvENKUlvE_clEvEUldE_St5arrayIPcLm2EEEEviT0_T1_.numbered_sgpr, max(100, .L_ZZZZN2at6native21polygamma_kernel_cudaERNS_18TensorIteratorBaseElENKUlvE_clEvENKUlvE_clEvENKUldE_clEd.numbered_sgpr)
	.set _ZN2at6native29vectorized_elementwise_kernelILi2EZZZNS0_21polygamma_kernel_cudaERNS_18TensorIteratorBaseElENKUlvE_clEvENKUlvE_clEvEUldE_St5arrayIPcLm2EEEEviT0_T1_.num_named_barrier, max(0, .L_ZZZZN2at6native21polygamma_kernel_cudaERNS_18TensorIteratorBaseElENKUlvE_clEvENKUlvE_clEvENKUldE_clEd.num_named_barrier)
	.set _ZN2at6native29vectorized_elementwise_kernelILi2EZZZNS0_21polygamma_kernel_cudaERNS_18TensorIteratorBaseElENKUlvE_clEvENKUlvE_clEvEUldE_St5arrayIPcLm2EEEEviT0_T1_.private_seg_size, 0+max(.L_ZZZZN2at6native21polygamma_kernel_cudaERNS_18TensorIteratorBaseElENKUlvE_clEvENKUlvE_clEvENKUldE_clEd.private_seg_size)
	.set _ZN2at6native29vectorized_elementwise_kernelILi2EZZZNS0_21polygamma_kernel_cudaERNS_18TensorIteratorBaseElENKUlvE_clEvENKUlvE_clEvEUldE_St5arrayIPcLm2EEEEviT0_T1_.uses_vcc, or(1, .L_ZZZZN2at6native21polygamma_kernel_cudaERNS_18TensorIteratorBaseElENKUlvE_clEvENKUlvE_clEvENKUldE_clEd.uses_vcc)
	.set _ZN2at6native29vectorized_elementwise_kernelILi2EZZZNS0_21polygamma_kernel_cudaERNS_18TensorIteratorBaseElENKUlvE_clEvENKUlvE_clEvEUldE_St5arrayIPcLm2EEEEviT0_T1_.uses_flat_scratch, or(0, .L_ZZZZN2at6native21polygamma_kernel_cudaERNS_18TensorIteratorBaseElENKUlvE_clEvENKUlvE_clEvENKUldE_clEd.uses_flat_scratch)
	.set _ZN2at6native29vectorized_elementwise_kernelILi2EZZZNS0_21polygamma_kernel_cudaERNS_18TensorIteratorBaseElENKUlvE_clEvENKUlvE_clEvEUldE_St5arrayIPcLm2EEEEviT0_T1_.has_dyn_sized_stack, or(0, .L_ZZZZN2at6native21polygamma_kernel_cudaERNS_18TensorIteratorBaseElENKUlvE_clEvENKUlvE_clEvENKUldE_clEd.has_dyn_sized_stack)
	.set _ZN2at6native29vectorized_elementwise_kernelILi2EZZZNS0_21polygamma_kernel_cudaERNS_18TensorIteratorBaseElENKUlvE_clEvENKUlvE_clEvEUldE_St5arrayIPcLm2EEEEviT0_T1_.has_recursion, or(0, .L_ZZZZN2at6native21polygamma_kernel_cudaERNS_18TensorIteratorBaseElENKUlvE_clEvENKUlvE_clEvENKUldE_clEd.has_recursion)
	.set _ZN2at6native29vectorized_elementwise_kernelILi2EZZZNS0_21polygamma_kernel_cudaERNS_18TensorIteratorBaseElENKUlvE_clEvENKUlvE_clEvEUldE_St5arrayIPcLm2EEEEviT0_T1_.has_indirect_call, or(0, .L_ZZZZN2at6native21polygamma_kernel_cudaERNS_18TensorIteratorBaseElENKUlvE_clEvENKUlvE_clEvENKUldE_clEd.has_indirect_call)
	.section	.AMDGPU.csdata,"",@progbits
; Kernel info:
; codeLenInByte = 1496
; TotalNumSgprs: 104
; NumVgprs: 62
; ScratchSize: 8
; MemoryBound: 0
; FloatMode: 240
; IeeeMode: 1
; LDSByteSize: 0 bytes/workgroup (compile time only)
; SGPRBlocks: 12
; VGPRBlocks: 15
; NumSGPRsForWavesPerEU: 104
; NumVGPRsForWavesPerEU: 62
; Occupancy: 4
; WaveLimiterHint : 1
; COMPUTE_PGM_RSRC2:SCRATCH_EN: 1
; COMPUTE_PGM_RSRC2:USER_SGPR: 6
; COMPUTE_PGM_RSRC2:TRAP_HANDLER: 0
; COMPUTE_PGM_RSRC2:TGID_X_EN: 1
; COMPUTE_PGM_RSRC2:TGID_Y_EN: 0
; COMPUTE_PGM_RSRC2:TGID_Z_EN: 0
; COMPUTE_PGM_RSRC2:TIDIG_COMP_CNT: 0
	.section	.text._ZN2at6native27unrolled_elementwise_kernelIZZZNS0_21polygamma_kernel_cudaERNS_18TensorIteratorBaseElENKUlvE_clEvENKUlvE_clEvEUldE_St5arrayIPcLm2EELi4E23TrivialOffsetCalculatorILi1EjESB_NS0_6memory15LoadWithoutCastENSC_16StoreWithoutCastEEEviT_T0_T2_T3_T4_T5_,"axG",@progbits,_ZN2at6native27unrolled_elementwise_kernelIZZZNS0_21polygamma_kernel_cudaERNS_18TensorIteratorBaseElENKUlvE_clEvENKUlvE_clEvEUldE_St5arrayIPcLm2EELi4E23TrivialOffsetCalculatorILi1EjESB_NS0_6memory15LoadWithoutCastENSC_16StoreWithoutCastEEEviT_T0_T2_T3_T4_T5_,comdat
	.globl	_ZN2at6native27unrolled_elementwise_kernelIZZZNS0_21polygamma_kernel_cudaERNS_18TensorIteratorBaseElENKUlvE_clEvENKUlvE_clEvEUldE_St5arrayIPcLm2EELi4E23TrivialOffsetCalculatorILi1EjESB_NS0_6memory15LoadWithoutCastENSC_16StoreWithoutCastEEEviT_T0_T2_T3_T4_T5_ ; -- Begin function _ZN2at6native27unrolled_elementwise_kernelIZZZNS0_21polygamma_kernel_cudaERNS_18TensorIteratorBaseElENKUlvE_clEvENKUlvE_clEvEUldE_St5arrayIPcLm2EELi4E23TrivialOffsetCalculatorILi1EjESB_NS0_6memory15LoadWithoutCastENSC_16StoreWithoutCastEEEviT_T0_T2_T3_T4_T5_
	.p2align	8
	.type	_ZN2at6native27unrolled_elementwise_kernelIZZZNS0_21polygamma_kernel_cudaERNS_18TensorIteratorBaseElENKUlvE_clEvENKUlvE_clEvEUldE_St5arrayIPcLm2EELi4E23TrivialOffsetCalculatorILi1EjESB_NS0_6memory15LoadWithoutCastENSC_16StoreWithoutCastEEEviT_T0_T2_T3_T4_T5_,@function
_ZN2at6native27unrolled_elementwise_kernelIZZZNS0_21polygamma_kernel_cudaERNS_18TensorIteratorBaseElENKUlvE_clEvENKUlvE_clEvEUldE_St5arrayIPcLm2EELi4E23TrivialOffsetCalculatorILi1EjESB_NS0_6memory15LoadWithoutCastENSC_16StoreWithoutCastEEEviT_T0_T2_T3_T4_T5_: ; @_ZN2at6native27unrolled_elementwise_kernelIZZZNS0_21polygamma_kernel_cudaERNS_18TensorIteratorBaseElENKUlvE_clEvENKUlvE_clEvEUldE_St5arrayIPcLm2EELi4E23TrivialOffsetCalculatorILi1EjESB_NS0_6memory15LoadWithoutCastENSC_16StoreWithoutCastEEEviT_T0_T2_T3_T4_T5_
; %bb.0:
	s_add_u32 s0, s0, s7
	s_load_dword s7, s[4:5], 0x0
	s_load_dwordx2 s[8:9], s[4:5], 0x18
	s_addc_u32 s1, s1, 0
	v_mov_b32_e32 v47, v0
	s_lshl_b32 s6, s6, 10
	v_mov_b32_e32 v43, 0
	v_mov_b32_e32 v2, 0
	s_waitcnt lgkmcnt(0)
	s_sub_i32 s33, s7, s6
	v_mov_b32_e32 v44, 0
                                        ; implicit-def: $vgpr61 : SGPR spill to VGPR lane
	v_or_b32_e32 v58, s6, v47
	v_mov_b32_e32 v3, 0
	s_mov_b32 s32, 0
	v_cmp_gt_i32_e64 s[10:11], s33, v47
	v_writelane_b32 v61, s6, 0
	s_mov_b64 s[6:7], exec
	v_writelane_b32 v61, s10, 1
	v_writelane_b32 v61, s11, 2
	s_and_b64 s[10:11], s[6:7], s[10:11]
	s_mov_b64 exec, s[10:11]
	s_cbranch_execz .LBB83_2
; %bb.1:
	v_mov_b32_e32 v59, 0
	v_lshlrev_b64 v[0:1], 3, v[58:59]
	v_mov_b32_e32 v2, s9
	v_add_co_u32_e32 v0, vcc, s8, v0
	v_addc_co_u32_e32 v1, vcc, v2, v1, vcc
	global_load_dwordx2 v[2:3], v[0:1], off
	v_or_b32_e32 v0, 0x100, v47
.LBB83_2:
	s_or_b64 exec, exec, s[6:7]
	s_load_dwordx4 s[96:99], s[4:5], 0x8
	v_cmp_gt_i32_e32 vcc, s33, v0
	s_and_saveexec_b64 s[4:5], vcc
	s_cbranch_execz .LBB83_4
; %bb.3:
	v_readlane_b32 s6, v61, 0
	v_add_u32_e32 v4, s6, v0
	v_mov_b32_e32 v5, 0
	v_lshlrev_b64 v[4:5], 3, v[4:5]
	v_mov_b32_e32 v1, s9
	v_add_co_u32_e32 v4, vcc, s8, v4
	v_addc_co_u32_e32 v5, vcc, v1, v5, vcc
	global_load_dwordx2 v[43:44], v[4:5], off
	v_add_u32_e32 v0, 0x100, v0
.LBB83_4:
	s_or_b64 exec, exec, s[4:5]
	v_mov_b32_e32 v41, 0
	v_mov_b32_e32 v45, 0
	;; [unrolled: 1-line block ×4, first 2 shown]
	v_cmp_gt_i32_e32 vcc, s33, v0
	s_and_saveexec_b64 s[4:5], vcc
	s_cbranch_execz .LBB83_6
; %bb.5:
	v_readlane_b32 s6, v61, 0
	v_add_u32_e32 v4, s6, v0
	v_mov_b32_e32 v5, 0
	v_lshlrev_b64 v[4:5], 3, v[4:5]
	v_mov_b32_e32 v1, s9
	v_add_co_u32_e32 v4, vcc, s8, v4
	v_addc_co_u32_e32 v5, vcc, v1, v5, vcc
	global_load_dwordx2 v[45:46], v[4:5], off
	v_add_u32_e32 v0, 0x100, v0
.LBB83_6:
	s_or_b64 exec, exec, s[4:5]
	v_cmp_gt_i32_e32 vcc, s33, v0
	s_and_saveexec_b64 s[4:5], vcc
	s_cbranch_execz .LBB83_8
; %bb.7:
	v_readlane_b32 s6, v61, 0
	v_add_u32_e32 v0, s6, v0
	v_mov_b32_e32 v1, 0
	v_lshlrev_b64 v[0:1], 3, v[0:1]
	v_mov_b32_e32 v4, s9
	v_add_co_u32_e32 v0, vcc, s8, v0
	v_addc_co_u32_e32 v1, vcc, v4, v1, vcc
	global_load_dwordx2 v[41:42], v[0:1], off
.LBB83_8:
	s_or_b64 exec, exec, s[4:5]
	v_mov_b32_e32 v50, 0
	v_mov_b32_e32 v51, v50
	;; [unrolled: 1-line block ×8, first 2 shown]
	s_mov_b64 s[86:87], exec
	v_readlane_b32 s4, v61, 1
	v_readlane_b32 s5, v61, 2
	s_and_b64 s[4:5], s[86:87], s[4:5]
	s_mov_b64 exec, s[4:5]
	s_cbranch_execz .LBB83_10
; %bb.9:
	s_getpc_b64 s[4:5]
	s_add_u32 s4, s4, _ZZZZN2at6native21polygamma_kernel_cudaERNS_18TensorIteratorBaseElENKUlvE_clEvENKUlvE_clEvENKUldE_clEd@rel32@lo+4
	s_addc_u32 s5, s5, _ZZZZN2at6native21polygamma_kernel_cudaERNS_18TensorIteratorBaseElENKUlvE_clEvENKUlvE_clEvENKUldE_clEd@rel32@hi+12
	s_waitcnt lgkmcnt(0)
	v_mov_b32_e32 v0, s96
	v_mov_b32_e32 v1, s97
	s_swappc_b64 s[30:31], s[4:5]
	v_mov_b32_e32 v7, v50
	v_mov_b32_e32 v2, v50
	;; [unrolled: 1-line block ×14, first 2 shown]
.LBB83_10:
	s_or_b64 exec, exec, s[86:87]
	v_or_b32_e32 v60, 0x100, v47
	v_cmp_gt_i32_e32 vcc, s33, v60
	s_and_saveexec_b64 s[86:87], vcc
	s_cbranch_execz .LBB83_12
; %bb.11:
	s_getpc_b64 s[4:5]
	s_add_u32 s4, s4, _ZZZZN2at6native21polygamma_kernel_cudaERNS_18TensorIteratorBaseElENKUlvE_clEvENKUlvE_clEvENKUldE_clEd@rel32@lo+4
	s_addc_u32 s5, s5, _ZZZZN2at6native21polygamma_kernel_cudaERNS_18TensorIteratorBaseElENKUlvE_clEvENKUlvE_clEvENKUldE_clEd@rel32@hi+12
	s_waitcnt lgkmcnt(0)
	v_mov_b32_e32 v0, s96
	v_mov_b32_e32 v1, s97
	s_waitcnt vmcnt(0)
	v_mov_b32_e32 v2, v43
	v_mov_b32_e32 v3, v44
	s_swappc_b64 s[30:31], s[4:5]
	v_mov_b32_e32 v52, v0
	v_mov_b32_e32 v53, v1
.LBB83_12:
	s_or_b64 exec, exec, s[86:87]
	v_or_b32_e32 v0, 0x200, v47
	v_cmp_gt_i32_e32 vcc, s33, v0
	s_and_saveexec_b64 s[86:87], vcc
	s_cbranch_execz .LBB83_14
; %bb.13:
	s_getpc_b64 s[4:5]
	s_add_u32 s4, s4, _ZZZZN2at6native21polygamma_kernel_cudaERNS_18TensorIteratorBaseElENKUlvE_clEvENKUlvE_clEvENKUldE_clEd@rel32@lo+4
	s_addc_u32 s5, s5, _ZZZZN2at6native21polygamma_kernel_cudaERNS_18TensorIteratorBaseElENKUlvE_clEvENKUlvE_clEvENKUldE_clEd@rel32@hi+12
	s_waitcnt lgkmcnt(0)
	v_mov_b32_e32 v0, s96
	v_mov_b32_e32 v1, s97
	s_waitcnt vmcnt(0)
	v_mov_b32_e32 v2, v45
	v_mov_b32_e32 v3, v46
	s_swappc_b64 s[30:31], s[4:5]
	v_mov_b32_e32 v54, v0
	v_mov_b32_e32 v55, v1
.LBB83_14:
	;; [unrolled: 19-line block ×3, first 2 shown]
	s_or_b64 exec, exec, s[86:87]
	s_mov_b64 s[4:5], exec
	v_readlane_b32 s6, v61, 1
	v_readlane_b32 s7, v61, 2
	s_and_b64 s[6:7], s[4:5], s[6:7]
	s_xor_b64 s[4:5], s[6:7], s[4:5]
	s_mov_b64 exec, s[6:7]
	s_cbranch_execnz .LBB83_21
; %bb.17:
	s_or_b64 exec, exec, s[4:5]
	v_cmp_gt_i32_e32 vcc, s33, v47
	s_and_saveexec_b64 s[4:5], vcc
	s_cbranch_execnz .LBB83_22
.LBB83_18:
	s_or_b64 exec, exec, s[4:5]
	v_cmp_gt_i32_e32 vcc, s33, v47
	s_and_saveexec_b64 s[4:5], vcc
	s_cbranch_execnz .LBB83_23
.LBB83_19:
	s_or_b64 exec, exec, s[4:5]
	v_cmp_gt_i32_e32 vcc, s33, v47
	s_and_saveexec_b64 s[4:5], vcc
	s_cbranch_execnz .LBB83_24
.LBB83_20:
	s_endpgm
.LBB83_21:
	v_mov_b32_e32 v59, 0
	v_lshlrev_b64 v[0:1], 3, v[58:59]
	s_waitcnt vmcnt(0) lgkmcnt(0)
	v_mov_b32_e32 v2, s99
	v_add_co_u32_e32 v0, vcc, s98, v0
	v_addc_co_u32_e32 v1, vcc, v2, v1, vcc
	v_mov_b32_e32 v47, v60
	global_store_dwordx2 v[0:1], v[50:51], off
	s_or_b64 exec, exec, s[4:5]
	v_cmp_gt_i32_e32 vcc, s33, v47
	s_and_saveexec_b64 s[4:5], vcc
	s_cbranch_execz .LBB83_18
.LBB83_22:
	v_readlane_b32 s6, v61, 0
	v_add_u32_e32 v0, s6, v47
	v_mov_b32_e32 v1, 0
	v_lshlrev_b64 v[0:1], 3, v[0:1]
	s_waitcnt vmcnt(0)
	v_add_u32_e32 v2, 0x100, v47
	s_waitcnt lgkmcnt(0)
	v_mov_b32_e32 v3, s99
	v_add_co_u32_e32 v0, vcc, s98, v0
	v_addc_co_u32_e32 v1, vcc, v3, v1, vcc
	v_mov_b32_e32 v47, v2
	global_store_dwordx2 v[0:1], v[52:53], off
	s_or_b64 exec, exec, s[4:5]
	v_cmp_gt_i32_e32 vcc, s33, v47
	s_and_saveexec_b64 s[4:5], vcc
	s_cbranch_execz .LBB83_19
.LBB83_23:
	v_readlane_b32 s6, v61, 0
	v_add_u32_e32 v0, s6, v47
	v_mov_b32_e32 v1, 0
	v_lshlrev_b64 v[0:1], 3, v[0:1]
	s_waitcnt vmcnt(0)
	v_add_u32_e32 v2, 0x100, v47
	s_waitcnt lgkmcnt(0)
	v_mov_b32_e32 v3, s99
	v_add_co_u32_e32 v0, vcc, s98, v0
	v_addc_co_u32_e32 v1, vcc, v3, v1, vcc
	v_mov_b32_e32 v47, v2
	global_store_dwordx2 v[0:1], v[54:55], off
	s_or_b64 exec, exec, s[4:5]
	v_cmp_gt_i32_e32 vcc, s33, v47
	s_and_saveexec_b64 s[4:5], vcc
	s_cbranch_execz .LBB83_20
.LBB83_24:
	v_readlane_b32 s4, v61, 0
	v_add_u32_e32 v0, s4, v47
	v_mov_b32_e32 v1, 0
	v_lshlrev_b64 v[0:1], 3, v[0:1]
	s_waitcnt vmcnt(0) lgkmcnt(0)
	v_mov_b32_e32 v2, s99
	v_add_co_u32_e32 v0, vcc, s98, v0
	v_addc_co_u32_e32 v1, vcc, v2, v1, vcc
	global_store_dwordx2 v[0:1], v[56:57], off
	s_endpgm
	.section	.rodata,"a",@progbits
	.p2align	6, 0x0
	.amdhsa_kernel _ZN2at6native27unrolled_elementwise_kernelIZZZNS0_21polygamma_kernel_cudaERNS_18TensorIteratorBaseElENKUlvE_clEvENKUlvE_clEvEUldE_St5arrayIPcLm2EELi4E23TrivialOffsetCalculatorILi1EjESB_NS0_6memory15LoadWithoutCastENSC_16StoreWithoutCastEEEviT_T0_T2_T3_T4_T5_
		.amdhsa_group_segment_fixed_size 0
		.amdhsa_private_segment_fixed_size 8
		.amdhsa_kernarg_size 36
		.amdhsa_user_sgpr_count 6
		.amdhsa_user_sgpr_private_segment_buffer 1
		.amdhsa_user_sgpr_dispatch_ptr 0
		.amdhsa_user_sgpr_queue_ptr 0
		.amdhsa_user_sgpr_kernarg_segment_ptr 1
		.amdhsa_user_sgpr_dispatch_id 0
		.amdhsa_user_sgpr_flat_scratch_init 0
		.amdhsa_user_sgpr_private_segment_size 0
		.amdhsa_uses_dynamic_stack 0
		.amdhsa_system_sgpr_private_segment_wavefront_offset 1
		.amdhsa_system_sgpr_workgroup_id_x 1
		.amdhsa_system_sgpr_workgroup_id_y 0
		.amdhsa_system_sgpr_workgroup_id_z 0
		.amdhsa_system_sgpr_workgroup_info 0
		.amdhsa_system_vgpr_workitem_id 0
		.amdhsa_next_free_vgpr 62
		.amdhsa_next_free_sgpr 100
		.amdhsa_reserve_vcc 1
		.amdhsa_reserve_flat_scratch 0
		.amdhsa_float_round_mode_32 0
		.amdhsa_float_round_mode_16_64 0
		.amdhsa_float_denorm_mode_32 3
		.amdhsa_float_denorm_mode_16_64 3
		.amdhsa_dx10_clamp 1
		.amdhsa_ieee_mode 1
		.amdhsa_fp16_overflow 0
		.amdhsa_exception_fp_ieee_invalid_op 0
		.amdhsa_exception_fp_denorm_src 0
		.amdhsa_exception_fp_ieee_div_zero 0
		.amdhsa_exception_fp_ieee_overflow 0
		.amdhsa_exception_fp_ieee_underflow 0
		.amdhsa_exception_fp_ieee_inexact 0
		.amdhsa_exception_int_div_zero 0
	.end_amdhsa_kernel
	.section	.text._ZN2at6native27unrolled_elementwise_kernelIZZZNS0_21polygamma_kernel_cudaERNS_18TensorIteratorBaseElENKUlvE_clEvENKUlvE_clEvEUldE_St5arrayIPcLm2EELi4E23TrivialOffsetCalculatorILi1EjESB_NS0_6memory15LoadWithoutCastENSC_16StoreWithoutCastEEEviT_T0_T2_T3_T4_T5_,"axG",@progbits,_ZN2at6native27unrolled_elementwise_kernelIZZZNS0_21polygamma_kernel_cudaERNS_18TensorIteratorBaseElENKUlvE_clEvENKUlvE_clEvEUldE_St5arrayIPcLm2EELi4E23TrivialOffsetCalculatorILi1EjESB_NS0_6memory15LoadWithoutCastENSC_16StoreWithoutCastEEEviT_T0_T2_T3_T4_T5_,comdat
.Lfunc_end83:
	.size	_ZN2at6native27unrolled_elementwise_kernelIZZZNS0_21polygamma_kernel_cudaERNS_18TensorIteratorBaseElENKUlvE_clEvENKUlvE_clEvEUldE_St5arrayIPcLm2EELi4E23TrivialOffsetCalculatorILi1EjESB_NS0_6memory15LoadWithoutCastENSC_16StoreWithoutCastEEEviT_T0_T2_T3_T4_T5_, .Lfunc_end83-_ZN2at6native27unrolled_elementwise_kernelIZZZNS0_21polygamma_kernel_cudaERNS_18TensorIteratorBaseElENKUlvE_clEvENKUlvE_clEvEUldE_St5arrayIPcLm2EELi4E23TrivialOffsetCalculatorILi1EjESB_NS0_6memory15LoadWithoutCastENSC_16StoreWithoutCastEEEviT_T0_T2_T3_T4_T5_
                                        ; -- End function
	.set _ZN2at6native27unrolled_elementwise_kernelIZZZNS0_21polygamma_kernel_cudaERNS_18TensorIteratorBaseElENKUlvE_clEvENKUlvE_clEvEUldE_St5arrayIPcLm2EELi4E23TrivialOffsetCalculatorILi1EjESB_NS0_6memory15LoadWithoutCastENSC_16StoreWithoutCastEEEviT_T0_T2_T3_T4_T5_.num_vgpr, max(62, .L_ZZZZN2at6native21polygamma_kernel_cudaERNS_18TensorIteratorBaseElENKUlvE_clEvENKUlvE_clEvENKUldE_clEd.num_vgpr)
	.set _ZN2at6native27unrolled_elementwise_kernelIZZZNS0_21polygamma_kernel_cudaERNS_18TensorIteratorBaseElENKUlvE_clEvENKUlvE_clEvEUldE_St5arrayIPcLm2EELi4E23TrivialOffsetCalculatorILi1EjESB_NS0_6memory15LoadWithoutCastENSC_16StoreWithoutCastEEEviT_T0_T2_T3_T4_T5_.num_agpr, max(0, .L_ZZZZN2at6native21polygamma_kernel_cudaERNS_18TensorIteratorBaseElENKUlvE_clEvENKUlvE_clEvENKUldE_clEd.num_agpr)
	.set _ZN2at6native27unrolled_elementwise_kernelIZZZNS0_21polygamma_kernel_cudaERNS_18TensorIteratorBaseElENKUlvE_clEvENKUlvE_clEvEUldE_St5arrayIPcLm2EELi4E23TrivialOffsetCalculatorILi1EjESB_NS0_6memory15LoadWithoutCastENSC_16StoreWithoutCastEEEviT_T0_T2_T3_T4_T5_.numbered_sgpr, max(100, .L_ZZZZN2at6native21polygamma_kernel_cudaERNS_18TensorIteratorBaseElENKUlvE_clEvENKUlvE_clEvENKUldE_clEd.numbered_sgpr)
	.set _ZN2at6native27unrolled_elementwise_kernelIZZZNS0_21polygamma_kernel_cudaERNS_18TensorIteratorBaseElENKUlvE_clEvENKUlvE_clEvEUldE_St5arrayIPcLm2EELi4E23TrivialOffsetCalculatorILi1EjESB_NS0_6memory15LoadWithoutCastENSC_16StoreWithoutCastEEEviT_T0_T2_T3_T4_T5_.num_named_barrier, max(0, .L_ZZZZN2at6native21polygamma_kernel_cudaERNS_18TensorIteratorBaseElENKUlvE_clEvENKUlvE_clEvENKUldE_clEd.num_named_barrier)
	.set _ZN2at6native27unrolled_elementwise_kernelIZZZNS0_21polygamma_kernel_cudaERNS_18TensorIteratorBaseElENKUlvE_clEvENKUlvE_clEvEUldE_St5arrayIPcLm2EELi4E23TrivialOffsetCalculatorILi1EjESB_NS0_6memory15LoadWithoutCastENSC_16StoreWithoutCastEEEviT_T0_T2_T3_T4_T5_.private_seg_size, 0+max(.L_ZZZZN2at6native21polygamma_kernel_cudaERNS_18TensorIteratorBaseElENKUlvE_clEvENKUlvE_clEvENKUldE_clEd.private_seg_size)
	.set _ZN2at6native27unrolled_elementwise_kernelIZZZNS0_21polygamma_kernel_cudaERNS_18TensorIteratorBaseElENKUlvE_clEvENKUlvE_clEvEUldE_St5arrayIPcLm2EELi4E23TrivialOffsetCalculatorILi1EjESB_NS0_6memory15LoadWithoutCastENSC_16StoreWithoutCastEEEviT_T0_T2_T3_T4_T5_.uses_vcc, or(1, .L_ZZZZN2at6native21polygamma_kernel_cudaERNS_18TensorIteratorBaseElENKUlvE_clEvENKUlvE_clEvENKUldE_clEd.uses_vcc)
	.set _ZN2at6native27unrolled_elementwise_kernelIZZZNS0_21polygamma_kernel_cudaERNS_18TensorIteratorBaseElENKUlvE_clEvENKUlvE_clEvEUldE_St5arrayIPcLm2EELi4E23TrivialOffsetCalculatorILi1EjESB_NS0_6memory15LoadWithoutCastENSC_16StoreWithoutCastEEEviT_T0_T2_T3_T4_T5_.uses_flat_scratch, or(0, .L_ZZZZN2at6native21polygamma_kernel_cudaERNS_18TensorIteratorBaseElENKUlvE_clEvENKUlvE_clEvENKUldE_clEd.uses_flat_scratch)
	.set _ZN2at6native27unrolled_elementwise_kernelIZZZNS0_21polygamma_kernel_cudaERNS_18TensorIteratorBaseElENKUlvE_clEvENKUlvE_clEvEUldE_St5arrayIPcLm2EELi4E23TrivialOffsetCalculatorILi1EjESB_NS0_6memory15LoadWithoutCastENSC_16StoreWithoutCastEEEviT_T0_T2_T3_T4_T5_.has_dyn_sized_stack, or(0, .L_ZZZZN2at6native21polygamma_kernel_cudaERNS_18TensorIteratorBaseElENKUlvE_clEvENKUlvE_clEvENKUldE_clEd.has_dyn_sized_stack)
	.set _ZN2at6native27unrolled_elementwise_kernelIZZZNS0_21polygamma_kernel_cudaERNS_18TensorIteratorBaseElENKUlvE_clEvENKUlvE_clEvEUldE_St5arrayIPcLm2EELi4E23TrivialOffsetCalculatorILi1EjESB_NS0_6memory15LoadWithoutCastENSC_16StoreWithoutCastEEEviT_T0_T2_T3_T4_T5_.has_recursion, or(0, .L_ZZZZN2at6native21polygamma_kernel_cudaERNS_18TensorIteratorBaseElENKUlvE_clEvENKUlvE_clEvENKUldE_clEd.has_recursion)
	.set _ZN2at6native27unrolled_elementwise_kernelIZZZNS0_21polygamma_kernel_cudaERNS_18TensorIteratorBaseElENKUlvE_clEvENKUlvE_clEvEUldE_St5arrayIPcLm2EELi4E23TrivialOffsetCalculatorILi1EjESB_NS0_6memory15LoadWithoutCastENSC_16StoreWithoutCastEEEviT_T0_T2_T3_T4_T5_.has_indirect_call, or(0, .L_ZZZZN2at6native21polygamma_kernel_cudaERNS_18TensorIteratorBaseElENKUlvE_clEvENKUlvE_clEvENKUldE_clEd.has_indirect_call)
	.section	.AMDGPU.csdata,"",@progbits
; Kernel info:
; codeLenInByte = 1132
; TotalNumSgprs: 104
; NumVgprs: 62
; ScratchSize: 8
; MemoryBound: 0
; FloatMode: 240
; IeeeMode: 1
; LDSByteSize: 0 bytes/workgroup (compile time only)
; SGPRBlocks: 12
; VGPRBlocks: 15
; NumSGPRsForWavesPerEU: 104
; NumVGPRsForWavesPerEU: 62
; Occupancy: 4
; WaveLimiterHint : 0
; COMPUTE_PGM_RSRC2:SCRATCH_EN: 1
; COMPUTE_PGM_RSRC2:USER_SGPR: 6
; COMPUTE_PGM_RSRC2:TRAP_HANDLER: 0
; COMPUTE_PGM_RSRC2:TGID_X_EN: 1
; COMPUTE_PGM_RSRC2:TGID_Y_EN: 0
; COMPUTE_PGM_RSRC2:TGID_Z_EN: 0
; COMPUTE_PGM_RSRC2:TIDIG_COMP_CNT: 0
	.section	.text._ZN2at6native32elementwise_kernel_manual_unrollILi128ELi4EZNS0_22gpu_kernel_impl_nocastIZZZNS0_21polygamma_kernel_cudaERNS_18TensorIteratorBaseElENKUlvE_clEvENKUlvE_clEvEUldE_EEvS4_RKT_EUlibE_EEviT1_,"axG",@progbits,_ZN2at6native32elementwise_kernel_manual_unrollILi128ELi4EZNS0_22gpu_kernel_impl_nocastIZZZNS0_21polygamma_kernel_cudaERNS_18TensorIteratorBaseElENKUlvE_clEvENKUlvE_clEvEUldE_EEvS4_RKT_EUlibE_EEviT1_,comdat
	.globl	_ZN2at6native32elementwise_kernel_manual_unrollILi128ELi4EZNS0_22gpu_kernel_impl_nocastIZZZNS0_21polygamma_kernel_cudaERNS_18TensorIteratorBaseElENKUlvE_clEvENKUlvE_clEvEUldE_EEvS4_RKT_EUlibE_EEviT1_ ; -- Begin function _ZN2at6native32elementwise_kernel_manual_unrollILi128ELi4EZNS0_22gpu_kernel_impl_nocastIZZZNS0_21polygamma_kernel_cudaERNS_18TensorIteratorBaseElENKUlvE_clEvENKUlvE_clEvEUldE_EEvS4_RKT_EUlibE_EEviT1_
	.p2align	8
	.type	_ZN2at6native32elementwise_kernel_manual_unrollILi128ELi4EZNS0_22gpu_kernel_impl_nocastIZZZNS0_21polygamma_kernel_cudaERNS_18TensorIteratorBaseElENKUlvE_clEvENKUlvE_clEvEUldE_EEvS4_RKT_EUlibE_EEviT1_,@function
_ZN2at6native32elementwise_kernel_manual_unrollILi128ELi4EZNS0_22gpu_kernel_impl_nocastIZZZNS0_21polygamma_kernel_cudaERNS_18TensorIteratorBaseElENKUlvE_clEvENKUlvE_clEvEUldE_EEvS4_RKT_EUlibE_EEviT1_: ; @_ZN2at6native32elementwise_kernel_manual_unrollILi128ELi4EZNS0_22gpu_kernel_impl_nocastIZZZNS0_21polygamma_kernel_cudaERNS_18TensorIteratorBaseElENKUlvE_clEvENKUlvE_clEvEUldE_EEvS4_RKT_EUlibE_EEviT1_
; %bb.0:
	s_load_dword s33, s[4:5], 0x0
	s_load_dword s34, s[4:5], 0x8
	s_add_u32 s0, s0, s7
	s_addc_u32 s1, s1, 0
	s_add_u32 s4, s4, 8
	s_addc_u32 s5, s5, 0
	v_lshl_or_b32 v45, s6, 9, v0
	s_waitcnt lgkmcnt(0)
	s_add_i32 s35, s34, -1
                                        ; implicit-def: $vgpr47 : SGPR spill to VGPR lane
	v_or_b32_e32 v2, 0x180, v45
	s_cmp_gt_u32 s35, 1
	v_writelane_b32 v47, s4, 0
	v_cmp_le_i32_e32 vcc, s33, v2
	s_cselect_b64 s[8:9], -1, 0
	s_mov_b32 s32, 0
	v_writelane_b32 v47, s5, 1
	s_and_saveexec_b64 s[4:5], vcc
	s_xor_b64 s[4:5], exec, s[4:5]
	s_cbranch_execnz .LBB84_3
; %bb.1:
	s_andn2_saveexec_b64 s[4:5], s[4:5]
	s_cbranch_execnz .LBB84_68
.LBB84_2:
	s_endpgm
.LBB84_3:
	v_writelane_b32 v47, s4, 2
	s_cmp_lg_u32 s34, 0
	v_writelane_b32 v47, s5, 3
	s_cselect_b64 s[4:5], -1, 0
	v_writelane_b32 v47, s4, 4
	v_writelane_b32 v47, s5, 5
	v_readlane_b32 s4, v47, 0
	v_readlane_b32 s5, v47, 1
	s_add_u32 s6, s4, 0xc4
	s_addc_u32 s7, s5, 0
	v_writelane_b32 v47, s6, 6
	v_writelane_b32 v47, s7, 7
	s_load_dwordx2 s[6:7], s[4:5], 0x14
	s_load_dwordx2 s[36:37], s[4:5], 0x158
	s_load_dwordx4 s[40:43], s[4:5], 0xc4
	s_min_u32 s4, s35, 15
	s_cmp_gt_u32 s34, 1
	v_cmp_gt_i32_e32 vcc, s33, v45
	s_waitcnt lgkmcnt(0)
	v_writelane_b32 v47, s6, 8
	v_writelane_b32 v47, s7, 9
	v_writelane_b32 v47, s4, 10
	v_writelane_b32 v47, s34, 11
	s_cselect_b64 s[4:5], -1, 0
	v_writelane_b32 v47, s4, 12
	v_writelane_b32 v47, s5, 13
	s_mov_b64 s[4:5], exec
	v_writelane_b32 v47, s4, 14
	v_writelane_b32 v47, s5, 15
	;; [unrolled: 1-line block ×3, first 2 shown]
	s_and_b64 s[4:5], s[4:5], vcc
	v_writelane_b32 v47, s8, 20
	v_writelane_b32 v47, s9, 21
	s_mov_b64 exec, s[4:5]
	s_cbranch_execz .LBB84_19
; %bb.4:
	s_andn2_b64 vcc, exec, s[8:9]
	s_cbranch_vccnz .LBB84_9
; %bb.5:
	v_readlane_b32 s4, v47, 4
	v_readlane_b32 s5, v47, 5
	s_andn2_b64 vcc, exec, s[4:5]
	s_cbranch_vccnz .LBB84_10
; %bb.6:
	v_readlane_b32 s4, v47, 10
	s_add_i32 s29, s4, 1
	s_cmp_eq_u32 s35, 2
	s_cbranch_scc1 .LBB84_11
; %bb.7:
	v_readlane_b32 s24, v47, 0
	v_readlane_b32 s26, v47, 6
	s_and_b32 s28, s29, 28
	v_mov_b32_e32 v0, 0
	s_mov_b32 s30, 0
	v_readlane_b32 s25, v47, 1
	v_readlane_b32 s27, v47, 7
	v_mov_b32_e32 v41, 0
	v_mov_b32_e32 v1, v45
.LBB84_8:                               ; =>This Inner Loop Header: Depth=1
	s_load_dwordx8 s[12:19], s[24:25], 0x4
	s_load_dwordx4 s[20:23], s[24:25], 0x24
	s_load_dwordx8 s[4:11], s[26:27], 0x0
	s_add_u32 s24, s24, 48
	s_addc_u32 s25, s25, 0
	s_waitcnt lgkmcnt(0)
	v_mul_hi_u32 v2, s13, v1
	s_add_i32 s30, s30, 4
	s_add_u32 s26, s26, 32
	s_addc_u32 s27, s27, 0
	v_add_u32_e32 v2, v1, v2
	v_lshrrev_b32_e32 v2, s14, v2
	v_mul_lo_u32 v3, v2, s12
	v_mul_hi_u32 v4, s16, v2
	s_cmp_lg_u32 s28, s30
	v_sub_u32_e32 v1, v1, v3
	v_add_u32_e32 v3, v2, v4
	v_mul_lo_u32 v4, v1, s4
	v_mul_lo_u32 v5, v1, s5
	v_lshrrev_b32_e32 v1, s17, v3
	v_mul_lo_u32 v3, v1, s15
	v_mul_hi_u32 v6, s19, v1
	v_sub_u32_e32 v2, v2, v3
	v_add_u32_e32 v3, v1, v6
	v_lshrrev_b32_e32 v3, s20, v3
	v_mul_hi_u32 v7, s22, v3
	v_mul_lo_u32 v8, v3, s18
	v_mul_lo_u32 v6, v2, s6
	;; [unrolled: 1-line block ×3, first 2 shown]
	v_sub_u32_e32 v8, v1, v8
	v_add_u32_e32 v1, v3, v7
	v_lshrrev_b32_e32 v1, s23, v1
	v_mul_lo_u32 v7, v1, s21
	v_mul_lo_u32 v9, v8, s8
	;; [unrolled: 1-line block ×3, first 2 shown]
	v_add3_u32 v4, v4, v41, v6
	v_sub_u32_e32 v3, v3, v7
	v_mul_lo_u32 v7, v3, s10
	v_mul_lo_u32 v3, v3, s11
	v_add3_u32 v0, v5, v0, v2
	v_add3_u32 v41, v9, v4, v7
	;; [unrolled: 1-line block ×3, first 2 shown]
	s_cbranch_scc1 .LBB84_8
	s_branch .LBB84_12
.LBB84_9:
                                        ; implicit-def: $vgpr41
                                        ; implicit-def: $vgpr0
	s_branch .LBB84_16
.LBB84_10:
	v_mov_b32_e32 v41, 0
	v_mov_b32_e32 v0, 0
	s_branch .LBB84_15
.LBB84_11:
	s_mov_b32 s28, 0
	v_mov_b32_e32 v41, 0
	v_mov_b32_e32 v0, 0
	;; [unrolled: 1-line block ×3, first 2 shown]
.LBB84_12:
	s_and_b32 s8, s29, 3
	s_cmp_eq_u32 s8, 0
	s_cbranch_scc1 .LBB84_15
; %bb.13:
	s_lshl_b32 s4, s28, 3
	v_readlane_b32 s10, v47, 0
	v_readlane_b32 s11, v47, 1
	s_add_u32 s4, s10, s4
	s_addc_u32 s5, s11, 0
	s_add_u32 s4, s4, 0xc4
	s_addc_u32 s5, s5, 0
	s_mul_i32 s6, s28, 12
	s_add_u32 s6, s10, s6
	s_addc_u32 s7, s11, 0
.LBB84_14:                              ; =>This Inner Loop Header: Depth=1
	s_load_dwordx2 s[10:11], s[6:7], 0x4
	s_load_dword s9, s[6:7], 0xc
	s_load_dwordx2 s[12:13], s[4:5], 0x0
	s_add_u32 s6, s6, 12
	s_addc_u32 s7, s7, 0
	s_waitcnt lgkmcnt(0)
	v_mul_hi_u32 v2, s11, v1
	s_add_u32 s4, s4, 8
	s_addc_u32 s5, s5, 0
	s_add_i32 s8, s8, -1
	v_add_u32_e32 v2, v1, v2
	v_lshrrev_b32_e32 v2, s9, v2
	v_mul_lo_u32 v3, v2, s10
	s_cmp_lg_u32 s8, 0
	v_sub_u32_e32 v1, v1, v3
	v_mad_u64_u32 v[41:42], s[10:11], v1, s12, v[41:42]
	v_mad_u64_u32 v[0:1], s[10:11], v1, s13, v[0:1]
	v_mov_b32_e32 v1, v2
	s_cbranch_scc1 .LBB84_14
.LBB84_15:
	s_cbranch_execnz .LBB84_18
.LBB84_16:
	v_readlane_b32 s8, v47, 0
	v_readlane_b32 s9, v47, 1
	s_load_dwordx4 s[4:7], s[8:9], 0x4
	s_waitcnt lgkmcnt(0)
	v_mul_hi_u32 v0, s5, v45
	v_add_u32_e32 v0, v45, v0
	v_lshrrev_b32_e32 v1, s6, v0
	v_mul_lo_u32 v0, v1, s4
	v_readlane_b32 s4, v47, 12
	v_readlane_b32 s5, v47, 13
	s_andn2_b64 vcc, exec, s[4:5]
	v_sub_u32_e32 v0, v45, v0
	v_mul_lo_u32 v41, v0, s40
	v_mul_lo_u32 v0, v0, s41
	s_cbranch_vccnz .LBB84_18
; %bb.17:
	v_readlane_b32 s4, v47, 8
	v_mul_hi_u32 v2, s4, v1
	v_readlane_b32 s5, v47, 9
	v_add_u32_e32 v2, v1, v2
	v_lshrrev_b32_e32 v2, s5, v2
	v_mul_lo_u32 v2, v2, s7
	v_sub_u32_e32 v1, v1, v2
	v_mad_u64_u32 v[41:42], s[4:5], v1, s42, v[41:42]
	v_mad_u64_u32 v[0:1], s[4:5], v1, s43, v[0:1]
.LBB84_18:
	v_readlane_b32 s86, v47, 0
	v_readlane_b32 s87, v47, 1
	s_load_dwordx4 s[96:99], s[86:87], 0x148
	s_getpc_b64 s[4:5]
	s_add_u32 s4, s4, _ZZZZN2at6native21polygamma_kernel_cudaERNS_18TensorIteratorBaseElENKUlvE_clEvENKUlvE_clEvENKUldE_clEd@rel32@lo+4
	s_addc_u32 s5, s5, _ZZZZN2at6native21polygamma_kernel_cudaERNS_18TensorIteratorBaseElENKUlvE_clEvENKUlvE_clEvENKUldE_clEd@rel32@hi+12
	v_mov_b32_e32 v1, s37
	s_waitcnt lgkmcnt(0)
	global_load_dwordx2 v[2:3], v0, s[98:99]
	v_mov_b32_e32 v0, s36
	s_mov_b64 s[98:99], s[36:37]
	s_swappc_b64 s[30:31], s[4:5]
	s_load_dwordx4 s[40:43], s[86:87], 0xc4
	v_readlane_b32 s8, v47, 20
	s_mov_b64 s[36:37], s[98:99]
	v_add_u32_e32 v45, 0x80, v45
	v_readlane_b32 s35, v47, 16
	v_readlane_b32 s9, v47, 21
	global_store_dwordx2 v41, v[0:1], s[96:97]
.LBB84_19:
	v_readlane_b32 s4, v47, 14
	v_readlane_b32 s5, v47, 15
	s_or_b64 exec, exec, s[4:5]
	v_cmp_gt_i32_e32 vcc, s33, v45
	s_and_saveexec_b64 s[86:87], vcc
	s_cbranch_execz .LBB84_35
; %bb.20:
	s_andn2_b64 vcc, exec, s[8:9]
	s_cbranch_vccnz .LBB84_25
; %bb.21:
	v_readlane_b32 s4, v47, 4
	v_readlane_b32 s5, v47, 5
	s_andn2_b64 vcc, exec, s[4:5]
	s_cbranch_vccnz .LBB84_26
; %bb.22:
	v_readlane_b32 s4, v47, 10
	s_add_i32 s29, s4, 1
	s_cmp_eq_u32 s35, 2
	s_cbranch_scc1 .LBB84_27
; %bb.23:
	v_readlane_b32 s24, v47, 0
	v_readlane_b32 s26, v47, 6
	s_and_b32 s28, s29, 28
	v_mov_b32_e32 v0, 0
	s_mov_b32 s30, 0
	v_readlane_b32 s25, v47, 1
	v_readlane_b32 s27, v47, 7
	v_mov_b32_e32 v41, 0
	v_mov_b32_e32 v1, v45
.LBB84_24:                              ; =>This Inner Loop Header: Depth=1
	s_load_dwordx8 s[12:19], s[24:25], 0x4
	s_load_dwordx4 s[20:23], s[24:25], 0x24
	s_load_dwordx8 s[4:11], s[26:27], 0x0
	s_add_u32 s24, s24, 48
	s_addc_u32 s25, s25, 0
	s_waitcnt lgkmcnt(0)
	v_mul_hi_u32 v2, s13, v1
	s_add_i32 s30, s30, 4
	s_add_u32 s26, s26, 32
	s_addc_u32 s27, s27, 0
	v_add_u32_e32 v2, v1, v2
	v_lshrrev_b32_e32 v2, s14, v2
	v_mul_lo_u32 v3, v2, s12
	v_mul_hi_u32 v4, s16, v2
	s_cmp_eq_u32 s28, s30
	v_sub_u32_e32 v1, v1, v3
	v_add_u32_e32 v3, v2, v4
	v_mul_lo_u32 v4, v1, s4
	v_mul_lo_u32 v5, v1, s5
	v_lshrrev_b32_e32 v1, s17, v3
	v_mul_lo_u32 v3, v1, s15
	v_mul_hi_u32 v6, s19, v1
	v_sub_u32_e32 v2, v2, v3
	v_add_u32_e32 v3, v1, v6
	v_lshrrev_b32_e32 v3, s20, v3
	v_mul_hi_u32 v7, s22, v3
	v_mul_lo_u32 v8, v3, s18
	v_mul_lo_u32 v6, v2, s6
	;; [unrolled: 1-line block ×3, first 2 shown]
	v_sub_u32_e32 v8, v1, v8
	v_add_u32_e32 v1, v3, v7
	v_lshrrev_b32_e32 v1, s23, v1
	v_mul_lo_u32 v7, v1, s21
	v_mul_lo_u32 v9, v8, s8
	v_mul_lo_u32 v8, v8, s9
	v_add3_u32 v4, v4, v41, v6
	v_sub_u32_e32 v3, v3, v7
	v_mul_lo_u32 v7, v3, s10
	v_mul_lo_u32 v3, v3, s11
	v_add3_u32 v0, v5, v0, v2
	v_add3_u32 v41, v9, v4, v7
	;; [unrolled: 1-line block ×3, first 2 shown]
	s_cbranch_scc0 .LBB84_24
	s_branch .LBB84_28
.LBB84_25:
                                        ; implicit-def: $vgpr41
                                        ; implicit-def: $vgpr0
	s_branch .LBB84_32
.LBB84_26:
	v_mov_b32_e32 v41, 0
	v_mov_b32_e32 v0, 0
	s_branch .LBB84_31
.LBB84_27:
	s_mov_b32 s28, 0
	v_mov_b32_e32 v41, 0
	v_mov_b32_e32 v0, 0
	;; [unrolled: 1-line block ×3, first 2 shown]
.LBB84_28:
	s_and_b32 s8, s29, 3
	s_cmp_eq_u32 s8, 0
	s_cbranch_scc1 .LBB84_31
; %bb.29:
	s_lshl_b32 s4, s28, 3
	v_readlane_b32 s10, v47, 0
	v_readlane_b32 s11, v47, 1
	s_add_u32 s4, s10, s4
	s_addc_u32 s5, s11, 0
	s_add_u32 s4, s4, 0xc4
	s_addc_u32 s5, s5, 0
	s_mul_i32 s6, s28, 12
	s_add_u32 s6, s10, s6
	s_addc_u32 s7, s11, 0
.LBB84_30:                              ; =>This Inner Loop Header: Depth=1
	s_load_dwordx2 s[10:11], s[6:7], 0x4
	s_load_dword s9, s[6:7], 0xc
	s_load_dwordx2 s[12:13], s[4:5], 0x0
	s_add_u32 s6, s6, 12
	s_addc_u32 s7, s7, 0
	s_waitcnt lgkmcnt(0)
	v_mul_hi_u32 v2, s11, v1
	s_add_u32 s4, s4, 8
	s_addc_u32 s5, s5, 0
	s_add_i32 s8, s8, -1
	v_add_u32_e32 v2, v1, v2
	v_lshrrev_b32_e32 v2, s9, v2
	v_mul_lo_u32 v3, v2, s10
	s_cmp_lg_u32 s8, 0
	v_sub_u32_e32 v1, v1, v3
	v_mad_u64_u32 v[41:42], s[10:11], v1, s12, v[41:42]
	v_mad_u64_u32 v[0:1], s[10:11], v1, s13, v[0:1]
	v_mov_b32_e32 v1, v2
	s_cbranch_scc1 .LBB84_30
.LBB84_31:
	s_cbranch_execnz .LBB84_34
.LBB84_32:
	v_readlane_b32 s8, v47, 0
	v_readlane_b32 s9, v47, 1
	s_load_dwordx4 s[4:7], s[8:9], 0x4
	s_waitcnt lgkmcnt(0)
	v_mul_hi_u32 v0, s5, v45
	v_add_u32_e32 v0, v45, v0
	v_lshrrev_b32_e32 v1, s6, v0
	v_mul_lo_u32 v0, v1, s4
	v_readlane_b32 s4, v47, 12
	v_readlane_b32 s5, v47, 13
	s_andn2_b64 vcc, exec, s[4:5]
	v_sub_u32_e32 v0, v45, v0
	v_mul_lo_u32 v41, v0, s40
	v_mul_lo_u32 v0, v0, s41
	s_cbranch_vccnz .LBB84_34
; %bb.33:
	v_readlane_b32 s4, v47, 8
	v_mul_hi_u32 v2, s4, v1
	v_readlane_b32 s5, v47, 9
	v_add_u32_e32 v2, v1, v2
	v_lshrrev_b32_e32 v2, s5, v2
	v_mul_lo_u32 v2, v2, s7
	v_sub_u32_e32 v1, v1, v2
	v_mad_u64_u32 v[41:42], s[4:5], v1, s42, v[41:42]
	v_mad_u64_u32 v[0:1], s[4:5], v1, s43, v[0:1]
.LBB84_34:
	v_readlane_b32 s8, v47, 0
	v_readlane_b32 s9, v47, 1
	s_load_dwordx4 s[4:7], s[8:9], 0x148
	v_mov_b32_e32 v1, s37
	s_waitcnt lgkmcnt(0)
	s_mov_b64 s[98:99], s[42:43]
	s_mov_b64 s[96:97], s[40:41]
	v_writelane_b32 v47, s4, 22
	v_writelane_b32 v47, s5, 23
	;; [unrolled: 1-line block ×4, first 2 shown]
	s_getpc_b64 s[4:5]
	s_add_u32 s4, s4, _ZZZZN2at6native21polygamma_kernel_cudaERNS_18TensorIteratorBaseElENKUlvE_clEvENKUlvE_clEvENKUldE_clEd@rel32@lo+4
	s_addc_u32 s5, s5, _ZZZZN2at6native21polygamma_kernel_cudaERNS_18TensorIteratorBaseElENKUlvE_clEvENKUlvE_clEvENKUldE_clEd@rel32@hi+12
	global_load_dwordx2 v[2:3], v0, s[6:7]
	v_mov_b32_e32 v0, s36
	v_writelane_b32 v47, s36, 14
	v_writelane_b32 v47, s37, 15
	s_swappc_b64 s[30:31], s[4:5]
	s_mov_b64 s[40:41], s[96:97]
	v_readlane_b32 s36, v47, 14
	v_readlane_b32 s4, v47, 22
	;; [unrolled: 1-line block ×3, first 2 shown]
	s_mov_b64 s[42:43], s[98:99]
	v_readlane_b32 s37, v47, 15
	v_readlane_b32 s5, v47, 23
	v_add_u32_e32 v45, 0x80, v45
	v_readlane_b32 s35, v47, 16
	v_readlane_b32 s9, v47, 21
	;; [unrolled: 1-line block ×4, first 2 shown]
	global_store_dwordx2 v41, v[0:1], s[4:5]
.LBB84_35:
	s_or_b64 exec, exec, s[86:87]
	v_cmp_gt_i32_e32 vcc, s33, v45
	s_mov_b64 s[4:5], exec
	v_writelane_b32 v47, s4, 14
	v_writelane_b32 v47, s5, 15
	s_and_b64 s[4:5], s[4:5], vcc
	s_mov_b64 exec, s[4:5]
	s_cbranch_execz .LBB84_51
; %bb.36:
	s_andn2_b64 vcc, exec, s[8:9]
	s_cbranch_vccnz .LBB84_41
; %bb.37:
	v_readlane_b32 s4, v47, 4
	v_readlane_b32 s5, v47, 5
	s_andn2_b64 vcc, exec, s[4:5]
	s_cbranch_vccnz .LBB84_42
; %bb.38:
	v_readlane_b32 s4, v47, 10
	s_add_i32 s29, s4, 1
	s_cmp_eq_u32 s35, 2
	s_cbranch_scc1 .LBB84_43
; %bb.39:
	v_readlane_b32 s24, v47, 0
	v_readlane_b32 s26, v47, 6
	s_and_b32 s28, s29, 28
	v_mov_b32_e32 v0, 0
	s_mov_b32 s30, 0
	v_readlane_b32 s25, v47, 1
	v_readlane_b32 s27, v47, 7
	v_mov_b32_e32 v41, 0
	v_mov_b32_e32 v1, v45
.LBB84_40:                              ; =>This Inner Loop Header: Depth=1
	s_load_dwordx8 s[12:19], s[24:25], 0x4
	s_load_dwordx4 s[20:23], s[24:25], 0x24
	s_load_dwordx8 s[4:11], s[26:27], 0x0
	s_add_u32 s24, s24, 48
	s_addc_u32 s25, s25, 0
	s_waitcnt lgkmcnt(0)
	v_mul_hi_u32 v2, s13, v1
	s_add_i32 s30, s30, 4
	s_add_u32 s26, s26, 32
	s_addc_u32 s27, s27, 0
	v_add_u32_e32 v2, v1, v2
	v_lshrrev_b32_e32 v2, s14, v2
	v_mul_lo_u32 v3, v2, s12
	v_mul_hi_u32 v4, s16, v2
	s_cmp_eq_u32 s28, s30
	v_sub_u32_e32 v1, v1, v3
	v_add_u32_e32 v3, v2, v4
	v_mul_lo_u32 v4, v1, s4
	v_mul_lo_u32 v5, v1, s5
	v_lshrrev_b32_e32 v1, s17, v3
	v_mul_lo_u32 v3, v1, s15
	v_mul_hi_u32 v6, s19, v1
	v_sub_u32_e32 v2, v2, v3
	v_add_u32_e32 v3, v1, v6
	v_lshrrev_b32_e32 v3, s20, v3
	v_mul_hi_u32 v7, s22, v3
	v_mul_lo_u32 v8, v3, s18
	v_mul_lo_u32 v6, v2, s6
	;; [unrolled: 1-line block ×3, first 2 shown]
	v_sub_u32_e32 v8, v1, v8
	v_add_u32_e32 v1, v3, v7
	v_lshrrev_b32_e32 v1, s23, v1
	v_mul_lo_u32 v7, v1, s21
	v_mul_lo_u32 v9, v8, s8
	;; [unrolled: 1-line block ×3, first 2 shown]
	v_add3_u32 v4, v4, v41, v6
	v_sub_u32_e32 v3, v3, v7
	v_mul_lo_u32 v7, v3, s10
	v_mul_lo_u32 v3, v3, s11
	v_add3_u32 v0, v5, v0, v2
	v_add3_u32 v41, v9, v4, v7
	;; [unrolled: 1-line block ×3, first 2 shown]
	s_cbranch_scc0 .LBB84_40
	s_branch .LBB84_44
.LBB84_41:
                                        ; implicit-def: $vgpr41
                                        ; implicit-def: $vgpr0
	s_branch .LBB84_48
.LBB84_42:
	v_mov_b32_e32 v41, 0
	v_mov_b32_e32 v0, 0
	s_branch .LBB84_47
.LBB84_43:
	s_mov_b32 s28, 0
	v_mov_b32_e32 v41, 0
	v_mov_b32_e32 v0, 0
	v_mov_b32_e32 v1, v45
.LBB84_44:
	s_and_b32 s8, s29, 3
	s_cmp_eq_u32 s8, 0
	s_cbranch_scc1 .LBB84_47
; %bb.45:
	s_lshl_b32 s4, s28, 3
	v_readlane_b32 s10, v47, 0
	v_readlane_b32 s11, v47, 1
	s_add_u32 s4, s10, s4
	s_addc_u32 s5, s11, 0
	s_add_u32 s4, s4, 0xc4
	s_addc_u32 s5, s5, 0
	s_mul_i32 s6, s28, 12
	s_add_u32 s6, s10, s6
	s_addc_u32 s7, s11, 0
.LBB84_46:                              ; =>This Inner Loop Header: Depth=1
	s_load_dwordx2 s[10:11], s[6:7], 0x4
	s_load_dword s9, s[6:7], 0xc
	s_load_dwordx2 s[12:13], s[4:5], 0x0
	s_add_u32 s6, s6, 12
	s_addc_u32 s7, s7, 0
	s_waitcnt lgkmcnt(0)
	v_mul_hi_u32 v2, s11, v1
	s_add_u32 s4, s4, 8
	s_addc_u32 s5, s5, 0
	s_add_i32 s8, s8, -1
	v_add_u32_e32 v2, v1, v2
	v_lshrrev_b32_e32 v2, s9, v2
	v_mul_lo_u32 v3, v2, s10
	s_cmp_lg_u32 s8, 0
	v_sub_u32_e32 v1, v1, v3
	v_mad_u64_u32 v[41:42], s[10:11], v1, s12, v[41:42]
	v_mad_u64_u32 v[0:1], s[10:11], v1, s13, v[0:1]
	v_mov_b32_e32 v1, v2
	s_cbranch_scc1 .LBB84_46
.LBB84_47:
	s_cbranch_execnz .LBB84_50
.LBB84_48:
	v_readlane_b32 s8, v47, 0
	v_readlane_b32 s9, v47, 1
	s_load_dwordx4 s[4:7], s[8:9], 0x4
	s_waitcnt lgkmcnt(0)
	v_mul_hi_u32 v0, s5, v45
	v_add_u32_e32 v0, v45, v0
	v_lshrrev_b32_e32 v1, s6, v0
	v_mul_lo_u32 v0, v1, s4
	v_readlane_b32 s4, v47, 12
	v_readlane_b32 s5, v47, 13
	s_andn2_b64 vcc, exec, s[4:5]
	v_sub_u32_e32 v0, v45, v0
	v_mul_lo_u32 v41, v0, s40
	v_mul_lo_u32 v0, v0, s41
	s_cbranch_vccnz .LBB84_50
; %bb.49:
	v_readlane_b32 s4, v47, 8
	v_mul_hi_u32 v2, s4, v1
	v_readlane_b32 s5, v47, 9
	v_add_u32_e32 v2, v1, v2
	v_lshrrev_b32_e32 v2, s5, v2
	v_mul_lo_u32 v2, v2, s7
	v_sub_u32_e32 v1, v1, v2
	v_mad_u64_u32 v[41:42], s[4:5], v1, s42, v[41:42]
	v_mad_u64_u32 v[0:1], s[4:5], v1, s43, v[0:1]
.LBB84_50:
	v_readlane_b32 s8, v47, 0
	v_readlane_b32 s9, v47, 1
	s_load_dwordx4 s[4:7], s[8:9], 0x148
	v_mov_b32_e32 v1, s37
	s_waitcnt lgkmcnt(0)
	s_mov_b64 s[98:99], s[42:43]
	s_mov_b64 s[86:87], s[36:37]
	s_mov_b64 s[96:97], s[40:41]
	v_writelane_b32 v47, s4, 22
	v_writelane_b32 v47, s5, 23
	;; [unrolled: 1-line block ×4, first 2 shown]
	s_getpc_b64 s[4:5]
	s_add_u32 s4, s4, _ZZZZN2at6native21polygamma_kernel_cudaERNS_18TensorIteratorBaseElENKUlvE_clEvENKUlvE_clEvENKUldE_clEd@rel32@lo+4
	s_addc_u32 s5, s5, _ZZZZN2at6native21polygamma_kernel_cudaERNS_18TensorIteratorBaseElENKUlvE_clEvENKUlvE_clEvENKUldE_clEd@rel32@hi+12
	global_load_dwordx2 v[2:3], v0, s[6:7]
	v_mov_b32_e32 v0, s36
	s_swappc_b64 s[30:31], s[4:5]
	s_mov_b64 s[40:41], s[96:97]
	v_readlane_b32 s4, v47, 22
	v_readlane_b32 s8, v47, 20
	s_mov_b64 s[42:43], s[98:99]
	s_mov_b64 s[36:37], s[86:87]
	v_readlane_b32 s5, v47, 23
	v_add_u32_e32 v45, 0x80, v45
	v_readlane_b32 s35, v47, 16
	v_readlane_b32 s9, v47, 21
	v_readlane_b32 s6, v47, 24
	v_readlane_b32 s7, v47, 25
	global_store_dwordx2 v41, v[0:1], s[4:5]
.LBB84_51:
	v_readlane_b32 s4, v47, 14
	v_readlane_b32 s5, v47, 15
	s_or_b64 exec, exec, s[4:5]
	v_cmp_gt_i32_e32 vcc, s33, v45
	s_and_saveexec_b64 s[86:87], vcc
	s_cbranch_execz .LBB84_67
; %bb.52:
	s_andn2_b64 vcc, exec, s[8:9]
	s_cbranch_vccnz .LBB84_57
; %bb.53:
	v_readlane_b32 s4, v47, 4
	v_readlane_b32 s5, v47, 5
	s_andn2_b64 vcc, exec, s[4:5]
	s_cbranch_vccnz .LBB84_58
; %bb.54:
	v_readlane_b32 s4, v47, 10
	s_add_i32 s27, s4, 1
	s_cmp_eq_u32 s35, 2
	s_cbranch_scc1 .LBB84_59
; %bb.55:
	v_readlane_b32 s24, v47, 0
	v_readlane_b32 s30, v47, 6
	s_and_b32 s26, s27, 28
	v_mov_b32_e32 v0, 0
	s_mov_b32 s28, 0
	v_readlane_b32 s25, v47, 1
	v_mov_b32_e32 v41, 0
	v_mov_b32_e32 v1, v45
	v_readlane_b32 s31, v47, 7
.LBB84_56:                              ; =>This Inner Loop Header: Depth=1
	s_load_dwordx8 s[12:19], s[24:25], 0x4
	s_load_dwordx4 s[20:23], s[24:25], 0x24
	s_load_dwordx8 s[4:11], s[30:31], 0x0
	s_add_u32 s24, s24, 48
	s_addc_u32 s25, s25, 0
	s_waitcnt lgkmcnt(0)
	v_mul_hi_u32 v2, s13, v1
	s_add_i32 s28, s28, 4
	s_add_u32 s30, s30, 32
	s_addc_u32 s31, s31, 0
	v_add_u32_e32 v2, v1, v2
	v_lshrrev_b32_e32 v2, s14, v2
	v_mul_lo_u32 v3, v2, s12
	v_mul_hi_u32 v4, s16, v2
	s_cmp_eq_u32 s26, s28
	v_sub_u32_e32 v1, v1, v3
	v_add_u32_e32 v3, v2, v4
	v_mul_lo_u32 v4, v1, s4
	v_mul_lo_u32 v5, v1, s5
	v_lshrrev_b32_e32 v1, s17, v3
	v_mul_lo_u32 v3, v1, s15
	v_mul_hi_u32 v6, s19, v1
	v_sub_u32_e32 v2, v2, v3
	v_add_u32_e32 v3, v1, v6
	v_lshrrev_b32_e32 v3, s20, v3
	v_mul_hi_u32 v7, s22, v3
	v_mul_lo_u32 v8, v3, s18
	v_mul_lo_u32 v6, v2, s6
	;; [unrolled: 1-line block ×3, first 2 shown]
	v_sub_u32_e32 v8, v1, v8
	v_add_u32_e32 v1, v3, v7
	v_lshrrev_b32_e32 v1, s23, v1
	v_mul_lo_u32 v7, v1, s21
	v_mul_lo_u32 v9, v8, s8
	;; [unrolled: 1-line block ×3, first 2 shown]
	v_add3_u32 v4, v4, v41, v6
	v_sub_u32_e32 v3, v3, v7
	v_mul_lo_u32 v7, v3, s10
	v_mul_lo_u32 v3, v3, s11
	v_add3_u32 v0, v5, v0, v2
	v_add3_u32 v41, v9, v4, v7
	;; [unrolled: 1-line block ×3, first 2 shown]
	s_cbranch_scc0 .LBB84_56
	s_branch .LBB84_60
.LBB84_57:
                                        ; implicit-def: $vgpr41
                                        ; implicit-def: $vgpr0
	s_branch .LBB84_64
.LBB84_58:
	v_mov_b32_e32 v41, 0
	v_mov_b32_e32 v0, 0
	s_branch .LBB84_63
.LBB84_59:
	s_mov_b32 s26, 0
	v_mov_b32_e32 v41, 0
	v_mov_b32_e32 v0, 0
	v_mov_b32_e32 v1, v45
.LBB84_60:
	s_and_b32 s8, s27, 3
	s_cmp_eq_u32 s8, 0
	s_cbranch_scc1 .LBB84_63
; %bb.61:
	s_lshl_b32 s4, s26, 3
	v_readlane_b32 s10, v47, 0
	v_readlane_b32 s11, v47, 1
	s_add_u32 s4, s10, s4
	s_addc_u32 s5, s11, 0
	s_add_u32 s4, s4, 0xc4
	s_addc_u32 s5, s5, 0
	s_mul_i32 s6, s26, 12
	s_add_u32 s6, s10, s6
	s_addc_u32 s7, s11, 0
.LBB84_62:                              ; =>This Inner Loop Header: Depth=1
	s_load_dwordx2 s[10:11], s[6:7], 0x4
	s_load_dword s9, s[6:7], 0xc
	s_load_dwordx2 s[12:13], s[4:5], 0x0
	s_add_u32 s6, s6, 12
	s_addc_u32 s7, s7, 0
	s_waitcnt lgkmcnt(0)
	v_mul_hi_u32 v2, s11, v1
	s_add_u32 s4, s4, 8
	s_addc_u32 s5, s5, 0
	s_add_i32 s8, s8, -1
	v_add_u32_e32 v2, v1, v2
	v_lshrrev_b32_e32 v2, s9, v2
	v_mul_lo_u32 v3, v2, s10
	s_cmp_lg_u32 s8, 0
	v_sub_u32_e32 v1, v1, v3
	v_mad_u64_u32 v[41:42], s[10:11], v1, s12, v[41:42]
	v_mad_u64_u32 v[0:1], s[10:11], v1, s13, v[0:1]
	v_mov_b32_e32 v1, v2
	s_cbranch_scc1 .LBB84_62
.LBB84_63:
	s_cbranch_execnz .LBB84_66
.LBB84_64:
	v_readlane_b32 s8, v47, 0
	v_readlane_b32 s9, v47, 1
	s_load_dwordx4 s[4:7], s[8:9], 0x4
	s_waitcnt lgkmcnt(0)
	v_mul_hi_u32 v0, s5, v45
	v_add_u32_e32 v0, v45, v0
	v_lshrrev_b32_e32 v1, s6, v0
	v_mul_lo_u32 v0, v1, s4
	v_readlane_b32 s4, v47, 12
	v_readlane_b32 s5, v47, 13
	s_andn2_b64 vcc, exec, s[4:5]
	v_sub_u32_e32 v0, v45, v0
	v_mul_lo_u32 v41, v0, s40
	v_mul_lo_u32 v0, v0, s41
	s_cbranch_vccnz .LBB84_66
; %bb.65:
	v_readlane_b32 s4, v47, 8
	v_mul_hi_u32 v2, s4, v1
	v_readlane_b32 s5, v47, 9
	v_add_u32_e32 v2, v1, v2
	v_lshrrev_b32_e32 v2, s5, v2
	v_mul_lo_u32 v2, v2, s7
	v_sub_u32_e32 v1, v1, v2
	v_mad_u64_u32 v[41:42], s[4:5], v1, s42, v[41:42]
	v_mad_u64_u32 v[0:1], s[4:5], v1, s43, v[0:1]
.LBB84_66:
	v_readlane_b32 s8, v47, 0
	v_readlane_b32 s9, v47, 1
	s_load_dwordx4 s[96:99], s[8:9], 0x148
	s_getpc_b64 s[4:5]
	s_add_u32 s4, s4, _ZZZZN2at6native21polygamma_kernel_cudaERNS_18TensorIteratorBaseElENKUlvE_clEvENKUlvE_clEvENKUldE_clEd@rel32@lo+4
	s_addc_u32 s5, s5, _ZZZZN2at6native21polygamma_kernel_cudaERNS_18TensorIteratorBaseElENKUlvE_clEvENKUlvE_clEvENKUldE_clEd@rel32@hi+12
	v_mov_b32_e32 v1, s37
	s_waitcnt lgkmcnt(0)
	global_load_dwordx2 v[2:3], v0, s[98:99]
	v_mov_b32_e32 v0, s36
	s_swappc_b64 s[30:31], s[4:5]
	v_readlane_b32 s8, v47, 20
	v_readlane_b32 s35, v47, 16
	;; [unrolled: 1-line block ×3, first 2 shown]
	global_store_dwordx2 v41, v[0:1], s[96:97]
.LBB84_67:
	s_or_b64 exec, exec, s[86:87]
	v_readlane_b32 s4, v47, 2
	v_readlane_b32 s34, v47, 11
	;; [unrolled: 1-line block ×3, first 2 shown]
                                        ; implicit-def: $vgpr2
                                        ; implicit-def: $vgpr45
	s_andn2_saveexec_b64 s[4:5], s[4:5]
	s_cbranch_execz .LBB84_2
.LBB84_68:
	v_cndmask_b32_e64 v0, 0, 1, s[8:9]
	v_cmp_ne_u32_e64 s[4:5], 1, v0
	s_andn2_b64 vcc, exec, s[8:9]
	s_cbranch_vccnz .LBB84_74
; %bb.69:
	s_cmp_lg_u32 s34, 0
	s_mov_b32 s30, 0
	s_cbranch_scc0 .LBB84_75
; %bb.70:
	s_min_u32 s31, s35, 15
	s_add_i32 s31, s31, 1
	s_cmp_eq_u32 s35, 2
	s_cbranch_scc1 .LBB84_76
; %bb.71:
	s_and_b32 s30, s31, 28
	v_readlane_b32 s28, v47, 0
	v_readlane_b32 s29, v47, 1
	s_add_u32 s6, s28, 0xc4
	s_addc_u32 s7, s29, 0
	v_mov_b32_e32 v0, 0
	s_mov_b32 s33, 0
	v_mov_b32_e32 v50, 0
	v_mov_b32_e32 v1, v45
.LBB84_72:                              ; =>This Inner Loop Header: Depth=1
	s_load_dwordx8 s[16:23], s[28:29], 0x4
	s_load_dwordx4 s[24:27], s[28:29], 0x24
	s_load_dwordx8 s[8:15], s[6:7], 0x0
	s_add_u32 s28, s28, 48
	s_addc_u32 s29, s29, 0
	s_waitcnt lgkmcnt(0)
	v_mul_hi_u32 v3, s17, v1
	s_add_i32 s33, s33, 4
	s_add_u32 s6, s6, 32
	s_addc_u32 s7, s7, 0
	v_add_u32_e32 v3, v1, v3
	v_lshrrev_b32_e32 v3, s18, v3
	v_mul_lo_u32 v4, v3, s16
	v_mul_hi_u32 v5, s20, v3
	s_cmp_lg_u32 s30, s33
	v_sub_u32_e32 v1, v1, v4
	v_add_u32_e32 v4, v3, v5
	v_mul_lo_u32 v5, v1, s8
	v_mul_lo_u32 v6, v1, s9
	v_lshrrev_b32_e32 v1, s21, v4
	v_mul_lo_u32 v4, v1, s19
	v_mul_hi_u32 v7, s23, v1
	v_sub_u32_e32 v3, v3, v4
	v_add_u32_e32 v4, v1, v7
	v_lshrrev_b32_e32 v4, s24, v4
	v_mul_hi_u32 v8, s26, v4
	v_mul_lo_u32 v9, v4, s22
	v_mul_lo_u32 v7, v3, s10
	;; [unrolled: 1-line block ×3, first 2 shown]
	v_sub_u32_e32 v9, v1, v9
	v_add_u32_e32 v1, v4, v8
	v_lshrrev_b32_e32 v1, s27, v1
	v_mul_lo_u32 v8, v1, s25
	v_mul_lo_u32 v10, v9, s12
	;; [unrolled: 1-line block ×3, first 2 shown]
	v_add3_u32 v5, v5, v50, v7
	v_sub_u32_e32 v4, v4, v8
	v_mul_lo_u32 v8, v4, s14
	v_mul_lo_u32 v4, v4, s15
	v_add3_u32 v0, v6, v0, v3
	v_add3_u32 v50, v10, v5, v8
	v_add3_u32 v0, v9, v0, v4
	s_cbranch_scc1 .LBB84_72
; %bb.73:
	s_and_b32 s10, s31, 3
	s_cmp_eq_u32 s10, 0
	s_cbranch_scc0 .LBB84_77
	s_branch .LBB84_79
.LBB84_74:
                                        ; implicit-def: $vgpr50
                                        ; implicit-def: $vgpr0
	s_branch .LBB84_80
.LBB84_75:
	v_mov_b32_e32 v50, 0
	v_mov_b32_e32 v0, 0
	s_branch .LBB84_79
.LBB84_76:
	v_mov_b32_e32 v50, 0
	v_mov_b32_e32 v0, 0
	;; [unrolled: 1-line block ×3, first 2 shown]
	s_and_b32 s10, s31, 3
	s_cmp_eq_u32 s10, 0
	s_cbranch_scc1 .LBB84_79
.LBB84_77:
	s_lshl_b32 s6, s30, 3
	v_readlane_b32 s12, v47, 0
	v_readlane_b32 s13, v47, 1
	s_add_u32 s6, s12, s6
	s_addc_u32 s7, s13, 0
	s_add_u32 s6, s6, 0xc4
	s_addc_u32 s7, s7, 0
	s_mul_i32 s8, s30, 12
	s_add_u32 s8, s12, s8
	s_addc_u32 s9, s13, 0
.LBB84_78:                              ; =>This Inner Loop Header: Depth=1
	s_load_dwordx2 s[12:13], s[8:9], 0x4
	s_load_dword s11, s[8:9], 0xc
	s_load_dwordx2 s[14:15], s[6:7], 0x0
	s_add_u32 s8, s8, 12
	s_addc_u32 s9, s9, 0
	s_waitcnt lgkmcnt(0)
	v_mul_hi_u32 v3, s13, v1
	s_add_u32 s6, s6, 8
	s_addc_u32 s7, s7, 0
	s_add_i32 s10, s10, -1
	v_add_u32_e32 v3, v1, v3
	v_lshrrev_b32_e32 v3, s11, v3
	v_mul_lo_u32 v4, v3, s12
	s_cmp_lg_u32 s10, 0
	v_sub_u32_e32 v1, v1, v4
	v_mad_u64_u32 v[50:51], s[12:13], v1, s14, v[50:51]
	v_mad_u64_u32 v[0:1], s[12:13], v1, s15, v[0:1]
	v_mov_b32_e32 v1, v3
	s_cbranch_scc1 .LBB84_78
.LBB84_79:
	s_cbranch_execnz .LBB84_82
.LBB84_80:
	v_readlane_b32 s12, v47, 0
	v_readlane_b32 s13, v47, 1
	s_load_dwordx4 s[8:11], s[12:13], 0x4
	s_load_dwordx2 s[6:7], s[12:13], 0xc4
	s_cmp_lt_u32 s34, 2
	s_waitcnt lgkmcnt(0)
	v_mul_hi_u32 v0, s9, v45
	v_add_u32_e32 v0, v45, v0
	v_lshrrev_b32_e32 v1, s10, v0
	v_mul_lo_u32 v0, v1, s8
	v_sub_u32_e32 v0, v45, v0
	v_mul_lo_u32 v50, v0, s6
	v_mul_lo_u32 v0, v0, s7
	s_cbranch_scc1 .LBB84_82
; %bb.81:
	v_readlane_b32 s12, v47, 0
	v_readlane_b32 s13, v47, 1
	s_load_dwordx4 s[8:11], s[12:13], 0x10
	s_load_dwordx2 s[6:7], s[12:13], 0xcc
	s_waitcnt lgkmcnt(0)
	v_mul_hi_u32 v3, s9, v1
	v_add_u32_e32 v3, v1, v3
	v_lshrrev_b32_e32 v3, s10, v3
	v_mul_lo_u32 v3, v3, s8
	v_sub_u32_e32 v1, v1, v3
	v_mad_u64_u32 v[50:51], s[8:9], v1, s6, v[50:51]
	v_mad_u64_u32 v[0:1], s[6:7], v1, s7, v[0:1]
.LBB84_82:
	s_and_b64 vcc, exec, s[4:5]
	v_add_u32_e32 v1, 0x80, v45
	s_cbranch_vccnz .LBB84_88
; %bb.83:
	s_cmp_lg_u32 s34, 0
	s_mov_b32 s30, 0
	s_cbranch_scc0 .LBB84_89
; %bb.84:
	s_min_u32 s31, s35, 15
	s_add_i32 s31, s31, 1
	s_cmp_eq_u32 s35, 2
	s_cbranch_scc1 .LBB84_90
; %bb.85:
	s_and_b32 s30, s31, 28
	v_readlane_b32 s28, v47, 0
	v_readlane_b32 s29, v47, 1
	s_add_u32 s6, s28, 0xc4
	s_addc_u32 s7, s29, 0
	v_mov_b32_e32 v43, 0
	s_mov_b32 s33, 0
	v_mov_b32_e32 v51, 0
	v_mov_b32_e32 v3, v1
.LBB84_86:                              ; =>This Inner Loop Header: Depth=1
	s_load_dwordx8 s[16:23], s[28:29], 0x4
	s_load_dwordx4 s[24:27], s[28:29], 0x24
	s_load_dwordx8 s[8:15], s[6:7], 0x0
	s_add_u32 s28, s28, 48
	s_addc_u32 s29, s29, 0
	s_waitcnt lgkmcnt(0)
	v_mul_hi_u32 v4, s17, v3
	s_add_i32 s33, s33, 4
	s_add_u32 s6, s6, 32
	s_addc_u32 s7, s7, 0
	v_add_u32_e32 v4, v3, v4
	v_lshrrev_b32_e32 v4, s18, v4
	v_mul_lo_u32 v5, v4, s16
	v_mul_hi_u32 v6, s20, v4
	s_cmp_lg_u32 s30, s33
	v_sub_u32_e32 v3, v3, v5
	v_add_u32_e32 v5, v4, v6
	v_mul_lo_u32 v6, v3, s8
	v_mul_lo_u32 v7, v3, s9
	v_lshrrev_b32_e32 v3, s21, v5
	v_mul_lo_u32 v5, v3, s19
	v_mul_hi_u32 v8, s23, v3
	v_sub_u32_e32 v4, v4, v5
	v_add_u32_e32 v5, v3, v8
	v_lshrrev_b32_e32 v5, s24, v5
	v_mul_hi_u32 v9, s26, v5
	v_mul_lo_u32 v10, v5, s22
	v_mul_lo_u32 v8, v4, s10
	;; [unrolled: 1-line block ×3, first 2 shown]
	v_sub_u32_e32 v10, v3, v10
	v_add_u32_e32 v3, v5, v9
	v_lshrrev_b32_e32 v3, s27, v3
	v_mul_lo_u32 v9, v3, s25
	v_mul_lo_u32 v11, v10, s12
	;; [unrolled: 1-line block ×3, first 2 shown]
	v_add3_u32 v6, v6, v51, v8
	v_sub_u32_e32 v5, v5, v9
	v_mul_lo_u32 v9, v5, s14
	v_mul_lo_u32 v5, v5, s15
	v_add3_u32 v4, v7, v43, v4
	v_add3_u32 v51, v11, v6, v9
	;; [unrolled: 1-line block ×3, first 2 shown]
	s_cbranch_scc1 .LBB84_86
; %bb.87:
	s_and_b32 s10, s31, 3
	s_cmp_eq_u32 s10, 0
	s_cbranch_scc0 .LBB84_91
	s_branch .LBB84_93
.LBB84_88:
                                        ; implicit-def: $vgpr51
                                        ; implicit-def: $vgpr43
	s_branch .LBB84_94
.LBB84_89:
	v_mov_b32_e32 v51, 0
	v_mov_b32_e32 v43, 0
	s_branch .LBB84_93
.LBB84_90:
	v_mov_b32_e32 v51, 0
	v_mov_b32_e32 v43, 0
	;; [unrolled: 1-line block ×3, first 2 shown]
	s_and_b32 s10, s31, 3
	s_cmp_eq_u32 s10, 0
	s_cbranch_scc1 .LBB84_93
.LBB84_91:
	s_lshl_b32 s6, s30, 3
	v_readlane_b32 s12, v47, 0
	v_readlane_b32 s13, v47, 1
	s_add_u32 s6, s12, s6
	s_addc_u32 s7, s13, 0
	s_add_u32 s6, s6, 0xc4
	s_addc_u32 s7, s7, 0
	s_mul_i32 s8, s30, 12
	s_add_u32 s8, s12, s8
	s_addc_u32 s9, s13, 0
.LBB84_92:                              ; =>This Inner Loop Header: Depth=1
	s_load_dwordx2 s[12:13], s[8:9], 0x4
	s_load_dword s11, s[8:9], 0xc
	s_load_dwordx2 s[14:15], s[6:7], 0x0
	s_add_u32 s8, s8, 12
	s_addc_u32 s9, s9, 0
	s_waitcnt lgkmcnt(0)
	v_mul_hi_u32 v4, s13, v3
	s_add_u32 s6, s6, 8
	s_addc_u32 s7, s7, 0
	s_add_i32 s10, s10, -1
	v_add_u32_e32 v4, v3, v4
	v_lshrrev_b32_e32 v4, s11, v4
	v_mul_lo_u32 v5, v4, s12
	s_cmp_lg_u32 s10, 0
	v_sub_u32_e32 v3, v3, v5
	v_mad_u64_u32 v[51:52], s[12:13], v3, s14, v[51:52]
	v_mad_u64_u32 v[43:44], s[12:13], v3, s15, v[43:44]
	v_mov_b32_e32 v3, v4
	s_cbranch_scc1 .LBB84_92
.LBB84_93:
	s_cbranch_execnz .LBB84_96
.LBB84_94:
	v_readlane_b32 s12, v47, 0
	v_readlane_b32 s13, v47, 1
	s_load_dwordx4 s[8:11], s[12:13], 0x4
	s_load_dwordx2 s[6:7], s[12:13], 0xc4
	s_cmp_lt_u32 s34, 2
	s_waitcnt lgkmcnt(0)
	v_mul_hi_u32 v3, s9, v1
	v_add_u32_e32 v3, v1, v3
	v_lshrrev_b32_e32 v3, s10, v3
	v_mul_lo_u32 v4, v3, s8
	v_sub_u32_e32 v1, v1, v4
	v_mul_lo_u32 v51, v1, s6
	v_mul_lo_u32 v43, v1, s7
	s_cbranch_scc1 .LBB84_96
; %bb.95:
	v_readlane_b32 s12, v47, 0
	v_readlane_b32 s13, v47, 1
	s_load_dwordx4 s[8:11], s[12:13], 0x10
	s_load_dwordx2 s[6:7], s[12:13], 0xcc
	s_waitcnt lgkmcnt(0)
	v_mul_hi_u32 v1, s9, v3
	v_add_u32_e32 v1, v3, v1
	v_lshrrev_b32_e32 v1, s10, v1
	v_mul_lo_u32 v1, v1, s8
	v_sub_u32_e32 v1, v3, v1
	v_mad_u64_u32 v[51:52], s[8:9], v1, s6, v[51:52]
	v_mad_u64_u32 v[43:44], s[6:7], v1, s7, v[43:44]
.LBB84_96:
	s_and_b64 vcc, exec, s[4:5]
	v_add_u32_e32 v1, 0x100, v45
	s_cbranch_vccnz .LBB84_102
; %bb.97:
	s_cmp_lg_u32 s34, 0
	s_mov_b32 s30, 0
	s_cbranch_scc0 .LBB84_103
; %bb.98:
	s_min_u32 s31, s35, 15
	s_add_i32 s31, s31, 1
	s_cmp_eq_u32 s35, 2
	s_cbranch_scc1 .LBB84_104
; %bb.99:
	s_and_b32 s30, s31, 28
	v_readlane_b32 s28, v47, 0
	v_readlane_b32 s29, v47, 1
	s_add_u32 s6, s28, 0xc4
	s_addc_u32 s7, s29, 0
	v_mov_b32_e32 v45, 0
	s_mov_b32 s33, 0
	v_mov_b32_e32 v52, 0
	v_mov_b32_e32 v3, v1
.LBB84_100:                             ; =>This Inner Loop Header: Depth=1
	s_load_dwordx8 s[16:23], s[28:29], 0x4
	s_load_dwordx4 s[24:27], s[28:29], 0x24
	s_load_dwordx8 s[8:15], s[6:7], 0x0
	s_add_u32 s28, s28, 48
	s_addc_u32 s29, s29, 0
	s_waitcnt lgkmcnt(0)
	v_mul_hi_u32 v4, s17, v3
	s_add_i32 s33, s33, 4
	s_add_u32 s6, s6, 32
	s_addc_u32 s7, s7, 0
	v_add_u32_e32 v4, v3, v4
	v_lshrrev_b32_e32 v4, s18, v4
	v_mul_lo_u32 v5, v4, s16
	v_mul_hi_u32 v6, s20, v4
	s_cmp_lg_u32 s30, s33
	v_sub_u32_e32 v3, v3, v5
	v_add_u32_e32 v5, v4, v6
	v_mul_lo_u32 v6, v3, s8
	v_mul_lo_u32 v7, v3, s9
	v_lshrrev_b32_e32 v3, s21, v5
	v_mul_lo_u32 v5, v3, s19
	v_mul_hi_u32 v8, s23, v3
	v_sub_u32_e32 v4, v4, v5
	v_add_u32_e32 v5, v3, v8
	v_lshrrev_b32_e32 v5, s24, v5
	v_mul_hi_u32 v9, s26, v5
	v_mul_lo_u32 v10, v5, s22
	v_mul_lo_u32 v8, v4, s10
	;; [unrolled: 1-line block ×3, first 2 shown]
	v_sub_u32_e32 v10, v3, v10
	v_add_u32_e32 v3, v5, v9
	v_lshrrev_b32_e32 v3, s27, v3
	v_mul_lo_u32 v9, v3, s25
	v_mul_lo_u32 v11, v10, s12
	;; [unrolled: 1-line block ×3, first 2 shown]
	v_add3_u32 v6, v6, v52, v8
	v_sub_u32_e32 v5, v5, v9
	v_mul_lo_u32 v9, v5, s14
	v_mul_lo_u32 v5, v5, s15
	v_add3_u32 v4, v7, v45, v4
	v_add3_u32 v52, v11, v6, v9
	;; [unrolled: 1-line block ×3, first 2 shown]
	s_cbranch_scc1 .LBB84_100
; %bb.101:
	s_and_b32 s10, s31, 3
	s_cmp_eq_u32 s10, 0
	s_cbranch_scc0 .LBB84_105
	s_branch .LBB84_107
.LBB84_102:
                                        ; implicit-def: $vgpr52
                                        ; implicit-def: $vgpr45
	s_branch .LBB84_108
.LBB84_103:
	v_mov_b32_e32 v52, 0
	v_mov_b32_e32 v45, 0
	s_branch .LBB84_107
.LBB84_104:
	v_mov_b32_e32 v52, 0
	v_mov_b32_e32 v45, 0
	;; [unrolled: 1-line block ×3, first 2 shown]
	s_and_b32 s10, s31, 3
	s_cmp_eq_u32 s10, 0
	s_cbranch_scc1 .LBB84_107
.LBB84_105:
	s_lshl_b32 s6, s30, 3
	v_readlane_b32 s12, v47, 0
	v_readlane_b32 s13, v47, 1
	s_add_u32 s6, s12, s6
	s_addc_u32 s7, s13, 0
	s_add_u32 s6, s6, 0xc4
	s_addc_u32 s7, s7, 0
	s_mul_i32 s8, s30, 12
	s_add_u32 s8, s12, s8
	s_addc_u32 s9, s13, 0
.LBB84_106:                             ; =>This Inner Loop Header: Depth=1
	s_load_dwordx2 s[12:13], s[8:9], 0x4
	s_load_dword s11, s[8:9], 0xc
	s_load_dwordx2 s[14:15], s[6:7], 0x0
	s_add_u32 s8, s8, 12
	s_addc_u32 s9, s9, 0
	s_waitcnt lgkmcnt(0)
	v_mul_hi_u32 v4, s13, v3
	s_add_u32 s6, s6, 8
	s_addc_u32 s7, s7, 0
	s_add_i32 s10, s10, -1
	v_add_u32_e32 v4, v3, v4
	v_lshrrev_b32_e32 v4, s11, v4
	v_mul_lo_u32 v5, v4, s12
	s_cmp_lg_u32 s10, 0
	v_sub_u32_e32 v3, v3, v5
	v_mad_u64_u32 v[52:53], s[12:13], v3, s14, v[52:53]
	v_mad_u64_u32 v[45:46], s[12:13], v3, s15, v[45:46]
	v_mov_b32_e32 v3, v4
	s_cbranch_scc1 .LBB84_106
.LBB84_107:
	s_cbranch_execnz .LBB84_110
.LBB84_108:
	v_readlane_b32 s12, v47, 0
	v_readlane_b32 s13, v47, 1
	s_load_dwordx4 s[8:11], s[12:13], 0x4
	s_load_dwordx2 s[6:7], s[12:13], 0xc4
	s_cmp_lt_u32 s34, 2
	s_waitcnt lgkmcnt(0)
	v_mul_hi_u32 v3, s9, v1
	v_add_u32_e32 v3, v1, v3
	v_lshrrev_b32_e32 v3, s10, v3
	v_mul_lo_u32 v4, v3, s8
	v_sub_u32_e32 v1, v1, v4
	v_mul_lo_u32 v52, v1, s6
	v_mul_lo_u32 v45, v1, s7
	s_cbranch_scc1 .LBB84_110
; %bb.109:
	v_readlane_b32 s12, v47, 0
	v_readlane_b32 s13, v47, 1
	s_load_dwordx4 s[8:11], s[12:13], 0x10
	s_load_dwordx2 s[6:7], s[12:13], 0xcc
	s_waitcnt lgkmcnt(0)
	v_mul_hi_u32 v1, s9, v3
	v_add_u32_e32 v1, v3, v1
	v_lshrrev_b32_e32 v1, s10, v1
	v_mul_lo_u32 v1, v1, s8
	v_sub_u32_e32 v1, v3, v1
	v_mad_u64_u32 v[52:53], s[8:9], v1, s6, v[52:53]
	v_mad_u64_u32 v[45:46], s[6:7], v1, s7, v[45:46]
.LBB84_110:
	s_and_b64 vcc, exec, s[4:5]
	s_cbranch_vccnz .LBB84_116
; %bb.111:
	s_cmp_lg_u32 s34, 0
	s_mov_b32 s28, 0
	s_cbranch_scc0 .LBB84_117
; %bb.112:
	s_min_u32 s29, s35, 15
	s_add_i32 s29, s29, 1
	s_cmp_eq_u32 s35, 2
	s_cbranch_scc1 .LBB84_118
; %bb.113:
	s_and_b32 s28, s29, 28
	v_readlane_b32 s26, v47, 0
	v_readlane_b32 s27, v47, 1
	s_add_u32 s24, s26, 0xc4
	s_addc_u32 s25, s27, 0
	v_mov_b32_e32 v55, 0
	s_mov_b32 s30, 0
	v_mov_b32_e32 v53, 0
	v_mov_b32_e32 v1, v2
.LBB84_114:                             ; =>This Inner Loop Header: Depth=1
	s_load_dwordx8 s[12:19], s[26:27], 0x4
	s_load_dwordx4 s[20:23], s[26:27], 0x24
	s_load_dwordx8 s[4:11], s[24:25], 0x0
	s_add_u32 s26, s26, 48
	s_addc_u32 s27, s27, 0
	s_waitcnt lgkmcnt(0)
	v_mul_hi_u32 v3, s13, v1
	s_add_i32 s30, s30, 4
	s_add_u32 s24, s24, 32
	s_addc_u32 s25, s25, 0
	v_add_u32_e32 v3, v1, v3
	v_lshrrev_b32_e32 v3, s14, v3
	v_mul_lo_u32 v4, v3, s12
	v_mul_hi_u32 v5, s16, v3
	s_cmp_lg_u32 s28, s30
	v_sub_u32_e32 v1, v1, v4
	v_add_u32_e32 v4, v3, v5
	v_mul_lo_u32 v5, v1, s4
	v_mul_lo_u32 v6, v1, s5
	v_lshrrev_b32_e32 v1, s17, v4
	v_mul_lo_u32 v4, v1, s15
	v_mul_hi_u32 v7, s19, v1
	v_sub_u32_e32 v3, v3, v4
	v_add_u32_e32 v4, v1, v7
	v_lshrrev_b32_e32 v4, s20, v4
	v_mul_hi_u32 v8, s22, v4
	v_mul_lo_u32 v9, v4, s18
	v_mul_lo_u32 v7, v3, s6
	;; [unrolled: 1-line block ×3, first 2 shown]
	v_sub_u32_e32 v9, v1, v9
	v_add_u32_e32 v1, v4, v8
	v_lshrrev_b32_e32 v1, s23, v1
	v_mul_lo_u32 v8, v1, s21
	v_mul_lo_u32 v10, v9, s8
	;; [unrolled: 1-line block ×3, first 2 shown]
	v_add3_u32 v5, v5, v53, v7
	v_sub_u32_e32 v4, v4, v8
	v_mul_lo_u32 v8, v4, s10
	v_mul_lo_u32 v4, v4, s11
	v_add3_u32 v3, v6, v55, v3
	v_add3_u32 v53, v10, v5, v8
	;; [unrolled: 1-line block ×3, first 2 shown]
	s_cbranch_scc1 .LBB84_114
; %bb.115:
	s_and_b32 s8, s29, 3
	s_cmp_eq_u32 s8, 0
	s_cbranch_scc0 .LBB84_119
	s_branch .LBB84_121
.LBB84_116:
                                        ; implicit-def: $vgpr53
                                        ; implicit-def: $vgpr55
	s_branch .LBB84_122
.LBB84_117:
	v_mov_b32_e32 v53, 0
	v_mov_b32_e32 v55, 0
	s_branch .LBB84_121
.LBB84_118:
	v_mov_b32_e32 v53, 0
	v_mov_b32_e32 v55, 0
	;; [unrolled: 1-line block ×3, first 2 shown]
	s_and_b32 s8, s29, 3
	s_cmp_eq_u32 s8, 0
	s_cbranch_scc1 .LBB84_121
.LBB84_119:
	s_lshl_b32 s4, s28, 3
	v_readlane_b32 s10, v47, 0
	v_readlane_b32 s11, v47, 1
	s_add_u32 s4, s10, s4
	s_addc_u32 s5, s11, 0
	s_add_u32 s4, s4, 0xc4
	s_addc_u32 s5, s5, 0
	s_mul_i32 s6, s28, 12
	s_add_u32 s6, s10, s6
	s_addc_u32 s7, s11, 0
.LBB84_120:                             ; =>This Inner Loop Header: Depth=1
	s_load_dwordx2 s[10:11], s[6:7], 0x4
	s_load_dword s9, s[6:7], 0xc
	s_load_dwordx2 s[12:13], s[4:5], 0x0
	s_add_u32 s6, s6, 12
	s_addc_u32 s7, s7, 0
	s_waitcnt lgkmcnt(0)
	v_mul_hi_u32 v3, s11, v1
	s_add_u32 s4, s4, 8
	s_addc_u32 s5, s5, 0
	s_add_i32 s8, s8, -1
	v_add_u32_e32 v3, v1, v3
	v_lshrrev_b32_e32 v3, s9, v3
	v_mul_lo_u32 v4, v3, s10
	s_cmp_lg_u32 s8, 0
	v_sub_u32_e32 v1, v1, v4
	v_mad_u64_u32 v[53:54], s[10:11], v1, s12, v[53:54]
	v_mad_u64_u32 v[55:56], s[10:11], v1, s13, v[55:56]
	v_mov_b32_e32 v1, v3
	s_cbranch_scc1 .LBB84_120
.LBB84_121:
	s_cbranch_execnz .LBB84_124
.LBB84_122:
	v_readlane_b32 s10, v47, 0
	v_readlane_b32 s11, v47, 1
	s_load_dwordx4 s[4:7], s[10:11], 0x4
	s_load_dwordx2 s[8:9], s[10:11], 0xc4
	s_cmp_lt_u32 s34, 2
	s_waitcnt lgkmcnt(0)
	v_mul_hi_u32 v1, s5, v2
	v_add_u32_e32 v1, v2, v1
	v_lshrrev_b32_e32 v1, s6, v1
	v_mul_lo_u32 v3, v1, s4
	v_sub_u32_e32 v2, v2, v3
	v_mul_lo_u32 v53, v2, s8
	v_mul_lo_u32 v55, v2, s9
	s_cbranch_scc1 .LBB84_124
; %bb.123:
	v_readlane_b32 s10, v47, 0
	v_readlane_b32 s11, v47, 1
	s_load_dwordx4 s[4:7], s[10:11], 0x10
	s_load_dwordx2 s[8:9], s[10:11], 0xcc
	s_waitcnt lgkmcnt(0)
	v_mul_hi_u32 v2, s5, v1
	v_add_u32_e32 v2, v1, v2
	v_lshrrev_b32_e32 v2, s6, v2
	v_mul_lo_u32 v2, v2, s4
	v_sub_u32_e32 v1, v1, v2
	v_mad_u64_u32 v[53:54], s[4:5], v1, s8, v[53:54]
	v_mad_u64_u32 v[55:56], s[4:5], v1, s9, v[55:56]
.LBB84_124:
	v_readlane_b32 s4, v47, 0
	v_readlane_b32 s5, v47, 1
	s_load_dwordx4 s[8:11], s[4:5], 0x148
	s_load_dwordx2 s[86:87], s[4:5], 0x158
	s_getpc_b64 s[96:97]
	s_add_u32 s96, s96, _ZZZZN2at6native21polygamma_kernel_cudaERNS_18TensorIteratorBaseElENKUlvE_clEvENKUlvE_clEvENKUldE_clEd@rel32@lo+4
	s_addc_u32 s97, s97, _ZZZZN2at6native21polygamma_kernel_cudaERNS_18TensorIteratorBaseElENKUlvE_clEvENKUlvE_clEvENKUldE_clEd@rel32@hi+12
                                        ; kill: killed $sgpr4 killed $sgpr5
	s_waitcnt lgkmcnt(0)
	v_writelane_b32 v47, s8, 16
	v_writelane_b32 v47, s9, 17
	;; [unrolled: 1-line block ×3, first 2 shown]
	v_mov_b32_e32 v1, s87
	s_nop 1
	global_load_dwordx2 v[2:3], v0, s[10:11]
	v_mov_b32_e32 v0, s86
	v_writelane_b32 v47, s11, 19
	s_swappc_b64 s[30:31], s[96:97]
	s_mov_b64 s[4:5], s[96:97]
	v_readlane_b32 s96, v47, 16
	v_readlane_b32 s98, v47, 18
	;; [unrolled: 1-line block ×3, first 2 shown]
	v_mov_b32_e32 v41, v0
	v_mov_b32_e32 v42, v1
	v_readlane_b32 s97, v47, 17
	v_mov_b32_e32 v0, s86
	v_mov_b32_e32 v1, s87
	global_load_dwordx2 v[2:3], v43, s[98:99]
	s_mov_b64 s[96:97], s[4:5]
	s_swappc_b64 s[30:31], s[4:5]
	global_load_dwordx2 v[2:3], v45, s[98:99]
	v_mov_b32_e32 v43, v0
	v_mov_b32_e32 v44, v1
	;; [unrolled: 1-line block ×4, first 2 shown]
	s_swappc_b64 s[30:31], s[96:97]
	v_readlane_b32 s4, v47, 16
	v_readlane_b32 s6, v47, 18
	;; [unrolled: 1-line block ×3, first 2 shown]
	v_mov_b32_e32 v45, v0
	v_mov_b32_e32 v46, v1
	;; [unrolled: 1-line block ×4, first 2 shown]
	v_readlane_b32 s5, v47, 17
	global_load_dwordx2 v[2:3], v55, s[6:7]
	s_swappc_b64 s[30:31], s[96:97]
	v_readlane_b32 s4, v47, 16
	v_readlane_b32 s5, v47, 17
	;; [unrolled: 1-line block ×4, first 2 shown]
	s_nop 2
	global_store_dwordx2 v50, v[41:42], s[4:5]
	global_store_dwordx2 v51, v[43:44], s[4:5]
	;; [unrolled: 1-line block ×4, first 2 shown]
	s_endpgm
	.section	.rodata,"a",@progbits
	.p2align	6, 0x0
	.amdhsa_kernel _ZN2at6native32elementwise_kernel_manual_unrollILi128ELi4EZNS0_22gpu_kernel_impl_nocastIZZZNS0_21polygamma_kernel_cudaERNS_18TensorIteratorBaseElENKUlvE_clEvENKUlvE_clEvEUldE_EEvS4_RKT_EUlibE_EEviT1_
		.amdhsa_group_segment_fixed_size 0
		.amdhsa_private_segment_fixed_size 8
		.amdhsa_kernarg_size 360
		.amdhsa_user_sgpr_count 6
		.amdhsa_user_sgpr_private_segment_buffer 1
		.amdhsa_user_sgpr_dispatch_ptr 0
		.amdhsa_user_sgpr_queue_ptr 0
		.amdhsa_user_sgpr_kernarg_segment_ptr 1
		.amdhsa_user_sgpr_dispatch_id 0
		.amdhsa_user_sgpr_flat_scratch_init 0
		.amdhsa_user_sgpr_private_segment_size 0
		.amdhsa_uses_dynamic_stack 0
		.amdhsa_system_sgpr_private_segment_wavefront_offset 1
		.amdhsa_system_sgpr_workgroup_id_x 1
		.amdhsa_system_sgpr_workgroup_id_y 0
		.amdhsa_system_sgpr_workgroup_id_z 0
		.amdhsa_system_sgpr_workgroup_info 0
		.amdhsa_system_vgpr_workitem_id 0
		.amdhsa_next_free_vgpr 57
		.amdhsa_next_free_sgpr 100
		.amdhsa_reserve_vcc 1
		.amdhsa_reserve_flat_scratch 0
		.amdhsa_float_round_mode_32 0
		.amdhsa_float_round_mode_16_64 0
		.amdhsa_float_denorm_mode_32 3
		.amdhsa_float_denorm_mode_16_64 3
		.amdhsa_dx10_clamp 1
		.amdhsa_ieee_mode 1
		.amdhsa_fp16_overflow 0
		.amdhsa_exception_fp_ieee_invalid_op 0
		.amdhsa_exception_fp_denorm_src 0
		.amdhsa_exception_fp_ieee_div_zero 0
		.amdhsa_exception_fp_ieee_overflow 0
		.amdhsa_exception_fp_ieee_underflow 0
		.amdhsa_exception_fp_ieee_inexact 0
		.amdhsa_exception_int_div_zero 0
	.end_amdhsa_kernel
	.section	.text._ZN2at6native32elementwise_kernel_manual_unrollILi128ELi4EZNS0_22gpu_kernel_impl_nocastIZZZNS0_21polygamma_kernel_cudaERNS_18TensorIteratorBaseElENKUlvE_clEvENKUlvE_clEvEUldE_EEvS4_RKT_EUlibE_EEviT1_,"axG",@progbits,_ZN2at6native32elementwise_kernel_manual_unrollILi128ELi4EZNS0_22gpu_kernel_impl_nocastIZZZNS0_21polygamma_kernel_cudaERNS_18TensorIteratorBaseElENKUlvE_clEvENKUlvE_clEvEUldE_EEvS4_RKT_EUlibE_EEviT1_,comdat
.Lfunc_end84:
	.size	_ZN2at6native32elementwise_kernel_manual_unrollILi128ELi4EZNS0_22gpu_kernel_impl_nocastIZZZNS0_21polygamma_kernel_cudaERNS_18TensorIteratorBaseElENKUlvE_clEvENKUlvE_clEvEUldE_EEvS4_RKT_EUlibE_EEviT1_, .Lfunc_end84-_ZN2at6native32elementwise_kernel_manual_unrollILi128ELi4EZNS0_22gpu_kernel_impl_nocastIZZZNS0_21polygamma_kernel_cudaERNS_18TensorIteratorBaseElENKUlvE_clEvENKUlvE_clEvEUldE_EEvS4_RKT_EUlibE_EEviT1_
                                        ; -- End function
	.set _ZN2at6native32elementwise_kernel_manual_unrollILi128ELi4EZNS0_22gpu_kernel_impl_nocastIZZZNS0_21polygamma_kernel_cudaERNS_18TensorIteratorBaseElENKUlvE_clEvENKUlvE_clEvEUldE_EEvS4_RKT_EUlibE_EEviT1_.num_vgpr, max(57, .L_ZZZZN2at6native21polygamma_kernel_cudaERNS_18TensorIteratorBaseElENKUlvE_clEvENKUlvE_clEvENKUldE_clEd.num_vgpr)
	.set _ZN2at6native32elementwise_kernel_manual_unrollILi128ELi4EZNS0_22gpu_kernel_impl_nocastIZZZNS0_21polygamma_kernel_cudaERNS_18TensorIteratorBaseElENKUlvE_clEvENKUlvE_clEvEUldE_EEvS4_RKT_EUlibE_EEviT1_.num_agpr, max(0, .L_ZZZZN2at6native21polygamma_kernel_cudaERNS_18TensorIteratorBaseElENKUlvE_clEvENKUlvE_clEvENKUldE_clEd.num_agpr)
	.set _ZN2at6native32elementwise_kernel_manual_unrollILi128ELi4EZNS0_22gpu_kernel_impl_nocastIZZZNS0_21polygamma_kernel_cudaERNS_18TensorIteratorBaseElENKUlvE_clEvENKUlvE_clEvEUldE_EEvS4_RKT_EUlibE_EEviT1_.numbered_sgpr, max(100, .L_ZZZZN2at6native21polygamma_kernel_cudaERNS_18TensorIteratorBaseElENKUlvE_clEvENKUlvE_clEvENKUldE_clEd.numbered_sgpr)
	.set _ZN2at6native32elementwise_kernel_manual_unrollILi128ELi4EZNS0_22gpu_kernel_impl_nocastIZZZNS0_21polygamma_kernel_cudaERNS_18TensorIteratorBaseElENKUlvE_clEvENKUlvE_clEvEUldE_EEvS4_RKT_EUlibE_EEviT1_.num_named_barrier, max(0, .L_ZZZZN2at6native21polygamma_kernel_cudaERNS_18TensorIteratorBaseElENKUlvE_clEvENKUlvE_clEvENKUldE_clEd.num_named_barrier)
	.set _ZN2at6native32elementwise_kernel_manual_unrollILi128ELi4EZNS0_22gpu_kernel_impl_nocastIZZZNS0_21polygamma_kernel_cudaERNS_18TensorIteratorBaseElENKUlvE_clEvENKUlvE_clEvEUldE_EEvS4_RKT_EUlibE_EEviT1_.private_seg_size, 0+max(.L_ZZZZN2at6native21polygamma_kernel_cudaERNS_18TensorIteratorBaseElENKUlvE_clEvENKUlvE_clEvENKUldE_clEd.private_seg_size)
	.set _ZN2at6native32elementwise_kernel_manual_unrollILi128ELi4EZNS0_22gpu_kernel_impl_nocastIZZZNS0_21polygamma_kernel_cudaERNS_18TensorIteratorBaseElENKUlvE_clEvENKUlvE_clEvEUldE_EEvS4_RKT_EUlibE_EEviT1_.uses_vcc, or(1, .L_ZZZZN2at6native21polygamma_kernel_cudaERNS_18TensorIteratorBaseElENKUlvE_clEvENKUlvE_clEvENKUldE_clEd.uses_vcc)
	.set _ZN2at6native32elementwise_kernel_manual_unrollILi128ELi4EZNS0_22gpu_kernel_impl_nocastIZZZNS0_21polygamma_kernel_cudaERNS_18TensorIteratorBaseElENKUlvE_clEvENKUlvE_clEvEUldE_EEvS4_RKT_EUlibE_EEviT1_.uses_flat_scratch, or(0, .L_ZZZZN2at6native21polygamma_kernel_cudaERNS_18TensorIteratorBaseElENKUlvE_clEvENKUlvE_clEvENKUldE_clEd.uses_flat_scratch)
	.set _ZN2at6native32elementwise_kernel_manual_unrollILi128ELi4EZNS0_22gpu_kernel_impl_nocastIZZZNS0_21polygamma_kernel_cudaERNS_18TensorIteratorBaseElENKUlvE_clEvENKUlvE_clEvEUldE_EEvS4_RKT_EUlibE_EEviT1_.has_dyn_sized_stack, or(0, .L_ZZZZN2at6native21polygamma_kernel_cudaERNS_18TensorIteratorBaseElENKUlvE_clEvENKUlvE_clEvENKUldE_clEd.has_dyn_sized_stack)
	.set _ZN2at6native32elementwise_kernel_manual_unrollILi128ELi4EZNS0_22gpu_kernel_impl_nocastIZZZNS0_21polygamma_kernel_cudaERNS_18TensorIteratorBaseElENKUlvE_clEvENKUlvE_clEvEUldE_EEvS4_RKT_EUlibE_EEviT1_.has_recursion, or(0, .L_ZZZZN2at6native21polygamma_kernel_cudaERNS_18TensorIteratorBaseElENKUlvE_clEvENKUlvE_clEvENKUldE_clEd.has_recursion)
	.set _ZN2at6native32elementwise_kernel_manual_unrollILi128ELi4EZNS0_22gpu_kernel_impl_nocastIZZZNS0_21polygamma_kernel_cudaERNS_18TensorIteratorBaseElENKUlvE_clEvENKUlvE_clEvEUldE_EEvS4_RKT_EUlibE_EEviT1_.has_indirect_call, or(0, .L_ZZZZN2at6native21polygamma_kernel_cudaERNS_18TensorIteratorBaseElENKUlvE_clEvENKUlvE_clEvENKUldE_clEd.has_indirect_call)
	.section	.AMDGPU.csdata,"",@progbits
; Kernel info:
; codeLenInByte = 7352
; TotalNumSgprs: 104
; NumVgprs: 57
; ScratchSize: 8
; MemoryBound: 0
; FloatMode: 240
; IeeeMode: 1
; LDSByteSize: 0 bytes/workgroup (compile time only)
; SGPRBlocks: 12
; VGPRBlocks: 14
; NumSGPRsForWavesPerEU: 104
; NumVGPRsForWavesPerEU: 57
; Occupancy: 4
; WaveLimiterHint : 1
; COMPUTE_PGM_RSRC2:SCRATCH_EN: 1
; COMPUTE_PGM_RSRC2:USER_SGPR: 6
; COMPUTE_PGM_RSRC2:TRAP_HANDLER: 0
; COMPUTE_PGM_RSRC2:TGID_X_EN: 1
; COMPUTE_PGM_RSRC2:TGID_Y_EN: 0
; COMPUTE_PGM_RSRC2:TGID_Z_EN: 0
; COMPUTE_PGM_RSRC2:TIDIG_COMP_CNT: 0
	.section	.text._ZN2at6native32elementwise_kernel_manual_unrollILi128ELi4EZNS0_15gpu_kernel_implIZZZNS0_21polygamma_kernel_cudaERNS_18TensorIteratorBaseElENKUlvE_clEvENKUlvE_clEvEUldE_EEvS4_RKT_EUlibE_EEviT1_,"axG",@progbits,_ZN2at6native32elementwise_kernel_manual_unrollILi128ELi4EZNS0_15gpu_kernel_implIZZZNS0_21polygamma_kernel_cudaERNS_18TensorIteratorBaseElENKUlvE_clEvENKUlvE_clEvEUldE_EEvS4_RKT_EUlibE_EEviT1_,comdat
	.globl	_ZN2at6native32elementwise_kernel_manual_unrollILi128ELi4EZNS0_15gpu_kernel_implIZZZNS0_21polygamma_kernel_cudaERNS_18TensorIteratorBaseElENKUlvE_clEvENKUlvE_clEvEUldE_EEvS4_RKT_EUlibE_EEviT1_ ; -- Begin function _ZN2at6native32elementwise_kernel_manual_unrollILi128ELi4EZNS0_15gpu_kernel_implIZZZNS0_21polygamma_kernel_cudaERNS_18TensorIteratorBaseElENKUlvE_clEvENKUlvE_clEvEUldE_EEvS4_RKT_EUlibE_EEviT1_
	.p2align	8
	.type	_ZN2at6native32elementwise_kernel_manual_unrollILi128ELi4EZNS0_15gpu_kernel_implIZZZNS0_21polygamma_kernel_cudaERNS_18TensorIteratorBaseElENKUlvE_clEvENKUlvE_clEvEUldE_EEvS4_RKT_EUlibE_EEviT1_,@function
_ZN2at6native32elementwise_kernel_manual_unrollILi128ELi4EZNS0_15gpu_kernel_implIZZZNS0_21polygamma_kernel_cudaERNS_18TensorIteratorBaseElENKUlvE_clEvENKUlvE_clEvEUldE_EEvS4_RKT_EUlibE_EEviT1_: ; @_ZN2at6native32elementwise_kernel_manual_unrollILi128ELi4EZNS0_15gpu_kernel_implIZZZNS0_21polygamma_kernel_cudaERNS_18TensorIteratorBaseElENKUlvE_clEvENKUlvE_clEvEUldE_EEvS4_RKT_EUlibE_EEviT1_
; %bb.0:
	s_load_dword s23, s[4:5], 0x28
	s_load_dword s33, s[4:5], 0x0
	s_load_dwordx8 s[36:43], s[4:5], 0x8
	v_lshl_or_b32 v47, s6, 9, v0
	s_add_u32 s0, s0, s7
	v_or_b32_e32 v0, 0x180, v47
	s_addc_u32 s1, s1, 0
	s_waitcnt lgkmcnt(0)
	s_bfe_u32 s28, s23, 0x80008
	v_cmp_le_i32_e32 vcc, s33, v0
	s_mov_b64 s[26:27], 0
	s_mov_b64 s[98:99], 0
	s_mov_b32 s32, 0
	s_and_saveexec_b64 s[4:5], vcc
	s_xor_b64 s[30:31], exec, s[4:5]
                                        ; implicit-def: $vgpr50 : SGPR spill to VGPR lane
	s_cbranch_execz .LBB85_1028
; %bb.1:
	v_cmp_gt_i32_e32 vcc, s33, v47
	s_mov_b64 s[6:7], -1
	s_mov_b64 s[16:17], 0
	s_mov_b64 s[44:45], 0
	;; [unrolled: 1-line block ×3, first 2 shown]
	s_and_saveexec_b64 s[20:21], vcc
	v_writelane_b32 v50, s36, 0
	v_writelane_b32 v50, s37, 1
	;; [unrolled: 1-line block ×8, first 2 shown]
	s_cbranch_execz .LBB85_252
; %bb.2:
	v_mul_lo_u32 v0, v47, s41
	v_mov_b32_e32 v1, s39
	s_and_b32 s10, 0xffff, s28
	s_cmp_lt_i32 s10, 11
	v_ashrrev_i32_e32 v2, 31, v0
	v_add_co_u32_e32 v0, vcc, s38, v0
	v_addc_co_u32_e32 v1, vcc, v1, v2, vcc
	s_cbranch_scc1 .LBB85_9
; %bb.3:
	s_cmp_gt_i32 s10, 25
	s_cbranch_scc0 .LBB85_18
; %bb.4:
	s_cmp_gt_i32 s10, 28
	s_cbranch_scc0 .LBB85_22
	;; [unrolled: 3-line block ×4, first 2 shown]
; %bb.7:
	s_cmp_eq_u32 s10, 46
	s_mov_b64 s[6:7], 0
	s_cbranch_scc0 .LBB85_28
; %bb.8:
	global_load_dword v2, v[0:1], off
	s_mov_b64 s[4:5], -1
	s_mov_b64 s[18:19], 0
	s_waitcnt vmcnt(0)
	v_lshlrev_b32_e32 v2, 16, v2
	v_cvt_f64_f32_e32 v[2:3], v2
	s_branch .LBB85_30
.LBB85_9:
	s_mov_b64 s[18:19], 0
                                        ; implicit-def: $vgpr2_vgpr3
	s_mov_b64 s[4:5], 0
	s_and_b64 vcc, exec, s[6:7]
	s_cbranch_vccnz .LBB85_203
.LBB85_10:
	s_andn2_b64 vcc, exec, s[4:5]
	s_cbranch_vccnz .LBB85_250
.LBB85_11:
	v_writelane_b32 v50, s20, 8
	s_getpc_b64 s[4:5]
	s_add_u32 s4, s4, _ZZZZN2at6native21polygamma_kernel_cudaERNS_18TensorIteratorBaseElENKUlvE_clEvENKUlvE_clEvENKUldE_clEd@rel32@lo+4
	s_addc_u32 s5, s5, _ZZZZN2at6native21polygamma_kernel_cudaERNS_18TensorIteratorBaseElENKUlvE_clEvENKUlvE_clEvENKUldE_clEd@rel32@hi+12
	v_mov_b32_e32 v0, s42
	v_mov_b32_e32 v1, s43
	v_writelane_b32 v50, s21, 9
	s_mov_b64 s[96:97], s[18:19]
	s_mov_b64 s[86:87], s[30:31]
	s_mov_b32 s99, s28
	s_mov_b32 s98, s23
	s_swappc_b64 s[30:31], s[4:5]
	v_readlane_b32 s36, v50, 0
	v_readlane_b32 s40, v50, 4
	v_mul_lo_u32 v2, v47, s40
	v_readlane_b32 s37, v50, 1
	v_mov_b32_e32 v5, s37
	s_and_b32 s12, s98, 0xff
	v_ashrrev_i32_e32 v3, 31, v2
	v_add_co_u32_e32 v4, vcc, s36, v2
	s_mov_b32 s23, s98
	v_readlane_b32 s38, v50, 2
	v_readlane_b32 s39, v50, 3
	;; [unrolled: 1-line block ×5, first 2 shown]
	s_cmp_lt_i32 s12, 11
	v_addc_co_u32_e32 v5, vcc, v5, v3, vcc
	s_cbranch_scc1 .LBB85_19
; %bb.12:
	s_and_b32 s13, 0xffff, s12
	s_cmp_gt_i32 s13, 25
	s_cbranch_scc0 .LBB85_23
; %bb.13:
	v_readlane_b32 s20, v50, 8
	s_cmp_gt_i32 s13, 28
	s_mov_b64 s[26:27], 0
	s_mov_b32 s28, s99
	s_mov_b64 s[30:31], s[86:87]
	s_mov_b64 s[16:17], 0
	;; [unrolled: 1-line block ×3, first 2 shown]
	v_readlane_b32 s21, v50, 9
	s_cbranch_scc0 .LBB85_25
; %bb.14:
	s_cmp_gt_i32 s13, 43
	s_cbranch_scc0 .LBB85_27
; %bb.15:
	s_cmp_gt_i32 s13, 45
	s_cbranch_scc0 .LBB85_33
; %bb.16:
	s_mov_b64 s[8:9], 0
	s_mov_b64 s[4:5], -1
	s_cmp_eq_u32 s13, 46
	s_mov_b64 s[6:7], 0
	s_cbranch_scc0 .LBB85_34
; %bb.17:
	v_cvt_f32_f64_e32 v2, v[0:1]
	s_movk_i32 s4, 0x7fff
	v_mov_b32_e32 v3, 0x7fc0
	s_mov_b64 s[6:7], -1
	v_bfe_u32 v6, v2, 16, 1
	v_cmp_o_f32_e32 vcc, v2, v2
	v_add3_u32 v2, v2, v6, s4
	v_cndmask_b32_sdwa v2, v3, v2, vcc dst_sel:DWORD dst_unused:UNUSED_PAD src0_sel:DWORD src1_sel:WORD_1
	global_store_dword v[4:5], v2, off
	s_mov_b64 s[4:5], 0
	s_branch .LBB85_34
.LBB85_18:
	s_mov_b64 s[18:19], 0
	s_mov_b64 s[4:5], 0
                                        ; implicit-def: $vgpr2_vgpr3
	s_and_b64 vcc, exec, s[6:7]
	s_cbranch_vccnz .LBB85_170
	s_branch .LBB85_202
.LBB85_19:
	v_readlane_b32 s20, v50, 8
	s_mov_b64 s[4:5], 0
	s_mov_b64 s[6:7], 0
	;; [unrolled: 1-line block ×3, first 2 shown]
	s_mov_b32 s28, s99
	s_mov_b64 s[30:31], s[86:87]
	s_mov_b64 s[16:17], 0
	;; [unrolled: 1-line block ×3, first 2 shown]
	v_readlane_b32 s21, v50, 9
	s_cbranch_execnz .LBB85_103
.LBB85_20:
	s_andn2_b64 vcc, exec, s[6:7]
	s_cbranch_vccnz .LBB85_141
.LBB85_21:
	v_add_u32_e32 v47, 0x80, v47
	s_mov_b64 s[6:7], -1
	s_branch .LBB85_251
.LBB85_22:
	s_mov_b64 s[18:19], 0
	s_mov_b64 s[4:5], 0
                                        ; implicit-def: $vgpr2_vgpr3
	s_branch .LBB85_149
.LBB85_23:
	v_readlane_b32 s20, v50, 8
	s_mov_b64 s[8:9], -1
	s_mov_b64 s[4:5], 0
	s_mov_b64 s[6:7], 0
	;; [unrolled: 1-line block ×3, first 2 shown]
	s_mov_b32 s28, s99
	s_mov_b64 s[30:31], s[86:87]
	s_mov_b64 s[16:17], 0
	;; [unrolled: 1-line block ×3, first 2 shown]
	v_readlane_b32 s21, v50, 9
	s_branch .LBB85_61
.LBB85_24:
	s_mov_b64 s[18:19], 0
	s_mov_b64 s[4:5], 0
                                        ; implicit-def: $vgpr2_vgpr3
	s_branch .LBB85_144
.LBB85_25:
	s_mov_b64 s[8:9], -1
	s_mov_b64 s[4:5], 0
	s_mov_b64 s[6:7], 0
	s_branch .LBB85_44
.LBB85_26:
	s_mov_b64 s[18:19], 0
	s_branch .LBB85_29
.LBB85_27:
	s_mov_b64 s[8:9], -1
	s_mov_b64 s[4:5], 0
	s_mov_b64 s[6:7], 0
	s_branch .LBB85_40
.LBB85_28:
	s_mov_b64 s[18:19], -1
.LBB85_29:
	s_mov_b64 s[4:5], 0
                                        ; implicit-def: $vgpr2_vgpr3
.LBB85_30:
	s_and_b64 vcc, exec, s[6:7]
	s_cbranch_vccz .LBB85_143
; %bb.31:
	s_cmp_eq_u32 s10, 44
	s_cbranch_scc0 .LBB85_142
; %bb.32:
	global_load_ubyte v4, v[0:1], off
	s_movk_i32 s6, 0xff
	v_bfrev_b32_e32 v5, 4
	v_mov_b32_e32 v6, 0x7ff80000
	v_bfrev_b32_e32 v7, 28
	s_mov_b64 s[4:5], -1
	s_mov_b64 s[18:19], 0
	s_waitcnt vmcnt(0)
	v_lshlrev_b32_e32 v2, 23, v4
	v_cvt_f64_f32_e32 v[2:3], v2
	v_cmp_ne_u32_e32 vcc, s6, v4
	v_cndmask_b32_e32 v2, v5, v2, vcc
	v_cndmask_b32_e32 v3, v6, v3, vcc
	v_cmp_ne_u32_e32 vcc, 0, v4
	v_cndmask_b32_e32 v3, v7, v3, vcc
	v_cndmask_b32_e32 v2, 0, v2, vcc
	s_branch .LBB85_143
.LBB85_33:
	s_mov_b64 s[8:9], -1
	s_mov_b64 s[4:5], 0
	s_mov_b64 s[6:7], 0
.LBB85_34:
	s_and_b64 vcc, exec, s[8:9]
	s_cbranch_vccz .LBB85_39
; %bb.35:
	s_cmp_eq_u32 s13, 44
	s_mov_b64 s[4:5], -1
	s_cbranch_scc0 .LBB85_39
; %bb.36:
	v_cvt_f32_f64_e32 v2, v[0:1]
	s_movk_i32 s4, 0xff
	v_mov_b32_e32 v6, 0xff
	v_bfe_u32 v3, v2, 23, 8
	v_cmp_ne_u32_e32 vcc, s4, v3
	s_and_saveexec_b64 s[6:7], vcc
; %bb.37:
	s_mov_b32 s4, 0x3fffff
	v_lshrrev_b32_e32 v6, 23, v2
	v_and_b32_e32 v7, 0x400000, v2
	v_and_or_b32 v2, v2, s4, v3
	v_cmp_ne_u32_e32 vcc, 0, v7
	v_cmp_ne_u32_e64 s[4:5], 0, v2
	s_and_b64 s[4:5], vcc, s[4:5]
	v_cndmask_b32_e64 v2, 0, 1, s[4:5]
	v_add_u32_e32 v6, v6, v2
; %bb.38:
	s_or_b64 exec, exec, s[6:7]
	s_mov_b64 s[6:7], -1
	s_mov_b64 s[4:5], 0
	global_store_byte v[4:5], v6, off
.LBB85_39:
	s_mov_b64 s[8:9], 0
.LBB85_40:
	s_and_b64 vcc, exec, s[8:9]
	s_cbranch_vccz .LBB85_43
; %bb.41:
	s_cmp_eq_u32 s13, 29
	s_mov_b64 s[4:5], -1
	s_cbranch_scc0 .LBB85_43
; %bb.42:
	v_trunc_f64_e32 v[2:3], v[0:1]
	s_movk_i32 s4, 0xffe0
	s_mov_b64 s[6:7], -1
	s_mov_b64 s[8:9], 0
	v_ldexp_f64 v[6:7], v[2:3], s4
	s_mov_b32 s4, 0
	s_mov_b32 s5, 0xc1f00000
	v_floor_f64_e32 v[6:7], v[6:7]
	v_fma_f64 v[2:3], v[6:7], s[4:5], v[2:3]
	v_cvt_u32_f64_e32 v7, v[6:7]
	s_mov_b64 s[4:5], 0
	v_cvt_u32_f64_e32 v6, v[2:3]
	global_store_dwordx2 v[4:5], v[6:7], off
	s_branch .LBB85_44
.LBB85_43:
	s_mov_b64 s[8:9], 0
.LBB85_44:
	s_and_b64 vcc, exec, s[8:9]
	s_cbranch_vccz .LBB85_60
; %bb.45:
	s_cmp_lt_i32 s13, 27
	s_mov_b64 s[6:7], -1
	s_cbranch_scc1 .LBB85_51
; %bb.46:
	v_cvt_u32_f64_e32 v2, v[0:1]
	s_cmp_gt_i32 s13, 27
	s_cbranch_scc0 .LBB85_48
; %bb.47:
	s_mov_b64 s[6:7], 0
	global_store_dword v[4:5], v2, off
.LBB85_48:
	s_andn2_b64 vcc, exec, s[6:7]
	s_cbranch_vccnz .LBB85_50
; %bb.49:
	global_store_short v[4:5], v2, off
.LBB85_50:
	s_mov_b64 s[6:7], 0
.LBB85_51:
	s_andn2_b64 vcc, exec, s[6:7]
	s_cbranch_vccnz .LBB85_59
; %bb.52:
	v_cvt_f32_f64_e32 v2, v[0:1]
	s_mov_b32 s6, 0x43800000
	v_mov_b32_e32 v6, 0x80
	v_and_b32_e32 v3, 0x7fffffff, v2
	v_cmp_gt_u32_e32 vcc, s6, v3
	s_and_saveexec_b64 s[6:7], vcc
	s_cbranch_execz .LBB85_58
; %bb.53:
	s_mov_b32 s8, 0x3bffffff
	v_cmp_lt_u32_e32 vcc, s8, v3
	s_mov_b64 s[8:9], 0
                                        ; implicit-def: $vgpr3
	s_and_saveexec_b64 s[10:11], vcc
	s_xor_b64 s[10:11], exec, s[10:11]
	s_cbranch_execz .LBB85_279
; %bb.54:
	v_bfe_u32 v3, v2, 20, 1
	s_mov_b32 s14, 0x487ffff
	v_add3_u32 v3, v2, v3, s14
	s_mov_b64 s[8:9], exec
	v_lshrrev_b32_e32 v3, 20, v3
	s_andn2_saveexec_b64 s[10:11], s[10:11]
	s_cbranch_execnz .LBB85_280
.LBB85_55:
	s_or_b64 exec, exec, s[10:11]
	v_mov_b32_e32 v6, 0
	s_and_saveexec_b64 s[10:11], s[8:9]
.LBB85_56:
	v_lshrrev_b32_e32 v2, 24, v2
	s_movk_i32 s8, 0x80
	v_and_or_b32 v6, v2, s8, v3
.LBB85_57:
	s_or_b64 exec, exec, s[10:11]
.LBB85_58:
	s_or_b64 exec, exec, s[6:7]
	global_store_byte v[4:5], v6, off
.LBB85_59:
	s_mov_b64 s[6:7], -1
.LBB85_60:
	s_mov_b64 s[8:9], 0
.LBB85_61:
	s_and_b64 vcc, exec, s[8:9]
	s_cbranch_vccz .LBB85_102
; %bb.62:
	s_cmp_gt_i32 s13, 22
	s_mov_b64 s[8:9], -1
	s_cbranch_scc0 .LBB85_94
; %bb.63:
	s_cmp_lt_i32 s13, 24
	s_mov_b64 s[6:7], -1
	s_cbranch_scc1 .LBB85_83
; %bb.64:
	s_cmp_gt_i32 s13, 24
	s_cbranch_scc0 .LBB85_72
; %bb.65:
	v_cvt_f32_f64_e32 v2, v[0:1]
	s_mov_b32 s6, 0x47800000
	v_mov_b32_e32 v6, 0x80
	v_and_b32_e32 v3, 0x7fffffff, v2
	v_cmp_gt_u32_e32 vcc, s6, v3
	s_and_saveexec_b64 s[6:7], vcc
	s_cbranch_execz .LBB85_71
; %bb.66:
	s_mov_b32 s8, 0x37ffffff
	v_cmp_lt_u32_e32 vcc, s8, v3
	s_mov_b64 s[8:9], 0
                                        ; implicit-def: $vgpr3
	s_and_saveexec_b64 s[10:11], vcc
	s_xor_b64 s[10:11], exec, s[10:11]
	s_cbranch_execz .LBB85_283
; %bb.67:
	v_bfe_u32 v3, v2, 21, 1
	s_mov_b32 s14, 0x88fffff
	v_add3_u32 v3, v2, v3, s14
	s_mov_b64 s[8:9], exec
	v_lshrrev_b32_e32 v3, 21, v3
	s_andn2_saveexec_b64 s[10:11], s[10:11]
	s_cbranch_execnz .LBB85_284
.LBB85_68:
	s_or_b64 exec, exec, s[10:11]
	v_mov_b32_e32 v6, 0
	s_and_saveexec_b64 s[10:11], s[8:9]
.LBB85_69:
	v_lshrrev_b32_e32 v2, 24, v2
	s_movk_i32 s8, 0x80
	v_and_or_b32 v6, v2, s8, v3
.LBB85_70:
	s_or_b64 exec, exec, s[10:11]
.LBB85_71:
	s_or_b64 exec, exec, s[6:7]
	s_mov_b64 s[6:7], 0
	global_store_byte v[4:5], v6, off
.LBB85_72:
	s_and_b64 vcc, exec, s[6:7]
	s_cbranch_vccz .LBB85_82
; %bb.73:
	v_cvt_f32_f64_e32 v2, v[0:1]
	s_mov_b32 s6, 0x43f00000
                                        ; implicit-def: $vgpr3
	v_and_b32_e32 v6, 0x7fffffff, v2
	v_cmp_gt_u32_e32 vcc, s6, v6
	s_and_saveexec_b64 s[6:7], vcc
	s_xor_b64 s[6:7], exec, s[6:7]
	s_cbranch_execz .LBB85_79
; %bb.74:
	s_mov_b32 s8, 0x3c7fffff
	v_cmp_lt_u32_e32 vcc, s8, v6
                                        ; implicit-def: $vgpr3
	s_and_saveexec_b64 s[8:9], vcc
	s_xor_b64 s[8:9], exec, s[8:9]
; %bb.75:
	v_bfe_u32 v3, v2, 20, 1
	s_mov_b32 s10, 0x407ffff
	v_add3_u32 v3, v2, v3, s10
	v_lshrrev_b32_e32 v6, 20, v3
	v_and_b32_e32 v3, 0xff00000, v3
	s_mov_b32 s10, 0x7f00000
	v_mov_b32_e32 v7, 0x7e
	v_cmp_ne_u32_e32 vcc, s10, v3
	v_cndmask_b32_e32 v3, v7, v6, vcc
; %bb.76:
	s_andn2_saveexec_b64 s[8:9], s[8:9]
; %bb.77:
	s_mov_b32 s10, 0x46800000
	v_add_f32_e64 v3, |v2|, s10
; %bb.78:
	s_or_b64 exec, exec, s[8:9]
                                        ; implicit-def: $vgpr6
.LBB85_79:
	s_andn2_saveexec_b64 s[6:7], s[6:7]
; %bb.80:
	s_mov_b32 s8, 0x7f800000
	v_mov_b32_e32 v3, 0x7e
	v_mov_b32_e32 v7, 0x7f
	v_cmp_lt_u32_e32 vcc, s8, v6
	v_cndmask_b32_e32 v3, v3, v7, vcc
; %bb.81:
	s_or_b64 exec, exec, s[6:7]
	v_lshrrev_b32_e32 v2, 24, v2
	s_movk_i32 s6, 0x80
	v_and_or_b32 v2, v2, s6, v3
	global_store_byte v[4:5], v2, off
.LBB85_82:
	s_mov_b64 s[6:7], 0
.LBB85_83:
	s_andn2_b64 vcc, exec, s[6:7]
	s_cbranch_vccnz .LBB85_93
; %bb.84:
	v_cvt_f32_f64_e32 v2, v[0:1]
	s_mov_b32 s6, 0x47800000
                                        ; implicit-def: $vgpr3
	v_and_b32_e32 v6, 0x7fffffff, v2
	v_cmp_gt_u32_e32 vcc, s6, v6
	s_and_saveexec_b64 s[6:7], vcc
	s_xor_b64 s[6:7], exec, s[6:7]
	s_cbranch_execz .LBB85_90
; %bb.85:
	s_mov_b32 s8, 0x387fffff
	v_cmp_lt_u32_e32 vcc, s8, v6
                                        ; implicit-def: $vgpr3
	s_and_saveexec_b64 s[8:9], vcc
	s_xor_b64 s[8:9], exec, s[8:9]
; %bb.86:
	v_bfe_u32 v3, v2, 21, 1
	s_mov_b32 s10, 0x80fffff
	v_add3_u32 v3, v2, v3, s10
	v_lshrrev_b32_e32 v3, 21, v3
; %bb.87:
	s_andn2_saveexec_b64 s[8:9], s[8:9]
; %bb.88:
	s_mov_b32 s10, 0x43000000
	v_add_f32_e64 v3, |v2|, s10
; %bb.89:
	s_or_b64 exec, exec, s[8:9]
                                        ; implicit-def: $vgpr6
.LBB85_90:
	s_andn2_saveexec_b64 s[6:7], s[6:7]
; %bb.91:
	s_mov_b32 s8, 0x7f800000
	v_mov_b32_e32 v3, 0x7c
	v_mov_b32_e32 v7, 0x7f
	v_cmp_lt_u32_e32 vcc, s8, v6
	v_cndmask_b32_e32 v3, v3, v7, vcc
; %bb.92:
	s_or_b64 exec, exec, s[6:7]
	v_lshrrev_b32_e32 v2, 24, v2
	s_movk_i32 s6, 0x80
	v_and_or_b32 v2, v2, s6, v3
	global_store_byte v[4:5], v2, off
.LBB85_93:
	s_mov_b64 s[8:9], 0
	s_mov_b64 s[6:7], -1
.LBB85_94:
	s_andn2_b64 vcc, exec, s[8:9]
	s_cbranch_vccnz .LBB85_102
; %bb.95:
	s_cmp_gt_i32 s13, 14
	s_mov_b64 s[8:9], -1
	s_cbranch_scc0 .LBB85_99
; %bb.96:
	s_cmp_eq_u32 s13, 15
	s_mov_b64 s[4:5], -1
	s_cbranch_scc0 .LBB85_98
; %bb.97:
	v_cvt_f32_f64_e32 v2, v[0:1]
	s_movk_i32 s4, 0x7fff
	v_mov_b32_e32 v3, 0x7fc0
	s_mov_b64 s[6:7], -1
	v_bfe_u32 v6, v2, 16, 1
	v_cmp_o_f32_e32 vcc, v2, v2
	v_add3_u32 v2, v2, v6, s4
	v_cndmask_b32_sdwa v2, v3, v2, vcc dst_sel:DWORD dst_unused:UNUSED_PAD src0_sel:DWORD src1_sel:WORD_1
	global_store_short v[4:5], v2, off
	s_mov_b64 s[4:5], 0
.LBB85_98:
	s_mov_b64 s[8:9], 0
.LBB85_99:
	s_and_b64 vcc, exec, s[8:9]
	s_cbranch_vccz .LBB85_102
; %bb.100:
	s_cmp_eq_u32 s13, 11
	s_mov_b64 s[4:5], -1
	s_cbranch_scc0 .LBB85_102
; %bb.101:
	v_cmp_neq_f64_e32 vcc, 0, v[0:1]
	s_mov_b64 s[4:5], 0
	s_mov_b64 s[6:7], -1
	v_cndmask_b32_e64 v2, 0, 1, vcc
	global_store_byte v[4:5], v2, off
.LBB85_102:
	s_branch .LBB85_20
.LBB85_103:
	s_and_b32 s8, 0xffff, s12
	s_cmp_lt_i32 s8, 5
	s_mov_b64 s[6:7], -1
	s_cbranch_scc1 .LBB85_124
; %bb.104:
	s_cmp_lt_i32 s8, 8
	s_cbranch_scc1 .LBB85_114
; %bb.105:
	s_cmp_lt_i32 s8, 9
	s_cbranch_scc1 .LBB85_111
; %bb.106:
	s_cmp_gt_i32 s8, 9
	s_cbranch_scc0 .LBB85_108
; %bb.107:
	v_mov_b32_e32 v2, 0
	v_mov_b32_e32 v3, v2
	global_store_dwordx4 v[4:5], v[0:3], off
	s_mov_b64 s[6:7], 0
.LBB85_108:
	s_andn2_b64 vcc, exec, s[6:7]
	s_cbranch_vccnz .LBB85_110
; %bb.109:
	v_cvt_f32_f64_e32 v2, v[0:1]
	v_mov_b32_e32 v3, 0
	global_store_dwordx2 v[4:5], v[2:3], off
.LBB85_110:
	s_mov_b64 s[6:7], 0
.LBB85_111:
	s_andn2_b64 vcc, exec, s[6:7]
	s_cbranch_vccnz .LBB85_113
; %bb.112:
	s_movk_i32 s6, 0x1ff
	v_and_or_b32 v2, v1, s6, v0
	v_cmp_ne_u32_e32 vcc, 0, v2
	v_cndmask_b32_e64 v2, 0, 1, vcc
	v_lshrrev_b32_e32 v3, 8, v1
	s_movk_i32 s6, 0xffe
	v_bfe_u32 v6, v1, 20, 11
	v_and_or_b32 v2, v3, s6, v2
	v_sub_u32_e32 v7, 0x3f1, v6
	v_or_b32_e32 v3, 0x1000, v2
	v_med3_i32 v7, v7, 0, 13
	v_lshrrev_b32_e32 v8, v7, v3
	v_lshlrev_b32_e32 v7, v7, v8
	v_cmp_ne_u32_e32 vcc, v7, v3
	v_cndmask_b32_e64 v3, 0, 1, vcc
	v_add_u32_e32 v6, 0xfffffc10, v6
	v_or_b32_e32 v3, v8, v3
	v_lshl_or_b32 v7, v6, 12, v2
	v_cmp_gt_i32_e32 vcc, 1, v6
	v_cndmask_b32_e32 v3, v7, v3, vcc
	v_and_b32_e32 v7, 7, v3
	v_cmp_lt_i32_e32 vcc, 5, v7
	v_cndmask_b32_e64 v8, 0, 1, vcc
	v_cmp_eq_u32_e32 vcc, 3, v7
	v_cndmask_b32_e64 v7, 0, 1, vcc
	v_or_b32_e32 v7, v7, v8
	v_lshrrev_b32_e32 v3, 2, v3
	v_add_u32_e32 v3, v3, v7
	v_mov_b32_e32 v7, 0x7c00
	v_cmp_gt_i32_e32 vcc, 31, v6
	v_cndmask_b32_e32 v3, v7, v3, vcc
	v_mov_b32_e32 v8, 0x7e00
	v_cmp_ne_u32_e32 vcc, 0, v2
	s_movk_i32 s6, 0x40f
	v_cndmask_b32_e32 v2, v7, v8, vcc
	v_cmp_eq_u32_e32 vcc, s6, v6
	v_cndmask_b32_e32 v2, v3, v2, vcc
	v_lshrrev_b32_e32 v3, 16, v1
	s_mov_b32 s6, 0x8000
	v_and_or_b32 v2, v3, s6, v2
	v_and_b32_e32 v2, 0xffff, v2
	global_store_dword v[4:5], v2, off
.LBB85_113:
	s_mov_b64 s[6:7], 0
.LBB85_114:
	s_andn2_b64 vcc, exec, s[6:7]
	s_cbranch_vccnz .LBB85_123
; %bb.115:
	s_cmp_lt_i32 s8, 6
	s_mov_b64 s[6:7], -1
	s_cbranch_scc1 .LBB85_121
; %bb.116:
	s_cmp_gt_i32 s8, 6
	s_cbranch_scc0 .LBB85_118
; %bb.117:
	global_store_dwordx2 v[4:5], v[0:1], off
	s_mov_b64 s[6:7], 0
.LBB85_118:
	s_andn2_b64 vcc, exec, s[6:7]
	s_cbranch_vccnz .LBB85_120
; %bb.119:
	v_cvt_f32_f64_e32 v2, v[0:1]
	global_store_dword v[4:5], v2, off
.LBB85_120:
	s_mov_b64 s[6:7], 0
.LBB85_121:
	s_andn2_b64 vcc, exec, s[6:7]
	s_cbranch_vccnz .LBB85_123
; %bb.122:
	s_movk_i32 s6, 0x1ff
	v_and_or_b32 v2, v1, s6, v0
	v_cmp_ne_u32_e32 vcc, 0, v2
	v_cndmask_b32_e64 v2, 0, 1, vcc
	v_lshrrev_b32_e32 v3, 8, v1
	s_movk_i32 s6, 0xffe
	v_bfe_u32 v6, v1, 20, 11
	v_and_or_b32 v2, v3, s6, v2
	v_sub_u32_e32 v7, 0x3f1, v6
	v_or_b32_e32 v3, 0x1000, v2
	v_med3_i32 v7, v7, 0, 13
	v_lshrrev_b32_e32 v8, v7, v3
	v_lshlrev_b32_e32 v7, v7, v8
	v_cmp_ne_u32_e32 vcc, v7, v3
	v_cndmask_b32_e64 v3, 0, 1, vcc
	v_add_u32_e32 v6, 0xfffffc10, v6
	v_or_b32_e32 v3, v8, v3
	v_lshl_or_b32 v7, v6, 12, v2
	v_cmp_gt_i32_e32 vcc, 1, v6
	v_cndmask_b32_e32 v3, v7, v3, vcc
	v_and_b32_e32 v7, 7, v3
	v_cmp_lt_i32_e32 vcc, 5, v7
	v_cndmask_b32_e64 v8, 0, 1, vcc
	v_cmp_eq_u32_e32 vcc, 3, v7
	v_cndmask_b32_e64 v7, 0, 1, vcc
	v_or_b32_e32 v7, v7, v8
	v_lshrrev_b32_e32 v3, 2, v3
	v_add_u32_e32 v3, v3, v7
	v_mov_b32_e32 v7, 0x7c00
	v_cmp_gt_i32_e32 vcc, 31, v6
	v_cndmask_b32_e32 v3, v7, v3, vcc
	v_mov_b32_e32 v8, 0x7e00
	v_cmp_ne_u32_e32 vcc, 0, v2
	s_movk_i32 s6, 0x40f
	v_cndmask_b32_e32 v2, v7, v8, vcc
	v_cmp_eq_u32_e32 vcc, s6, v6
	v_cndmask_b32_e32 v2, v3, v2, vcc
	v_lshrrev_b32_e32 v3, 16, v1
	s_mov_b32 s6, 0x8000
	v_and_or_b32 v2, v3, s6, v2
	global_store_short v[4:5], v2, off
.LBB85_123:
	s_mov_b64 s[6:7], 0
.LBB85_124:
	s_andn2_b64 vcc, exec, s[6:7]
	s_cbranch_vccnz .LBB85_140
; %bb.125:
	s_cmp_lt_i32 s8, 2
	s_mov_b64 s[6:7], -1
	s_cbranch_scc1 .LBB85_135
; %bb.126:
	s_cmp_lt_i32 s8, 3
	s_cbranch_scc1 .LBB85_132
; %bb.127:
	s_cmp_gt_i32 s8, 3
	s_cbranch_scc0 .LBB85_129
; %bb.128:
	v_trunc_f64_e32 v[2:3], v[0:1]
	s_movk_i32 s6, 0xffe0
	v_ldexp_f64 v[6:7], v[2:3], s6
	s_mov_b32 s6, 0
	s_mov_b32 s7, 0xc1f00000
	v_floor_f64_e32 v[6:7], v[6:7]
	v_fma_f64 v[2:3], v[6:7], s[6:7], v[2:3]
	v_cvt_i32_f64_e32 v7, v[6:7]
	s_mov_b64 s[6:7], 0
	v_cvt_u32_f64_e32 v6, v[2:3]
	global_store_dwordx2 v[4:5], v[6:7], off
.LBB85_129:
	s_andn2_b64 vcc, exec, s[6:7]
	s_cbranch_vccnz .LBB85_131
; %bb.130:
	v_cvt_i32_f64_e32 v2, v[0:1]
	global_store_dword v[4:5], v2, off
.LBB85_131:
	s_mov_b64 s[6:7], 0
.LBB85_132:
	s_andn2_b64 vcc, exec, s[6:7]
	s_cbranch_vccnz .LBB85_134
; %bb.133:
	v_cvt_i32_f64_e32 v2, v[0:1]
	global_store_short v[4:5], v2, off
.LBB85_134:
	s_mov_b64 s[6:7], 0
.LBB85_135:
	s_andn2_b64 vcc, exec, s[6:7]
	s_cbranch_vccnz .LBB85_140
; %bb.136:
	s_cmp_gt_i32 s8, 0
	s_mov_b64 s[6:7], -1
	s_cbranch_scc0 .LBB85_138
; %bb.137:
	v_cvt_i32_f64_e32 v2, v[0:1]
	s_mov_b64 s[6:7], 0
	global_store_byte v[4:5], v2, off
.LBB85_138:
	s_andn2_b64 vcc, exec, s[6:7]
	s_cbranch_vccnz .LBB85_140
; %bb.139:
	v_trunc_f64_e32 v[0:1], v[0:1]
	s_movk_i32 s6, 0xffe0
	v_ldexp_f64 v[2:3], v[0:1], s6
	s_mov_b32 s6, 0
	s_mov_b32 s7, 0xc1f00000
	v_floor_f64_e32 v[2:3], v[2:3]
	v_fma_f64 v[0:1], v[2:3], s[6:7], v[0:1]
	v_cvt_u32_f64_e32 v0, v[0:1]
	global_store_byte v[4:5], v0, off
.LBB85_140:
	s_branch .LBB85_21
.LBB85_141:
	s_mov_b64 s[6:7], 0
                                        ; implicit-def: $vgpr47
	s_branch .LBB85_251
.LBB85_142:
	s_mov_b64 s[18:19], -1
                                        ; implicit-def: $vgpr2_vgpr3
.LBB85_143:
	s_mov_b64 s[6:7], 0
.LBB85_144:
	s_and_b64 vcc, exec, s[6:7]
	s_cbranch_vccz .LBB85_148
; %bb.145:
	s_cmp_eq_u32 s10, 29
	s_cbranch_scc0 .LBB85_147
; %bb.146:
	global_load_dwordx2 v[2:3], v[0:1], off
	s_mov_b64 s[4:5], -1
	s_mov_b64 s[18:19], 0
	s_mov_b64 s[6:7], 0
	s_waitcnt vmcnt(0)
	v_cvt_f64_u32_e32 v[3:4], v3
	v_cvt_f64_u32_e32 v[5:6], v2
	v_ldexp_f64 v[3:4], v[3:4], 32
	v_add_f64 v[2:3], v[3:4], v[5:6]
	s_branch .LBB85_149
.LBB85_147:
	s_mov_b64 s[18:19], -1
                                        ; implicit-def: $vgpr2_vgpr3
.LBB85_148:
	s_mov_b64 s[6:7], 0
.LBB85_149:
	s_and_b64 vcc, exec, s[6:7]
	s_cbranch_vccz .LBB85_169
; %bb.150:
	s_cmp_lt_i32 s10, 27
	s_cbranch_scc1 .LBB85_153
; %bb.151:
	s_cmp_gt_i32 s10, 27
	s_cbranch_scc0 .LBB85_154
; %bb.152:
	global_load_dword v2, v[0:1], off
	s_mov_b64 s[4:5], 0
	s_waitcnt vmcnt(0)
	v_cvt_f64_u32_e32 v[2:3], v2
	s_branch .LBB85_155
.LBB85_153:
	s_mov_b64 s[4:5], -1
                                        ; implicit-def: $vgpr2_vgpr3
	s_branch .LBB85_158
.LBB85_154:
	s_mov_b64 s[4:5], -1
                                        ; implicit-def: $vgpr2_vgpr3
.LBB85_155:
	s_andn2_b64 vcc, exec, s[4:5]
	s_cbranch_vccnz .LBB85_157
; %bb.156:
	global_load_ushort v2, v[0:1], off
	s_waitcnt vmcnt(0)
	v_cvt_f64_u32_e32 v[2:3], v2
.LBB85_157:
	s_mov_b64 s[4:5], 0
.LBB85_158:
	s_andn2_b64 vcc, exec, s[4:5]
	s_cbranch_vccnz .LBB85_168
; %bb.159:
	global_load_ubyte v4, v[0:1], off
	s_movk_i32 s4, 0x7f
	s_waitcnt vmcnt(0)
	v_cmp_lt_i16_e32 vcc, s4, v4
	s_mov_b64 s[4:5], 0
	s_and_saveexec_b64 s[6:7], vcc
	s_xor_b64 s[6:7], exec, s[6:7]
	s_cbranch_execz .LBB85_163
; %bb.160:
	s_movk_i32 s4, 0x80
	v_cmp_eq_u16_e32 vcc, s4, v4
	s_mov_b64 s[4:5], -1
	s_and_saveexec_b64 s[8:9], vcc
; %bb.161:
	s_xor_b64 s[4:5], exec, -1
; %bb.162:
	s_or_b64 exec, exec, s[8:9]
	s_and_b64 s[4:5], s[4:5], exec
.LBB85_163:
	s_or_saveexec_b64 s[6:7], s[6:7]
	v_bfrev_b32_e32 v2, 4
	v_mov_b32_e32 v3, 0x7ff80000
	s_xor_b64 exec, exec, s[6:7]
; %bb.164:
	v_cmp_ne_u16_e32 vcc, 0, v4
	v_mov_b32_e32 v2, 0
	s_andn2_b64 s[4:5], s[4:5], exec
	s_and_b64 s[8:9], vcc, exec
	v_mov_b32_e32 v3, 0
	s_or_b64 s[4:5], s[4:5], s[8:9]
; %bb.165:
	s_or_b64 exec, exec, s[6:7]
	s_and_saveexec_b64 s[6:7], s[4:5]
	s_cbranch_execz .LBB85_167
; %bb.166:
	v_and_b32_e32 v3, 0xffff, v4
	v_lshlrev_b32_e32 v2, 24, v4
	v_and_b32_e32 v4, 7, v3
	v_ffbh_u32_e32 v6, v4
	v_min_u32_e32 v6, 32, v6
	v_subrev_u32_e32 v7, 28, v6
	v_bfe_u32 v5, v3, 3, 4
	v_lshlrev_b32_e32 v3, v7, v3
	v_sub_u32_e32 v6, 29, v6
	v_and_b32_e32 v3, 7, v3
	v_cmp_eq_u32_e32 vcc, 0, v5
	v_cndmask_b32_e32 v5, v5, v6, vcc
	v_cndmask_b32_e32 v3, v4, v3, vcc
	v_mov_b32_e32 v4, 0x3b800000
	v_lshlrev_b32_e32 v3, 20, v3
	v_and_b32_e32 v2, 0x80000000, v2
	v_lshl_add_u32 v4, v5, 23, v4
	v_or3_b32 v2, v2, v4, v3
	v_cvt_f64_f32_e32 v[2:3], v2
.LBB85_167:
	s_or_b64 exec, exec, s[6:7]
.LBB85_168:
	s_mov_b64 s[4:5], -1
.LBB85_169:
	s_branch .LBB85_202
.LBB85_170:
	s_cmp_gt_i32 s10, 22
	s_cbranch_scc0 .LBB85_182
; %bb.171:
	s_cmp_lt_i32 s10, 24
	s_cbranch_scc1 .LBB85_183
; %bb.172:
	s_cmp_gt_i32 s10, 24
	s_cbranch_scc0 .LBB85_184
; %bb.173:
	global_load_ubyte v4, v[0:1], off
	s_movk_i32 s4, 0x7f
	s_waitcnt vmcnt(0)
	v_cmp_lt_i16_e32 vcc, s4, v4
	s_mov_b64 s[4:5], 0
	s_and_saveexec_b64 s[6:7], vcc
	s_xor_b64 s[6:7], exec, s[6:7]
	s_cbranch_execz .LBB85_177
; %bb.174:
	s_movk_i32 s4, 0x80
	v_cmp_eq_u16_e32 vcc, s4, v4
	s_mov_b64 s[4:5], -1
	s_and_saveexec_b64 s[8:9], vcc
; %bb.175:
	s_xor_b64 s[4:5], exec, -1
; %bb.176:
	s_or_b64 exec, exec, s[8:9]
	s_and_b64 s[4:5], s[4:5], exec
.LBB85_177:
	s_or_saveexec_b64 s[6:7], s[6:7]
	v_bfrev_b32_e32 v2, 4
	v_mov_b32_e32 v3, 0x7ff80000
	s_xor_b64 exec, exec, s[6:7]
; %bb.178:
	v_cmp_ne_u16_e32 vcc, 0, v4
	v_mov_b32_e32 v2, 0
	s_andn2_b64 s[4:5], s[4:5], exec
	s_and_b64 s[8:9], vcc, exec
	v_mov_b32_e32 v3, 0
	s_or_b64 s[4:5], s[4:5], s[8:9]
; %bb.179:
	s_or_b64 exec, exec, s[6:7]
	s_and_saveexec_b64 s[6:7], s[4:5]
	s_cbranch_execz .LBB85_181
; %bb.180:
	v_and_b32_e32 v3, 0xffff, v4
	v_lshlrev_b32_e32 v2, 24, v4
	v_and_b32_e32 v4, 3, v3
	v_ffbh_u32_e32 v6, v4
	v_min_u32_e32 v6, 32, v6
	v_subrev_u32_e32 v7, 29, v6
	v_bfe_u32 v5, v3, 2, 5
	v_lshlrev_b32_e32 v3, v7, v3
	v_sub_u32_e32 v6, 30, v6
	v_and_b32_e32 v3, 3, v3
	v_cmp_eq_u32_e32 vcc, 0, v5
	v_cndmask_b32_e32 v5, v5, v6, vcc
	v_cndmask_b32_e32 v3, v4, v3, vcc
	v_mov_b32_e32 v4, 0x37800000
	v_lshlrev_b32_e32 v3, 21, v3
	v_and_b32_e32 v2, 0x80000000, v2
	v_lshl_add_u32 v4, v5, 23, v4
	v_or3_b32 v2, v2, v4, v3
	v_cvt_f64_f32_e32 v[2:3], v2
.LBB85_181:
	s_or_b64 exec, exec, s[6:7]
	s_mov_b64 s[4:5], 0
	s_branch .LBB85_185
.LBB85_182:
	s_mov_b64 s[6:7], -1
                                        ; implicit-def: $vgpr2_vgpr3
	s_branch .LBB85_191
.LBB85_183:
	s_mov_b64 s[4:5], -1
                                        ; implicit-def: $vgpr2_vgpr3
	s_branch .LBB85_188
.LBB85_184:
	s_mov_b64 s[4:5], -1
                                        ; implicit-def: $vgpr2_vgpr3
.LBB85_185:
	s_and_b64 vcc, exec, s[4:5]
	s_cbranch_vccz .LBB85_187
; %bb.186:
	global_load_ubyte v2, v[0:1], off
	s_mov_b32 s4, 0x7f800000
	s_waitcnt vmcnt(0)
	v_lshlrev_b32_e32 v2, 24, v2
	v_and_b32_e32 v3, 0x7f000000, v2
	v_ffbh_u32_e32 v4, v3
	v_min_u32_e32 v4, 32, v4
	v_sub_u32_e64 v4, v4, 4 clamp
	v_lshlrev_b32_e32 v6, v4, v3
	v_lshlrev_b32_e32 v4, 23, v4
	v_lshrrev_b32_e32 v6, 4, v6
	v_add_u32_e32 v5, 0x1000000, v3
	v_sub_u32_e32 v4, v6, v4
	v_ashrrev_i32_e32 v5, 8, v5
	v_add_u32_e32 v4, 0x3c000000, v4
	v_and_or_b32 v4, v5, s4, v4
	v_cmp_ne_u32_e32 vcc, 0, v3
	v_cndmask_b32_e32 v3, 0, v4, vcc
	s_brev_b32 s4, 1
	v_and_or_b32 v2, v2, s4, v3
	v_cvt_f64_f32_e32 v[2:3], v2
.LBB85_187:
	s_mov_b64 s[4:5], 0
.LBB85_188:
	s_andn2_b64 vcc, exec, s[4:5]
	s_cbranch_vccnz .LBB85_190
; %bb.189:
	global_load_ubyte v2, v[0:1], off
	s_movk_i32 s4, 0x7f00
	s_brev_b32 s5, 16
	s_waitcnt vmcnt(0)
	v_lshlrev_b16_e32 v3, 8, v2
	v_lshlrev_b32_e32 v2, 25, v2
	v_lshrrev_b32_e32 v4, 4, v2
	v_and_or_b32 v5, v3, s4, 0.5
	v_or_b32_e32 v4, 0x70000000, v4
	v_add_f32_e32 v5, -0.5, v5
	v_mul_f32_e32 v4, 0x7800000, v4
	v_cmp_gt_u32_e32 vcc, s5, v2
	v_bfe_i32 v3, v3, 0, 16
	v_cndmask_b32_e32 v2, v4, v5, vcc
	s_brev_b32 s4, 1
	v_and_or_b32 v2, v3, s4, v2
	v_cvt_f64_f32_e32 v[2:3], v2
.LBB85_190:
	s_mov_b64 s[6:7], 0
	s_mov_b64 s[4:5], -1
.LBB85_191:
	s_andn2_b64 vcc, exec, s[6:7]
	s_cbranch_vccnz .LBB85_202
; %bb.192:
	s_cmp_gt_i32 s10, 14
	s_cbranch_scc0 .LBB85_195
; %bb.193:
	s_cmp_eq_u32 s10, 15
	s_cbranch_scc0 .LBB85_196
; %bb.194:
	global_load_ushort v2, v[0:1], off
	s_mov_b64 s[4:5], -1
	s_mov_b64 s[18:19], 0
	s_waitcnt vmcnt(0)
	v_lshlrev_b32_e32 v2, 16, v2
	v_cvt_f64_f32_e32 v[2:3], v2
	s_branch .LBB85_197
.LBB85_195:
	s_mov_b64 s[6:7], -1
                                        ; implicit-def: $vgpr2_vgpr3
	s_branch .LBB85_198
.LBB85_196:
	s_mov_b64 s[18:19], -1
                                        ; implicit-def: $vgpr2_vgpr3
.LBB85_197:
	s_mov_b64 s[6:7], 0
.LBB85_198:
	s_and_b64 vcc, exec, s[6:7]
	s_cbranch_vccz .LBB85_202
; %bb.199:
	s_cmp_eq_u32 s10, 11
	s_cbranch_scc0 .LBB85_201
; %bb.200:
	global_load_ubyte v3, v[0:1], off
	v_mov_b32_e32 v4, 0x3ff00000
	v_mov_b32_e32 v2, 0
	s_mov_b64 s[4:5], -1
	s_mov_b64 s[18:19], 0
	s_waitcnt vmcnt(0)
	v_cmp_ne_u16_e32 vcc, 0, v3
	v_cndmask_b32_e32 v3, 0, v4, vcc
	s_branch .LBB85_202
.LBB85_201:
	s_mov_b64 s[18:19], -1
                                        ; implicit-def: $vgpr2_vgpr3
.LBB85_202:
	s_branch .LBB85_10
.LBB85_203:
	s_cmp_lt_i32 s10, 5
	s_cbranch_scc1 .LBB85_208
; %bb.204:
	s_cmp_lt_i32 s10, 8
	s_cbranch_scc1 .LBB85_209
; %bb.205:
	;; [unrolled: 3-line block ×3, first 2 shown]
	s_cmp_gt_i32 s10, 9
	s_cbranch_scc0 .LBB85_211
; %bb.207:
	global_load_dwordx2 v[2:3], v[0:1], off
	s_mov_b64 s[4:5], 0
	s_branch .LBB85_212
.LBB85_208:
                                        ; implicit-def: $vgpr2_vgpr3
	s_branch .LBB85_230
.LBB85_209:
	s_mov_b64 s[4:5], -1
                                        ; implicit-def: $vgpr2_vgpr3
	s_branch .LBB85_218
.LBB85_210:
	s_mov_b64 s[4:5], -1
                                        ; implicit-def: $vgpr2_vgpr3
	s_branch .LBB85_215
.LBB85_211:
	s_mov_b64 s[4:5], -1
                                        ; implicit-def: $vgpr2_vgpr3
.LBB85_212:
	s_andn2_b64 vcc, exec, s[4:5]
	s_cbranch_vccnz .LBB85_214
; %bb.213:
	global_load_dword v2, v[0:1], off
	s_waitcnt vmcnt(0)
	v_cvt_f64_f32_e32 v[2:3], v2
.LBB85_214:
	s_mov_b64 s[4:5], 0
.LBB85_215:
	s_andn2_b64 vcc, exec, s[4:5]
	s_cbranch_vccnz .LBB85_217
; %bb.216:
	global_load_dword v2, v[0:1], off
	s_waitcnt vmcnt(0)
	v_cvt_f32_f16_e32 v2, v2
	v_cvt_f64_f32_e32 v[2:3], v2
.LBB85_217:
	s_mov_b64 s[4:5], 0
.LBB85_218:
	s_andn2_b64 vcc, exec, s[4:5]
	s_cbranch_vccnz .LBB85_229
; %bb.219:
	s_cmp_lt_i32 s10, 6
	s_cbranch_scc1 .LBB85_222
; %bb.220:
	s_cmp_gt_i32 s10, 6
	s_cbranch_scc0 .LBB85_223
; %bb.221:
	global_load_dwordx2 v[2:3], v[0:1], off
	s_mov_b64 s[4:5], 0
	s_branch .LBB85_224
.LBB85_222:
	s_mov_b64 s[4:5], -1
                                        ; implicit-def: $vgpr2_vgpr3
	s_branch .LBB85_227
.LBB85_223:
	s_mov_b64 s[4:5], -1
                                        ; implicit-def: $vgpr2_vgpr3
.LBB85_224:
	s_andn2_b64 vcc, exec, s[4:5]
	s_cbranch_vccnz .LBB85_226
; %bb.225:
	global_load_dword v2, v[0:1], off
	s_waitcnt vmcnt(0)
	v_cvt_f64_f32_e32 v[2:3], v2
.LBB85_226:
	s_mov_b64 s[4:5], 0
.LBB85_227:
	s_andn2_b64 vcc, exec, s[4:5]
	s_cbranch_vccnz .LBB85_229
; %bb.228:
	global_load_ushort v2, v[0:1], off
	s_waitcnt vmcnt(0)
	v_cvt_f32_f16_e32 v2, v2
	v_cvt_f64_f32_e32 v[2:3], v2
.LBB85_229:
	s_cbranch_execnz .LBB85_249
.LBB85_230:
	s_cmp_lt_i32 s10, 2
	s_cbranch_scc1 .LBB85_234
; %bb.231:
	s_cmp_lt_i32 s10, 3
	s_cbranch_scc1 .LBB85_235
; %bb.232:
	s_cmp_gt_i32 s10, 3
	s_cbranch_scc0 .LBB85_236
; %bb.233:
	global_load_dwordx2 v[2:3], v[0:1], off
	s_mov_b64 s[4:5], 0
	s_waitcnt vmcnt(0)
	v_cvt_f64_i32_e32 v[3:4], v3
	v_cvt_f64_u32_e32 v[5:6], v2
	v_ldexp_f64 v[3:4], v[3:4], 32
	v_add_f64 v[2:3], v[3:4], v[5:6]
	s_branch .LBB85_237
.LBB85_234:
	s_mov_b64 s[4:5], -1
                                        ; implicit-def: $vgpr2_vgpr3
	s_branch .LBB85_243
.LBB85_235:
	s_mov_b64 s[4:5], -1
                                        ; implicit-def: $vgpr2_vgpr3
	s_branch .LBB85_240
.LBB85_236:
	s_mov_b64 s[4:5], -1
                                        ; implicit-def: $vgpr2_vgpr3
.LBB85_237:
	s_andn2_b64 vcc, exec, s[4:5]
	s_cbranch_vccnz .LBB85_239
; %bb.238:
	global_load_dword v2, v[0:1], off
	s_waitcnt vmcnt(0)
	v_cvt_f64_i32_e32 v[2:3], v2
.LBB85_239:
	s_mov_b64 s[4:5], 0
.LBB85_240:
	s_andn2_b64 vcc, exec, s[4:5]
	s_cbranch_vccnz .LBB85_242
; %bb.241:
	global_load_sshort v2, v[0:1], off
	s_waitcnt vmcnt(0)
	v_cvt_f64_i32_e32 v[2:3], v2
.LBB85_242:
	s_mov_b64 s[4:5], 0
.LBB85_243:
	s_andn2_b64 vcc, exec, s[4:5]
	s_cbranch_vccnz .LBB85_249
; %bb.244:
	s_cmp_gt_i32 s10, 0
	s_cbranch_scc0 .LBB85_246
; %bb.245:
	global_load_sbyte v2, v[0:1], off
	s_mov_b64 s[4:5], 0
	s_waitcnt vmcnt(0)
	v_cvt_f64_i32_e32 v[2:3], v2
	s_branch .LBB85_247
.LBB85_246:
	s_mov_b64 s[4:5], -1
                                        ; implicit-def: $vgpr2_vgpr3
.LBB85_247:
	s_andn2_b64 vcc, exec, s[4:5]
	s_cbranch_vccnz .LBB85_249
; %bb.248:
	global_load_ubyte v0, v[0:1], off
	s_waitcnt vmcnt(0)
	v_cvt_f64_u32_e32 v[2:3], v0
.LBB85_249:
	s_branch .LBB85_11
.LBB85_250:
	s_mov_b64 s[4:5], 0
                                        ; implicit-def: $vgpr47
	s_mov_b64 s[6:7], 0
.LBB85_251:
	s_and_b64 s[96:97], s[4:5], exec
	s_and_b64 s[44:45], s[18:19], exec
	s_orn2_b64 s[6:7], s[6:7], exec
.LBB85_252:
	s_or_b64 exec, exec, s[20:21]
	s_mov_b64 s[8:9], 0
	s_mov_b64 s[4:5], 0
                                        ; implicit-def: $vgpr0_vgpr1
                                        ; implicit-def: $vgpr2_vgpr3
	s_and_saveexec_b64 s[18:19], s[6:7]
	s_cbranch_execz .LBB85_261
; %bb.253:
	v_writelane_b32 v50, s18, 10
	v_writelane_b32 v50, s19, 11
	;; [unrolled: 1-line block ×4, first 2 shown]
	s_mov_b64 s[4:5], -1
	v_writelane_b32 v50, s96, 12
	v_cmp_gt_i32_e32 vcc, s33, v47
	v_writelane_b32 v50, s97, 13
	s_mov_b64 s[6:7], exec
	v_writelane_b32 v50, s6, 14
	v_writelane_b32 v50, s7, 15
	s_and_b64 s[6:7], s[6:7], vcc
	s_mov_b64 exec, s[6:7]
	s_cbranch_execz .LBB85_513
; %bb.254:
	v_mul_lo_u32 v0, v47, s41
	v_mov_b32_e32 v1, s39
	s_and_b32 s10, 0xffff, s28
	s_cmp_lt_i32 s10, 11
	s_waitcnt vmcnt(0)
	v_ashrrev_i32_e32 v2, 31, v0
	v_add_co_u32_e32 v0, vcc, s38, v0
	v_addc_co_u32_e32 v1, vcc, v1, v2, vcc
	s_cbranch_scc1 .LBB85_264
; %bb.255:
	s_cmp_gt_i32 s10, 25
	s_cbranch_scc0 .LBB85_273
; %bb.256:
	s_cmp_gt_i32 s10, 28
	s_cbranch_scc0 .LBB85_275
	;; [unrolled: 3-line block ×4, first 2 shown]
; %bb.259:
	s_cmp_eq_u32 s10, 46
	s_mov_b64 s[6:7], 0
	s_cbranch_scc0 .LBB85_285
; %bb.260:
	global_load_dword v2, v[0:1], off
	v_writelane_b32 v50, s8, 8
	v_writelane_b32 v50, s9, 9
	s_waitcnt vmcnt(0)
	v_lshlrev_b32_e32 v2, 16, v2
	v_cvt_f64_f32_e32 v[2:3], v2
	s_branch .LBB85_286
.LBB85_261:
	s_or_b64 exec, exec, s[18:19]
	s_mov_b64 s[12:13], 0
	s_and_saveexec_b64 s[6:7], s[44:45]
	s_cbranch_execnz .LBB85_860
.LBB85_262:
	s_or_b64 exec, exec, s[6:7]
	s_and_saveexec_b64 s[6:7], s[16:17]
	s_xor_b64 s[6:7], exec, s[6:7]
	s_cbranch_execz .LBB85_861
.LBB85_263:
	global_load_ubyte v3, v[0:1], off
	v_mov_b32_e32 v4, 0x3ff00000
	s_waitcnt vmcnt(1)
	v_mov_b32_e32 v2, 0
	s_or_b64 s[4:5], s[4:5], exec
	s_waitcnt vmcnt(0)
	v_cmp_ne_u16_e32 vcc, 0, v3
	v_cndmask_b32_e32 v3, 0, v4, vcc
	s_or_b64 exec, exec, s[6:7]
	s_and_saveexec_b64 s[6:7], s[8:9]
	s_cbranch_execz .LBB85_907
	s_branch .LBB85_862
.LBB85_264:
	v_writelane_b32 v50, s44, 8
	s_mov_b64 s[4:5], 0
                                        ; implicit-def: $vgpr2_vgpr3
	v_writelane_b32 v50, s45, 9
	s_cbranch_execnz .LBB85_463
.LBB85_265:
	s_andn2_b64 vcc, exec, s[4:5]
	s_cbranch_vccnz .LBB85_511
.LBB85_266:
	v_writelane_b32 v50, s44, 16
	s_getpc_b64 s[4:5]
	s_add_u32 s4, s4, _ZZZZN2at6native21polygamma_kernel_cudaERNS_18TensorIteratorBaseElENKUlvE_clEvENKUlvE_clEvENKUldE_clEd@rel32@lo+4
	s_addc_u32 s5, s5, _ZZZZN2at6native21polygamma_kernel_cudaERNS_18TensorIteratorBaseElENKUlvE_clEvENKUlvE_clEvENKUldE_clEd@rel32@hi+12
	v_mov_b32_e32 v0, s42
	v_mov_b32_e32 v1, s43
	v_writelane_b32 v50, s45, 17
	s_mov_b64 s[98:99], s[30:31]
	s_mov_b32 s87, s28
	s_mov_b32 s86, s23
	s_swappc_b64 s[30:31], s[4:5]
	v_readlane_b32 s36, v50, 0
	v_readlane_b32 s40, v50, 4
	v_mul_lo_u32 v2, v47, s40
	v_readlane_b32 s37, v50, 1
	v_mov_b32_e32 v5, s37
	s_and_b32 s12, s86, 0xff
	v_ashrrev_i32_e32 v3, 31, v2
	v_add_co_u32_e32 v4, vcc, s36, v2
	s_mov_b32 s23, s86
	v_readlane_b32 s38, v50, 2
	v_readlane_b32 s39, v50, 3
	;; [unrolled: 1-line block ×5, first 2 shown]
	s_cmp_lt_i32 s12, 11
	v_addc_co_u32_e32 v5, vcc, v5, v3, vcc
	s_cbranch_scc1 .LBB85_274
; %bb.267:
	s_and_b32 s13, 0xffff, s12
	s_cmp_gt_i32 s13, 25
	s_cbranch_scc0 .LBB85_276
; %bb.268:
	v_readlane_b32 s44, v50, 16
	s_cmp_gt_i32 s13, 28
	s_mov_b64 s[26:27], 0
	s_mov_b32 s28, s87
	s_mov_b64 s[30:31], s[98:99]
	v_readlane_b32 s45, v50, 17
	s_cbranch_scc0 .LBB85_278
; %bb.269:
	s_cmp_gt_i32 s13, 43
	s_cbranch_scc0 .LBB85_282
; %bb.270:
	s_cmp_gt_i32 s13, 45
	s_cbranch_scc0 .LBB85_289
; %bb.271:
	s_mov_b64 s[8:9], 0
	s_mov_b64 s[4:5], -1
	s_cmp_eq_u32 s13, 46
	s_mov_b64 s[6:7], 0
	s_cbranch_scc0 .LBB85_290
; %bb.272:
	v_cvt_f32_f64_e32 v2, v[0:1]
	s_movk_i32 s4, 0x7fff
	v_mov_b32_e32 v3, 0x7fc0
	s_mov_b64 s[6:7], -1
	v_bfe_u32 v6, v2, 16, 1
	v_cmp_o_f32_e32 vcc, v2, v2
	v_add3_u32 v2, v2, v6, s4
	v_cndmask_b32_sdwa v2, v3, v2, vcc dst_sel:DWORD dst_unused:UNUSED_PAD src0_sel:DWORD src1_sel:WORD_1
	global_store_dword v[4:5], v2, off
	s_mov_b64 s[4:5], 0
	s_branch .LBB85_290
.LBB85_273:
	s_mov_b64 s[6:7], -1
	s_mov_b64 s[4:5], 0
	v_writelane_b32 v50, s44, 8
                                        ; implicit-def: $vgpr2_vgpr3
	v_writelane_b32 v50, s45, 9
	s_branch .LBB85_429
.LBB85_274:
	v_readlane_b32 s44, v50, 16
	s_mov_b64 s[8:9], -1
	s_mov_b64 s[6:7], 0
	s_mov_b64 s[4:5], s[96:97]
	;; [unrolled: 1-line block ×3, first 2 shown]
	s_mov_b32 s28, s87
	s_mov_b64 s[30:31], s[98:99]
	v_readlane_b32 s45, v50, 17
	s_branch .LBB85_359
.LBB85_275:
	s_mov_b64 s[6:7], -1
	s_mov_b64 s[4:5], 0
	v_writelane_b32 v50, s44, 8
                                        ; implicit-def: $vgpr2_vgpr3
	v_writelane_b32 v50, s45, 9
	s_branch .LBB85_408
.LBB85_276:
	v_readlane_b32 s44, v50, 16
	s_mov_b64 s[8:9], -1
	s_mov_b64 s[6:7], 0
	s_mov_b64 s[4:5], s[96:97]
	s_mov_b64 s[26:27], 0
	s_mov_b32 s28, s87
	s_mov_b64 s[30:31], s[98:99]
	v_readlane_b32 s45, v50, 17
	s_branch .LBB85_317
.LBB85_277:
	s_mov_b64 s[6:7], -1
	s_mov_b64 s[4:5], 0
	v_writelane_b32 v50, s44, 8
                                        ; implicit-def: $vgpr2_vgpr3
	v_writelane_b32 v50, s45, 9
	s_branch .LBB85_403
.LBB85_278:
	s_mov_b64 s[8:9], -1
	s_mov_b64 s[6:7], 0
	s_mov_b64 s[4:5], s[96:97]
	s_branch .LBB85_300
.LBB85_279:
	s_andn2_saveexec_b64 s[10:11], s[10:11]
	s_cbranch_execz .LBB85_55
.LBB85_280:
	s_mov_b32 s14, 0x46000000
	v_add_f32_e64 v3, |v2|, s14
	v_and_b32_e32 v3, 0xff, v3
	v_cmp_ne_u32_e32 vcc, 0, v3
	s_andn2_b64 s[8:9], s[8:9], exec
	s_and_b64 s[14:15], vcc, exec
	s_or_b64 s[8:9], s[8:9], s[14:15]
	s_or_b64 exec, exec, s[10:11]
	v_mov_b32_e32 v6, 0
	s_and_saveexec_b64 s[10:11], s[8:9]
	s_cbranch_execnz .LBB85_56
	s_branch .LBB85_57
.LBB85_281:
	s_mov_b64 s[6:7], -1
	s_mov_b64 s[4:5], 0
	v_writelane_b32 v50, s44, 8
	v_writelane_b32 v50, s45, 9
                                        ; implicit-def: $vgpr2_vgpr3
	s_branch .LBB85_286
.LBB85_282:
	s_mov_b64 s[8:9], -1
	s_mov_b64 s[6:7], 0
	s_mov_b64 s[4:5], s[96:97]
	s_branch .LBB85_296
.LBB85_283:
	s_andn2_saveexec_b64 s[10:11], s[10:11]
	s_cbranch_execz .LBB85_68
.LBB85_284:
	s_mov_b32 s14, 0x42800000
	v_add_f32_e64 v3, |v2|, s14
	v_and_b32_e32 v3, 0xff, v3
	v_cmp_ne_u32_e32 vcc, 0, v3
	s_andn2_b64 s[8:9], s[8:9], exec
	s_and_b64 s[14:15], vcc, exec
	s_or_b64 s[8:9], s[8:9], s[14:15]
	s_or_b64 exec, exec, s[10:11]
	v_mov_b32_e32 v6, 0
	s_and_saveexec_b64 s[10:11], s[8:9]
	s_cbranch_execnz .LBB85_69
	s_branch .LBB85_70
.LBB85_285:
	v_writelane_b32 v50, s4, 8
	v_writelane_b32 v50, s5, 9
                                        ; implicit-def: $vgpr2_vgpr3
	s_mov_b64 s[4:5], 0
.LBB85_286:
	s_and_b64 vcc, exec, s[6:7]
	s_cbranch_vccz .LBB85_402
; %bb.287:
	s_cmp_eq_u32 s10, 44
	s_cbranch_scc0 .LBB85_401
; %bb.288:
	global_load_ubyte v4, v[0:1], off
	s_movk_i32 s6, 0xff
	v_bfrev_b32_e32 v5, 4
	v_mov_b32_e32 v6, 0x7ff80000
	v_bfrev_b32_e32 v7, 28
	s_mov_b64 s[4:5], -1
	s_waitcnt vmcnt(0)
	v_lshlrev_b32_e32 v2, 23, v4
	v_cvt_f64_f32_e32 v[2:3], v2
	v_cmp_ne_u32_e32 vcc, s6, v4
	s_mov_b64 s[6:7], 0
	v_writelane_b32 v50, s6, 8
	v_cndmask_b32_e32 v2, v5, v2, vcc
	v_cndmask_b32_e32 v3, v6, v3, vcc
	v_cmp_ne_u32_e32 vcc, 0, v4
	v_cndmask_b32_e32 v3, v7, v3, vcc
	v_cndmask_b32_e32 v2, 0, v2, vcc
	v_writelane_b32 v50, s7, 9
	s_branch .LBB85_402
.LBB85_289:
	s_mov_b64 s[8:9], -1
	s_mov_b64 s[6:7], 0
	s_mov_b64 s[4:5], s[96:97]
.LBB85_290:
	s_and_b64 vcc, exec, s[8:9]
	s_cbranch_vccz .LBB85_295
; %bb.291:
	s_cmp_eq_u32 s13, 44
	s_mov_b64 s[4:5], -1
	s_cbranch_scc0 .LBB85_295
; %bb.292:
	v_cvt_f32_f64_e32 v2, v[0:1]
	s_movk_i32 s4, 0xff
	v_mov_b32_e32 v6, 0xff
	v_bfe_u32 v3, v2, 23, 8
	v_cmp_ne_u32_e32 vcc, s4, v3
	s_and_saveexec_b64 s[6:7], vcc
; %bb.293:
	s_mov_b32 s4, 0x3fffff
	v_lshrrev_b32_e32 v6, 23, v2
	v_and_b32_e32 v7, 0x400000, v2
	v_and_or_b32 v2, v2, s4, v3
	v_cmp_ne_u32_e32 vcc, 0, v7
	v_cmp_ne_u32_e64 s[4:5], 0, v2
	s_and_b64 s[4:5], vcc, s[4:5]
	v_cndmask_b32_e64 v2, 0, 1, s[4:5]
	v_add_u32_e32 v6, v6, v2
; %bb.294:
	s_or_b64 exec, exec, s[6:7]
	s_mov_b64 s[6:7], -1
	s_mov_b64 s[4:5], 0
	global_store_byte v[4:5], v6, off
.LBB85_295:
	s_mov_b64 s[8:9], 0
.LBB85_296:
	s_and_b64 vcc, exec, s[8:9]
	s_cbranch_vccz .LBB85_299
; %bb.297:
	s_cmp_eq_u32 s13, 29
	s_mov_b64 s[4:5], -1
	s_cbranch_scc0 .LBB85_299
; %bb.298:
	v_trunc_f64_e32 v[2:3], v[0:1]
	s_movk_i32 s4, 0xffe0
	s_mov_b64 s[6:7], -1
	s_mov_b64 s[8:9], 0
	v_ldexp_f64 v[6:7], v[2:3], s4
	s_mov_b32 s4, 0
	s_mov_b32 s5, 0xc1f00000
	v_floor_f64_e32 v[6:7], v[6:7]
	v_fma_f64 v[2:3], v[6:7], s[4:5], v[2:3]
	v_cvt_u32_f64_e32 v7, v[6:7]
	s_mov_b64 s[4:5], 0
	v_cvt_u32_f64_e32 v6, v[2:3]
	global_store_dwordx2 v[4:5], v[6:7], off
	s_branch .LBB85_300
.LBB85_299:
	s_mov_b64 s[8:9], 0
.LBB85_300:
	s_and_b64 vcc, exec, s[8:9]
	s_cbranch_vccz .LBB85_316
; %bb.301:
	s_cmp_lt_i32 s13, 27
	s_mov_b64 s[6:7], -1
	s_cbranch_scc1 .LBB85_307
; %bb.302:
	v_cvt_u32_f64_e32 v2, v[0:1]
	s_cmp_gt_i32 s13, 27
	s_cbranch_scc0 .LBB85_304
; %bb.303:
	s_mov_b64 s[6:7], 0
	global_store_dword v[4:5], v2, off
.LBB85_304:
	s_andn2_b64 vcc, exec, s[6:7]
	s_cbranch_vccnz .LBB85_306
; %bb.305:
	global_store_short v[4:5], v2, off
.LBB85_306:
	s_mov_b64 s[6:7], 0
.LBB85_307:
	s_andn2_b64 vcc, exec, s[6:7]
	s_cbranch_vccnz .LBB85_315
; %bb.308:
	v_cvt_f32_f64_e32 v2, v[0:1]
	s_mov_b32 s6, 0x43800000
	v_mov_b32_e32 v6, 0x80
	v_and_b32_e32 v3, 0x7fffffff, v2
	v_cmp_gt_u32_e32 vcc, s6, v3
	s_and_saveexec_b64 s[6:7], vcc
	s_cbranch_execz .LBB85_314
; %bb.309:
	s_mov_b32 s8, 0x3bffffff
	v_cmp_lt_u32_e32 vcc, s8, v3
	s_mov_b64 s[8:9], 0
                                        ; implicit-def: $vgpr3
	s_and_saveexec_b64 s[10:11], vcc
	s_xor_b64 s[10:11], exec, s[10:11]
	s_cbranch_execz .LBB85_526
; %bb.310:
	v_bfe_u32 v3, v2, 20, 1
	s_mov_b32 s14, 0x487ffff
	v_add3_u32 v3, v2, v3, s14
	s_mov_b64 s[8:9], exec
	v_lshrrev_b32_e32 v3, 20, v3
	s_andn2_saveexec_b64 s[10:11], s[10:11]
	s_cbranch_execnz .LBB85_527
.LBB85_311:
	s_or_b64 exec, exec, s[10:11]
	v_mov_b32_e32 v6, 0
	s_and_saveexec_b64 s[10:11], s[8:9]
.LBB85_312:
	v_lshrrev_b32_e32 v2, 24, v2
	s_movk_i32 s8, 0x80
	v_and_or_b32 v6, v2, s8, v3
.LBB85_313:
	s_or_b64 exec, exec, s[10:11]
.LBB85_314:
	s_or_b64 exec, exec, s[6:7]
	global_store_byte v[4:5], v6, off
.LBB85_315:
	s_mov_b64 s[6:7], -1
.LBB85_316:
	s_mov_b64 s[8:9], 0
.LBB85_317:
	s_and_b64 vcc, exec, s[8:9]
	s_cbranch_vccz .LBB85_358
; %bb.318:
	s_cmp_gt_i32 s13, 22
	s_mov_b64 s[8:9], -1
	s_cbranch_scc0 .LBB85_350
; %bb.319:
	s_cmp_lt_i32 s13, 24
	s_mov_b64 s[6:7], -1
	s_cbranch_scc1 .LBB85_339
; %bb.320:
	s_cmp_gt_i32 s13, 24
	s_cbranch_scc0 .LBB85_328
; %bb.321:
	v_cvt_f32_f64_e32 v2, v[0:1]
	s_mov_b32 s6, 0x47800000
	v_mov_b32_e32 v6, 0x80
	v_and_b32_e32 v3, 0x7fffffff, v2
	v_cmp_gt_u32_e32 vcc, s6, v3
	s_and_saveexec_b64 s[6:7], vcc
	s_cbranch_execz .LBB85_327
; %bb.322:
	s_mov_b32 s8, 0x37ffffff
	v_cmp_lt_u32_e32 vcc, s8, v3
	s_mov_b64 s[8:9], 0
                                        ; implicit-def: $vgpr3
	s_and_saveexec_b64 s[10:11], vcc
	s_xor_b64 s[10:11], exec, s[10:11]
	s_cbranch_execz .LBB85_529
; %bb.323:
	v_bfe_u32 v3, v2, 21, 1
	s_mov_b32 s14, 0x88fffff
	v_add3_u32 v3, v2, v3, s14
	s_mov_b64 s[8:9], exec
	v_lshrrev_b32_e32 v3, 21, v3
	s_andn2_saveexec_b64 s[10:11], s[10:11]
	s_cbranch_execnz .LBB85_530
.LBB85_324:
	s_or_b64 exec, exec, s[10:11]
	v_mov_b32_e32 v6, 0
	s_and_saveexec_b64 s[10:11], s[8:9]
.LBB85_325:
	v_lshrrev_b32_e32 v2, 24, v2
	s_movk_i32 s8, 0x80
	v_and_or_b32 v6, v2, s8, v3
.LBB85_326:
	s_or_b64 exec, exec, s[10:11]
.LBB85_327:
	s_or_b64 exec, exec, s[6:7]
	s_mov_b64 s[6:7], 0
	global_store_byte v[4:5], v6, off
.LBB85_328:
	s_and_b64 vcc, exec, s[6:7]
	s_cbranch_vccz .LBB85_338
; %bb.329:
	v_cvt_f32_f64_e32 v2, v[0:1]
	s_mov_b32 s6, 0x43f00000
                                        ; implicit-def: $vgpr3
	v_and_b32_e32 v6, 0x7fffffff, v2
	v_cmp_gt_u32_e32 vcc, s6, v6
	s_and_saveexec_b64 s[6:7], vcc
	s_xor_b64 s[6:7], exec, s[6:7]
	s_cbranch_execz .LBB85_335
; %bb.330:
	s_mov_b32 s8, 0x3c7fffff
	v_cmp_lt_u32_e32 vcc, s8, v6
                                        ; implicit-def: $vgpr3
	s_and_saveexec_b64 s[8:9], vcc
	s_xor_b64 s[8:9], exec, s[8:9]
; %bb.331:
	v_bfe_u32 v3, v2, 20, 1
	s_mov_b32 s10, 0x407ffff
	v_add3_u32 v3, v2, v3, s10
	v_lshrrev_b32_e32 v6, 20, v3
	v_and_b32_e32 v3, 0xff00000, v3
	s_mov_b32 s10, 0x7f00000
	v_mov_b32_e32 v7, 0x7e
	v_cmp_ne_u32_e32 vcc, s10, v3
	v_cndmask_b32_e32 v3, v7, v6, vcc
; %bb.332:
	s_andn2_saveexec_b64 s[8:9], s[8:9]
; %bb.333:
	s_mov_b32 s10, 0x46800000
	v_add_f32_e64 v3, |v2|, s10
; %bb.334:
	s_or_b64 exec, exec, s[8:9]
                                        ; implicit-def: $vgpr6
.LBB85_335:
	s_andn2_saveexec_b64 s[6:7], s[6:7]
; %bb.336:
	s_mov_b32 s8, 0x7f800000
	v_mov_b32_e32 v3, 0x7e
	v_mov_b32_e32 v7, 0x7f
	v_cmp_lt_u32_e32 vcc, s8, v6
	v_cndmask_b32_e32 v3, v3, v7, vcc
; %bb.337:
	s_or_b64 exec, exec, s[6:7]
	v_lshrrev_b32_e32 v2, 24, v2
	s_movk_i32 s6, 0x80
	v_and_or_b32 v2, v2, s6, v3
	global_store_byte v[4:5], v2, off
.LBB85_338:
	s_mov_b64 s[6:7], 0
.LBB85_339:
	s_andn2_b64 vcc, exec, s[6:7]
	s_cbranch_vccnz .LBB85_349
; %bb.340:
	v_cvt_f32_f64_e32 v2, v[0:1]
	s_mov_b32 s6, 0x47800000
                                        ; implicit-def: $vgpr3
	v_and_b32_e32 v6, 0x7fffffff, v2
	v_cmp_gt_u32_e32 vcc, s6, v6
	s_and_saveexec_b64 s[6:7], vcc
	s_xor_b64 s[6:7], exec, s[6:7]
	s_cbranch_execz .LBB85_346
; %bb.341:
	s_mov_b32 s8, 0x387fffff
	v_cmp_lt_u32_e32 vcc, s8, v6
                                        ; implicit-def: $vgpr3
	s_and_saveexec_b64 s[8:9], vcc
	s_xor_b64 s[8:9], exec, s[8:9]
; %bb.342:
	v_bfe_u32 v3, v2, 21, 1
	s_mov_b32 s10, 0x80fffff
	v_add3_u32 v3, v2, v3, s10
	v_lshrrev_b32_e32 v3, 21, v3
; %bb.343:
	s_andn2_saveexec_b64 s[8:9], s[8:9]
; %bb.344:
	s_mov_b32 s10, 0x43000000
	v_add_f32_e64 v3, |v2|, s10
; %bb.345:
	s_or_b64 exec, exec, s[8:9]
                                        ; implicit-def: $vgpr6
.LBB85_346:
	s_andn2_saveexec_b64 s[6:7], s[6:7]
; %bb.347:
	s_mov_b32 s8, 0x7f800000
	v_mov_b32_e32 v3, 0x7c
	v_mov_b32_e32 v7, 0x7f
	v_cmp_lt_u32_e32 vcc, s8, v6
	v_cndmask_b32_e32 v3, v3, v7, vcc
; %bb.348:
	s_or_b64 exec, exec, s[6:7]
	v_lshrrev_b32_e32 v2, 24, v2
	s_movk_i32 s6, 0x80
	v_and_or_b32 v2, v2, s6, v3
	global_store_byte v[4:5], v2, off
.LBB85_349:
	s_mov_b64 s[8:9], 0
	s_mov_b64 s[6:7], -1
.LBB85_350:
	s_andn2_b64 vcc, exec, s[8:9]
	s_cbranch_vccnz .LBB85_358
; %bb.351:
	s_cmp_gt_i32 s13, 14
	s_mov_b64 s[8:9], -1
	s_cbranch_scc0 .LBB85_355
; %bb.352:
	s_cmp_eq_u32 s13, 15
	s_mov_b64 s[4:5], -1
	s_cbranch_scc0 .LBB85_354
; %bb.353:
	v_cvt_f32_f64_e32 v2, v[0:1]
	s_movk_i32 s4, 0x7fff
	v_mov_b32_e32 v3, 0x7fc0
	s_mov_b64 s[6:7], -1
	v_bfe_u32 v6, v2, 16, 1
	v_cmp_o_f32_e32 vcc, v2, v2
	v_add3_u32 v2, v2, v6, s4
	v_cndmask_b32_sdwa v2, v3, v2, vcc dst_sel:DWORD dst_unused:UNUSED_PAD src0_sel:DWORD src1_sel:WORD_1
	global_store_short v[4:5], v2, off
	s_mov_b64 s[4:5], 0
.LBB85_354:
	s_mov_b64 s[8:9], 0
.LBB85_355:
	s_and_b64 vcc, exec, s[8:9]
	s_cbranch_vccz .LBB85_358
; %bb.356:
	s_cmp_eq_u32 s13, 11
	s_mov_b64 s[4:5], -1
	s_cbranch_scc0 .LBB85_358
; %bb.357:
	v_cmp_neq_f64_e32 vcc, 0, v[0:1]
	s_mov_b64 s[4:5], 0
	s_mov_b64 s[6:7], -1
	v_cndmask_b32_e64 v2, 0, 1, vcc
	global_store_byte v[4:5], v2, off
.LBB85_358:
	s_mov_b64 s[8:9], 0
.LBB85_359:
	s_and_b64 vcc, exec, s[8:9]
	s_cbranch_vccz .LBB85_398
; %bb.360:
	s_and_b32 s8, 0xffff, s12
	s_cmp_lt_i32 s8, 5
	s_mov_b64 s[6:7], -1
	s_cbranch_scc1 .LBB85_381
; %bb.361:
	s_cmp_lt_i32 s8, 8
	s_cbranch_scc1 .LBB85_371
; %bb.362:
	s_cmp_lt_i32 s8, 9
	s_cbranch_scc1 .LBB85_368
; %bb.363:
	s_cmp_gt_i32 s8, 9
	s_cbranch_scc0 .LBB85_365
; %bb.364:
	v_mov_b32_e32 v2, 0
	v_mov_b32_e32 v3, v2
	s_mov_b64 s[6:7], 0
	global_store_dwordx4 v[4:5], v[0:3], off
.LBB85_365:
	s_andn2_b64 vcc, exec, s[6:7]
	s_cbranch_vccnz .LBB85_367
; %bb.366:
	v_cvt_f32_f64_e32 v2, v[0:1]
	v_mov_b32_e32 v3, 0
	global_store_dwordx2 v[4:5], v[2:3], off
.LBB85_367:
	s_mov_b64 s[6:7], 0
.LBB85_368:
	s_andn2_b64 vcc, exec, s[6:7]
	s_cbranch_vccnz .LBB85_370
; %bb.369:
	s_movk_i32 s6, 0x1ff
	v_and_or_b32 v2, v1, s6, v0
	v_cmp_ne_u32_e32 vcc, 0, v2
	v_cndmask_b32_e64 v2, 0, 1, vcc
	v_lshrrev_b32_e32 v3, 8, v1
	s_movk_i32 s6, 0xffe
	v_bfe_u32 v6, v1, 20, 11
	v_and_or_b32 v2, v3, s6, v2
	v_sub_u32_e32 v7, 0x3f1, v6
	v_or_b32_e32 v3, 0x1000, v2
	v_med3_i32 v7, v7, 0, 13
	v_lshrrev_b32_e32 v8, v7, v3
	v_lshlrev_b32_e32 v7, v7, v8
	v_cmp_ne_u32_e32 vcc, v7, v3
	v_cndmask_b32_e64 v3, 0, 1, vcc
	v_add_u32_e32 v6, 0xfffffc10, v6
	v_or_b32_e32 v3, v8, v3
	v_lshl_or_b32 v7, v6, 12, v2
	v_cmp_gt_i32_e32 vcc, 1, v6
	v_cndmask_b32_e32 v3, v7, v3, vcc
	v_and_b32_e32 v7, 7, v3
	v_cmp_lt_i32_e32 vcc, 5, v7
	v_cndmask_b32_e64 v8, 0, 1, vcc
	v_cmp_eq_u32_e32 vcc, 3, v7
	v_cndmask_b32_e64 v7, 0, 1, vcc
	v_or_b32_e32 v7, v7, v8
	v_lshrrev_b32_e32 v3, 2, v3
	v_add_u32_e32 v3, v3, v7
	v_mov_b32_e32 v7, 0x7c00
	v_cmp_gt_i32_e32 vcc, 31, v6
	v_cndmask_b32_e32 v3, v7, v3, vcc
	v_mov_b32_e32 v8, 0x7e00
	v_cmp_ne_u32_e32 vcc, 0, v2
	s_movk_i32 s6, 0x40f
	v_cndmask_b32_e32 v2, v7, v8, vcc
	v_cmp_eq_u32_e32 vcc, s6, v6
	v_cndmask_b32_e32 v2, v3, v2, vcc
	v_lshrrev_b32_e32 v3, 16, v1
	s_mov_b32 s6, 0x8000
	v_and_or_b32 v2, v3, s6, v2
	v_and_b32_e32 v2, 0xffff, v2
	global_store_dword v[4:5], v2, off
.LBB85_370:
	s_mov_b64 s[6:7], 0
.LBB85_371:
	s_andn2_b64 vcc, exec, s[6:7]
	s_cbranch_vccnz .LBB85_380
; %bb.372:
	s_cmp_lt_i32 s8, 6
	s_mov_b64 s[6:7], -1
	s_cbranch_scc1 .LBB85_378
; %bb.373:
	s_cmp_gt_i32 s8, 6
	s_cbranch_scc0 .LBB85_375
; %bb.374:
	s_mov_b64 s[6:7], 0
	global_store_dwordx2 v[4:5], v[0:1], off
.LBB85_375:
	s_andn2_b64 vcc, exec, s[6:7]
	s_cbranch_vccnz .LBB85_377
; %bb.376:
	v_cvt_f32_f64_e32 v2, v[0:1]
	global_store_dword v[4:5], v2, off
.LBB85_377:
	s_mov_b64 s[6:7], 0
.LBB85_378:
	s_andn2_b64 vcc, exec, s[6:7]
	s_cbranch_vccnz .LBB85_380
; %bb.379:
	s_movk_i32 s6, 0x1ff
	v_and_or_b32 v2, v1, s6, v0
	v_cmp_ne_u32_e32 vcc, 0, v2
	v_cndmask_b32_e64 v2, 0, 1, vcc
	v_lshrrev_b32_e32 v3, 8, v1
	s_movk_i32 s6, 0xffe
	v_bfe_u32 v6, v1, 20, 11
	v_and_or_b32 v2, v3, s6, v2
	v_sub_u32_e32 v7, 0x3f1, v6
	v_or_b32_e32 v3, 0x1000, v2
	v_med3_i32 v7, v7, 0, 13
	v_lshrrev_b32_e32 v8, v7, v3
	v_lshlrev_b32_e32 v7, v7, v8
	v_cmp_ne_u32_e32 vcc, v7, v3
	v_cndmask_b32_e64 v3, 0, 1, vcc
	v_add_u32_e32 v6, 0xfffffc10, v6
	v_or_b32_e32 v3, v8, v3
	v_lshl_or_b32 v7, v6, 12, v2
	v_cmp_gt_i32_e32 vcc, 1, v6
	v_cndmask_b32_e32 v3, v7, v3, vcc
	v_and_b32_e32 v7, 7, v3
	v_cmp_lt_i32_e32 vcc, 5, v7
	v_cndmask_b32_e64 v8, 0, 1, vcc
	v_cmp_eq_u32_e32 vcc, 3, v7
	v_cndmask_b32_e64 v7, 0, 1, vcc
	v_or_b32_e32 v7, v7, v8
	v_lshrrev_b32_e32 v3, 2, v3
	v_add_u32_e32 v3, v3, v7
	v_mov_b32_e32 v7, 0x7c00
	v_cmp_gt_i32_e32 vcc, 31, v6
	v_cndmask_b32_e32 v3, v7, v3, vcc
	v_mov_b32_e32 v8, 0x7e00
	v_cmp_ne_u32_e32 vcc, 0, v2
	s_movk_i32 s6, 0x40f
	v_cndmask_b32_e32 v2, v7, v8, vcc
	v_cmp_eq_u32_e32 vcc, s6, v6
	v_cndmask_b32_e32 v2, v3, v2, vcc
	v_lshrrev_b32_e32 v3, 16, v1
	s_mov_b32 s6, 0x8000
	v_and_or_b32 v2, v3, s6, v2
	global_store_short v[4:5], v2, off
.LBB85_380:
	s_mov_b64 s[6:7], 0
.LBB85_381:
	s_andn2_b64 vcc, exec, s[6:7]
	s_cbranch_vccnz .LBB85_397
; %bb.382:
	s_cmp_lt_i32 s8, 2
	s_mov_b64 s[6:7], -1
	s_cbranch_scc1 .LBB85_392
; %bb.383:
	s_cmp_lt_i32 s8, 3
	s_cbranch_scc1 .LBB85_389
; %bb.384:
	s_cmp_gt_i32 s8, 3
	s_cbranch_scc0 .LBB85_386
; %bb.385:
	v_trunc_f64_e32 v[2:3], v[0:1]
	s_movk_i32 s6, 0xffe0
	v_ldexp_f64 v[6:7], v[2:3], s6
	s_mov_b32 s6, 0
	s_mov_b32 s7, 0xc1f00000
	v_floor_f64_e32 v[6:7], v[6:7]
	v_fma_f64 v[2:3], v[6:7], s[6:7], v[2:3]
	v_cvt_i32_f64_e32 v7, v[6:7]
	s_mov_b64 s[6:7], 0
	v_cvt_u32_f64_e32 v6, v[2:3]
	global_store_dwordx2 v[4:5], v[6:7], off
.LBB85_386:
	s_andn2_b64 vcc, exec, s[6:7]
	s_cbranch_vccnz .LBB85_388
; %bb.387:
	v_cvt_i32_f64_e32 v2, v[0:1]
	global_store_dword v[4:5], v2, off
.LBB85_388:
	s_mov_b64 s[6:7], 0
.LBB85_389:
	s_andn2_b64 vcc, exec, s[6:7]
	s_cbranch_vccnz .LBB85_391
; %bb.390:
	v_cvt_i32_f64_e32 v2, v[0:1]
	global_store_short v[4:5], v2, off
.LBB85_391:
	s_mov_b64 s[6:7], 0
.LBB85_392:
	s_andn2_b64 vcc, exec, s[6:7]
	s_cbranch_vccnz .LBB85_397
; %bb.393:
	s_cmp_gt_i32 s8, 0
	s_mov_b64 s[6:7], -1
	s_cbranch_scc0 .LBB85_395
; %bb.394:
	v_cvt_i32_f64_e32 v2, v[0:1]
	s_mov_b64 s[6:7], 0
	global_store_byte v[4:5], v2, off
.LBB85_395:
	s_andn2_b64 vcc, exec, s[6:7]
	s_cbranch_vccnz .LBB85_397
; %bb.396:
	v_trunc_f64_e32 v[0:1], v[0:1]
	s_movk_i32 s6, 0xffe0
	v_ldexp_f64 v[2:3], v[0:1], s6
	s_mov_b32 s6, 0
	s_mov_b32 s7, 0xc1f00000
	v_floor_f64_e32 v[2:3], v[2:3]
	v_fma_f64 v[0:1], v[2:3], s[6:7], v[0:1]
	v_cvt_u32_f64_e32 v0, v[0:1]
	global_store_byte v[4:5], v0, off
.LBB85_397:
	s_mov_b64 s[6:7], -1
.LBB85_398:
	s_andn2_b64 vcc, exec, s[6:7]
	s_cbranch_vccnz .LBB85_400
; %bb.399:
	v_add_u32_e32 v47, 0x80, v47
	s_mov_b64 s[6:7], -1
	s_branch .LBB85_512
.LBB85_400:
	s_mov_b64 s[6:7], 0
                                        ; implicit-def: $vgpr47
	s_branch .LBB85_512
.LBB85_401:
	s_mov_b64 s[6:7], -1
	v_writelane_b32 v50, s6, 8
	v_writelane_b32 v50, s7, 9
                                        ; implicit-def: $vgpr2_vgpr3
.LBB85_402:
	s_mov_b64 s[6:7], 0
.LBB85_403:
	s_and_b64 vcc, exec, s[6:7]
	s_cbranch_vccz .LBB85_407
; %bb.404:
	s_cmp_eq_u32 s10, 29
	s_cbranch_scc0 .LBB85_406
; %bb.405:
	global_load_dwordx2 v[2:3], v[0:1], off
	s_mov_b64 s[6:7], 0
	v_writelane_b32 v50, s6, 8
	s_mov_b64 s[4:5], -1
	v_writelane_b32 v50, s7, 9
	s_mov_b64 s[6:7], 0
	s_waitcnt vmcnt(0)
	v_cvt_f64_u32_e32 v[3:4], v3
	v_cvt_f64_u32_e32 v[5:6], v2
	v_ldexp_f64 v[3:4], v[3:4], 32
	v_add_f64 v[2:3], v[3:4], v[5:6]
	s_branch .LBB85_408
.LBB85_406:
	s_mov_b64 s[6:7], -1
	v_writelane_b32 v50, s6, 8
	v_writelane_b32 v50, s7, 9
                                        ; implicit-def: $vgpr2_vgpr3
.LBB85_407:
	s_mov_b64 s[6:7], 0
.LBB85_408:
	s_and_b64 vcc, exec, s[6:7]
	s_cbranch_vccz .LBB85_428
; %bb.409:
	s_cmp_lt_i32 s10, 27
	s_cbranch_scc1 .LBB85_412
; %bb.410:
	s_cmp_gt_i32 s10, 27
	s_cbranch_scc0 .LBB85_413
; %bb.411:
	global_load_dword v2, v[0:1], off
	s_mov_b64 s[4:5], 0
	s_waitcnt vmcnt(0)
	v_cvt_f64_u32_e32 v[2:3], v2
	s_branch .LBB85_414
.LBB85_412:
	s_mov_b64 s[4:5], -1
                                        ; implicit-def: $vgpr2_vgpr3
	s_branch .LBB85_417
.LBB85_413:
	s_mov_b64 s[4:5], -1
                                        ; implicit-def: $vgpr2_vgpr3
.LBB85_414:
	s_andn2_b64 vcc, exec, s[4:5]
	s_cbranch_vccnz .LBB85_416
; %bb.415:
	global_load_ushort v2, v[0:1], off
	s_waitcnt vmcnt(0)
	v_cvt_f64_u32_e32 v[2:3], v2
.LBB85_416:
	s_mov_b64 s[4:5], 0
.LBB85_417:
	s_andn2_b64 vcc, exec, s[4:5]
	s_cbranch_vccnz .LBB85_427
; %bb.418:
	global_load_ubyte v4, v[0:1], off
	s_movk_i32 s4, 0x7f
	s_waitcnt vmcnt(0)
	v_cmp_lt_i16_e32 vcc, s4, v4
	s_mov_b64 s[4:5], 0
	s_and_saveexec_b64 s[6:7], vcc
	s_xor_b64 s[6:7], exec, s[6:7]
	s_cbranch_execz .LBB85_422
; %bb.419:
	s_movk_i32 s4, 0x80
	v_cmp_eq_u16_e32 vcc, s4, v4
	s_mov_b64 s[4:5], -1
	s_and_saveexec_b64 s[8:9], vcc
; %bb.420:
	s_xor_b64 s[4:5], exec, -1
; %bb.421:
	s_or_b64 exec, exec, s[8:9]
	s_and_b64 s[4:5], s[4:5], exec
.LBB85_422:
	s_or_saveexec_b64 s[6:7], s[6:7]
	v_bfrev_b32_e32 v2, 4
	v_mov_b32_e32 v3, 0x7ff80000
	s_xor_b64 exec, exec, s[6:7]
; %bb.423:
	v_cmp_ne_u16_e32 vcc, 0, v4
	v_mov_b32_e32 v2, 0
	s_andn2_b64 s[4:5], s[4:5], exec
	s_and_b64 s[8:9], vcc, exec
	v_mov_b32_e32 v3, 0
	s_or_b64 s[4:5], s[4:5], s[8:9]
; %bb.424:
	s_or_b64 exec, exec, s[6:7]
	s_and_saveexec_b64 s[6:7], s[4:5]
	s_cbranch_execz .LBB85_426
; %bb.425:
	v_and_b32_e32 v3, 0xffff, v4
	v_lshlrev_b32_e32 v2, 24, v4
	v_and_b32_e32 v4, 7, v3
	v_ffbh_u32_e32 v6, v4
	v_min_u32_e32 v6, 32, v6
	v_subrev_u32_e32 v7, 28, v6
	v_bfe_u32 v5, v3, 3, 4
	v_lshlrev_b32_e32 v3, v7, v3
	v_sub_u32_e32 v6, 29, v6
	v_and_b32_e32 v3, 7, v3
	v_cmp_eq_u32_e32 vcc, 0, v5
	v_cndmask_b32_e32 v5, v5, v6, vcc
	v_cndmask_b32_e32 v3, v4, v3, vcc
	v_mov_b32_e32 v4, 0x3b800000
	v_lshlrev_b32_e32 v3, 20, v3
	v_and_b32_e32 v2, 0x80000000, v2
	v_lshl_add_u32 v4, v5, 23, v4
	v_or3_b32 v2, v2, v4, v3
	v_cvt_f64_f32_e32 v[2:3], v2
.LBB85_426:
	s_or_b64 exec, exec, s[6:7]
.LBB85_427:
	s_mov_b64 s[4:5], -1
.LBB85_428:
	s_mov_b64 s[6:7], 0
.LBB85_429:
	s_and_b64 vcc, exec, s[6:7]
	s_cbranch_vccz .LBB85_462
; %bb.430:
	s_cmp_gt_i32 s10, 22
	s_cbranch_scc0 .LBB85_442
; %bb.431:
	s_cmp_lt_i32 s10, 24
	s_cbranch_scc1 .LBB85_443
; %bb.432:
	s_cmp_gt_i32 s10, 24
	s_cbranch_scc0 .LBB85_444
; %bb.433:
	global_load_ubyte v4, v[0:1], off
	s_movk_i32 s4, 0x7f
	s_waitcnt vmcnt(0)
	v_cmp_lt_i16_e32 vcc, s4, v4
	s_mov_b64 s[4:5], 0
	s_and_saveexec_b64 s[6:7], vcc
	s_xor_b64 s[6:7], exec, s[6:7]
	s_cbranch_execz .LBB85_437
; %bb.434:
	s_movk_i32 s4, 0x80
	v_cmp_eq_u16_e32 vcc, s4, v4
	s_mov_b64 s[4:5], -1
	s_and_saveexec_b64 s[8:9], vcc
; %bb.435:
	s_xor_b64 s[4:5], exec, -1
; %bb.436:
	s_or_b64 exec, exec, s[8:9]
	s_and_b64 s[4:5], s[4:5], exec
.LBB85_437:
	s_or_saveexec_b64 s[6:7], s[6:7]
	v_bfrev_b32_e32 v2, 4
	v_mov_b32_e32 v3, 0x7ff80000
	s_xor_b64 exec, exec, s[6:7]
; %bb.438:
	v_cmp_ne_u16_e32 vcc, 0, v4
	v_mov_b32_e32 v2, 0
	s_andn2_b64 s[4:5], s[4:5], exec
	s_and_b64 s[8:9], vcc, exec
	v_mov_b32_e32 v3, 0
	s_or_b64 s[4:5], s[4:5], s[8:9]
; %bb.439:
	s_or_b64 exec, exec, s[6:7]
	s_and_saveexec_b64 s[6:7], s[4:5]
	s_cbranch_execz .LBB85_441
; %bb.440:
	v_and_b32_e32 v3, 0xffff, v4
	v_lshlrev_b32_e32 v2, 24, v4
	v_and_b32_e32 v4, 3, v3
	v_ffbh_u32_e32 v6, v4
	v_min_u32_e32 v6, 32, v6
	v_subrev_u32_e32 v7, 29, v6
	v_bfe_u32 v5, v3, 2, 5
	v_lshlrev_b32_e32 v3, v7, v3
	v_sub_u32_e32 v6, 30, v6
	v_and_b32_e32 v3, 3, v3
	v_cmp_eq_u32_e32 vcc, 0, v5
	v_cndmask_b32_e32 v5, v5, v6, vcc
	v_cndmask_b32_e32 v3, v4, v3, vcc
	v_mov_b32_e32 v4, 0x37800000
	v_lshlrev_b32_e32 v3, 21, v3
	v_and_b32_e32 v2, 0x80000000, v2
	v_lshl_add_u32 v4, v5, 23, v4
	v_or3_b32 v2, v2, v4, v3
	v_cvt_f64_f32_e32 v[2:3], v2
.LBB85_441:
	s_or_b64 exec, exec, s[6:7]
	s_mov_b64 s[4:5], 0
	s_branch .LBB85_445
.LBB85_442:
	s_mov_b64 s[6:7], -1
                                        ; implicit-def: $vgpr2_vgpr3
	s_branch .LBB85_451
.LBB85_443:
	s_mov_b64 s[4:5], -1
                                        ; implicit-def: $vgpr2_vgpr3
	s_branch .LBB85_448
.LBB85_444:
	s_mov_b64 s[4:5], -1
                                        ; implicit-def: $vgpr2_vgpr3
.LBB85_445:
	s_and_b64 vcc, exec, s[4:5]
	s_cbranch_vccz .LBB85_447
; %bb.446:
	global_load_ubyte v2, v[0:1], off
	s_mov_b32 s4, 0x7f800000
	s_waitcnt vmcnt(0)
	v_lshlrev_b32_e32 v2, 24, v2
	v_and_b32_e32 v3, 0x7f000000, v2
	v_ffbh_u32_e32 v4, v3
	v_min_u32_e32 v4, 32, v4
	v_sub_u32_e64 v4, v4, 4 clamp
	v_lshlrev_b32_e32 v6, v4, v3
	v_lshlrev_b32_e32 v4, 23, v4
	v_lshrrev_b32_e32 v6, 4, v6
	v_add_u32_e32 v5, 0x1000000, v3
	v_sub_u32_e32 v4, v6, v4
	v_ashrrev_i32_e32 v5, 8, v5
	v_add_u32_e32 v4, 0x3c000000, v4
	v_and_or_b32 v4, v5, s4, v4
	v_cmp_ne_u32_e32 vcc, 0, v3
	v_cndmask_b32_e32 v3, 0, v4, vcc
	s_brev_b32 s4, 1
	v_and_or_b32 v2, v2, s4, v3
	v_cvt_f64_f32_e32 v[2:3], v2
.LBB85_447:
	s_mov_b64 s[4:5], 0
.LBB85_448:
	s_andn2_b64 vcc, exec, s[4:5]
	s_cbranch_vccnz .LBB85_450
; %bb.449:
	global_load_ubyte v2, v[0:1], off
	s_movk_i32 s4, 0x7f00
	s_brev_b32 s5, 16
	s_waitcnt vmcnt(0)
	v_lshlrev_b16_e32 v3, 8, v2
	v_lshlrev_b32_e32 v2, 25, v2
	v_lshrrev_b32_e32 v4, 4, v2
	v_and_or_b32 v5, v3, s4, 0.5
	v_or_b32_e32 v4, 0x70000000, v4
	v_add_f32_e32 v5, -0.5, v5
	v_mul_f32_e32 v4, 0x7800000, v4
	v_cmp_gt_u32_e32 vcc, s5, v2
	v_bfe_i32 v3, v3, 0, 16
	v_cndmask_b32_e32 v2, v4, v5, vcc
	s_brev_b32 s4, 1
	v_and_or_b32 v2, v3, s4, v2
	v_cvt_f64_f32_e32 v[2:3], v2
.LBB85_450:
	s_mov_b64 s[6:7], 0
	s_mov_b64 s[4:5], -1
.LBB85_451:
	s_andn2_b64 vcc, exec, s[6:7]
	s_cbranch_vccnz .LBB85_462
; %bb.452:
	s_cmp_gt_i32 s10, 14
	s_cbranch_scc0 .LBB85_455
; %bb.453:
	s_cmp_eq_u32 s10, 15
	s_cbranch_scc0 .LBB85_456
; %bb.454:
	global_load_ushort v2, v[0:1], off
	s_mov_b64 s[6:7], 0
	v_writelane_b32 v50, s6, 8
	s_mov_b64 s[4:5], -1
	v_writelane_b32 v50, s7, 9
	s_waitcnt vmcnt(0)
	v_lshlrev_b32_e32 v2, 16, v2
	v_cvt_f64_f32_e32 v[2:3], v2
	s_branch .LBB85_457
.LBB85_455:
	s_mov_b64 s[6:7], -1
                                        ; implicit-def: $vgpr2_vgpr3
	s_branch .LBB85_458
.LBB85_456:
	s_mov_b64 s[6:7], -1
	v_writelane_b32 v50, s6, 8
	v_writelane_b32 v50, s7, 9
                                        ; implicit-def: $vgpr2_vgpr3
.LBB85_457:
	s_mov_b64 s[6:7], 0
.LBB85_458:
	s_and_b64 vcc, exec, s[6:7]
	s_cbranch_vccz .LBB85_462
; %bb.459:
	s_cmp_eq_u32 s10, 11
	s_cbranch_scc0 .LBB85_461
; %bb.460:
	global_load_ubyte v3, v[0:1], off
	v_mov_b32_e32 v4, 0x3ff00000
	s_mov_b64 s[6:7], 0
	v_mov_b32_e32 v2, 0
	s_mov_b64 s[4:5], -1
	v_writelane_b32 v50, s6, 8
	v_writelane_b32 v50, s7, 9
	s_waitcnt vmcnt(0)
	v_cmp_ne_u16_e32 vcc, 0, v3
	v_cndmask_b32_e32 v3, 0, v4, vcc
	s_branch .LBB85_462
.LBB85_461:
	s_mov_b64 s[6:7], -1
	v_writelane_b32 v50, s6, 8
	v_writelane_b32 v50, s7, 9
                                        ; implicit-def: $vgpr2_vgpr3
.LBB85_462:
	s_branch .LBB85_265
.LBB85_463:
	s_cmp_lt_i32 s10, 5
	s_cbranch_scc1 .LBB85_468
; %bb.464:
	s_cmp_lt_i32 s10, 8
	s_cbranch_scc1 .LBB85_469
; %bb.465:
	;; [unrolled: 3-line block ×3, first 2 shown]
	s_cmp_gt_i32 s10, 9
	s_cbranch_scc0 .LBB85_471
; %bb.467:
	global_load_dwordx2 v[2:3], v[0:1], off
	s_mov_b64 s[4:5], 0
	s_branch .LBB85_472
.LBB85_468:
	s_mov_b64 s[4:5], -1
                                        ; implicit-def: $vgpr2_vgpr3
	s_branch .LBB85_490
.LBB85_469:
	s_mov_b64 s[4:5], -1
                                        ; implicit-def: $vgpr2_vgpr3
	s_branch .LBB85_478
.LBB85_470:
	s_mov_b64 s[4:5], -1
                                        ; implicit-def: $vgpr2_vgpr3
	s_branch .LBB85_475
.LBB85_471:
	s_mov_b64 s[4:5], -1
                                        ; implicit-def: $vgpr2_vgpr3
.LBB85_472:
	s_andn2_b64 vcc, exec, s[4:5]
	s_cbranch_vccnz .LBB85_474
; %bb.473:
	global_load_dword v2, v[0:1], off
	s_waitcnt vmcnt(0)
	v_cvt_f64_f32_e32 v[2:3], v2
.LBB85_474:
	s_mov_b64 s[4:5], 0
.LBB85_475:
	s_andn2_b64 vcc, exec, s[4:5]
	s_cbranch_vccnz .LBB85_477
; %bb.476:
	global_load_dword v2, v[0:1], off
	s_waitcnt vmcnt(0)
	v_cvt_f32_f16_e32 v2, v2
	v_cvt_f64_f32_e32 v[2:3], v2
.LBB85_477:
	s_mov_b64 s[4:5], 0
.LBB85_478:
	s_andn2_b64 vcc, exec, s[4:5]
	s_cbranch_vccnz .LBB85_489
; %bb.479:
	s_cmp_lt_i32 s10, 6
	s_cbranch_scc1 .LBB85_482
; %bb.480:
	s_cmp_gt_i32 s10, 6
	s_cbranch_scc0 .LBB85_483
; %bb.481:
	global_load_dwordx2 v[2:3], v[0:1], off
	s_mov_b64 s[4:5], 0
	s_branch .LBB85_484
.LBB85_482:
	s_mov_b64 s[4:5], -1
                                        ; implicit-def: $vgpr2_vgpr3
	s_branch .LBB85_487
.LBB85_483:
	s_mov_b64 s[4:5], -1
                                        ; implicit-def: $vgpr2_vgpr3
.LBB85_484:
	s_andn2_b64 vcc, exec, s[4:5]
	s_cbranch_vccnz .LBB85_486
; %bb.485:
	global_load_dword v2, v[0:1], off
	s_waitcnt vmcnt(0)
	v_cvt_f64_f32_e32 v[2:3], v2
.LBB85_486:
	s_mov_b64 s[4:5], 0
.LBB85_487:
	s_andn2_b64 vcc, exec, s[4:5]
	s_cbranch_vccnz .LBB85_489
; %bb.488:
	global_load_ushort v2, v[0:1], off
	s_waitcnt vmcnt(0)
	v_cvt_f32_f16_e32 v2, v2
	v_cvt_f64_f32_e32 v[2:3], v2
.LBB85_489:
	s_mov_b64 s[4:5], 0
.LBB85_490:
	s_andn2_b64 vcc, exec, s[4:5]
	s_cbranch_vccnz .LBB85_510
; %bb.491:
	s_cmp_lt_i32 s10, 2
	s_cbranch_scc1 .LBB85_495
; %bb.492:
	s_cmp_lt_i32 s10, 3
	s_cbranch_scc1 .LBB85_496
; %bb.493:
	s_cmp_gt_i32 s10, 3
	s_cbranch_scc0 .LBB85_497
; %bb.494:
	global_load_dwordx2 v[2:3], v[0:1], off
	s_mov_b64 s[4:5], 0
	s_waitcnt vmcnt(0)
	v_cvt_f64_i32_e32 v[3:4], v3
	v_cvt_f64_u32_e32 v[5:6], v2
	v_ldexp_f64 v[3:4], v[3:4], 32
	v_add_f64 v[2:3], v[3:4], v[5:6]
	s_branch .LBB85_498
.LBB85_495:
	s_mov_b64 s[4:5], -1
                                        ; implicit-def: $vgpr2_vgpr3
	s_branch .LBB85_504
.LBB85_496:
	s_mov_b64 s[4:5], -1
                                        ; implicit-def: $vgpr2_vgpr3
	s_branch .LBB85_501
.LBB85_497:
	s_mov_b64 s[4:5], -1
                                        ; implicit-def: $vgpr2_vgpr3
.LBB85_498:
	s_andn2_b64 vcc, exec, s[4:5]
	s_cbranch_vccnz .LBB85_500
; %bb.499:
	global_load_dword v2, v[0:1], off
	s_waitcnt vmcnt(0)
	v_cvt_f64_i32_e32 v[2:3], v2
.LBB85_500:
	s_mov_b64 s[4:5], 0
.LBB85_501:
	s_andn2_b64 vcc, exec, s[4:5]
	s_cbranch_vccnz .LBB85_503
; %bb.502:
	global_load_sshort v2, v[0:1], off
	s_waitcnt vmcnt(0)
	v_cvt_f64_i32_e32 v[2:3], v2
.LBB85_503:
	s_mov_b64 s[4:5], 0
.LBB85_504:
	s_andn2_b64 vcc, exec, s[4:5]
	s_cbranch_vccnz .LBB85_510
; %bb.505:
	s_cmp_gt_i32 s10, 0
	s_cbranch_scc0 .LBB85_507
; %bb.506:
	global_load_sbyte v2, v[0:1], off
	s_mov_b64 s[4:5], 0
	s_waitcnt vmcnt(0)
	v_cvt_f64_i32_e32 v[2:3], v2
	s_branch .LBB85_508
.LBB85_507:
	s_mov_b64 s[4:5], -1
                                        ; implicit-def: $vgpr2_vgpr3
.LBB85_508:
	s_andn2_b64 vcc, exec, s[4:5]
	s_cbranch_vccnz .LBB85_510
; %bb.509:
	global_load_ubyte v0, v[0:1], off
	s_waitcnt vmcnt(0)
	v_cvt_f64_u32_e32 v[2:3], v0
.LBB85_510:
	s_branch .LBB85_266
.LBB85_511:
	s_mov_b64 s[6:7], 0
                                        ; implicit-def: $vgpr47
	s_mov_b64 s[4:5], s[96:97]
.LBB85_512:
	s_andn2_b64 s[8:9], s[96:97], exec
	s_and_b64 s[4:5], s[4:5], exec
	s_or_b64 s[4:5], s[8:9], s[4:5]
	v_writelane_b32 v50, s4, 12
	v_writelane_b32 v50, s5, 13
	v_readlane_b32 s8, v50, 8
	v_readlane_b32 s9, v50, 9
	s_andn2_b64 s[4:5], s[44:45], exec
	s_and_b64 s[8:9], s[8:9], exec
	s_or_b64 s[4:5], s[4:5], s[8:9]
	v_writelane_b32 v50, s4, 8
	v_writelane_b32 v50, s5, 9
	s_orn2_b64 s[4:5], s[6:7], exec
.LBB85_513:
	v_readlane_b32 s6, v50, 14
	v_readlane_b32 s7, v50, 15
	s_or_b64 exec, exec, s[6:7]
	s_mov_b64 s[6:7], 0
	s_mov_b64 s[8:9], 0
	;; [unrolled: 1-line block ×3, first 2 shown]
                                        ; implicit-def: $vgpr0_vgpr1
                                        ; implicit-def: $vgpr2_vgpr3
	s_and_saveexec_b64 s[20:21], s[4:5]
	v_readlane_b32 s18, v50, 10
	v_readlane_b32 s19, v50, 11
	s_cbranch_execz .LBB85_859
; %bb.514:
	v_writelane_b32 v50, s20, 14
	v_writelane_b32 v50, s21, 15
	v_readlane_b32 s4, v50, 8
	v_readlane_b32 s6, v50, 12
	v_cmp_gt_i32_e32 vcc, s33, v47
	s_mov_b64 s[14:15], -1
	v_readlane_b32 s5, v50, 9
	v_readlane_b32 s7, v50, 13
	s_and_saveexec_b64 s[10:11], vcc
	s_cbranch_execz .LBB85_773
; %bb.515:
	v_mul_lo_u32 v0, v47, s41
	v_writelane_b32 v50, s10, 18
	v_writelane_b32 v50, s11, 19
	v_mov_b32_e32 v1, s39
	s_and_b32 s10, 0xffff, s28
	s_waitcnt vmcnt(0)
	v_ashrrev_i32_e32 v2, 31, v0
	v_add_co_u32_e32 v0, vcc, s38, v0
	s_cmp_lt_i32 s10, 11
	v_addc_co_u32_e32 v1, vcc, v1, v2, vcc
	s_cbranch_scc1 .LBB85_522
; %bb.516:
	s_cmp_gt_i32 s10, 25
	s_cbranch_scc0 .LBB85_523
; %bb.517:
	s_cmp_gt_i32 s10, 28
	s_cbranch_scc0 .LBB85_524
	;; [unrolled: 3-line block ×4, first 2 shown]
; %bb.520:
	s_cmp_eq_u32 s10, 46
	s_mov_b64 s[6:7], 0
	s_cbranch_scc0 .LBB85_531
; %bb.521:
	global_load_dword v2, v[0:1], off
	v_writelane_b32 v50, s8, 20
	s_mov_b64 s[4:5], -1
	v_writelane_b32 v50, s9, 21
	s_waitcnt vmcnt(0)
	v_lshlrev_b32_e32 v2, 16, v2
	v_cvt_f64_f32_e32 v[2:3], v2
	s_branch .LBB85_532
.LBB85_522:
	v_readlane_b32 s8, v50, 8
	v_readlane_b32 s9, v50, 9
	v_writelane_b32 v50, s8, 20
	s_mov_b64 s[6:7], -1
	s_mov_b64 s[4:5], 0
                                        ; implicit-def: $vgpr2_vgpr3
	v_writelane_b32 v50, s9, 21
	s_branch .LBB85_597
.LBB85_523:
	v_readlane_b32 s8, v50, 8
	v_readlane_b32 s9, v50, 9
	s_mov_b64 s[6:7], -1
	s_mov_b64 s[4:5], 0
	v_writelane_b32 v50, s8, 20
                                        ; implicit-def: $vgpr2_vgpr3
	v_writelane_b32 v50, s9, 21
	s_branch .LBB85_563
.LBB85_524:
	v_readlane_b32 s8, v50, 8
	v_readlane_b32 s9, v50, 9
	s_mov_b64 s[6:7], -1
	s_mov_b64 s[4:5], 0
	v_writelane_b32 v50, s8, 20
                                        ; implicit-def: $vgpr2_vgpr3
	v_writelane_b32 v50, s9, 21
	s_branch .LBB85_542
.LBB85_525:
	v_readlane_b32 s8, v50, 8
	v_readlane_b32 s9, v50, 9
	s_mov_b64 s[6:7], -1
	s_mov_b64 s[4:5], 0
	v_writelane_b32 v50, s8, 20
                                        ; implicit-def: $vgpr2_vgpr3
	v_writelane_b32 v50, s9, 21
	s_branch .LBB85_537
.LBB85_526:
	s_andn2_saveexec_b64 s[10:11], s[10:11]
	s_cbranch_execz .LBB85_311
.LBB85_527:
	s_mov_b32 s14, 0x46000000
	v_add_f32_e64 v3, |v2|, s14
	v_and_b32_e32 v3, 0xff, v3
	v_cmp_ne_u32_e32 vcc, 0, v3
	s_andn2_b64 s[8:9], s[8:9], exec
	s_and_b64 s[14:15], vcc, exec
	s_or_b64 s[8:9], s[8:9], s[14:15]
	s_or_b64 exec, exec, s[10:11]
	v_mov_b32_e32 v6, 0
	s_and_saveexec_b64 s[10:11], s[8:9]
	s_cbranch_execnz .LBB85_312
	s_branch .LBB85_313
.LBB85_528:
	v_readlane_b32 s8, v50, 8
	v_readlane_b32 s9, v50, 9
	s_mov_b64 s[6:7], -1
	s_mov_b64 s[4:5], 0
	v_writelane_b32 v50, s8, 20
	v_writelane_b32 v50, s9, 21
                                        ; implicit-def: $vgpr2_vgpr3
	s_branch .LBB85_532
.LBB85_529:
	s_andn2_saveexec_b64 s[10:11], s[10:11]
	s_cbranch_execz .LBB85_324
.LBB85_530:
	s_mov_b32 s14, 0x42800000
	v_add_f32_e64 v3, |v2|, s14
	v_and_b32_e32 v3, 0xff, v3
	v_cmp_ne_u32_e32 vcc, 0, v3
	s_andn2_b64 s[8:9], s[8:9], exec
	s_and_b64 s[14:15], vcc, exec
	s_or_b64 s[8:9], s[8:9], s[14:15]
	s_or_b64 exec, exec, s[10:11]
	v_mov_b32_e32 v6, 0
	s_and_saveexec_b64 s[10:11], s[8:9]
	s_cbranch_execnz .LBB85_325
	s_branch .LBB85_326
.LBB85_531:
	s_mov_b64 s[4:5], -1
	v_writelane_b32 v50, s4, 20
	v_writelane_b32 v50, s5, 21
                                        ; implicit-def: $vgpr2_vgpr3
	s_mov_b64 s[4:5], 0
.LBB85_532:
	s_and_b64 vcc, exec, s[6:7]
	s_cbranch_vccz .LBB85_536
; %bb.533:
	s_cmp_eq_u32 s10, 44
	s_cbranch_scc0 .LBB85_535
; %bb.534:
	global_load_ubyte v4, v[0:1], off
	s_movk_i32 s6, 0xff
	v_bfrev_b32_e32 v5, 4
	v_mov_b32_e32 v6, 0x7ff80000
	v_bfrev_b32_e32 v7, 28
	s_mov_b64 s[4:5], -1
	s_waitcnt vmcnt(0)
	v_lshlrev_b32_e32 v2, 23, v4
	v_cvt_f64_f32_e32 v[2:3], v2
	v_cmp_ne_u32_e32 vcc, s6, v4
	s_mov_b64 s[6:7], 0
	v_writelane_b32 v50, s6, 20
	v_cndmask_b32_e32 v2, v5, v2, vcc
	v_cndmask_b32_e32 v3, v6, v3, vcc
	v_cmp_ne_u32_e32 vcc, 0, v4
	v_cndmask_b32_e32 v3, v7, v3, vcc
	v_cndmask_b32_e32 v2, 0, v2, vcc
	v_writelane_b32 v50, s7, 21
	s_branch .LBB85_536
.LBB85_535:
	s_mov_b64 s[6:7], -1
	v_writelane_b32 v50, s6, 20
	v_writelane_b32 v50, s7, 21
                                        ; implicit-def: $vgpr2_vgpr3
.LBB85_536:
	s_mov_b64 s[6:7], 0
.LBB85_537:
	s_and_b64 vcc, exec, s[6:7]
	s_cbranch_vccz .LBB85_541
; %bb.538:
	s_cmp_eq_u32 s10, 29
	s_cbranch_scc0 .LBB85_540
; %bb.539:
	global_load_dwordx2 v[2:3], v[0:1], off
	s_mov_b64 s[6:7], 0
	v_writelane_b32 v50, s6, 20
	s_mov_b64 s[4:5], -1
	v_writelane_b32 v50, s7, 21
	s_mov_b64 s[6:7], 0
	s_waitcnt vmcnt(0)
	v_cvt_f64_u32_e32 v[3:4], v3
	v_cvt_f64_u32_e32 v[5:6], v2
	v_ldexp_f64 v[3:4], v[3:4], 32
	v_add_f64 v[2:3], v[3:4], v[5:6]
	s_branch .LBB85_542
.LBB85_540:
	s_mov_b64 s[6:7], -1
	v_writelane_b32 v50, s6, 20
	v_writelane_b32 v50, s7, 21
                                        ; implicit-def: $vgpr2_vgpr3
.LBB85_541:
	s_mov_b64 s[6:7], 0
.LBB85_542:
	s_and_b64 vcc, exec, s[6:7]
	s_cbranch_vccz .LBB85_562
; %bb.543:
	s_cmp_lt_i32 s10, 27
	s_cbranch_scc1 .LBB85_546
; %bb.544:
	s_cmp_gt_i32 s10, 27
	s_cbranch_scc0 .LBB85_547
; %bb.545:
	global_load_dword v2, v[0:1], off
	s_mov_b64 s[4:5], 0
	s_waitcnt vmcnt(0)
	v_cvt_f64_u32_e32 v[2:3], v2
	s_branch .LBB85_548
.LBB85_546:
	s_mov_b64 s[4:5], -1
                                        ; implicit-def: $vgpr2_vgpr3
	s_branch .LBB85_551
.LBB85_547:
	s_mov_b64 s[4:5], -1
                                        ; implicit-def: $vgpr2_vgpr3
.LBB85_548:
	s_andn2_b64 vcc, exec, s[4:5]
	s_cbranch_vccnz .LBB85_550
; %bb.549:
	global_load_ushort v2, v[0:1], off
	s_waitcnt vmcnt(0)
	v_cvt_f64_u32_e32 v[2:3], v2
.LBB85_550:
	s_mov_b64 s[4:5], 0
.LBB85_551:
	s_andn2_b64 vcc, exec, s[4:5]
	s_cbranch_vccnz .LBB85_561
; %bb.552:
	global_load_ubyte v4, v[0:1], off
	s_movk_i32 s4, 0x7f
	s_waitcnt vmcnt(0)
	v_cmp_lt_i16_e32 vcc, s4, v4
	s_mov_b64 s[4:5], 0
	s_and_saveexec_b64 s[6:7], vcc
	s_xor_b64 s[6:7], exec, s[6:7]
	s_cbranch_execz .LBB85_556
; %bb.553:
	s_movk_i32 s4, 0x80
	v_cmp_eq_u16_e32 vcc, s4, v4
	s_mov_b64 s[4:5], -1
	s_and_saveexec_b64 s[8:9], vcc
; %bb.554:
	s_xor_b64 s[4:5], exec, -1
; %bb.555:
	s_or_b64 exec, exec, s[8:9]
	s_and_b64 s[4:5], s[4:5], exec
.LBB85_556:
	s_or_saveexec_b64 s[6:7], s[6:7]
	v_bfrev_b32_e32 v2, 4
	v_mov_b32_e32 v3, 0x7ff80000
	s_xor_b64 exec, exec, s[6:7]
; %bb.557:
	v_cmp_ne_u16_e32 vcc, 0, v4
	v_mov_b32_e32 v2, 0
	s_andn2_b64 s[4:5], s[4:5], exec
	s_and_b64 s[8:9], vcc, exec
	v_mov_b32_e32 v3, 0
	s_or_b64 s[4:5], s[4:5], s[8:9]
; %bb.558:
	s_or_b64 exec, exec, s[6:7]
	s_and_saveexec_b64 s[6:7], s[4:5]
	s_cbranch_execz .LBB85_560
; %bb.559:
	v_and_b32_e32 v3, 0xffff, v4
	v_lshlrev_b32_e32 v2, 24, v4
	v_and_b32_e32 v4, 7, v3
	v_ffbh_u32_e32 v6, v4
	v_min_u32_e32 v6, 32, v6
	v_subrev_u32_e32 v7, 28, v6
	v_bfe_u32 v5, v3, 3, 4
	v_lshlrev_b32_e32 v3, v7, v3
	v_sub_u32_e32 v6, 29, v6
	v_and_b32_e32 v3, 7, v3
	v_cmp_eq_u32_e32 vcc, 0, v5
	v_cndmask_b32_e32 v5, v5, v6, vcc
	v_cndmask_b32_e32 v3, v4, v3, vcc
	v_mov_b32_e32 v4, 0x3b800000
	v_lshlrev_b32_e32 v3, 20, v3
	v_and_b32_e32 v2, 0x80000000, v2
	v_lshl_add_u32 v4, v5, 23, v4
	v_or3_b32 v2, v2, v4, v3
	v_cvt_f64_f32_e32 v[2:3], v2
.LBB85_560:
	s_or_b64 exec, exec, s[6:7]
.LBB85_561:
	s_mov_b64 s[4:5], -1
.LBB85_562:
	s_mov_b64 s[6:7], 0
.LBB85_563:
	s_and_b64 vcc, exec, s[6:7]
	s_cbranch_vccz .LBB85_596
; %bb.564:
	s_cmp_gt_i32 s10, 22
	s_cbranch_scc0 .LBB85_576
; %bb.565:
	s_cmp_lt_i32 s10, 24
	s_cbranch_scc1 .LBB85_577
; %bb.566:
	s_cmp_gt_i32 s10, 24
	s_cbranch_scc0 .LBB85_578
; %bb.567:
	global_load_ubyte v4, v[0:1], off
	s_movk_i32 s4, 0x7f
	s_waitcnt vmcnt(0)
	v_cmp_lt_i16_e32 vcc, s4, v4
	s_mov_b64 s[4:5], 0
	s_and_saveexec_b64 s[6:7], vcc
	s_xor_b64 s[6:7], exec, s[6:7]
	s_cbranch_execz .LBB85_571
; %bb.568:
	s_movk_i32 s4, 0x80
	v_cmp_eq_u16_e32 vcc, s4, v4
	s_mov_b64 s[4:5], -1
	s_and_saveexec_b64 s[8:9], vcc
; %bb.569:
	s_xor_b64 s[4:5], exec, -1
; %bb.570:
	s_or_b64 exec, exec, s[8:9]
	s_and_b64 s[4:5], s[4:5], exec
.LBB85_571:
	s_or_saveexec_b64 s[6:7], s[6:7]
	v_bfrev_b32_e32 v2, 4
	v_mov_b32_e32 v3, 0x7ff80000
	s_xor_b64 exec, exec, s[6:7]
; %bb.572:
	v_cmp_ne_u16_e32 vcc, 0, v4
	v_mov_b32_e32 v2, 0
	s_andn2_b64 s[4:5], s[4:5], exec
	s_and_b64 s[8:9], vcc, exec
	v_mov_b32_e32 v3, 0
	s_or_b64 s[4:5], s[4:5], s[8:9]
; %bb.573:
	s_or_b64 exec, exec, s[6:7]
	s_and_saveexec_b64 s[6:7], s[4:5]
	s_cbranch_execz .LBB85_575
; %bb.574:
	v_and_b32_e32 v3, 0xffff, v4
	v_lshlrev_b32_e32 v2, 24, v4
	v_and_b32_e32 v4, 3, v3
	v_ffbh_u32_e32 v6, v4
	v_min_u32_e32 v6, 32, v6
	v_subrev_u32_e32 v7, 29, v6
	v_bfe_u32 v5, v3, 2, 5
	v_lshlrev_b32_e32 v3, v7, v3
	v_sub_u32_e32 v6, 30, v6
	v_and_b32_e32 v3, 3, v3
	v_cmp_eq_u32_e32 vcc, 0, v5
	v_cndmask_b32_e32 v5, v5, v6, vcc
	v_cndmask_b32_e32 v3, v4, v3, vcc
	v_mov_b32_e32 v4, 0x37800000
	v_lshlrev_b32_e32 v3, 21, v3
	v_and_b32_e32 v2, 0x80000000, v2
	v_lshl_add_u32 v4, v5, 23, v4
	v_or3_b32 v2, v2, v4, v3
	v_cvt_f64_f32_e32 v[2:3], v2
.LBB85_575:
	s_or_b64 exec, exec, s[6:7]
	s_mov_b64 s[4:5], 0
	s_branch .LBB85_579
.LBB85_576:
	s_mov_b64 s[6:7], -1
                                        ; implicit-def: $vgpr2_vgpr3
	s_branch .LBB85_585
.LBB85_577:
	s_mov_b64 s[4:5], -1
                                        ; implicit-def: $vgpr2_vgpr3
	s_branch .LBB85_582
.LBB85_578:
	s_mov_b64 s[4:5], -1
                                        ; implicit-def: $vgpr2_vgpr3
.LBB85_579:
	s_and_b64 vcc, exec, s[4:5]
	s_cbranch_vccz .LBB85_581
; %bb.580:
	global_load_ubyte v2, v[0:1], off
	s_mov_b32 s4, 0x7f800000
	s_waitcnt vmcnt(0)
	v_lshlrev_b32_e32 v2, 24, v2
	v_and_b32_e32 v3, 0x7f000000, v2
	v_ffbh_u32_e32 v4, v3
	v_min_u32_e32 v4, 32, v4
	v_sub_u32_e64 v4, v4, 4 clamp
	v_lshlrev_b32_e32 v6, v4, v3
	v_lshlrev_b32_e32 v4, 23, v4
	v_lshrrev_b32_e32 v6, 4, v6
	v_add_u32_e32 v5, 0x1000000, v3
	v_sub_u32_e32 v4, v6, v4
	v_ashrrev_i32_e32 v5, 8, v5
	v_add_u32_e32 v4, 0x3c000000, v4
	v_and_or_b32 v4, v5, s4, v4
	v_cmp_ne_u32_e32 vcc, 0, v3
	v_cndmask_b32_e32 v3, 0, v4, vcc
	s_brev_b32 s4, 1
	v_and_or_b32 v2, v2, s4, v3
	v_cvt_f64_f32_e32 v[2:3], v2
.LBB85_581:
	s_mov_b64 s[4:5], 0
.LBB85_582:
	s_andn2_b64 vcc, exec, s[4:5]
	s_cbranch_vccnz .LBB85_584
; %bb.583:
	global_load_ubyte v2, v[0:1], off
	s_movk_i32 s4, 0x7f00
	s_brev_b32 s5, 16
	s_waitcnt vmcnt(0)
	v_lshlrev_b16_e32 v3, 8, v2
	v_lshlrev_b32_e32 v2, 25, v2
	v_lshrrev_b32_e32 v4, 4, v2
	v_and_or_b32 v5, v3, s4, 0.5
	v_or_b32_e32 v4, 0x70000000, v4
	v_add_f32_e32 v5, -0.5, v5
	v_mul_f32_e32 v4, 0x7800000, v4
	v_cmp_gt_u32_e32 vcc, s5, v2
	v_bfe_i32 v3, v3, 0, 16
	v_cndmask_b32_e32 v2, v4, v5, vcc
	s_brev_b32 s4, 1
	v_and_or_b32 v2, v3, s4, v2
	v_cvt_f64_f32_e32 v[2:3], v2
.LBB85_584:
	s_mov_b64 s[6:7], 0
	s_mov_b64 s[4:5], -1
.LBB85_585:
	s_andn2_b64 vcc, exec, s[6:7]
	s_cbranch_vccnz .LBB85_596
; %bb.586:
	s_cmp_gt_i32 s10, 14
	s_cbranch_scc0 .LBB85_589
; %bb.587:
	s_cmp_eq_u32 s10, 15
	s_cbranch_scc0 .LBB85_590
; %bb.588:
	global_load_ushort v2, v[0:1], off
	s_mov_b64 s[6:7], 0
	v_writelane_b32 v50, s6, 20
	s_mov_b64 s[4:5], -1
	v_writelane_b32 v50, s7, 21
	s_waitcnt vmcnt(0)
	v_lshlrev_b32_e32 v2, 16, v2
	v_cvt_f64_f32_e32 v[2:3], v2
	s_branch .LBB85_591
.LBB85_589:
	s_mov_b64 s[6:7], -1
                                        ; implicit-def: $vgpr2_vgpr3
	s_branch .LBB85_592
.LBB85_590:
	s_mov_b64 s[6:7], -1
	v_writelane_b32 v50, s6, 20
	v_writelane_b32 v50, s7, 21
                                        ; implicit-def: $vgpr2_vgpr3
.LBB85_591:
	s_mov_b64 s[6:7], 0
.LBB85_592:
	s_and_b64 vcc, exec, s[6:7]
	s_cbranch_vccz .LBB85_596
; %bb.593:
	s_cmp_eq_u32 s10, 11
	s_cbranch_scc0 .LBB85_595
; %bb.594:
	global_load_ubyte v3, v[0:1], off
	v_mov_b32_e32 v4, 0x3ff00000
	s_mov_b64 s[6:7], 0
	v_mov_b32_e32 v2, 0
	s_mov_b64 s[4:5], -1
	v_writelane_b32 v50, s6, 20
	v_writelane_b32 v50, s7, 21
	s_waitcnt vmcnt(0)
	v_cmp_ne_u16_e32 vcc, 0, v3
	v_cndmask_b32_e32 v3, 0, v4, vcc
	s_branch .LBB85_596
.LBB85_595:
	s_mov_b64 s[6:7], -1
	v_writelane_b32 v50, s6, 20
	v_writelane_b32 v50, s7, 21
                                        ; implicit-def: $vgpr2_vgpr3
.LBB85_596:
	s_mov_b64 s[6:7], 0
.LBB85_597:
	s_and_b64 vcc, exec, s[6:7]
	s_cbranch_vccz .LBB85_646
; %bb.598:
	s_cmp_lt_i32 s10, 5
	s_cbranch_scc1 .LBB85_603
; %bb.599:
	s_cmp_lt_i32 s10, 8
	s_cbranch_scc1 .LBB85_604
	;; [unrolled: 3-line block ×3, first 2 shown]
; %bb.601:
	s_cmp_gt_i32 s10, 9
	s_cbranch_scc0 .LBB85_606
; %bb.602:
	global_load_dwordx2 v[2:3], v[0:1], off
	s_mov_b64 s[4:5], 0
	s_branch .LBB85_607
.LBB85_603:
	s_mov_b64 s[4:5], -1
                                        ; implicit-def: $vgpr2_vgpr3
	s_branch .LBB85_625
.LBB85_604:
	s_mov_b64 s[4:5], -1
                                        ; implicit-def: $vgpr2_vgpr3
	s_branch .LBB85_613
.LBB85_605:
	s_mov_b64 s[4:5], -1
                                        ; implicit-def: $vgpr2_vgpr3
	s_branch .LBB85_610
.LBB85_606:
	s_mov_b64 s[4:5], -1
                                        ; implicit-def: $vgpr2_vgpr3
.LBB85_607:
	s_andn2_b64 vcc, exec, s[4:5]
	s_cbranch_vccnz .LBB85_609
; %bb.608:
	global_load_dword v2, v[0:1], off
	s_waitcnt vmcnt(0)
	v_cvt_f64_f32_e32 v[2:3], v2
.LBB85_609:
	s_mov_b64 s[4:5], 0
.LBB85_610:
	s_andn2_b64 vcc, exec, s[4:5]
	s_cbranch_vccnz .LBB85_612
; %bb.611:
	global_load_dword v2, v[0:1], off
	s_waitcnt vmcnt(0)
	v_cvt_f32_f16_e32 v2, v2
	v_cvt_f64_f32_e32 v[2:3], v2
.LBB85_612:
	s_mov_b64 s[4:5], 0
.LBB85_613:
	s_andn2_b64 vcc, exec, s[4:5]
	s_cbranch_vccnz .LBB85_624
; %bb.614:
	s_cmp_lt_i32 s10, 6
	s_cbranch_scc1 .LBB85_617
; %bb.615:
	s_cmp_gt_i32 s10, 6
	s_cbranch_scc0 .LBB85_618
; %bb.616:
	global_load_dwordx2 v[2:3], v[0:1], off
	s_mov_b64 s[4:5], 0
	s_branch .LBB85_619
.LBB85_617:
	s_mov_b64 s[4:5], -1
                                        ; implicit-def: $vgpr2_vgpr3
	s_branch .LBB85_622
.LBB85_618:
	s_mov_b64 s[4:5], -1
                                        ; implicit-def: $vgpr2_vgpr3
.LBB85_619:
	s_andn2_b64 vcc, exec, s[4:5]
	s_cbranch_vccnz .LBB85_621
; %bb.620:
	global_load_dword v2, v[0:1], off
	s_waitcnt vmcnt(0)
	v_cvt_f64_f32_e32 v[2:3], v2
.LBB85_621:
	s_mov_b64 s[4:5], 0
.LBB85_622:
	s_andn2_b64 vcc, exec, s[4:5]
	s_cbranch_vccnz .LBB85_624
; %bb.623:
	global_load_ushort v2, v[0:1], off
	s_waitcnt vmcnt(0)
	v_cvt_f32_f16_e32 v2, v2
	v_cvt_f64_f32_e32 v[2:3], v2
.LBB85_624:
	s_mov_b64 s[4:5], 0
.LBB85_625:
	s_andn2_b64 vcc, exec, s[4:5]
	s_cbranch_vccnz .LBB85_645
; %bb.626:
	s_cmp_lt_i32 s10, 2
	s_cbranch_scc1 .LBB85_630
; %bb.627:
	s_cmp_lt_i32 s10, 3
	s_cbranch_scc1 .LBB85_631
; %bb.628:
	s_cmp_gt_i32 s10, 3
	s_cbranch_scc0 .LBB85_632
; %bb.629:
	global_load_dwordx2 v[2:3], v[0:1], off
	s_mov_b64 s[4:5], 0
	s_waitcnt vmcnt(0)
	v_cvt_f64_i32_e32 v[3:4], v3
	v_cvt_f64_u32_e32 v[5:6], v2
	v_ldexp_f64 v[3:4], v[3:4], 32
	v_add_f64 v[2:3], v[3:4], v[5:6]
	s_branch .LBB85_633
.LBB85_630:
	s_mov_b64 s[4:5], -1
                                        ; implicit-def: $vgpr2_vgpr3
	s_branch .LBB85_639
.LBB85_631:
	s_mov_b64 s[4:5], -1
                                        ; implicit-def: $vgpr2_vgpr3
	s_branch .LBB85_636
.LBB85_632:
	s_mov_b64 s[4:5], -1
                                        ; implicit-def: $vgpr2_vgpr3
.LBB85_633:
	s_andn2_b64 vcc, exec, s[4:5]
	s_cbranch_vccnz .LBB85_635
; %bb.634:
	global_load_dword v2, v[0:1], off
	s_waitcnt vmcnt(0)
	v_cvt_f64_i32_e32 v[2:3], v2
.LBB85_635:
	s_mov_b64 s[4:5], 0
.LBB85_636:
	s_andn2_b64 vcc, exec, s[4:5]
	s_cbranch_vccnz .LBB85_638
; %bb.637:
	global_load_sshort v2, v[0:1], off
	s_waitcnt vmcnt(0)
	v_cvt_f64_i32_e32 v[2:3], v2
.LBB85_638:
	s_mov_b64 s[4:5], 0
.LBB85_639:
	s_andn2_b64 vcc, exec, s[4:5]
	s_cbranch_vccnz .LBB85_645
; %bb.640:
	s_cmp_gt_i32 s10, 0
	s_cbranch_scc0 .LBB85_642
; %bb.641:
	global_load_sbyte v2, v[0:1], off
	s_mov_b64 s[4:5], 0
	s_waitcnt vmcnt(0)
	v_cvt_f64_i32_e32 v[2:3], v2
	s_branch .LBB85_643
.LBB85_642:
	s_mov_b64 s[4:5], -1
                                        ; implicit-def: $vgpr2_vgpr3
.LBB85_643:
	s_andn2_b64 vcc, exec, s[4:5]
	s_cbranch_vccnz .LBB85_645
; %bb.644:
	global_load_ubyte v0, v[0:1], off
	s_waitcnt vmcnt(0)
	v_cvt_f64_u32_e32 v[2:3], v0
.LBB85_645:
	s_mov_b64 s[4:5], -1
.LBB85_646:
	s_andn2_b64 vcc, exec, s[4:5]
	s_cbranch_vccnz .LBB85_654
; %bb.647:
	v_writelane_b32 v50, s44, 16
	s_getpc_b64 s[4:5]
	s_add_u32 s4, s4, _ZZZZN2at6native21polygamma_kernel_cudaERNS_18TensorIteratorBaseElENKUlvE_clEvENKUlvE_clEvENKUldE_clEd@rel32@lo+4
	s_addc_u32 s5, s5, _ZZZZN2at6native21polygamma_kernel_cudaERNS_18TensorIteratorBaseElENKUlvE_clEvENKUlvE_clEvENKUldE_clEd@rel32@hi+12
	v_mov_b32_e32 v0, s42
	v_mov_b32_e32 v1, s43
	v_writelane_b32 v50, s45, 17
	s_mov_b64 s[86:87], s[96:97]
	s_mov_b64 s[98:99], s[30:31]
	s_mov_b32 s97, s28
	s_mov_b32 s96, s23
	s_swappc_b64 s[30:31], s[4:5]
	v_readlane_b32 s36, v50, 0
	v_readlane_b32 s40, v50, 4
	v_mul_lo_u32 v2, v47, s40
	v_readlane_b32 s37, v50, 1
	v_mov_b32_e32 v5, s37
	s_and_b32 s12, s96, 0xff
	v_ashrrev_i32_e32 v3, 31, v2
	v_add_co_u32_e32 v4, vcc, s36, v2
	s_mov_b32 s23, s96
	v_readlane_b32 s38, v50, 2
	v_readlane_b32 s39, v50, 3
	;; [unrolled: 1-line block ×5, first 2 shown]
	s_cmp_lt_i32 s12, 11
	v_addc_co_u32_e32 v5, vcc, v5, v3, vcc
	s_cbranch_scc1 .LBB85_655
; %bb.648:
	s_and_b32 s13, 0xffff, s12
	s_cmp_gt_i32 s13, 25
	s_cbranch_scc0 .LBB85_656
; %bb.649:
	v_readlane_b32 s44, v50, 16
	s_cmp_gt_i32 s13, 28
	s_mov_b64 s[26:27], 0
	s_mov_b32 s28, s97
	s_mov_b64 s[30:31], s[98:99]
	s_mov_b64 s[96:97], s[86:87]
	v_readlane_b32 s45, v50, 17
	s_cbranch_scc0 .LBB85_657
; %bb.650:
	s_cmp_gt_i32 s13, 43
	s_cbranch_scc0 .LBB85_658
; %bb.651:
	s_cmp_gt_i32 s13, 45
	s_cbranch_scc0 .LBB85_659
; %bb.652:
	s_mov_b64 s[8:9], 0
	s_mov_b64 s[4:5], -1
	s_cmp_eq_u32 s13, 46
	s_mov_b64 s[6:7], 0
	s_cbranch_scc0 .LBB85_660
; %bb.653:
	v_cvt_f32_f64_e32 v2, v[0:1]
	s_movk_i32 s4, 0x7fff
	v_mov_b32_e32 v3, 0x7fc0
	s_mov_b64 s[6:7], -1
	v_bfe_u32 v6, v2, 16, 1
	v_cmp_o_f32_e32 vcc, v2, v2
	v_add3_u32 v2, v2, v6, s4
	v_cndmask_b32_sdwa v2, v3, v2, vcc dst_sel:DWORD dst_unused:UNUSED_PAD src0_sel:DWORD src1_sel:WORD_1
	global_store_dword v[4:5], v2, off
	s_mov_b64 s[4:5], 0
	s_branch .LBB85_660
.LBB85_654:
	v_readlane_b32 s6, v50, 12
	v_readlane_b32 s7, v50, 13
	s_mov_b64 s[8:9], 0
	s_mov_b64 s[4:5], s[6:7]
                                        ; implicit-def: $vgpr47
	s_branch .LBB85_772
.LBB85_655:
	v_readlane_b32 s4, v50, 12
	v_readlane_b32 s44, v50, 16
	s_mov_b64 s[8:9], -1
	s_mov_b64 s[6:7], 0
	v_readlane_b32 s5, v50, 13
	s_mov_b64 s[26:27], 0
	s_mov_b32 s28, s97
	s_mov_b64 s[30:31], s[98:99]
	s_mov_b64 s[96:97], s[86:87]
	v_readlane_b32 s45, v50, 17
	s_branch .LBB85_729
.LBB85_656:
	v_readlane_b32 s4, v50, 12
	v_readlane_b32 s44, v50, 16
	s_mov_b64 s[8:9], -1
	s_mov_b64 s[6:7], 0
	v_readlane_b32 s5, v50, 13
	s_mov_b64 s[26:27], 0
	s_mov_b32 s28, s97
	s_mov_b64 s[30:31], s[98:99]
	s_mov_b64 s[96:97], s[86:87]
	v_readlane_b32 s45, v50, 17
	s_branch .LBB85_687
.LBB85_657:
	v_readlane_b32 s4, v50, 12
	s_mov_b64 s[8:9], -1
	s_mov_b64 s[6:7], 0
	v_readlane_b32 s5, v50, 13
	s_branch .LBB85_670
.LBB85_658:
	v_readlane_b32 s4, v50, 12
	s_mov_b64 s[8:9], -1
	s_mov_b64 s[6:7], 0
	v_readlane_b32 s5, v50, 13
	s_branch .LBB85_666
.LBB85_659:
	v_readlane_b32 s4, v50, 12
	s_mov_b64 s[8:9], -1
	s_mov_b64 s[6:7], 0
	v_readlane_b32 s5, v50, 13
.LBB85_660:
	s_and_b64 vcc, exec, s[8:9]
	s_cbranch_vccz .LBB85_665
; %bb.661:
	s_cmp_eq_u32 s13, 44
	s_mov_b64 s[4:5], -1
	s_cbranch_scc0 .LBB85_665
; %bb.662:
	v_cvt_f32_f64_e32 v2, v[0:1]
	s_movk_i32 s4, 0xff
	v_mov_b32_e32 v6, 0xff
	v_bfe_u32 v3, v2, 23, 8
	v_cmp_ne_u32_e32 vcc, s4, v3
	s_and_saveexec_b64 s[6:7], vcc
; %bb.663:
	s_mov_b32 s4, 0x3fffff
	v_lshrrev_b32_e32 v6, 23, v2
	v_and_b32_e32 v7, 0x400000, v2
	v_and_or_b32 v2, v2, s4, v3
	v_cmp_ne_u32_e32 vcc, 0, v7
	v_cmp_ne_u32_e64 s[4:5], 0, v2
	s_and_b64 s[4:5], vcc, s[4:5]
	v_cndmask_b32_e64 v2, 0, 1, s[4:5]
	v_add_u32_e32 v6, v6, v2
; %bb.664:
	s_or_b64 exec, exec, s[6:7]
	s_mov_b64 s[6:7], -1
	s_mov_b64 s[4:5], 0
	global_store_byte v[4:5], v6, off
.LBB85_665:
	s_mov_b64 s[8:9], 0
.LBB85_666:
	s_and_b64 vcc, exec, s[8:9]
	s_cbranch_vccz .LBB85_669
; %bb.667:
	s_cmp_eq_u32 s13, 29
	s_mov_b64 s[4:5], -1
	s_cbranch_scc0 .LBB85_669
; %bb.668:
	v_trunc_f64_e32 v[2:3], v[0:1]
	s_movk_i32 s4, 0xffe0
	s_mov_b64 s[6:7], -1
	s_mov_b64 s[8:9], 0
	v_ldexp_f64 v[6:7], v[2:3], s4
	s_mov_b32 s4, 0
	s_mov_b32 s5, 0xc1f00000
	v_floor_f64_e32 v[6:7], v[6:7]
	v_fma_f64 v[2:3], v[6:7], s[4:5], v[2:3]
	v_cvt_u32_f64_e32 v7, v[6:7]
	s_mov_b64 s[4:5], 0
	v_cvt_u32_f64_e32 v6, v[2:3]
	global_store_dwordx2 v[4:5], v[6:7], off
	s_branch .LBB85_670
.LBB85_669:
	s_mov_b64 s[8:9], 0
.LBB85_670:
	s_and_b64 vcc, exec, s[8:9]
	s_cbranch_vccz .LBB85_686
; %bb.671:
	s_cmp_lt_i32 s13, 27
	s_mov_b64 s[6:7], -1
	s_cbranch_scc1 .LBB85_677
; %bb.672:
	v_cvt_u32_f64_e32 v2, v[0:1]
	s_cmp_gt_i32 s13, 27
	s_cbranch_scc0 .LBB85_674
; %bb.673:
	s_mov_b64 s[6:7], 0
	global_store_dword v[4:5], v2, off
.LBB85_674:
	s_andn2_b64 vcc, exec, s[6:7]
	s_cbranch_vccnz .LBB85_676
; %bb.675:
	global_store_short v[4:5], v2, off
.LBB85_676:
	s_mov_b64 s[6:7], 0
.LBB85_677:
	s_andn2_b64 vcc, exec, s[6:7]
	s_cbranch_vccnz .LBB85_685
; %bb.678:
	v_cvt_f32_f64_e32 v2, v[0:1]
	s_mov_b32 s6, 0x43800000
	v_mov_b32_e32 v6, 0x80
	v_and_b32_e32 v3, 0x7fffffff, v2
	v_cmp_gt_u32_e32 vcc, s6, v3
	s_and_saveexec_b64 s[6:7], vcc
	s_cbranch_execz .LBB85_684
; %bb.679:
	s_mov_b32 s8, 0x3bffffff
	v_cmp_lt_u32_e32 vcc, s8, v3
	s_mov_b64 s[8:9], 0
                                        ; implicit-def: $vgpr3
	s_and_saveexec_b64 s[10:11], vcc
	s_xor_b64 s[10:11], exec, s[10:11]
	s_cbranch_execz .LBB85_786
; %bb.680:
	v_bfe_u32 v3, v2, 20, 1
	s_mov_b32 s14, 0x487ffff
	v_add3_u32 v3, v2, v3, s14
	s_mov_b64 s[8:9], exec
	v_lshrrev_b32_e32 v3, 20, v3
	s_andn2_saveexec_b64 s[10:11], s[10:11]
	s_cbranch_execnz .LBB85_787
.LBB85_681:
	s_or_b64 exec, exec, s[10:11]
	v_mov_b32_e32 v6, 0
	s_and_saveexec_b64 s[10:11], s[8:9]
.LBB85_682:
	v_lshrrev_b32_e32 v2, 24, v2
	s_movk_i32 s8, 0x80
	v_and_or_b32 v6, v2, s8, v3
.LBB85_683:
	s_or_b64 exec, exec, s[10:11]
.LBB85_684:
	s_or_b64 exec, exec, s[6:7]
	global_store_byte v[4:5], v6, off
.LBB85_685:
	s_mov_b64 s[6:7], -1
.LBB85_686:
	s_mov_b64 s[8:9], 0
.LBB85_687:
	s_and_b64 vcc, exec, s[8:9]
	s_cbranch_vccz .LBB85_728
; %bb.688:
	s_cmp_gt_i32 s13, 22
	s_mov_b64 s[8:9], -1
	s_cbranch_scc0 .LBB85_720
; %bb.689:
	s_cmp_lt_i32 s13, 24
	s_mov_b64 s[6:7], -1
	s_cbranch_scc1 .LBB85_709
; %bb.690:
	s_cmp_gt_i32 s13, 24
	s_cbranch_scc0 .LBB85_698
; %bb.691:
	v_cvt_f32_f64_e32 v2, v[0:1]
	s_mov_b32 s6, 0x47800000
	v_mov_b32_e32 v6, 0x80
	v_and_b32_e32 v3, 0x7fffffff, v2
	v_cmp_gt_u32_e32 vcc, s6, v3
	s_and_saveexec_b64 s[6:7], vcc
	s_cbranch_execz .LBB85_697
; %bb.692:
	s_mov_b32 s8, 0x37ffffff
	v_cmp_lt_u32_e32 vcc, s8, v3
	s_mov_b64 s[8:9], 0
                                        ; implicit-def: $vgpr3
	s_and_saveexec_b64 s[10:11], vcc
	s_xor_b64 s[10:11], exec, s[10:11]
	s_cbranch_execz .LBB85_789
; %bb.693:
	v_bfe_u32 v3, v2, 21, 1
	s_mov_b32 s14, 0x88fffff
	v_add3_u32 v3, v2, v3, s14
	s_mov_b64 s[8:9], exec
	v_lshrrev_b32_e32 v3, 21, v3
	s_andn2_saveexec_b64 s[10:11], s[10:11]
	s_cbranch_execnz .LBB85_790
.LBB85_694:
	s_or_b64 exec, exec, s[10:11]
	v_mov_b32_e32 v6, 0
	s_and_saveexec_b64 s[10:11], s[8:9]
.LBB85_695:
	v_lshrrev_b32_e32 v2, 24, v2
	s_movk_i32 s8, 0x80
	v_and_or_b32 v6, v2, s8, v3
.LBB85_696:
	s_or_b64 exec, exec, s[10:11]
.LBB85_697:
	s_or_b64 exec, exec, s[6:7]
	s_mov_b64 s[6:7], 0
	global_store_byte v[4:5], v6, off
.LBB85_698:
	s_and_b64 vcc, exec, s[6:7]
	s_cbranch_vccz .LBB85_708
; %bb.699:
	v_cvt_f32_f64_e32 v2, v[0:1]
	s_mov_b32 s6, 0x43f00000
                                        ; implicit-def: $vgpr3
	v_and_b32_e32 v6, 0x7fffffff, v2
	v_cmp_gt_u32_e32 vcc, s6, v6
	s_and_saveexec_b64 s[6:7], vcc
	s_xor_b64 s[6:7], exec, s[6:7]
	s_cbranch_execz .LBB85_705
; %bb.700:
	s_mov_b32 s8, 0x3c7fffff
	v_cmp_lt_u32_e32 vcc, s8, v6
                                        ; implicit-def: $vgpr3
	s_and_saveexec_b64 s[8:9], vcc
	s_xor_b64 s[8:9], exec, s[8:9]
; %bb.701:
	v_bfe_u32 v3, v2, 20, 1
	s_mov_b32 s10, 0x407ffff
	v_add3_u32 v3, v2, v3, s10
	v_lshrrev_b32_e32 v6, 20, v3
	v_and_b32_e32 v3, 0xff00000, v3
	s_mov_b32 s10, 0x7f00000
	v_mov_b32_e32 v7, 0x7e
	v_cmp_ne_u32_e32 vcc, s10, v3
	v_cndmask_b32_e32 v3, v7, v6, vcc
; %bb.702:
	s_andn2_saveexec_b64 s[8:9], s[8:9]
; %bb.703:
	s_mov_b32 s10, 0x46800000
	v_add_f32_e64 v3, |v2|, s10
; %bb.704:
	s_or_b64 exec, exec, s[8:9]
                                        ; implicit-def: $vgpr6
.LBB85_705:
	s_andn2_saveexec_b64 s[6:7], s[6:7]
; %bb.706:
	s_mov_b32 s8, 0x7f800000
	v_mov_b32_e32 v3, 0x7e
	v_mov_b32_e32 v7, 0x7f
	v_cmp_lt_u32_e32 vcc, s8, v6
	v_cndmask_b32_e32 v3, v3, v7, vcc
; %bb.707:
	s_or_b64 exec, exec, s[6:7]
	v_lshrrev_b32_e32 v2, 24, v2
	s_movk_i32 s6, 0x80
	v_and_or_b32 v2, v2, s6, v3
	global_store_byte v[4:5], v2, off
.LBB85_708:
	s_mov_b64 s[6:7], 0
.LBB85_709:
	s_andn2_b64 vcc, exec, s[6:7]
	s_cbranch_vccnz .LBB85_719
; %bb.710:
	v_cvt_f32_f64_e32 v2, v[0:1]
	s_mov_b32 s6, 0x47800000
                                        ; implicit-def: $vgpr3
	v_and_b32_e32 v6, 0x7fffffff, v2
	v_cmp_gt_u32_e32 vcc, s6, v6
	s_and_saveexec_b64 s[6:7], vcc
	s_xor_b64 s[6:7], exec, s[6:7]
	s_cbranch_execz .LBB85_716
; %bb.711:
	s_mov_b32 s8, 0x387fffff
	v_cmp_lt_u32_e32 vcc, s8, v6
                                        ; implicit-def: $vgpr3
	s_and_saveexec_b64 s[8:9], vcc
	s_xor_b64 s[8:9], exec, s[8:9]
; %bb.712:
	v_bfe_u32 v3, v2, 21, 1
	s_mov_b32 s10, 0x80fffff
	v_add3_u32 v3, v2, v3, s10
	v_lshrrev_b32_e32 v3, 21, v3
; %bb.713:
	s_andn2_saveexec_b64 s[8:9], s[8:9]
; %bb.714:
	s_mov_b32 s10, 0x43000000
	v_add_f32_e64 v3, |v2|, s10
; %bb.715:
	s_or_b64 exec, exec, s[8:9]
                                        ; implicit-def: $vgpr6
.LBB85_716:
	s_andn2_saveexec_b64 s[6:7], s[6:7]
; %bb.717:
	s_mov_b32 s8, 0x7f800000
	v_mov_b32_e32 v3, 0x7c
	v_mov_b32_e32 v7, 0x7f
	v_cmp_lt_u32_e32 vcc, s8, v6
	v_cndmask_b32_e32 v3, v3, v7, vcc
; %bb.718:
	s_or_b64 exec, exec, s[6:7]
	v_lshrrev_b32_e32 v2, 24, v2
	s_movk_i32 s6, 0x80
	v_and_or_b32 v2, v2, s6, v3
	global_store_byte v[4:5], v2, off
.LBB85_719:
	s_mov_b64 s[8:9], 0
	s_mov_b64 s[6:7], -1
.LBB85_720:
	s_andn2_b64 vcc, exec, s[8:9]
	s_cbranch_vccnz .LBB85_728
; %bb.721:
	s_cmp_gt_i32 s13, 14
	s_mov_b64 s[8:9], -1
	s_cbranch_scc0 .LBB85_725
; %bb.722:
	s_cmp_eq_u32 s13, 15
	s_mov_b64 s[4:5], -1
	s_cbranch_scc0 .LBB85_724
; %bb.723:
	v_cvt_f32_f64_e32 v2, v[0:1]
	s_movk_i32 s4, 0x7fff
	v_mov_b32_e32 v3, 0x7fc0
	s_mov_b64 s[6:7], -1
	v_bfe_u32 v6, v2, 16, 1
	v_cmp_o_f32_e32 vcc, v2, v2
	v_add3_u32 v2, v2, v6, s4
	v_cndmask_b32_sdwa v2, v3, v2, vcc dst_sel:DWORD dst_unused:UNUSED_PAD src0_sel:DWORD src1_sel:WORD_1
	global_store_short v[4:5], v2, off
	s_mov_b64 s[4:5], 0
.LBB85_724:
	s_mov_b64 s[8:9], 0
.LBB85_725:
	s_and_b64 vcc, exec, s[8:9]
	s_cbranch_vccz .LBB85_728
; %bb.726:
	s_cmp_eq_u32 s13, 11
	s_mov_b64 s[4:5], -1
	s_cbranch_scc0 .LBB85_728
; %bb.727:
	v_cmp_neq_f64_e32 vcc, 0, v[0:1]
	s_mov_b64 s[4:5], 0
	s_mov_b64 s[6:7], -1
	v_cndmask_b32_e64 v2, 0, 1, vcc
	global_store_byte v[4:5], v2, off
.LBB85_728:
	s_mov_b64 s[8:9], 0
.LBB85_729:
	s_and_b64 vcc, exec, s[8:9]
	s_cbranch_vccz .LBB85_768
; %bb.730:
	s_and_b32 s8, 0xffff, s12
	s_cmp_lt_i32 s8, 5
	s_mov_b64 s[6:7], -1
	s_cbranch_scc1 .LBB85_751
; %bb.731:
	s_cmp_lt_i32 s8, 8
	s_cbranch_scc1 .LBB85_741
; %bb.732:
	s_cmp_lt_i32 s8, 9
	s_cbranch_scc1 .LBB85_738
; %bb.733:
	s_cmp_gt_i32 s8, 9
	s_cbranch_scc0 .LBB85_735
; %bb.734:
	v_mov_b32_e32 v2, 0
	v_mov_b32_e32 v3, v2
	s_mov_b64 s[6:7], 0
	global_store_dwordx4 v[4:5], v[0:3], off
.LBB85_735:
	s_andn2_b64 vcc, exec, s[6:7]
	s_cbranch_vccnz .LBB85_737
; %bb.736:
	v_cvt_f32_f64_e32 v2, v[0:1]
	v_mov_b32_e32 v3, 0
	global_store_dwordx2 v[4:5], v[2:3], off
.LBB85_737:
	s_mov_b64 s[6:7], 0
.LBB85_738:
	s_andn2_b64 vcc, exec, s[6:7]
	s_cbranch_vccnz .LBB85_740
; %bb.739:
	s_movk_i32 s6, 0x1ff
	v_and_or_b32 v2, v1, s6, v0
	v_cmp_ne_u32_e32 vcc, 0, v2
	v_cndmask_b32_e64 v2, 0, 1, vcc
	v_lshrrev_b32_e32 v3, 8, v1
	s_movk_i32 s6, 0xffe
	v_bfe_u32 v6, v1, 20, 11
	v_and_or_b32 v2, v3, s6, v2
	v_sub_u32_e32 v7, 0x3f1, v6
	v_or_b32_e32 v3, 0x1000, v2
	v_med3_i32 v7, v7, 0, 13
	v_lshrrev_b32_e32 v8, v7, v3
	v_lshlrev_b32_e32 v7, v7, v8
	v_cmp_ne_u32_e32 vcc, v7, v3
	v_cndmask_b32_e64 v3, 0, 1, vcc
	v_add_u32_e32 v6, 0xfffffc10, v6
	v_or_b32_e32 v3, v8, v3
	v_lshl_or_b32 v7, v6, 12, v2
	v_cmp_gt_i32_e32 vcc, 1, v6
	v_cndmask_b32_e32 v3, v7, v3, vcc
	v_and_b32_e32 v7, 7, v3
	v_cmp_lt_i32_e32 vcc, 5, v7
	v_cndmask_b32_e64 v8, 0, 1, vcc
	v_cmp_eq_u32_e32 vcc, 3, v7
	v_cndmask_b32_e64 v7, 0, 1, vcc
	v_or_b32_e32 v7, v7, v8
	v_lshrrev_b32_e32 v3, 2, v3
	v_add_u32_e32 v3, v3, v7
	v_mov_b32_e32 v7, 0x7c00
	v_cmp_gt_i32_e32 vcc, 31, v6
	v_cndmask_b32_e32 v3, v7, v3, vcc
	v_mov_b32_e32 v8, 0x7e00
	v_cmp_ne_u32_e32 vcc, 0, v2
	s_movk_i32 s6, 0x40f
	v_cndmask_b32_e32 v2, v7, v8, vcc
	v_cmp_eq_u32_e32 vcc, s6, v6
	v_cndmask_b32_e32 v2, v3, v2, vcc
	v_lshrrev_b32_e32 v3, 16, v1
	s_mov_b32 s6, 0x8000
	v_and_or_b32 v2, v3, s6, v2
	v_and_b32_e32 v2, 0xffff, v2
	global_store_dword v[4:5], v2, off
.LBB85_740:
	s_mov_b64 s[6:7], 0
.LBB85_741:
	s_andn2_b64 vcc, exec, s[6:7]
	s_cbranch_vccnz .LBB85_750
; %bb.742:
	s_cmp_lt_i32 s8, 6
	s_mov_b64 s[6:7], -1
	s_cbranch_scc1 .LBB85_748
; %bb.743:
	s_cmp_gt_i32 s8, 6
	s_cbranch_scc0 .LBB85_745
; %bb.744:
	s_mov_b64 s[6:7], 0
	global_store_dwordx2 v[4:5], v[0:1], off
.LBB85_745:
	s_andn2_b64 vcc, exec, s[6:7]
	s_cbranch_vccnz .LBB85_747
; %bb.746:
	v_cvt_f32_f64_e32 v2, v[0:1]
	global_store_dword v[4:5], v2, off
.LBB85_747:
	s_mov_b64 s[6:7], 0
.LBB85_748:
	s_andn2_b64 vcc, exec, s[6:7]
	s_cbranch_vccnz .LBB85_750
; %bb.749:
	s_movk_i32 s6, 0x1ff
	v_and_or_b32 v2, v1, s6, v0
	v_cmp_ne_u32_e32 vcc, 0, v2
	v_cndmask_b32_e64 v2, 0, 1, vcc
	v_lshrrev_b32_e32 v3, 8, v1
	s_movk_i32 s6, 0xffe
	v_bfe_u32 v6, v1, 20, 11
	v_and_or_b32 v2, v3, s6, v2
	v_sub_u32_e32 v7, 0x3f1, v6
	v_or_b32_e32 v3, 0x1000, v2
	v_med3_i32 v7, v7, 0, 13
	v_lshrrev_b32_e32 v8, v7, v3
	v_lshlrev_b32_e32 v7, v7, v8
	v_cmp_ne_u32_e32 vcc, v7, v3
	v_cndmask_b32_e64 v3, 0, 1, vcc
	v_add_u32_e32 v6, 0xfffffc10, v6
	v_or_b32_e32 v3, v8, v3
	v_lshl_or_b32 v7, v6, 12, v2
	v_cmp_gt_i32_e32 vcc, 1, v6
	v_cndmask_b32_e32 v3, v7, v3, vcc
	v_and_b32_e32 v7, 7, v3
	v_cmp_lt_i32_e32 vcc, 5, v7
	v_cndmask_b32_e64 v8, 0, 1, vcc
	v_cmp_eq_u32_e32 vcc, 3, v7
	v_cndmask_b32_e64 v7, 0, 1, vcc
	v_or_b32_e32 v7, v7, v8
	v_lshrrev_b32_e32 v3, 2, v3
	v_add_u32_e32 v3, v3, v7
	v_mov_b32_e32 v7, 0x7c00
	v_cmp_gt_i32_e32 vcc, 31, v6
	v_cndmask_b32_e32 v3, v7, v3, vcc
	v_mov_b32_e32 v8, 0x7e00
	v_cmp_ne_u32_e32 vcc, 0, v2
	s_movk_i32 s6, 0x40f
	v_cndmask_b32_e32 v2, v7, v8, vcc
	v_cmp_eq_u32_e32 vcc, s6, v6
	v_cndmask_b32_e32 v2, v3, v2, vcc
	v_lshrrev_b32_e32 v3, 16, v1
	s_mov_b32 s6, 0x8000
	v_and_or_b32 v2, v3, s6, v2
	global_store_short v[4:5], v2, off
.LBB85_750:
	s_mov_b64 s[6:7], 0
.LBB85_751:
	s_andn2_b64 vcc, exec, s[6:7]
	s_cbranch_vccnz .LBB85_767
; %bb.752:
	s_cmp_lt_i32 s8, 2
	s_mov_b64 s[6:7], -1
	s_cbranch_scc1 .LBB85_762
; %bb.753:
	s_cmp_lt_i32 s8, 3
	s_cbranch_scc1 .LBB85_759
; %bb.754:
	s_cmp_gt_i32 s8, 3
	s_cbranch_scc0 .LBB85_756
; %bb.755:
	v_trunc_f64_e32 v[2:3], v[0:1]
	s_movk_i32 s6, 0xffe0
	v_ldexp_f64 v[6:7], v[2:3], s6
	s_mov_b32 s6, 0
	s_mov_b32 s7, 0xc1f00000
	v_floor_f64_e32 v[6:7], v[6:7]
	v_fma_f64 v[2:3], v[6:7], s[6:7], v[2:3]
	v_cvt_i32_f64_e32 v7, v[6:7]
	s_mov_b64 s[6:7], 0
	v_cvt_u32_f64_e32 v6, v[2:3]
	global_store_dwordx2 v[4:5], v[6:7], off
.LBB85_756:
	s_andn2_b64 vcc, exec, s[6:7]
	s_cbranch_vccnz .LBB85_758
; %bb.757:
	v_cvt_i32_f64_e32 v2, v[0:1]
	global_store_dword v[4:5], v2, off
.LBB85_758:
	s_mov_b64 s[6:7], 0
.LBB85_759:
	s_andn2_b64 vcc, exec, s[6:7]
	s_cbranch_vccnz .LBB85_761
; %bb.760:
	v_cvt_i32_f64_e32 v2, v[0:1]
	global_store_short v[4:5], v2, off
.LBB85_761:
	s_mov_b64 s[6:7], 0
.LBB85_762:
	s_andn2_b64 vcc, exec, s[6:7]
	s_cbranch_vccnz .LBB85_767
; %bb.763:
	s_cmp_gt_i32 s8, 0
	s_mov_b64 s[6:7], -1
	s_cbranch_scc0 .LBB85_765
; %bb.764:
	v_cvt_i32_f64_e32 v2, v[0:1]
	s_mov_b64 s[6:7], 0
	global_store_byte v[4:5], v2, off
.LBB85_765:
	s_andn2_b64 vcc, exec, s[6:7]
	s_cbranch_vccnz .LBB85_767
; %bb.766:
	v_trunc_f64_e32 v[0:1], v[0:1]
	s_movk_i32 s6, 0xffe0
	v_ldexp_f64 v[2:3], v[0:1], s6
	s_mov_b32 s6, 0
	s_mov_b32 s7, 0xc1f00000
	v_floor_f64_e32 v[2:3], v[2:3]
	v_fma_f64 v[0:1], v[2:3], s[6:7], v[0:1]
	v_cvt_u32_f64_e32 v0, v[0:1]
	global_store_byte v[4:5], v0, off
.LBB85_767:
	s_mov_b64 s[6:7], -1
.LBB85_768:
	s_andn2_b64 vcc, exec, s[6:7]
	s_cbranch_vccnz .LBB85_770
; %bb.769:
	v_add_u32_e32 v47, 0x80, v47
	s_mov_b64 s[8:9], -1
	s_branch .LBB85_771
.LBB85_770:
	s_mov_b64 s[8:9], 0
                                        ; implicit-def: $vgpr47
.LBB85_771:
	v_readlane_b32 s6, v50, 12
	v_readlane_b32 s7, v50, 13
.LBB85_772:
	s_andn2_b64 s[6:7], s[6:7], exec
	s_and_b64 s[4:5], s[4:5], exec
	s_or_b64 s[6:7], s[6:7], s[4:5]
	v_readlane_b32 s4, v50, 8
	v_readlane_b32 s10, v50, 20
	;; [unrolled: 1-line block ×4, first 2 shown]
	s_andn2_b64 s[4:5], s[4:5], exec
	s_and_b64 s[10:11], s[10:11], exec
	s_or_b64 s[4:5], s[4:5], s[10:11]
	v_readlane_b32 s10, v50, 18
	s_orn2_b64 s[14:15], s[8:9], exec
	v_readlane_b32 s11, v50, 19
.LBB85_773:
	s_or_b64 exec, exec, s[10:11]
	s_mov_b64 s[12:13], 0
	s_mov_b64 s[16:17], 0
	;; [unrolled: 1-line block ×3, first 2 shown]
                                        ; implicit-def: $vgpr0_vgpr1
                                        ; implicit-def: $vgpr2_vgpr3
	s_and_saveexec_b64 s[8:9], s[14:15]
	v_readlane_b32 s18, v50, 10
	v_readlane_b32 s20, v50, 14
	;; [unrolled: 1-line block ×4, first 2 shown]
	s_cbranch_execz .LBB85_858
; %bb.774:
	v_cmp_gt_i32_e32 vcc, s33, v47
	s_mov_b64 s[14:15], 0
	s_mov_b64 s[18:19], s[4:5]
	;; [unrolled: 1-line block ×3, first 2 shown]
                                        ; implicit-def: $vgpr0_vgpr1
                                        ; implicit-def: $vgpr2_vgpr3
	s_and_saveexec_b64 s[10:11], vcc
	s_cbranch_execz .LBB85_857
; %bb.775:
	v_mul_lo_u32 v0, v47, s41
	v_mov_b32_e32 v1, s39
	s_and_b32 s22, 0xffff, s28
	s_cmp_lt_i32 s22, 11
	s_waitcnt vmcnt(0)
	v_ashrrev_i32_e32 v2, 31, v0
	v_add_co_u32_e32 v0, vcc, s38, v0
	v_addc_co_u32_e32 v1, vcc, v1, v2, vcc
	s_cbranch_scc1 .LBB85_782
; %bb.776:
	s_cmp_gt_i32 s22, 25
	s_cbranch_scc0 .LBB85_783
; %bb.777:
	s_cmp_gt_i32 s22, 28
	s_cbranch_scc0 .LBB85_784
	;; [unrolled: 3-line block ×4, first 2 shown]
; %bb.780:
	s_cmp_eq_u32 s22, 46
	s_mov_b64 s[18:19], 0
	s_cbranch_scc0 .LBB85_791
; %bb.781:
	global_load_dword v2, v[0:1], off
	s_mov_b64 s[16:17], -1
	s_waitcnt vmcnt(0)
	v_lshlrev_b32_e32 v2, 16, v2
	v_cvt_f64_f32_e32 v[2:3], v2
	s_branch .LBB85_793
.LBB85_782:
	s_mov_b64 s[18:19], -1
                                        ; implicit-def: $vgpr2_vgpr3
	s_mov_b64 s[12:13], s[4:5]
	s_branch .LBB85_856
.LBB85_783:
	s_mov_b64 s[18:19], -1
	s_mov_b64 s[12:13], s[4:5]
                                        ; implicit-def: $vgpr2_vgpr3
	s_branch .LBB85_824
.LBB85_784:
	s_mov_b64 s[18:19], -1
	s_mov_b64 s[12:13], s[4:5]
                                        ; implicit-def: $vgpr2_vgpr3
	s_branch .LBB85_803
.LBB85_785:
	s_mov_b64 s[18:19], -1
	s_mov_b64 s[12:13], s[4:5]
                                        ; implicit-def: $vgpr2_vgpr3
	s_branch .LBB85_798
.LBB85_786:
	s_andn2_saveexec_b64 s[10:11], s[10:11]
	s_cbranch_execz .LBB85_681
.LBB85_787:
	s_mov_b32 s14, 0x46000000
	v_add_f32_e64 v3, |v2|, s14
	v_and_b32_e32 v3, 0xff, v3
	v_cmp_ne_u32_e32 vcc, 0, v3
	s_andn2_b64 s[8:9], s[8:9], exec
	s_and_b64 s[14:15], vcc, exec
	s_or_b64 s[8:9], s[8:9], s[14:15]
	s_or_b64 exec, exec, s[10:11]
	v_mov_b32_e32 v6, 0
	s_and_saveexec_b64 s[10:11], s[8:9]
	s_cbranch_execnz .LBB85_682
	s_branch .LBB85_683
.LBB85_788:
	s_mov_b64 s[18:19], -1
	s_mov_b64 s[12:13], s[4:5]
	s_branch .LBB85_792
.LBB85_789:
	s_andn2_saveexec_b64 s[10:11], s[10:11]
	s_cbranch_execz .LBB85_694
.LBB85_790:
	s_mov_b32 s14, 0x42800000
	v_add_f32_e64 v3, |v2|, s14
	v_and_b32_e32 v3, 0xff, v3
	v_cmp_ne_u32_e32 vcc, 0, v3
	s_andn2_b64 s[8:9], s[8:9], exec
	s_and_b64 s[14:15], vcc, exec
	s_or_b64 s[8:9], s[8:9], s[14:15]
	s_or_b64 exec, exec, s[10:11]
	v_mov_b32_e32 v6, 0
	s_and_saveexec_b64 s[10:11], s[8:9]
	s_cbranch_execnz .LBB85_695
	s_branch .LBB85_696
.LBB85_791:
	s_mov_b64 s[12:13], -1
.LBB85_792:
                                        ; implicit-def: $vgpr2_vgpr3
.LBB85_793:
	s_and_b64 vcc, exec, s[18:19]
	s_cbranch_vccz .LBB85_797
; %bb.794:
	s_cmp_eq_u32 s22, 44
	s_cbranch_scc0 .LBB85_796
; %bb.795:
	global_load_ubyte v4, v[0:1], off
	s_movk_i32 s16, 0xff
	v_bfrev_b32_e32 v5, 4
	v_mov_b32_e32 v6, 0x7ff80000
	v_bfrev_b32_e32 v7, 28
	s_mov_b64 s[12:13], 0
	s_waitcnt vmcnt(0)
	v_lshlrev_b32_e32 v2, 23, v4
	v_cvt_f64_f32_e32 v[2:3], v2
	v_cmp_ne_u32_e32 vcc, s16, v4
	s_mov_b64 s[16:17], -1
	v_cndmask_b32_e32 v2, v5, v2, vcc
	v_cndmask_b32_e32 v3, v6, v3, vcc
	v_cmp_ne_u32_e32 vcc, 0, v4
	v_cndmask_b32_e32 v3, v7, v3, vcc
	v_cndmask_b32_e32 v2, 0, v2, vcc
	s_branch .LBB85_797
.LBB85_796:
	s_mov_b64 s[12:13], -1
                                        ; implicit-def: $vgpr2_vgpr3
.LBB85_797:
	s_mov_b64 s[18:19], 0
.LBB85_798:
	s_and_b64 vcc, exec, s[18:19]
	s_cbranch_vccz .LBB85_802
; %bb.799:
	s_cmp_eq_u32 s22, 29
	s_cbranch_scc0 .LBB85_801
; %bb.800:
	global_load_dwordx2 v[2:3], v[0:1], off
	s_mov_b64 s[12:13], 0
	s_mov_b64 s[16:17], -1
	s_mov_b64 s[18:19], 0
	s_waitcnt vmcnt(0)
	v_cvt_f64_u32_e32 v[3:4], v3
	v_cvt_f64_u32_e32 v[5:6], v2
	v_ldexp_f64 v[3:4], v[3:4], 32
	v_add_f64 v[2:3], v[3:4], v[5:6]
	s_branch .LBB85_803
.LBB85_801:
	s_mov_b64 s[12:13], -1
                                        ; implicit-def: $vgpr2_vgpr3
.LBB85_802:
	s_mov_b64 s[18:19], 0
.LBB85_803:
	s_and_b64 vcc, exec, s[18:19]
	s_cbranch_vccz .LBB85_823
; %bb.804:
	s_cmp_lt_i32 s22, 27
	s_cbranch_scc1 .LBB85_807
; %bb.805:
	s_cmp_gt_i32 s22, 27
	s_cbranch_scc0 .LBB85_808
; %bb.806:
	global_load_dword v2, v[0:1], off
	s_mov_b64 s[16:17], 0
	s_waitcnt vmcnt(0)
	v_cvt_f64_u32_e32 v[2:3], v2
	s_branch .LBB85_809
.LBB85_807:
	s_mov_b64 s[16:17], -1
                                        ; implicit-def: $vgpr2_vgpr3
	s_branch .LBB85_812
.LBB85_808:
	s_mov_b64 s[16:17], -1
                                        ; implicit-def: $vgpr2_vgpr3
.LBB85_809:
	s_andn2_b64 vcc, exec, s[16:17]
	s_cbranch_vccnz .LBB85_811
; %bb.810:
	global_load_ushort v2, v[0:1], off
	s_waitcnt vmcnt(0)
	v_cvt_f64_u32_e32 v[2:3], v2
.LBB85_811:
	s_mov_b64 s[16:17], 0
.LBB85_812:
	s_andn2_b64 vcc, exec, s[16:17]
	s_cbranch_vccnz .LBB85_822
; %bb.813:
	global_load_ubyte v4, v[0:1], off
	s_movk_i32 s16, 0x7f
	s_waitcnt vmcnt(0)
	v_cmp_lt_i16_e32 vcc, s16, v4
	s_mov_b64 s[16:17], 0
	s_and_saveexec_b64 s[18:19], vcc
	s_xor_b64 s[18:19], exec, s[18:19]
	s_cbranch_execz .LBB85_817
; %bb.814:
	s_movk_i32 s16, 0x80
	v_cmp_eq_u16_e32 vcc, s16, v4
	s_mov_b64 s[16:17], -1
	s_and_saveexec_b64 s[20:21], vcc
; %bb.815:
	s_xor_b64 s[16:17], exec, -1
; %bb.816:
	s_or_b64 exec, exec, s[20:21]
	s_and_b64 s[16:17], s[16:17], exec
.LBB85_817:
	s_or_saveexec_b64 s[18:19], s[18:19]
	v_bfrev_b32_e32 v2, 4
	v_mov_b32_e32 v3, 0x7ff80000
	s_xor_b64 exec, exec, s[18:19]
; %bb.818:
	v_cmp_ne_u16_e32 vcc, 0, v4
	v_mov_b32_e32 v2, 0
	s_andn2_b64 s[16:17], s[16:17], exec
	s_and_b64 s[20:21], vcc, exec
	v_mov_b32_e32 v3, 0
	s_or_b64 s[16:17], s[16:17], s[20:21]
; %bb.819:
	s_or_b64 exec, exec, s[18:19]
	s_and_saveexec_b64 s[18:19], s[16:17]
	s_cbranch_execz .LBB85_821
; %bb.820:
	v_and_b32_e32 v3, 0xffff, v4
	v_lshlrev_b32_e32 v2, 24, v4
	v_and_b32_e32 v4, 7, v3
	v_ffbh_u32_e32 v6, v4
	v_min_u32_e32 v6, 32, v6
	v_subrev_u32_e32 v7, 28, v6
	v_bfe_u32 v5, v3, 3, 4
	v_lshlrev_b32_e32 v3, v7, v3
	v_sub_u32_e32 v6, 29, v6
	v_and_b32_e32 v3, 7, v3
	v_cmp_eq_u32_e32 vcc, 0, v5
	v_cndmask_b32_e32 v5, v5, v6, vcc
	v_cndmask_b32_e32 v3, v4, v3, vcc
	v_mov_b32_e32 v4, 0x3b800000
	v_lshlrev_b32_e32 v3, 20, v3
	v_and_b32_e32 v2, 0x80000000, v2
	v_lshl_add_u32 v4, v5, 23, v4
	v_or3_b32 v2, v2, v4, v3
	v_cvt_f64_f32_e32 v[2:3], v2
.LBB85_821:
	s_or_b64 exec, exec, s[18:19]
.LBB85_822:
	s_mov_b64 s[16:17], -1
.LBB85_823:
	s_mov_b64 s[18:19], 0
.LBB85_824:
	s_and_b64 vcc, exec, s[18:19]
	s_cbranch_vccz .LBB85_855
; %bb.825:
	s_cmp_gt_i32 s22, 22
	s_cbranch_scc0 .LBB85_837
; %bb.826:
	s_cmp_lt_i32 s22, 24
	s_cbranch_scc1 .LBB85_838
; %bb.827:
	s_cmp_gt_i32 s22, 24
	s_cbranch_scc0 .LBB85_839
; %bb.828:
	global_load_ubyte v4, v[0:1], off
	s_movk_i32 s14, 0x7f
	s_waitcnt vmcnt(0)
	v_cmp_lt_i16_e32 vcc, s14, v4
	s_mov_b64 s[14:15], 0
	s_and_saveexec_b64 s[16:17], vcc
	s_xor_b64 s[16:17], exec, s[16:17]
	s_cbranch_execz .LBB85_832
; %bb.829:
	s_movk_i32 s14, 0x80
	v_cmp_eq_u16_e32 vcc, s14, v4
	s_mov_b64 s[14:15], -1
	s_and_saveexec_b64 s[18:19], vcc
; %bb.830:
	s_xor_b64 s[14:15], exec, -1
; %bb.831:
	s_or_b64 exec, exec, s[18:19]
	s_and_b64 s[14:15], s[14:15], exec
.LBB85_832:
	s_or_saveexec_b64 s[16:17], s[16:17]
	v_bfrev_b32_e32 v2, 4
	v_mov_b32_e32 v3, 0x7ff80000
	s_xor_b64 exec, exec, s[16:17]
; %bb.833:
	v_cmp_ne_u16_e32 vcc, 0, v4
	v_mov_b32_e32 v2, 0
	s_andn2_b64 s[14:15], s[14:15], exec
	s_and_b64 s[18:19], vcc, exec
	v_mov_b32_e32 v3, 0
	s_or_b64 s[14:15], s[14:15], s[18:19]
; %bb.834:
	s_or_b64 exec, exec, s[16:17]
	s_and_saveexec_b64 s[16:17], s[14:15]
	s_cbranch_execz .LBB85_836
; %bb.835:
	v_and_b32_e32 v3, 0xffff, v4
	v_lshlrev_b32_e32 v2, 24, v4
	v_and_b32_e32 v4, 3, v3
	v_ffbh_u32_e32 v6, v4
	v_min_u32_e32 v6, 32, v6
	v_subrev_u32_e32 v7, 29, v6
	v_bfe_u32 v5, v3, 2, 5
	v_lshlrev_b32_e32 v3, v7, v3
	v_sub_u32_e32 v6, 30, v6
	v_and_b32_e32 v3, 3, v3
	v_cmp_eq_u32_e32 vcc, 0, v5
	v_cndmask_b32_e32 v5, v5, v6, vcc
	v_cndmask_b32_e32 v3, v4, v3, vcc
	v_mov_b32_e32 v4, 0x37800000
	v_lshlrev_b32_e32 v3, 21, v3
	v_and_b32_e32 v2, 0x80000000, v2
	v_lshl_add_u32 v4, v5, 23, v4
	v_or3_b32 v2, v2, v4, v3
	v_cvt_f64_f32_e32 v[2:3], v2
.LBB85_836:
	s_or_b64 exec, exec, s[16:17]
	s_mov_b64 s[14:15], 0
	s_branch .LBB85_840
.LBB85_837:
	s_mov_b64 s[14:15], -1
                                        ; implicit-def: $vgpr2_vgpr3
	s_branch .LBB85_846
.LBB85_838:
	s_mov_b64 s[14:15], -1
                                        ; implicit-def: $vgpr2_vgpr3
	s_branch .LBB85_843
.LBB85_839:
	s_mov_b64 s[14:15], -1
                                        ; implicit-def: $vgpr2_vgpr3
.LBB85_840:
	s_and_b64 vcc, exec, s[14:15]
	s_cbranch_vccz .LBB85_842
; %bb.841:
	global_load_ubyte v2, v[0:1], off
	s_mov_b32 s14, 0x7f800000
	s_waitcnt vmcnt(0)
	v_lshlrev_b32_e32 v2, 24, v2
	v_and_b32_e32 v3, 0x7f000000, v2
	v_ffbh_u32_e32 v4, v3
	v_min_u32_e32 v4, 32, v4
	v_sub_u32_e64 v4, v4, 4 clamp
	v_lshlrev_b32_e32 v6, v4, v3
	v_lshlrev_b32_e32 v4, 23, v4
	v_lshrrev_b32_e32 v6, 4, v6
	v_add_u32_e32 v5, 0x1000000, v3
	v_sub_u32_e32 v4, v6, v4
	v_ashrrev_i32_e32 v5, 8, v5
	v_add_u32_e32 v4, 0x3c000000, v4
	v_and_or_b32 v4, v5, s14, v4
	v_cmp_ne_u32_e32 vcc, 0, v3
	v_cndmask_b32_e32 v3, 0, v4, vcc
	s_brev_b32 s14, 1
	v_and_or_b32 v2, v2, s14, v3
	v_cvt_f64_f32_e32 v[2:3], v2
.LBB85_842:
	s_mov_b64 s[14:15], 0
.LBB85_843:
	s_andn2_b64 vcc, exec, s[14:15]
	s_cbranch_vccnz .LBB85_845
; %bb.844:
	global_load_ubyte v2, v[0:1], off
	s_movk_i32 s14, 0x7f00
	s_brev_b32 s15, 16
	s_waitcnt vmcnt(0)
	v_lshlrev_b16_e32 v3, 8, v2
	v_lshlrev_b32_e32 v2, 25, v2
	v_lshrrev_b32_e32 v4, 4, v2
	v_and_or_b32 v5, v3, s14, 0.5
	v_or_b32_e32 v4, 0x70000000, v4
	v_add_f32_e32 v5, -0.5, v5
	v_mul_f32_e32 v4, 0x7800000, v4
	v_cmp_gt_u32_e32 vcc, s15, v2
	v_bfe_i32 v3, v3, 0, 16
	v_cndmask_b32_e32 v2, v4, v5, vcc
	s_brev_b32 s14, 1
	v_and_or_b32 v2, v3, s14, v2
	v_cvt_f64_f32_e32 v[2:3], v2
.LBB85_845:
	s_mov_b64 s[14:15], 0
	s_mov_b64 s[16:17], -1
.LBB85_846:
	s_andn2_b64 vcc, exec, s[14:15]
	s_mov_b64 s[14:15], 0
	s_cbranch_vccnz .LBB85_855
; %bb.847:
	s_cmp_gt_i32 s22, 14
	s_cbranch_scc0 .LBB85_850
; %bb.848:
	s_cmp_eq_u32 s22, 15
	s_cbranch_scc0 .LBB85_851
; %bb.849:
	global_load_ushort v2, v[0:1], off
	s_mov_b64 s[12:13], 0
	s_mov_b64 s[16:17], -1
	s_waitcnt vmcnt(0)
	v_lshlrev_b32_e32 v2, 16, v2
	v_cvt_f64_f32_e32 v[2:3], v2
	s_branch .LBB85_852
.LBB85_850:
	s_mov_b64 s[18:19], -1
                                        ; implicit-def: $vgpr2_vgpr3
	s_branch .LBB85_853
.LBB85_851:
	s_mov_b64 s[12:13], -1
                                        ; implicit-def: $vgpr2_vgpr3
.LBB85_852:
	s_mov_b64 s[18:19], 0
.LBB85_853:
	s_and_b64 vcc, exec, s[18:19]
	s_cbranch_vccz .LBB85_855
; %bb.854:
	s_cmp_lg_u32 s22, 11
	s_cselect_b64 s[18:19], -1, 0
	s_andn2_b64 s[12:13], s[12:13], exec
	s_and_b64 s[18:19], s[18:19], exec
	s_mov_b64 s[14:15], -1
	s_or_b64 s[12:13], s[12:13], s[18:19]
.LBB85_855:
	s_mov_b64 s[18:19], 0
.LBB85_856:
	s_and_b64 s[20:21], s[16:17], exec
	s_and_b64 s[16:17], s[18:19], exec
	s_andn2_b64 s[18:19], s[4:5], exec
	s_and_b64 s[12:13], s[12:13], exec
	s_and_b64 s[14:15], s[14:15], exec
	s_or_b64 s[18:19], s[18:19], s[12:13]
.LBB85_857:
	s_or_b64 exec, exec, s[10:11]
	s_and_b64 s[10:11], s[20:21], exec
	s_and_b64 s[12:13], s[14:15], exec
	s_andn2_b64 s[4:5], s[4:5], exec
	s_and_b64 s[14:15], s[18:19], exec
	v_readlane_b32 s18, v50, 10
	v_readlane_b32 s20, v50, 14
	s_and_b64 s[16:17], s[16:17], exec
	s_or_b64 s[4:5], s[4:5], s[14:15]
	v_readlane_b32 s19, v50, 11
	v_readlane_b32 s21, v50, 15
.LBB85_858:
	s_or_b64 exec, exec, s[8:9]
	v_readlane_b32 s8, v50, 12
	v_readlane_b32 s9, v50, 13
	s_andn2_b64 s[8:9], s[8:9], exec
	s_and_b64 s[6:7], s[6:7], exec
	s_or_b64 s[6:7], s[8:9], s[6:7]
	v_writelane_b32 v50, s6, 12
	v_writelane_b32 v50, s7, 13
	s_and_b64 s[6:7], s[12:13], exec
	v_readlane_b32 s12, v50, 8
	v_readlane_b32 s13, v50, 9
	s_andn2_b64 s[12:13], s[12:13], exec
	s_and_b64 s[4:5], s[4:5], exec
	s_or_b64 s[4:5], s[12:13], s[4:5]
	s_and_b64 s[10:11], s[10:11], exec
	s_and_b64 s[8:9], s[16:17], exec
	v_writelane_b32 v50, s4, 8
	v_writelane_b32 v50, s5, 9
.LBB85_859:
	s_or_b64 exec, exec, s[20:21]
	v_readlane_b32 s12, v50, 12
	v_readlane_b32 s13, v50, 13
	s_andn2_b64 s[4:5], s[96:97], exec
	s_and_b64 s[12:13], s[12:13], exec
	s_or_b64 s[96:97], s[4:5], s[12:13]
	s_and_b64 s[4:5], s[10:11], exec
	v_readlane_b32 s10, v50, 8
	v_readlane_b32 s11, v50, 9
	s_and_b64 s[16:17], s[6:7], exec
	s_andn2_b64 s[6:7], s[44:45], exec
	s_and_b64 s[10:11], s[10:11], exec
	s_and_b64 s[8:9], s[8:9], exec
	s_or_b64 s[44:45], s[6:7], s[10:11]
	s_or_b64 exec, exec, s[18:19]
	s_mov_b64 s[12:13], 0
	s_and_saveexec_b64 s[6:7], s[44:45]
	s_cbranch_execz .LBB85_262
.LBB85_860:
	s_mov_b64 s[12:13], exec
	s_andn2_b64 s[16:17], s[16:17], exec
	s_trap 2
	s_or_b64 exec, exec, s[6:7]
	s_and_saveexec_b64 s[6:7], s[16:17]
	s_xor_b64 s[6:7], exec, s[6:7]
	s_cbranch_execnz .LBB85_263
.LBB85_861:
	s_or_b64 exec, exec, s[6:7]
	s_and_saveexec_b64 s[6:7], s[8:9]
	s_cbranch_execz .LBB85_907
.LBB85_862:
	s_sext_i32_i16 s8, s28
	s_cmp_lt_i32 s8, 5
	s_cbranch_scc1 .LBB85_867
; %bb.863:
	s_cmp_lt_i32 s8, 8
	s_cbranch_scc1 .LBB85_868
; %bb.864:
	;; [unrolled: 3-line block ×3, first 2 shown]
	s_cmp_gt_i32 s8, 9
	s_cbranch_scc0 .LBB85_870
; %bb.866:
	global_load_dwordx2 v[2:3], v[0:1], off
	s_mov_b64 s[8:9], 0
	s_branch .LBB85_871
.LBB85_867:
                                        ; implicit-def: $vgpr2_vgpr3
	s_branch .LBB85_888
.LBB85_868:
                                        ; implicit-def: $vgpr2_vgpr3
	s_branch .LBB85_877
.LBB85_869:
	s_mov_b64 s[8:9], -1
                                        ; implicit-def: $vgpr2_vgpr3
	s_branch .LBB85_874
.LBB85_870:
	s_mov_b64 s[8:9], -1
                                        ; implicit-def: $vgpr2_vgpr3
.LBB85_871:
	s_andn2_b64 vcc, exec, s[8:9]
	s_cbranch_vccnz .LBB85_873
; %bb.872:
	global_load_dword v2, v[0:1], off
	s_waitcnt vmcnt(0)
	v_cvt_f64_f32_e32 v[2:3], v2
.LBB85_873:
	s_mov_b64 s[8:9], 0
.LBB85_874:
	s_andn2_b64 vcc, exec, s[8:9]
	s_cbranch_vccnz .LBB85_876
; %bb.875:
	global_load_dword v2, v[0:1], off
	s_waitcnt vmcnt(0)
	v_cvt_f32_f16_e32 v2, v2
	v_cvt_f64_f32_e32 v[2:3], v2
.LBB85_876:
	s_cbranch_execnz .LBB85_887
.LBB85_877:
	s_sext_i32_i16 s8, s28
	s_cmp_lt_i32 s8, 6
	s_cbranch_scc1 .LBB85_880
; %bb.878:
	s_cmp_gt_i32 s8, 6
	s_cbranch_scc0 .LBB85_881
; %bb.879:
	global_load_dwordx2 v[2:3], v[0:1], off
	s_mov_b64 s[8:9], 0
	s_branch .LBB85_882
.LBB85_880:
	s_mov_b64 s[8:9], -1
                                        ; implicit-def: $vgpr2_vgpr3
	s_branch .LBB85_885
.LBB85_881:
	s_mov_b64 s[8:9], -1
                                        ; implicit-def: $vgpr2_vgpr3
.LBB85_882:
	s_andn2_b64 vcc, exec, s[8:9]
	s_cbranch_vccnz .LBB85_884
; %bb.883:
	global_load_dword v2, v[0:1], off
	s_waitcnt vmcnt(0)
	v_cvt_f64_f32_e32 v[2:3], v2
.LBB85_884:
	s_mov_b64 s[8:9], 0
.LBB85_885:
	s_andn2_b64 vcc, exec, s[8:9]
	s_cbranch_vccnz .LBB85_887
; %bb.886:
	global_load_ushort v2, v[0:1], off
	s_waitcnt vmcnt(0)
	v_cvt_f32_f16_e32 v2, v2
	v_cvt_f64_f32_e32 v[2:3], v2
.LBB85_887:
	s_cbranch_execnz .LBB85_906
.LBB85_888:
	s_sext_i32_i16 s8, s28
	s_cmp_lt_i32 s8, 2
	s_cbranch_scc1 .LBB85_892
; %bb.889:
	s_cmp_lt_i32 s8, 3
	s_cbranch_scc1 .LBB85_893
; %bb.890:
	s_cmp_gt_i32 s8, 3
	s_cbranch_scc0 .LBB85_894
; %bb.891:
	global_load_dwordx2 v[2:3], v[0:1], off
	s_mov_b64 s[8:9], 0
	s_waitcnt vmcnt(0)
	v_cvt_f64_i32_e32 v[3:4], v3
	v_cvt_f64_u32_e32 v[5:6], v2
	v_ldexp_f64 v[3:4], v[3:4], 32
	v_add_f64 v[2:3], v[3:4], v[5:6]
	s_branch .LBB85_895
.LBB85_892:
                                        ; implicit-def: $vgpr2_vgpr3
	s_branch .LBB85_901
.LBB85_893:
	s_mov_b64 s[8:9], -1
                                        ; implicit-def: $vgpr2_vgpr3
	s_branch .LBB85_898
.LBB85_894:
	s_mov_b64 s[8:9], -1
                                        ; implicit-def: $vgpr2_vgpr3
.LBB85_895:
	s_andn2_b64 vcc, exec, s[8:9]
	s_cbranch_vccnz .LBB85_897
; %bb.896:
	global_load_dword v2, v[0:1], off
	s_waitcnt vmcnt(0)
	v_cvt_f64_i32_e32 v[2:3], v2
.LBB85_897:
	s_mov_b64 s[8:9], 0
.LBB85_898:
	s_andn2_b64 vcc, exec, s[8:9]
	s_cbranch_vccnz .LBB85_900
; %bb.899:
	global_load_sshort v2, v[0:1], off
	s_waitcnt vmcnt(0)
	v_cvt_f64_i32_e32 v[2:3], v2
.LBB85_900:
	s_cbranch_execnz .LBB85_906
.LBB85_901:
	s_sext_i32_i16 s8, s28
	s_cmp_gt_i32 s8, 0
	s_cbranch_scc0 .LBB85_903
; %bb.902:
	global_load_sbyte v2, v[0:1], off
	s_mov_b64 s[8:9], 0
	s_waitcnt vmcnt(0)
	v_cvt_f64_i32_e32 v[2:3], v2
	s_branch .LBB85_904
.LBB85_903:
	s_mov_b64 s[8:9], -1
                                        ; implicit-def: $vgpr2_vgpr3
.LBB85_904:
	s_andn2_b64 vcc, exec, s[8:9]
	s_cbranch_vccnz .LBB85_906
; %bb.905:
	global_load_ubyte v0, v[0:1], off
	s_waitcnt vmcnt(0)
	v_cvt_f64_u32_e32 v[2:3], v0
.LBB85_906:
	s_or_b64 s[4:5], s[4:5], exec
.LBB85_907:
	s_or_b64 exec, exec, s[6:7]
	s_mov_b64 s[8:9], 0
	s_mov_b64 s[6:7], 0
                                        ; implicit-def: $sgpr14
                                        ; implicit-def: $vgpr4_vgpr5
                                        ; implicit-def: $vgpr0_vgpr1
	s_and_saveexec_b64 s[10:11], s[4:5]
	s_cbranch_execz .LBB85_915
; %bb.908:
	v_writelane_b32 v50, s10, 12
	v_writelane_b32 v50, s11, 13
	;; [unrolled: 1-line block ×3, first 2 shown]
	s_getpc_b64 s[4:5]
	s_add_u32 s4, s4, _ZZZZN2at6native21polygamma_kernel_cudaERNS_18TensorIteratorBaseElENKUlvE_clEvENKUlvE_clEvENKUldE_clEd@rel32@lo+4
	s_addc_u32 s5, s5, _ZZZZN2at6native21polygamma_kernel_cudaERNS_18TensorIteratorBaseElENKUlvE_clEvENKUlvE_clEvENKUldE_clEd@rel32@hi+12
	v_mov_b32_e32 v0, s42
	v_mov_b32_e32 v1, s43
	v_writelane_b32 v50, s13, 9
	s_mov_b64 s[86:87], s[96:97]
	s_mov_b64 s[96:97], s[30:31]
	s_mov_b32 s98, s28
	s_mov_b32 s33, s23
	s_swappc_b64 s[30:31], s[4:5]
	v_readlane_b32 s36, v50, 0
	v_readlane_b32 s40, v50, 4
	v_mul_lo_u32 v2, v47, s40
	v_readlane_b32 s37, v50, 1
	v_mov_b32_e32 v5, s37
	s_and_b32 s14, s33, 0xff
	v_ashrrev_i32_e32 v3, 31, v2
	v_add_co_u32_e32 v4, vcc, s36, v2
	v_readlane_b32 s38, v50, 2
	v_readlane_b32 s39, v50, 3
	;; [unrolled: 1-line block ×5, first 2 shown]
	s_mov_b32 s23, s33
	s_cmp_lt_i32 s14, 11
	v_addc_co_u32_e32 v5, vcc, v5, v3, vcc
	s_cbranch_scc1 .LBB85_918
; %bb.909:
	s_and_b32 s15, 0xffff, s14
	s_mov_b64 s[8:9], -1
	s_cmp_gt_i32 s15, 25
	s_mov_b64 s[4:5], s[86:87]
	s_mov_b64 s[26:27], 0
	s_mov_b32 s28, s98
	s_mov_b64 s[30:31], s[96:97]
	s_cbranch_scc0 .LBB85_946
; %bb.910:
	s_mov_b64 s[6:7], -1
	s_cmp_gt_i32 s15, 28
	s_mov_b64 s[4:5], s[86:87]
	s_cbranch_scc0 .LBB85_930
; %bb.911:
	s_cmp_gt_i32 s15, 43
	s_mov_b64 s[4:5], s[86:87]
	s_cbranch_scc0 .LBB85_926
; %bb.912:
	;; [unrolled: 4-line block ×3, first 2 shown]
	s_cmp_eq_u32 s15, 46
	s_mov_b64 s[4:5], -1
	s_cbranch_scc0 .LBB85_919
; %bb.914:
	v_cvt_f32_f64_e32 v2, v[0:1]
	s_movk_i32 s4, 0x7fff
	v_mov_b32_e32 v3, 0x7fc0
	s_mov_b64 s[6:7], 0
	v_bfe_u32 v6, v2, 16, 1
	v_cmp_o_f32_e32 vcc, v2, v2
	v_add3_u32 v2, v2, v6, s4
	v_cndmask_b32_sdwa v2, v3, v2, vcc dst_sel:DWORD dst_unused:UNUSED_PAD src0_sel:DWORD src1_sel:WORD_1
	global_store_dword v[4:5], v2, off
	s_mov_b64 s[4:5], 0
	s_branch .LBB85_920
.LBB85_915:
	s_or_b64 exec, exec, s[10:11]
	s_and_saveexec_b64 s[4:5], s[96:97]
	s_cbranch_execnz .LBB85_988
.LBB85_916:
	s_or_b64 exec, exec, s[4:5]
	s_and_saveexec_b64 s[4:5], s[8:9]
	s_xor_b64 s[4:5], exec, s[4:5]
	s_cbranch_execz .LBB85_989
.LBB85_917:
	v_cmp_neq_f64_e32 vcc, 0, v[0:1]
	s_waitcnt vmcnt(0)
	v_cndmask_b32_e64 v2, 0, 1, vcc
	global_store_byte v[4:5], v2, off
	s_or_b64 exec, exec, s[4:5]
	s_and_saveexec_b64 s[4:5], s[6:7]
	s_xor_b64 s[4:5], exec, s[4:5]
	s_cbranch_execz .LBB85_1027
	s_branch .LBB85_990
.LBB85_918:
	s_mov_b64 s[8:9], 0
	s_mov_b64 s[6:7], -1
	s_mov_b64 s[4:5], s[86:87]
	s_mov_b64 s[26:27], 0
	s_mov_b32 s28, s98
	s_mov_b64 s[30:31], s[96:97]
	s_branch .LBB85_987
.LBB85_919:
	s_mov_b64 s[6:7], 0
.LBB85_920:
	s_and_b64 vcc, exec, s[6:7]
	s_cbranch_vccz .LBB85_925
; %bb.921:
	s_cmp_eq_u32 s15, 44
	s_mov_b64 s[4:5], -1
	s_cbranch_scc0 .LBB85_925
; %bb.922:
	v_cvt_f32_f64_e32 v2, v[0:1]
	s_movk_i32 s4, 0xff
	v_mov_b32_e32 v6, 0xff
	v_bfe_u32 v3, v2, 23, 8
	v_cmp_ne_u32_e32 vcc, s4, v3
	s_and_saveexec_b64 s[6:7], vcc
; %bb.923:
	s_mov_b32 s4, 0x3fffff
	v_lshrrev_b32_e32 v6, 23, v2
	v_and_b32_e32 v7, 0x400000, v2
	v_and_or_b32 v2, v2, s4, v3
	v_cmp_ne_u32_e32 vcc, 0, v7
	v_cmp_ne_u32_e64 s[4:5], 0, v2
	s_and_b64 s[4:5], vcc, s[4:5]
	v_cndmask_b32_e64 v2, 0, 1, s[4:5]
	v_add_u32_e32 v6, v6, v2
; %bb.924:
	s_or_b64 exec, exec, s[6:7]
	s_mov_b64 s[4:5], 0
	global_store_byte v[4:5], v6, off
.LBB85_925:
	s_mov_b64 s[6:7], 0
.LBB85_926:
	s_and_b64 vcc, exec, s[6:7]
	s_cbranch_vccz .LBB85_929
; %bb.927:
	s_cmp_eq_u32 s15, 29
	s_mov_b64 s[4:5], -1
	s_cbranch_scc0 .LBB85_929
; %bb.928:
	v_trunc_f64_e32 v[2:3], v[0:1]
	s_movk_i32 s4, 0xffe0
	s_mov_b64 s[6:7], 0
	v_ldexp_f64 v[6:7], v[2:3], s4
	s_mov_b32 s4, 0
	s_mov_b32 s5, 0xc1f00000
	v_floor_f64_e32 v[6:7], v[6:7]
	v_fma_f64 v[2:3], v[6:7], s[4:5], v[2:3]
	v_cvt_u32_f64_e32 v7, v[6:7]
	s_mov_b64 s[4:5], 0
	v_cvt_u32_f64_e32 v6, v[2:3]
	global_store_dwordx2 v[4:5], v[6:7], off
	s_branch .LBB85_930
.LBB85_929:
	s_mov_b64 s[6:7], 0
.LBB85_930:
	s_and_b64 vcc, exec, s[6:7]
	s_cbranch_vccz .LBB85_945
; %bb.931:
	s_cmp_lt_i32 s15, 27
	s_mov_b64 s[6:7], -1
	s_cbranch_scc1 .LBB85_937
; %bb.932:
	v_cvt_u32_f64_e32 v2, v[0:1]
	s_cmp_gt_i32 s15, 27
	s_cbranch_scc0 .LBB85_934
; %bb.933:
	s_mov_b64 s[6:7], 0
	global_store_dword v[4:5], v2, off
.LBB85_934:
	s_andn2_b64 vcc, exec, s[6:7]
	s_cbranch_vccnz .LBB85_936
; %bb.935:
	global_store_short v[4:5], v2, off
.LBB85_936:
	s_mov_b64 s[6:7], 0
.LBB85_937:
	s_andn2_b64 vcc, exec, s[6:7]
	s_cbranch_vccnz .LBB85_945
; %bb.938:
	v_cvt_f32_f64_e32 v2, v[0:1]
	s_mov_b32 s6, 0x43800000
	v_mov_b32_e32 v6, 0x80
	v_and_b32_e32 v3, 0x7fffffff, v2
	v_cmp_gt_u32_e32 vcc, s6, v3
	s_and_saveexec_b64 s[6:7], vcc
	s_cbranch_execz .LBB85_944
; %bb.939:
	s_mov_b32 s8, 0x3bffffff
	v_cmp_lt_u32_e32 vcc, s8, v3
	s_mov_b64 s[8:9], 0
                                        ; implicit-def: $vgpr3
	s_and_saveexec_b64 s[10:11], vcc
	s_xor_b64 s[10:11], exec, s[10:11]
	s_cbranch_execz .LBB85_1042
; %bb.940:
	v_bfe_u32 v3, v2, 20, 1
	s_mov_b32 s12, 0x487ffff
	v_add3_u32 v3, v2, v3, s12
	s_mov_b64 s[8:9], exec
	v_lshrrev_b32_e32 v3, 20, v3
	s_andn2_saveexec_b64 s[10:11], s[10:11]
	s_cbranch_execnz .LBB85_1043
.LBB85_941:
	s_or_b64 exec, exec, s[10:11]
	v_mov_b32_e32 v6, 0
	s_and_saveexec_b64 s[10:11], s[8:9]
.LBB85_942:
	v_lshrrev_b32_e32 v2, 24, v2
	s_movk_i32 s8, 0x80
	v_and_or_b32 v6, v2, s8, v3
.LBB85_943:
	s_or_b64 exec, exec, s[10:11]
.LBB85_944:
	s_or_b64 exec, exec, s[6:7]
	global_store_byte v[4:5], v6, off
.LBB85_945:
	s_mov_b64 s[8:9], 0
.LBB85_946:
	s_mov_b64 s[6:7], 0
	s_and_b64 vcc, exec, s[8:9]
	s_cbranch_vccz .LBB85_986
; %bb.947:
	s_cmp_gt_i32 s15, 22
	s_mov_b64 s[8:9], -1
	s_cbranch_scc0 .LBB85_979
; %bb.948:
	s_cmp_lt_i32 s15, 24
	s_cbranch_scc1 .LBB85_968
; %bb.949:
	s_cmp_gt_i32 s15, 24
	s_cbranch_scc0 .LBB85_957
; %bb.950:
	v_cvt_f32_f64_e32 v2, v[0:1]
	s_mov_b32 s8, 0x47800000
	v_mov_b32_e32 v6, 0x80
	v_and_b32_e32 v3, 0x7fffffff, v2
	v_cmp_gt_u32_e32 vcc, s8, v3
	s_and_saveexec_b64 s[8:9], vcc
	s_cbranch_execz .LBB85_956
; %bb.951:
	s_mov_b32 s10, 0x37ffffff
	v_cmp_lt_u32_e32 vcc, s10, v3
	s_mov_b64 s[10:11], 0
                                        ; implicit-def: $vgpr3
	s_and_saveexec_b64 s[12:13], vcc
	s_xor_b64 s[12:13], exec, s[12:13]
	s_cbranch_execz .LBB85_1167
; %bb.952:
	v_bfe_u32 v3, v2, 21, 1
	s_mov_b32 s16, 0x88fffff
	v_add3_u32 v3, v2, v3, s16
	s_mov_b64 s[10:11], exec
	v_lshrrev_b32_e32 v3, 21, v3
	s_andn2_saveexec_b64 s[12:13], s[12:13]
	s_cbranch_execnz .LBB85_1168
.LBB85_953:
	s_or_b64 exec, exec, s[12:13]
	v_mov_b32_e32 v6, 0
	s_and_saveexec_b64 s[12:13], s[10:11]
.LBB85_954:
	v_lshrrev_b32_e32 v2, 24, v2
	s_movk_i32 s10, 0x80
	v_and_or_b32 v6, v2, s10, v3
.LBB85_955:
	s_or_b64 exec, exec, s[12:13]
.LBB85_956:
	s_or_b64 exec, exec, s[8:9]
	s_mov_b64 s[8:9], 0
	global_store_byte v[4:5], v6, off
.LBB85_957:
	s_and_b64 vcc, exec, s[8:9]
	s_cbranch_vccz .LBB85_967
; %bb.958:
	v_cvt_f32_f64_e32 v2, v[0:1]
	s_mov_b32 s8, 0x43f00000
                                        ; implicit-def: $vgpr3
	v_and_b32_e32 v6, 0x7fffffff, v2
	v_cmp_gt_u32_e32 vcc, s8, v6
	s_and_saveexec_b64 s[8:9], vcc
	s_xor_b64 s[8:9], exec, s[8:9]
	s_cbranch_execz .LBB85_964
; %bb.959:
	s_mov_b32 s10, 0x3c7fffff
	v_cmp_lt_u32_e32 vcc, s10, v6
                                        ; implicit-def: $vgpr3
	s_and_saveexec_b64 s[10:11], vcc
	s_xor_b64 s[10:11], exec, s[10:11]
; %bb.960:
	v_bfe_u32 v3, v2, 20, 1
	s_mov_b32 s12, 0x407ffff
	v_add3_u32 v3, v2, v3, s12
	v_lshrrev_b32_e32 v6, 20, v3
	v_and_b32_e32 v3, 0xff00000, v3
	s_mov_b32 s12, 0x7f00000
	v_mov_b32_e32 v7, 0x7e
	v_cmp_ne_u32_e32 vcc, s12, v3
	v_cndmask_b32_e32 v3, v7, v6, vcc
; %bb.961:
	s_andn2_saveexec_b64 s[10:11], s[10:11]
; %bb.962:
	s_mov_b32 s12, 0x46800000
	v_add_f32_e64 v3, |v2|, s12
; %bb.963:
	s_or_b64 exec, exec, s[10:11]
                                        ; implicit-def: $vgpr6
.LBB85_964:
	s_andn2_saveexec_b64 s[8:9], s[8:9]
; %bb.965:
	s_mov_b32 s10, 0x7f800000
	v_mov_b32_e32 v3, 0x7e
	v_mov_b32_e32 v7, 0x7f
	v_cmp_lt_u32_e32 vcc, s10, v6
	v_cndmask_b32_e32 v3, v3, v7, vcc
; %bb.966:
	s_or_b64 exec, exec, s[8:9]
	v_lshrrev_b32_e32 v2, 24, v2
	s_movk_i32 s8, 0x80
	v_and_or_b32 v2, v2, s8, v3
	global_store_byte v[4:5], v2, off
.LBB85_967:
	s_mov_b64 s[8:9], 0
.LBB85_968:
	s_andn2_b64 vcc, exec, s[8:9]
	s_cbranch_vccnz .LBB85_978
; %bb.969:
	v_cvt_f32_f64_e32 v2, v[0:1]
	s_mov_b32 s8, 0x47800000
                                        ; implicit-def: $vgpr3
	v_and_b32_e32 v6, 0x7fffffff, v2
	v_cmp_gt_u32_e32 vcc, s8, v6
	s_and_saveexec_b64 s[8:9], vcc
	s_xor_b64 s[8:9], exec, s[8:9]
	s_cbranch_execz .LBB85_975
; %bb.970:
	s_mov_b32 s10, 0x387fffff
	v_cmp_lt_u32_e32 vcc, s10, v6
                                        ; implicit-def: $vgpr3
	s_and_saveexec_b64 s[10:11], vcc
	s_xor_b64 s[10:11], exec, s[10:11]
; %bb.971:
	v_bfe_u32 v3, v2, 21, 1
	s_mov_b32 s12, 0x80fffff
	v_add3_u32 v3, v2, v3, s12
	v_lshrrev_b32_e32 v3, 21, v3
; %bb.972:
	s_andn2_saveexec_b64 s[10:11], s[10:11]
; %bb.973:
	s_mov_b32 s12, 0x43000000
	v_add_f32_e64 v3, |v2|, s12
; %bb.974:
	s_or_b64 exec, exec, s[10:11]
                                        ; implicit-def: $vgpr6
.LBB85_975:
	s_andn2_saveexec_b64 s[8:9], s[8:9]
; %bb.976:
	s_mov_b32 s10, 0x7f800000
	v_mov_b32_e32 v3, 0x7c
	v_mov_b32_e32 v7, 0x7f
	v_cmp_lt_u32_e32 vcc, s10, v6
	v_cndmask_b32_e32 v3, v3, v7, vcc
; %bb.977:
	s_or_b64 exec, exec, s[8:9]
	v_lshrrev_b32_e32 v2, 24, v2
	s_movk_i32 s8, 0x80
	v_and_or_b32 v2, v2, s8, v3
	global_store_byte v[4:5], v2, off
.LBB85_978:
	s_mov_b64 s[8:9], 0
.LBB85_979:
	s_andn2_b64 vcc, exec, s[8:9]
	s_mov_b64 s[8:9], 0
	s_cbranch_vccnz .LBB85_987
; %bb.980:
	s_cmp_gt_i32 s15, 14
	s_mov_b64 s[10:11], -1
	s_cbranch_scc0 .LBB85_984
; %bb.981:
	s_cmp_eq_u32 s15, 15
	s_mov_b64 s[4:5], -1
	s_cbranch_scc0 .LBB85_983
; %bb.982:
	v_cvt_f32_f64_e32 v2, v[0:1]
	s_movk_i32 s4, 0x7fff
	v_mov_b32_e32 v3, 0x7fc0
	v_bfe_u32 v6, v2, 16, 1
	v_cmp_o_f32_e32 vcc, v2, v2
	v_add3_u32 v2, v2, v6, s4
	v_cndmask_b32_sdwa v2, v3, v2, vcc dst_sel:DWORD dst_unused:UNUSED_PAD src0_sel:DWORD src1_sel:WORD_1
	global_store_short v[4:5], v2, off
	s_mov_b64 s[4:5], 0
.LBB85_983:
	s_mov_b64 s[10:11], 0
.LBB85_984:
	s_and_b64 vcc, exec, s[10:11]
	s_cbranch_vccz .LBB85_987
; %bb.985:
	s_cmp_lg_u32 s15, 11
	s_cselect_b64 s[10:11], -1, 0
	s_andn2_b64 s[4:5], s[4:5], exec
	s_and_b64 s[10:11], s[10:11], exec
	s_mov_b64 s[8:9], -1
	s_or_b64 s[4:5], s[4:5], s[10:11]
	s_branch .LBB85_987
.LBB85_986:
	s_mov_b64 s[8:9], 0
.LBB85_987:
	s_andn2_b64 s[10:11], s[86:87], exec
	s_and_b64 s[4:5], s[4:5], exec
	s_or_b64 s[96:97], s[10:11], s[4:5]
	v_readlane_b32 s12, v50, 8
	v_readlane_b32 s10, v50, 12
	s_and_b64 s[6:7], s[6:7], exec
	s_and_b64 s[8:9], s[8:9], exec
	v_readlane_b32 s13, v50, 9
	v_readlane_b32 s11, v50, 13
	s_or_b64 exec, exec, s[10:11]
	s_and_saveexec_b64 s[4:5], s[96:97]
	s_cbranch_execz .LBB85_916
.LBB85_988:
	s_or_b64 s[12:13], s[12:13], exec
	s_andn2_b64 s[8:9], s[8:9], exec
	s_trap 2
	s_or_b64 exec, exec, s[4:5]
	s_and_saveexec_b64 s[4:5], s[8:9]
	s_xor_b64 s[4:5], exec, s[4:5]
	s_cbranch_execnz .LBB85_917
.LBB85_989:
	s_or_b64 exec, exec, s[4:5]
	s_and_saveexec_b64 s[4:5], s[6:7]
	s_xor_b64 s[4:5], exec, s[4:5]
	s_cbranch_execz .LBB85_1027
.LBB85_990:
	s_sext_i32_i16 s8, s14
	s_cmp_lt_i32 s8, 5
	s_mov_b64 s[6:7], -1
	s_cbranch_scc1 .LBB85_1011
; %bb.991:
	s_cmp_lt_i32 s8, 8
	s_cbranch_scc1 .LBB85_1001
; %bb.992:
	s_cmp_lt_i32 s8, 9
	s_cbranch_scc1 .LBB85_998
; %bb.993:
	s_cmp_gt_i32 s8, 9
	s_cbranch_scc0 .LBB85_995
; %bb.994:
	s_waitcnt vmcnt(0)
	v_mov_b32_e32 v2, 0
	v_mov_b32_e32 v3, v2
	s_mov_b64 s[6:7], 0
	global_store_dwordx4 v[4:5], v[0:3], off
.LBB85_995:
	s_andn2_b64 vcc, exec, s[6:7]
	s_cbranch_vccnz .LBB85_997
; %bb.996:
	s_waitcnt vmcnt(0)
	v_cvt_f32_f64_e32 v2, v[0:1]
	v_mov_b32_e32 v3, 0
	global_store_dwordx2 v[4:5], v[2:3], off
.LBB85_997:
	s_mov_b64 s[6:7], 0
.LBB85_998:
	s_andn2_b64 vcc, exec, s[6:7]
	s_cbranch_vccnz .LBB85_1000
; %bb.999:
	s_movk_i32 s6, 0x1ff
	s_waitcnt vmcnt(0)
	v_and_or_b32 v2, v1, s6, v0
	v_cmp_ne_u32_e32 vcc, 0, v2
	v_cndmask_b32_e64 v2, 0, 1, vcc
	v_lshrrev_b32_e32 v3, 8, v1
	s_movk_i32 s6, 0xffe
	v_bfe_u32 v6, v1, 20, 11
	v_and_or_b32 v2, v3, s6, v2
	v_sub_u32_e32 v7, 0x3f1, v6
	v_or_b32_e32 v3, 0x1000, v2
	v_med3_i32 v7, v7, 0, 13
	v_lshrrev_b32_e32 v8, v7, v3
	v_lshlrev_b32_e32 v7, v7, v8
	v_cmp_ne_u32_e32 vcc, v7, v3
	v_cndmask_b32_e64 v3, 0, 1, vcc
	v_add_u32_e32 v6, 0xfffffc10, v6
	v_or_b32_e32 v3, v8, v3
	v_lshl_or_b32 v7, v6, 12, v2
	v_cmp_gt_i32_e32 vcc, 1, v6
	v_cndmask_b32_e32 v3, v7, v3, vcc
	v_and_b32_e32 v7, 7, v3
	v_cmp_lt_i32_e32 vcc, 5, v7
	v_cndmask_b32_e64 v8, 0, 1, vcc
	v_cmp_eq_u32_e32 vcc, 3, v7
	v_cndmask_b32_e64 v7, 0, 1, vcc
	v_or_b32_e32 v7, v7, v8
	v_lshrrev_b32_e32 v3, 2, v3
	v_add_u32_e32 v3, v3, v7
	v_mov_b32_e32 v7, 0x7c00
	v_cmp_gt_i32_e32 vcc, 31, v6
	v_cndmask_b32_e32 v3, v7, v3, vcc
	v_mov_b32_e32 v8, 0x7e00
	v_cmp_ne_u32_e32 vcc, 0, v2
	s_movk_i32 s6, 0x40f
	v_cndmask_b32_e32 v2, v7, v8, vcc
	v_cmp_eq_u32_e32 vcc, s6, v6
	v_cndmask_b32_e32 v2, v3, v2, vcc
	v_lshrrev_b32_e32 v3, 16, v1
	s_mov_b32 s6, 0x8000
	v_and_or_b32 v2, v3, s6, v2
	v_and_b32_e32 v2, 0xffff, v2
	global_store_dword v[4:5], v2, off
.LBB85_1000:
	s_mov_b64 s[6:7], 0
.LBB85_1001:
	s_andn2_b64 vcc, exec, s[6:7]
	s_cbranch_vccnz .LBB85_1010
; %bb.1002:
	s_sext_i32_i16 s8, s14
	s_cmp_lt_i32 s8, 6
	s_mov_b64 s[6:7], -1
	s_cbranch_scc1 .LBB85_1008
; %bb.1003:
	s_cmp_gt_i32 s8, 6
	s_cbranch_scc0 .LBB85_1005
; %bb.1004:
	s_mov_b64 s[6:7], 0
	global_store_dwordx2 v[4:5], v[0:1], off
.LBB85_1005:
	s_andn2_b64 vcc, exec, s[6:7]
	s_cbranch_vccnz .LBB85_1007
; %bb.1006:
	s_waitcnt vmcnt(0)
	v_cvt_f32_f64_e32 v2, v[0:1]
	global_store_dword v[4:5], v2, off
.LBB85_1007:
	s_mov_b64 s[6:7], 0
.LBB85_1008:
	s_andn2_b64 vcc, exec, s[6:7]
	s_cbranch_vccnz .LBB85_1010
; %bb.1009:
	s_movk_i32 s6, 0x1ff
	s_waitcnt vmcnt(0)
	v_and_or_b32 v2, v1, s6, v0
	v_cmp_ne_u32_e32 vcc, 0, v2
	v_cndmask_b32_e64 v2, 0, 1, vcc
	v_lshrrev_b32_e32 v3, 8, v1
	s_movk_i32 s6, 0xffe
	v_bfe_u32 v6, v1, 20, 11
	v_and_or_b32 v2, v3, s6, v2
	v_sub_u32_e32 v7, 0x3f1, v6
	v_or_b32_e32 v3, 0x1000, v2
	v_med3_i32 v7, v7, 0, 13
	v_lshrrev_b32_e32 v8, v7, v3
	v_lshlrev_b32_e32 v7, v7, v8
	v_cmp_ne_u32_e32 vcc, v7, v3
	v_cndmask_b32_e64 v3, 0, 1, vcc
	v_add_u32_e32 v6, 0xfffffc10, v6
	v_or_b32_e32 v3, v8, v3
	v_lshl_or_b32 v7, v6, 12, v2
	v_cmp_gt_i32_e32 vcc, 1, v6
	v_cndmask_b32_e32 v3, v7, v3, vcc
	v_and_b32_e32 v7, 7, v3
	v_cmp_lt_i32_e32 vcc, 5, v7
	v_cndmask_b32_e64 v8, 0, 1, vcc
	v_cmp_eq_u32_e32 vcc, 3, v7
	v_cndmask_b32_e64 v7, 0, 1, vcc
	v_or_b32_e32 v7, v7, v8
	v_lshrrev_b32_e32 v3, 2, v3
	v_add_u32_e32 v3, v3, v7
	v_mov_b32_e32 v7, 0x7c00
	v_cmp_gt_i32_e32 vcc, 31, v6
	v_cndmask_b32_e32 v3, v7, v3, vcc
	v_mov_b32_e32 v8, 0x7e00
	v_cmp_ne_u32_e32 vcc, 0, v2
	s_movk_i32 s6, 0x40f
	v_cndmask_b32_e32 v2, v7, v8, vcc
	v_cmp_eq_u32_e32 vcc, s6, v6
	v_cndmask_b32_e32 v2, v3, v2, vcc
	v_lshrrev_b32_e32 v3, 16, v1
	s_mov_b32 s6, 0x8000
	v_and_or_b32 v2, v3, s6, v2
	global_store_short v[4:5], v2, off
.LBB85_1010:
	s_mov_b64 s[6:7], 0
.LBB85_1011:
	s_andn2_b64 vcc, exec, s[6:7]
	s_cbranch_vccnz .LBB85_1027
; %bb.1012:
	s_sext_i32_i16 s8, s14
	s_cmp_lt_i32 s8, 2
	s_mov_b64 s[6:7], -1
	s_cbranch_scc1 .LBB85_1022
; %bb.1013:
	s_cmp_lt_i32 s8, 3
	s_cbranch_scc1 .LBB85_1019
; %bb.1014:
	s_cmp_gt_i32 s8, 3
	s_cbranch_scc0 .LBB85_1016
; %bb.1015:
	s_waitcnt vmcnt(0)
	v_trunc_f64_e32 v[2:3], v[0:1]
	s_movk_i32 s6, 0xffe0
	v_ldexp_f64 v[6:7], v[2:3], s6
	s_mov_b32 s6, 0
	s_mov_b32 s7, 0xc1f00000
	v_floor_f64_e32 v[6:7], v[6:7]
	v_fma_f64 v[2:3], v[6:7], s[6:7], v[2:3]
	v_cvt_i32_f64_e32 v7, v[6:7]
	s_mov_b64 s[6:7], 0
	v_cvt_u32_f64_e32 v6, v[2:3]
	global_store_dwordx2 v[4:5], v[6:7], off
.LBB85_1016:
	s_andn2_b64 vcc, exec, s[6:7]
	s_cbranch_vccnz .LBB85_1018
; %bb.1017:
	s_waitcnt vmcnt(0)
	v_cvt_i32_f64_e32 v2, v[0:1]
	global_store_dword v[4:5], v2, off
.LBB85_1018:
	s_mov_b64 s[6:7], 0
.LBB85_1019:
	s_andn2_b64 vcc, exec, s[6:7]
	s_cbranch_vccnz .LBB85_1021
; %bb.1020:
	s_waitcnt vmcnt(0)
	v_cvt_i32_f64_e32 v2, v[0:1]
	global_store_short v[4:5], v2, off
.LBB85_1021:
	s_mov_b64 s[6:7], 0
.LBB85_1022:
	s_andn2_b64 vcc, exec, s[6:7]
	s_cbranch_vccnz .LBB85_1027
; %bb.1023:
	s_sext_i32_i16 s6, s14
	s_cmp_gt_i32 s6, 0
	s_mov_b64 s[6:7], -1
	s_cbranch_scc0 .LBB85_1025
; %bb.1024:
	s_waitcnt vmcnt(0)
	v_cvt_i32_f64_e32 v2, v[0:1]
	s_mov_b64 s[6:7], 0
	global_store_byte v[4:5], v2, off
.LBB85_1025:
	s_andn2_b64 vcc, exec, s[6:7]
	s_cbranch_vccnz .LBB85_1027
; %bb.1026:
	v_trunc_f64_e32 v[0:1], v[0:1]
	s_movk_i32 s6, 0xffe0
	s_waitcnt vmcnt(0)
	v_ldexp_f64 v[2:3], v[0:1], s6
	s_mov_b32 s6, 0
	s_mov_b32 s7, 0xc1f00000
	v_floor_f64_e32 v[2:3], v[2:3]
	v_fma_f64 v[0:1], v[2:3], s[6:7], v[0:1]
	v_cvt_u32_f64_e32 v0, v[0:1]
	global_store_byte v[4:5], v0, off
.LBB85_1027:
	s_or_b64 exec, exec, s[4:5]
	s_and_b64 s[98:99], s[12:13], exec
                                        ; implicit-def: $vgpr47
.LBB85_1028:
	s_or_saveexec_b64 s[96:97], s[30:31]
	s_mov_b64 s[4:5], 0
                                        ; implicit-def: $sgpr33
                                        ; implicit-def: $vgpr4_vgpr5
                                        ; implicit-def: $vgpr0_vgpr1
	s_xor_b64 exec, exec, s[96:97]
	s_cbranch_execz .LBB85_1740
; %bb.1029:
	v_mul_lo_u32 v4, s41, v47
	v_mov_b32_e32 v1, s39
	s_and_b32 s14, 0xffff, s28
	s_cmp_lt_i32 s14, 11
	s_waitcnt vmcnt(0)
	v_ashrrev_i32_e32 v2, 31, v4
	v_add_co_u32_e32 v0, vcc, s38, v4
	v_addc_co_u32_e32 v1, vcc, v1, v2, vcc
	s_cbranch_scc1 .LBB85_1036
; %bb.1030:
	s_cmp_gt_i32 s14, 25
	s_mov_b64 s[6:7], 0
	s_cbranch_scc0 .LBB85_1038
; %bb.1031:
	s_cmp_gt_i32 s14, 28
	s_cbranch_scc0 .LBB85_1039
; %bb.1032:
	s_cmp_gt_i32 s14, 43
	;; [unrolled: 3-line block ×3, first 2 shown]
	s_cbranch_scc0 .LBB85_1041
; %bb.1034:
	s_cmp_eq_u32 s14, 46
	s_mov_b64 s[10:11], 0
	s_cbranch_scc0 .LBB85_1044
; %bb.1035:
	global_load_dword v2, v[0:1], off
	s_mov_b64 s[8:9], -1
	s_waitcnt vmcnt(0)
	v_lshlrev_b32_e32 v2, 16, v2
	v_cvt_f64_f32_e32 v[2:3], v2
	s_branch .LBB85_1045
.LBB85_1036:
	s_mov_b64 s[8:9], 0
                                        ; implicit-def: $vgpr2_vgpr3
	s_mov_b64 s[86:87], s[98:99]
	s_cbranch_execnz .LBB85_1108
.LBB85_1037:
	s_andn2_b64 vcc, exec, s[8:9]
	s_cbranch_vccz .LBB85_1153
	s_branch .LBB85_1738
.LBB85_1038:
	s_mov_b64 s[8:9], 0
                                        ; implicit-def: $vgpr2_vgpr3
	s_cbranch_execnz .LBB85_1075
	s_branch .LBB85_1104
.LBB85_1039:
	s_mov_b64 s[10:11], -1
	s_mov_b64 s[8:9], 0
                                        ; implicit-def: $vgpr2_vgpr3
	s_branch .LBB85_1054
.LBB85_1040:
	s_mov_b64 s[8:9], 0
                                        ; implicit-def: $vgpr2_vgpr3
	s_cbranch_execnz .LBB85_1050
	s_branch .LBB85_1053
.LBB85_1041:
	s_mov_b64 s[10:11], -1
	s_mov_b64 s[8:9], 0
                                        ; implicit-def: $vgpr2_vgpr3
	s_branch .LBB85_1045
.LBB85_1042:
	s_andn2_saveexec_b64 s[10:11], s[10:11]
	s_cbranch_execz .LBB85_941
.LBB85_1043:
	s_mov_b32 s12, 0x46000000
	v_add_f32_e64 v3, |v2|, s12
	v_and_b32_e32 v3, 0xff, v3
	v_cmp_ne_u32_e32 vcc, 0, v3
	s_andn2_b64 s[8:9], s[8:9], exec
	s_and_b64 s[12:13], vcc, exec
	s_or_b64 s[8:9], s[8:9], s[12:13]
	s_or_b64 exec, exec, s[10:11]
	v_mov_b32_e32 v6, 0
	s_and_saveexec_b64 s[10:11], s[8:9]
	s_cbranch_execnz .LBB85_942
	s_branch .LBB85_943
.LBB85_1044:
	s_mov_b64 s[4:5], -1
                                        ; implicit-def: $vgpr2_vgpr3
	s_mov_b64 s[8:9], 0
.LBB85_1045:
	s_and_b64 vcc, exec, s[10:11]
	s_cbranch_vccz .LBB85_1048
; %bb.1046:
	s_cmp_eq_u32 s14, 44
	s_cbranch_scc0 .LBB85_1049
; %bb.1047:
	global_load_ubyte v5, v[0:1], off
	s_movk_i32 s8, 0xff
	v_bfrev_b32_e32 v6, 4
	v_mov_b32_e32 v7, 0x7ff80000
	v_bfrev_b32_e32 v8, 28
	s_mov_b64 s[4:5], 0
	s_waitcnt vmcnt(0)
	v_lshlrev_b32_e32 v2, 23, v5
	v_cvt_f64_f32_e32 v[2:3], v2
	v_cmp_ne_u32_e32 vcc, s8, v5
	s_mov_b64 s[8:9], -1
	v_cndmask_b32_e32 v2, v6, v2, vcc
	v_cndmask_b32_e32 v3, v7, v3, vcc
	v_cmp_ne_u32_e32 vcc, 0, v5
	v_cndmask_b32_e32 v3, v8, v3, vcc
	v_cndmask_b32_e32 v2, 0, v2, vcc
.LBB85_1048:
	s_branch .LBB85_1053
.LBB85_1049:
	s_mov_b64 s[4:5], -1
                                        ; implicit-def: $vgpr2_vgpr3
	s_branch .LBB85_1053
.LBB85_1050:
	s_cmp_eq_u32 s14, 29
	s_cbranch_scc0 .LBB85_1052
; %bb.1051:
	global_load_dwordx2 v[2:3], v[0:1], off
	s_mov_b64 s[4:5], 0
	s_mov_b64 s[8:9], -1
	s_mov_b64 s[10:11], 0
	s_waitcnt vmcnt(0)
	v_cvt_f64_u32_e32 v[5:6], v3
	v_cvt_f64_u32_e32 v[2:3], v2
	v_ldexp_f64 v[5:6], v[5:6], 32
	v_add_f64 v[2:3], v[5:6], v[2:3]
	s_branch .LBB85_1054
.LBB85_1052:
	s_mov_b64 s[4:5], -1
                                        ; implicit-def: $vgpr2_vgpr3
.LBB85_1053:
	s_mov_b64 s[10:11], 0
.LBB85_1054:
	s_and_b64 vcc, exec, s[10:11]
	s_cbranch_vccz .LBB85_1074
; %bb.1055:
	s_cmp_lt_i32 s14, 27
	s_cbranch_scc1 .LBB85_1058
; %bb.1056:
	s_cmp_gt_i32 s14, 27
	s_cbranch_scc0 .LBB85_1059
; %bb.1057:
	global_load_dword v2, v[0:1], off
	s_mov_b64 s[8:9], 0
	s_waitcnt vmcnt(0)
	v_cvt_f64_u32_e32 v[2:3], v2
	s_branch .LBB85_1060
.LBB85_1058:
	s_mov_b64 s[8:9], -1
                                        ; implicit-def: $vgpr2_vgpr3
	s_branch .LBB85_1063
.LBB85_1059:
	s_mov_b64 s[8:9], -1
                                        ; implicit-def: $vgpr2_vgpr3
.LBB85_1060:
	s_andn2_b64 vcc, exec, s[8:9]
	s_cbranch_vccnz .LBB85_1062
; %bb.1061:
	global_load_ushort v2, v[0:1], off
	s_waitcnt vmcnt(0)
	v_cvt_f64_u32_e32 v[2:3], v2
.LBB85_1062:
	s_mov_b64 s[8:9], 0
.LBB85_1063:
	s_andn2_b64 vcc, exec, s[8:9]
	s_cbranch_vccnz .LBB85_1073
; %bb.1064:
	global_load_ubyte v5, v[0:1], off
	s_movk_i32 s8, 0x7f
	s_waitcnt vmcnt(0)
	v_cmp_lt_i16_e32 vcc, s8, v5
	s_mov_b64 s[8:9], 0
	s_and_saveexec_b64 s[10:11], vcc
	s_xor_b64 s[10:11], exec, s[10:11]
	s_cbranch_execz .LBB85_1068
; %bb.1065:
	s_movk_i32 s8, 0x80
	v_cmp_eq_u16_e32 vcc, s8, v5
	s_mov_b64 s[8:9], -1
	s_and_saveexec_b64 s[12:13], vcc
; %bb.1066:
	s_xor_b64 s[8:9], exec, -1
; %bb.1067:
	s_or_b64 exec, exec, s[12:13]
	s_and_b64 s[8:9], s[8:9], exec
.LBB85_1068:
	s_or_saveexec_b64 s[10:11], s[10:11]
	v_bfrev_b32_e32 v2, 4
	v_mov_b32_e32 v3, 0x7ff80000
	s_xor_b64 exec, exec, s[10:11]
; %bb.1069:
	v_cmp_ne_u16_e32 vcc, 0, v5
	v_mov_b32_e32 v2, 0
	s_andn2_b64 s[8:9], s[8:9], exec
	s_and_b64 s[12:13], vcc, exec
	v_mov_b32_e32 v3, 0
	s_or_b64 s[8:9], s[8:9], s[12:13]
; %bb.1070:
	s_or_b64 exec, exec, s[10:11]
	s_and_saveexec_b64 s[10:11], s[8:9]
	s_cbranch_execz .LBB85_1072
; %bb.1071:
	v_and_b32_e32 v3, 0xffff, v5
	v_lshlrev_b32_e32 v2, 24, v5
	v_and_b32_e32 v5, 7, v3
	v_ffbh_u32_e32 v7, v5
	v_min_u32_e32 v7, 32, v7
	v_subrev_u32_e32 v8, 28, v7
	v_bfe_u32 v6, v3, 3, 4
	v_lshlrev_b32_e32 v3, v8, v3
	v_sub_u32_e32 v7, 29, v7
	v_and_b32_e32 v3, 7, v3
	v_cmp_eq_u32_e32 vcc, 0, v6
	v_cndmask_b32_e32 v6, v6, v7, vcc
	v_cndmask_b32_e32 v3, v5, v3, vcc
	v_mov_b32_e32 v5, 0x3b800000
	v_lshlrev_b32_e32 v3, 20, v3
	v_and_b32_e32 v2, 0x80000000, v2
	v_lshl_add_u32 v5, v6, 23, v5
	v_or3_b32 v2, v2, v5, v3
	v_cvt_f64_f32_e32 v[2:3], v2
.LBB85_1072:
	s_or_b64 exec, exec, s[10:11]
.LBB85_1073:
	s_mov_b64 s[8:9], -1
.LBB85_1074:
	s_branch .LBB85_1104
.LBB85_1075:
	s_cmp_gt_i32 s14, 22
	s_cbranch_scc0 .LBB85_1087
; %bb.1076:
	s_cmp_lt_i32 s14, 24
	s_cbranch_scc1 .LBB85_1088
; %bb.1077:
	s_cmp_gt_i32 s14, 24
	s_cbranch_scc0 .LBB85_1089
; %bb.1078:
	global_load_ubyte v5, v[0:1], off
	s_movk_i32 s6, 0x7f
	s_waitcnt vmcnt(0)
	v_cmp_lt_i16_e32 vcc, s6, v5
	s_mov_b64 s[6:7], 0
	s_and_saveexec_b64 s[8:9], vcc
	s_xor_b64 s[8:9], exec, s[8:9]
	s_cbranch_execz .LBB85_1082
; %bb.1079:
	s_movk_i32 s6, 0x80
	v_cmp_eq_u16_e32 vcc, s6, v5
	s_mov_b64 s[6:7], -1
	s_and_saveexec_b64 s[10:11], vcc
; %bb.1080:
	s_xor_b64 s[6:7], exec, -1
; %bb.1081:
	s_or_b64 exec, exec, s[10:11]
	s_and_b64 s[6:7], s[6:7], exec
.LBB85_1082:
	s_or_saveexec_b64 s[8:9], s[8:9]
	v_bfrev_b32_e32 v2, 4
	v_mov_b32_e32 v3, 0x7ff80000
	s_xor_b64 exec, exec, s[8:9]
; %bb.1083:
	v_cmp_ne_u16_e32 vcc, 0, v5
	v_mov_b32_e32 v2, 0
	s_andn2_b64 s[6:7], s[6:7], exec
	s_and_b64 s[10:11], vcc, exec
	v_mov_b32_e32 v3, 0
	s_or_b64 s[6:7], s[6:7], s[10:11]
; %bb.1084:
	s_or_b64 exec, exec, s[8:9]
	s_and_saveexec_b64 s[8:9], s[6:7]
	s_cbranch_execz .LBB85_1086
; %bb.1085:
	v_and_b32_e32 v3, 0xffff, v5
	v_lshlrev_b32_e32 v2, 24, v5
	v_and_b32_e32 v5, 3, v3
	v_ffbh_u32_e32 v7, v5
	v_min_u32_e32 v7, 32, v7
	v_subrev_u32_e32 v8, 29, v7
	v_bfe_u32 v6, v3, 2, 5
	v_lshlrev_b32_e32 v3, v8, v3
	v_sub_u32_e32 v7, 30, v7
	v_and_b32_e32 v3, 3, v3
	v_cmp_eq_u32_e32 vcc, 0, v6
	v_cndmask_b32_e32 v6, v6, v7, vcc
	v_cndmask_b32_e32 v3, v5, v3, vcc
	v_mov_b32_e32 v5, 0x37800000
	v_lshlrev_b32_e32 v3, 21, v3
	v_and_b32_e32 v2, 0x80000000, v2
	v_lshl_add_u32 v5, v6, 23, v5
	v_or3_b32 v2, v2, v5, v3
	v_cvt_f64_f32_e32 v[2:3], v2
.LBB85_1086:
	s_or_b64 exec, exec, s[8:9]
	s_mov_b64 s[6:7], 0
	s_branch .LBB85_1090
.LBB85_1087:
                                        ; implicit-def: $vgpr2_vgpr3
	s_mov_b64 s[6:7], 0
	s_branch .LBB85_1096
.LBB85_1088:
	s_mov_b64 s[6:7], -1
                                        ; implicit-def: $vgpr2_vgpr3
	s_branch .LBB85_1093
.LBB85_1089:
	s_mov_b64 s[6:7], -1
                                        ; implicit-def: $vgpr2_vgpr3
.LBB85_1090:
	s_and_b64 vcc, exec, s[6:7]
	s_cbranch_vccz .LBB85_1092
; %bb.1091:
	global_load_ubyte v2, v[0:1], off
	s_mov_b32 s6, 0x7f800000
	s_waitcnt vmcnt(0)
	v_lshlrev_b32_e32 v2, 24, v2
	v_and_b32_e32 v3, 0x7f000000, v2
	v_ffbh_u32_e32 v5, v3
	v_min_u32_e32 v5, 32, v5
	v_sub_u32_e64 v5, v5, 4 clamp
	v_lshlrev_b32_e32 v7, v5, v3
	v_lshlrev_b32_e32 v5, 23, v5
	v_lshrrev_b32_e32 v7, 4, v7
	v_add_u32_e32 v6, 0x1000000, v3
	v_sub_u32_e32 v5, v7, v5
	v_ashrrev_i32_e32 v6, 8, v6
	v_add_u32_e32 v5, 0x3c000000, v5
	v_and_or_b32 v5, v6, s6, v5
	v_cmp_ne_u32_e32 vcc, 0, v3
	v_cndmask_b32_e32 v3, 0, v5, vcc
	s_brev_b32 s6, 1
	v_and_or_b32 v2, v2, s6, v3
	v_cvt_f64_f32_e32 v[2:3], v2
.LBB85_1092:
	s_mov_b64 s[6:7], 0
.LBB85_1093:
	s_andn2_b64 vcc, exec, s[6:7]
	s_cbranch_vccnz .LBB85_1095
; %bb.1094:
	global_load_ubyte v2, v[0:1], off
	s_movk_i32 s6, 0x7f00
	s_brev_b32 s7, 16
	s_waitcnt vmcnt(0)
	v_lshlrev_b16_e32 v3, 8, v2
	v_lshlrev_b32_e32 v2, 25, v2
	v_lshrrev_b32_e32 v5, 4, v2
	v_and_or_b32 v6, v3, s6, 0.5
	v_or_b32_e32 v5, 0x70000000, v5
	v_add_f32_e32 v6, -0.5, v6
	v_mul_f32_e32 v5, 0x7800000, v5
	v_cmp_gt_u32_e32 vcc, s7, v2
	v_bfe_i32 v3, v3, 0, 16
	v_cndmask_b32_e32 v2, v5, v6, vcc
	s_brev_b32 s6, 1
	v_and_or_b32 v2, v3, s6, v2
	v_cvt_f64_f32_e32 v[2:3], v2
.LBB85_1095:
	s_mov_b64 s[8:9], -1
	s_mov_b64 s[6:7], 0
	s_cbranch_execnz .LBB85_1104
.LBB85_1096:
	s_cmp_gt_i32 s14, 14
	s_cbranch_scc0 .LBB85_1099
; %bb.1097:
	s_cmp_eq_u32 s14, 15
	s_cbranch_scc0 .LBB85_1100
; %bb.1098:
	global_load_ushort v2, v[0:1], off
	s_mov_b64 s[4:5], 0
	s_mov_b64 s[8:9], -1
	s_waitcnt vmcnt(0)
	v_lshlrev_b32_e32 v2, 16, v2
	v_cvt_f64_f32_e32 v[2:3], v2
	s_branch .LBB85_1101
.LBB85_1099:
	s_mov_b64 s[10:11], -1
                                        ; implicit-def: $vgpr2_vgpr3
	s_branch .LBB85_1102
.LBB85_1100:
	s_mov_b64 s[4:5], -1
                                        ; implicit-def: $vgpr2_vgpr3
.LBB85_1101:
	s_mov_b64 s[10:11], 0
.LBB85_1102:
	s_and_b64 vcc, exec, s[10:11]
	s_cbranch_vccz .LBB85_1104
; %bb.1103:
	s_cmp_lg_u32 s14, 11
	s_mov_b64 s[6:7], -1
	s_cselect_b64 s[4:5], -1, 0
.LBB85_1104:
	s_and_b64 vcc, exec, s[4:5]
	s_mov_b64 s[86:87], s[98:99]
	s_cbranch_vccnz .LBB85_1165
; %bb.1105:
	s_andn2_b64 vcc, exec, s[6:7]
	s_cbranch_vccnz .LBB85_1107
.LBB85_1106:
	global_load_ubyte v3, v[0:1], off
	v_mov_b32_e32 v5, 0x3ff00000
	v_mov_b32_e32 v2, 0
	s_mov_b64 s[8:9], -1
	s_waitcnt vmcnt(0)
	v_cmp_ne_u16_e32 vcc, 0, v3
	v_cndmask_b32_e32 v3, 0, v5, vcc
.LBB85_1107:
	s_branch .LBB85_1037
.LBB85_1108:
	s_cmp_lt_i32 s14, 5
	s_cbranch_scc1 .LBB85_1113
; %bb.1109:
	s_cmp_lt_i32 s14, 8
	s_cbranch_scc1 .LBB85_1114
; %bb.1110:
	;; [unrolled: 3-line block ×3, first 2 shown]
	s_cmp_gt_i32 s14, 9
	s_cbranch_scc0 .LBB85_1116
; %bb.1112:
	global_load_dwordx2 v[2:3], v[0:1], off
	s_mov_b64 s[4:5], 0
	s_branch .LBB85_1117
.LBB85_1113:
                                        ; implicit-def: $vgpr2_vgpr3
	s_branch .LBB85_1134
.LBB85_1114:
                                        ; implicit-def: $vgpr2_vgpr3
	s_branch .LBB85_1123
.LBB85_1115:
	s_mov_b64 s[4:5], -1
                                        ; implicit-def: $vgpr2_vgpr3
	s_branch .LBB85_1120
.LBB85_1116:
	s_mov_b64 s[4:5], -1
                                        ; implicit-def: $vgpr2_vgpr3
.LBB85_1117:
	s_andn2_b64 vcc, exec, s[4:5]
	s_cbranch_vccnz .LBB85_1119
; %bb.1118:
	global_load_dword v2, v[0:1], off
	s_waitcnt vmcnt(0)
	v_cvt_f64_f32_e32 v[2:3], v2
.LBB85_1119:
	s_mov_b64 s[4:5], 0
.LBB85_1120:
	s_andn2_b64 vcc, exec, s[4:5]
	s_cbranch_vccnz .LBB85_1122
; %bb.1121:
	global_load_dword v2, v[0:1], off
	s_waitcnt vmcnt(0)
	v_cvt_f32_f16_e32 v2, v2
	v_cvt_f64_f32_e32 v[2:3], v2
.LBB85_1122:
	s_cbranch_execnz .LBB85_1133
.LBB85_1123:
	s_cmp_lt_i32 s14, 6
	s_cbranch_scc1 .LBB85_1126
; %bb.1124:
	s_cmp_gt_i32 s14, 6
	s_cbranch_scc0 .LBB85_1127
; %bb.1125:
	global_load_dwordx2 v[2:3], v[0:1], off
	s_mov_b64 s[4:5], 0
	s_branch .LBB85_1128
.LBB85_1126:
	s_mov_b64 s[4:5], -1
                                        ; implicit-def: $vgpr2_vgpr3
	s_branch .LBB85_1131
.LBB85_1127:
	s_mov_b64 s[4:5], -1
                                        ; implicit-def: $vgpr2_vgpr3
.LBB85_1128:
	s_andn2_b64 vcc, exec, s[4:5]
	s_cbranch_vccnz .LBB85_1130
; %bb.1129:
	global_load_dword v2, v[0:1], off
	s_waitcnt vmcnt(0)
	v_cvt_f64_f32_e32 v[2:3], v2
.LBB85_1130:
	s_mov_b64 s[4:5], 0
.LBB85_1131:
	s_andn2_b64 vcc, exec, s[4:5]
	s_cbranch_vccnz .LBB85_1133
; %bb.1132:
	global_load_ushort v2, v[0:1], off
	s_waitcnt vmcnt(0)
	v_cvt_f32_f16_e32 v2, v2
	v_cvt_f64_f32_e32 v[2:3], v2
.LBB85_1133:
	s_cbranch_execnz .LBB85_1152
.LBB85_1134:
	s_cmp_lt_i32 s14, 2
	s_cbranch_scc1 .LBB85_1138
; %bb.1135:
	s_cmp_lt_i32 s14, 3
	s_cbranch_scc1 .LBB85_1139
; %bb.1136:
	s_cmp_gt_i32 s14, 3
	s_cbranch_scc0 .LBB85_1140
; %bb.1137:
	global_load_dwordx2 v[2:3], v[0:1], off
	s_mov_b64 s[4:5], 0
	s_waitcnt vmcnt(0)
	v_cvt_f64_i32_e32 v[5:6], v3
	v_cvt_f64_u32_e32 v[2:3], v2
	v_ldexp_f64 v[5:6], v[5:6], 32
	v_add_f64 v[2:3], v[5:6], v[2:3]
	s_branch .LBB85_1141
.LBB85_1138:
                                        ; implicit-def: $vgpr2_vgpr3
	s_branch .LBB85_1147
.LBB85_1139:
	s_mov_b64 s[4:5], -1
                                        ; implicit-def: $vgpr2_vgpr3
	s_branch .LBB85_1144
.LBB85_1140:
	s_mov_b64 s[4:5], -1
                                        ; implicit-def: $vgpr2_vgpr3
.LBB85_1141:
	s_andn2_b64 vcc, exec, s[4:5]
	s_cbranch_vccnz .LBB85_1143
; %bb.1142:
	global_load_dword v2, v[0:1], off
	s_waitcnt vmcnt(0)
	v_cvt_f64_i32_e32 v[2:3], v2
.LBB85_1143:
	s_mov_b64 s[4:5], 0
.LBB85_1144:
	s_andn2_b64 vcc, exec, s[4:5]
	s_cbranch_vccnz .LBB85_1146
; %bb.1145:
	global_load_sshort v2, v[0:1], off
	s_waitcnt vmcnt(0)
	v_cvt_f64_i32_e32 v[2:3], v2
.LBB85_1146:
	s_cbranch_execnz .LBB85_1152
.LBB85_1147:
	s_cmp_gt_i32 s14, 0
	s_cbranch_scc0 .LBB85_1149
; %bb.1148:
	global_load_sbyte v2, v[0:1], off
	s_mov_b64 s[4:5], 0
	s_waitcnt vmcnt(0)
	v_cvt_f64_i32_e32 v[2:3], v2
	s_branch .LBB85_1150
.LBB85_1149:
	s_mov_b64 s[4:5], -1
                                        ; implicit-def: $vgpr2_vgpr3
.LBB85_1150:
	s_andn2_b64 vcc, exec, s[4:5]
	s_cbranch_vccnz .LBB85_1152
; %bb.1151:
	global_load_ubyte v0, v[0:1], off
	s_waitcnt vmcnt(0)
	v_cvt_f64_u32_e32 v[2:3], v0
.LBB85_1152:
.LBB85_1153:
	s_lshl_b32 s15, s41, 7
	v_add_u32_e32 v4, s15, v4
	v_ashrrev_i32_e32 v1, 31, v4
	v_mov_b32_e32 v5, s39
	v_add_co_u32_e32 v0, vcc, s38, v4
	s_cmp_lt_i32 s14, 11
	v_addc_co_u32_e32 v1, vcc, v5, v1, vcc
	s_cbranch_scc1 .LBB85_1160
; %bb.1154:
	s_cmp_gt_i32 s14, 25
	s_mov_b64 s[6:7], 0
	s_cbranch_scc0 .LBB85_1162
; %bb.1155:
	s_cmp_gt_i32 s14, 28
	s_cbranch_scc0 .LBB85_1163
; %bb.1156:
	s_cmp_gt_i32 s14, 43
	;; [unrolled: 3-line block ×3, first 2 shown]
	s_cbranch_scc0 .LBB85_1166
; %bb.1158:
	s_cmp_eq_u32 s14, 46
	s_mov_b64 s[10:11], 0
	s_cbranch_scc0 .LBB85_1169
; %bb.1159:
	global_load_dword v5, v[0:1], off
	s_mov_b64 s[4:5], 0
	s_mov_b64 s[8:9], -1
	s_waitcnt vmcnt(0)
	v_lshlrev_b32_e32 v5, 16, v5
	v_cvt_f64_f32_e32 v[45:46], v5
	s_branch .LBB85_1170
.LBB85_1160:
	s_mov_b64 s[8:9], 0
                                        ; implicit-def: $vgpr45_vgpr46
	s_cbranch_execnz .LBB85_1235
.LBB85_1161:
	s_andn2_b64 vcc, exec, s[8:9]
	s_cbranch_vccnz .LBB85_1738
	s_branch .LBB85_1282
.LBB85_1162:
	s_mov_b64 s[8:9], 0
	s_mov_b64 s[4:5], 0
                                        ; implicit-def: $vgpr45_vgpr46
	s_cbranch_execnz .LBB85_1201
	s_branch .LBB85_1231
.LBB85_1163:
	s_mov_b64 s[10:11], -1
	s_mov_b64 s[8:9], 0
	s_mov_b64 s[4:5], 0
                                        ; implicit-def: $vgpr45_vgpr46
	s_branch .LBB85_1180
.LBB85_1164:
	s_mov_b64 s[10:11], -1
	s_mov_b64 s[8:9], 0
	s_mov_b64 s[4:5], 0
                                        ; implicit-def: $vgpr45_vgpr46
	s_branch .LBB85_1175
.LBB85_1165:
	s_or_b64 s[86:87], s[98:99], exec
	s_trap 2
	s_cbranch_execz .LBB85_1106
	s_branch .LBB85_1107
.LBB85_1166:
	s_mov_b64 s[10:11], -1
	s_mov_b64 s[8:9], 0
	s_mov_b64 s[4:5], 0
                                        ; implicit-def: $vgpr45_vgpr46
	s_branch .LBB85_1170
.LBB85_1167:
	s_andn2_saveexec_b64 s[12:13], s[12:13]
	s_cbranch_execz .LBB85_953
.LBB85_1168:
	s_mov_b32 s16, 0x42800000
	v_add_f32_e64 v3, |v2|, s16
	v_and_b32_e32 v3, 0xff, v3
	v_cmp_ne_u32_e32 vcc, 0, v3
	s_andn2_b64 s[10:11], s[10:11], exec
	s_and_b64 s[16:17], vcc, exec
	s_or_b64 s[10:11], s[10:11], s[16:17]
	s_or_b64 exec, exec, s[12:13]
	v_mov_b32_e32 v6, 0
	s_and_saveexec_b64 s[12:13], s[10:11]
	s_cbranch_execnz .LBB85_954
	s_branch .LBB85_955
.LBB85_1169:
	s_mov_b64 s[4:5], -1
                                        ; implicit-def: $vgpr45_vgpr46
	s_mov_b64 s[8:9], 0
.LBB85_1170:
	s_and_b64 vcc, exec, s[10:11]
	s_cbranch_vccz .LBB85_1174
; %bb.1171:
	s_cmp_eq_u32 s14, 44
	s_cbranch_scc0 .LBB85_1173
; %bb.1172:
	global_load_ubyte v7, v[0:1], off
	s_movk_i32 s8, 0xff
	v_bfrev_b32_e32 v8, 4
	v_mov_b32_e32 v9, 0x7ff80000
	v_bfrev_b32_e32 v10, 28
	s_mov_b64 s[4:5], 0
	s_waitcnt vmcnt(0)
	v_lshlrev_b32_e32 v5, 23, v7
	v_cvt_f64_f32_e32 v[5:6], v5
	v_cmp_ne_u32_e32 vcc, s8, v7
	s_mov_b64 s[8:9], -1
	v_cndmask_b32_e32 v5, v8, v5, vcc
	v_cndmask_b32_e32 v6, v9, v6, vcc
	v_cmp_ne_u32_e32 vcc, 0, v7
	v_cndmask_b32_e32 v46, v10, v6, vcc
	v_cndmask_b32_e32 v45, 0, v5, vcc
	s_branch .LBB85_1174
.LBB85_1173:
	s_mov_b64 s[4:5], -1
                                        ; implicit-def: $vgpr45_vgpr46
.LBB85_1174:
	s_mov_b64 s[10:11], 0
.LBB85_1175:
	s_and_b64 vcc, exec, s[10:11]
	s_cbranch_vccz .LBB85_1179
; %bb.1176:
	s_cmp_eq_u32 s14, 29
	s_cbranch_scc0 .LBB85_1178
; %bb.1177:
	global_load_dwordx2 v[5:6], v[0:1], off
	s_mov_b64 s[4:5], 0
	s_mov_b64 s[8:9], -1
	s_mov_b64 s[10:11], 0
	s_waitcnt vmcnt(0)
	v_cvt_f64_u32_e32 v[6:7], v6
	v_cvt_f64_u32_e32 v[8:9], v5
	v_ldexp_f64 v[6:7], v[6:7], 32
	v_add_f64 v[45:46], v[6:7], v[8:9]
	s_branch .LBB85_1180
.LBB85_1178:
	s_mov_b64 s[4:5], -1
                                        ; implicit-def: $vgpr45_vgpr46
.LBB85_1179:
	s_mov_b64 s[10:11], 0
.LBB85_1180:
	s_and_b64 vcc, exec, s[10:11]
	s_cbranch_vccz .LBB85_1200
; %bb.1181:
	s_cmp_lt_i32 s14, 27
	s_cbranch_scc1 .LBB85_1184
; %bb.1182:
	s_cmp_gt_i32 s14, 27
	s_cbranch_scc0 .LBB85_1185
; %bb.1183:
	global_load_dword v5, v[0:1], off
	s_mov_b64 s[8:9], 0
	s_waitcnt vmcnt(0)
	v_cvt_f64_u32_e32 v[45:46], v5
	s_branch .LBB85_1186
.LBB85_1184:
	s_mov_b64 s[8:9], -1
                                        ; implicit-def: $vgpr45_vgpr46
	s_branch .LBB85_1189
.LBB85_1185:
	s_mov_b64 s[8:9], -1
                                        ; implicit-def: $vgpr45_vgpr46
.LBB85_1186:
	s_andn2_b64 vcc, exec, s[8:9]
	s_cbranch_vccnz .LBB85_1188
; %bb.1187:
	global_load_ushort v5, v[0:1], off
	s_waitcnt vmcnt(0)
	v_cvt_f64_u32_e32 v[45:46], v5
.LBB85_1188:
	s_mov_b64 s[8:9], 0
.LBB85_1189:
	s_andn2_b64 vcc, exec, s[8:9]
	s_cbranch_vccnz .LBB85_1199
; %bb.1190:
	global_load_ubyte v5, v[0:1], off
	s_movk_i32 s8, 0x7f
	s_waitcnt vmcnt(0)
	v_cmp_lt_i16_e32 vcc, s8, v5
	s_mov_b64 s[8:9], 0
	s_and_saveexec_b64 s[10:11], vcc
	s_xor_b64 s[10:11], exec, s[10:11]
	s_cbranch_execz .LBB85_1194
; %bb.1191:
	s_movk_i32 s8, 0x80
	v_cmp_eq_u16_e32 vcc, s8, v5
	s_mov_b64 s[8:9], -1
	s_and_saveexec_b64 s[12:13], vcc
; %bb.1192:
	s_xor_b64 s[8:9], exec, -1
; %bb.1193:
	s_or_b64 exec, exec, s[12:13]
	s_and_b64 s[8:9], s[8:9], exec
.LBB85_1194:
	s_or_saveexec_b64 s[10:11], s[10:11]
	v_bfrev_b32_e32 v45, 4
	v_mov_b32_e32 v46, 0x7ff80000
	s_xor_b64 exec, exec, s[10:11]
; %bb.1195:
	v_cmp_ne_u16_e32 vcc, 0, v5
	v_mov_b32_e32 v45, 0
	s_andn2_b64 s[8:9], s[8:9], exec
	s_and_b64 s[12:13], vcc, exec
	v_mov_b32_e32 v46, 0
	s_or_b64 s[8:9], s[8:9], s[12:13]
; %bb.1196:
	s_or_b64 exec, exec, s[10:11]
	s_and_saveexec_b64 s[10:11], s[8:9]
	s_cbranch_execz .LBB85_1198
; %bb.1197:
	v_lshlrev_b32_e32 v6, 24, v5
	v_and_b32_e32 v5, 0xffff, v5
	v_and_b32_e32 v7, 7, v5
	v_ffbh_u32_e32 v9, v7
	v_min_u32_e32 v9, 32, v9
	v_subrev_u32_e32 v10, 28, v9
	v_bfe_u32 v8, v5, 3, 4
	v_lshlrev_b32_e32 v5, v10, v5
	v_sub_u32_e32 v9, 29, v9
	v_and_b32_e32 v5, 7, v5
	v_cmp_eq_u32_e32 vcc, 0, v8
	v_cndmask_b32_e32 v8, v8, v9, vcc
	v_cndmask_b32_e32 v5, v7, v5, vcc
	v_mov_b32_e32 v7, 0x3b800000
	v_lshlrev_b32_e32 v5, 20, v5
	v_and_b32_e32 v6, 0x80000000, v6
	v_lshl_add_u32 v7, v8, 23, v7
	v_or3_b32 v5, v6, v7, v5
	v_cvt_f64_f32_e32 v[45:46], v5
.LBB85_1198:
	s_or_b64 exec, exec, s[10:11]
.LBB85_1199:
	s_mov_b64 s[8:9], -1
.LBB85_1200:
	s_branch .LBB85_1231
.LBB85_1201:
	s_cmp_gt_i32 s14, 22
	s_cbranch_scc0 .LBB85_1213
; %bb.1202:
	s_cmp_lt_i32 s14, 24
	s_cbranch_scc1 .LBB85_1214
; %bb.1203:
	s_cmp_gt_i32 s14, 24
	s_cbranch_scc0 .LBB85_1215
; %bb.1204:
	global_load_ubyte v5, v[0:1], off
	s_movk_i32 s6, 0x7f
	s_waitcnt vmcnt(0)
	v_cmp_lt_i16_e32 vcc, s6, v5
	s_mov_b64 s[6:7], 0
	s_and_saveexec_b64 s[8:9], vcc
	s_xor_b64 s[8:9], exec, s[8:9]
	s_cbranch_execz .LBB85_1208
; %bb.1205:
	s_movk_i32 s6, 0x80
	v_cmp_eq_u16_e32 vcc, s6, v5
	s_mov_b64 s[6:7], -1
	s_and_saveexec_b64 s[10:11], vcc
; %bb.1206:
	s_xor_b64 s[6:7], exec, -1
; %bb.1207:
	s_or_b64 exec, exec, s[10:11]
	s_and_b64 s[6:7], s[6:7], exec
.LBB85_1208:
	s_or_saveexec_b64 s[8:9], s[8:9]
	v_bfrev_b32_e32 v45, 4
	v_mov_b32_e32 v46, 0x7ff80000
	s_xor_b64 exec, exec, s[8:9]
; %bb.1209:
	v_cmp_ne_u16_e32 vcc, 0, v5
	v_mov_b32_e32 v45, 0
	s_andn2_b64 s[6:7], s[6:7], exec
	s_and_b64 s[10:11], vcc, exec
	v_mov_b32_e32 v46, 0
	s_or_b64 s[6:7], s[6:7], s[10:11]
; %bb.1210:
	s_or_b64 exec, exec, s[8:9]
	s_and_saveexec_b64 s[8:9], s[6:7]
	s_cbranch_execz .LBB85_1212
; %bb.1211:
	v_lshlrev_b32_e32 v6, 24, v5
	v_and_b32_e32 v5, 0xffff, v5
	v_and_b32_e32 v7, 3, v5
	v_ffbh_u32_e32 v9, v7
	v_min_u32_e32 v9, 32, v9
	v_subrev_u32_e32 v10, 29, v9
	v_bfe_u32 v8, v5, 2, 5
	v_lshlrev_b32_e32 v5, v10, v5
	v_sub_u32_e32 v9, 30, v9
	v_and_b32_e32 v5, 3, v5
	v_cmp_eq_u32_e32 vcc, 0, v8
	v_cndmask_b32_e32 v8, v8, v9, vcc
	v_cndmask_b32_e32 v5, v7, v5, vcc
	v_mov_b32_e32 v7, 0x37800000
	v_lshlrev_b32_e32 v5, 21, v5
	v_and_b32_e32 v6, 0x80000000, v6
	v_lshl_add_u32 v7, v8, 23, v7
	v_or3_b32 v5, v6, v7, v5
	v_cvt_f64_f32_e32 v[45:46], v5
.LBB85_1212:
	s_or_b64 exec, exec, s[8:9]
	s_mov_b64 s[6:7], 0
	s_branch .LBB85_1216
.LBB85_1213:
	s_mov_b64 s[6:7], -1
                                        ; implicit-def: $vgpr45_vgpr46
	s_branch .LBB85_1222
.LBB85_1214:
	s_mov_b64 s[6:7], -1
                                        ; implicit-def: $vgpr45_vgpr46
	s_branch .LBB85_1219
.LBB85_1215:
	s_mov_b64 s[6:7], -1
                                        ; implicit-def: $vgpr45_vgpr46
.LBB85_1216:
	s_and_b64 vcc, exec, s[6:7]
	s_cbranch_vccz .LBB85_1218
; %bb.1217:
	global_load_ubyte v5, v[0:1], off
	s_mov_b32 s6, 0x7f800000
	s_waitcnt vmcnt(0)
	v_lshlrev_b32_e32 v5, 24, v5
	v_and_b32_e32 v6, 0x7f000000, v5
	v_ffbh_u32_e32 v7, v6
	v_min_u32_e32 v7, 32, v7
	v_sub_u32_e64 v7, v7, 4 clamp
	v_lshlrev_b32_e32 v9, v7, v6
	v_lshlrev_b32_e32 v7, 23, v7
	v_lshrrev_b32_e32 v9, 4, v9
	v_add_u32_e32 v8, 0x1000000, v6
	v_sub_u32_e32 v7, v9, v7
	v_ashrrev_i32_e32 v8, 8, v8
	v_add_u32_e32 v7, 0x3c000000, v7
	v_and_or_b32 v7, v8, s6, v7
	v_cmp_ne_u32_e32 vcc, 0, v6
	v_cndmask_b32_e32 v6, 0, v7, vcc
	s_brev_b32 s6, 1
	v_and_or_b32 v5, v5, s6, v6
	v_cvt_f64_f32_e32 v[45:46], v5
.LBB85_1218:
	s_mov_b64 s[6:7], 0
.LBB85_1219:
	s_andn2_b64 vcc, exec, s[6:7]
	s_cbranch_vccnz .LBB85_1221
; %bb.1220:
	global_load_ubyte v5, v[0:1], off
	s_movk_i32 s6, 0x7f00
	s_brev_b32 s7, 16
	s_waitcnt vmcnt(0)
	v_lshlrev_b16_e32 v6, 8, v5
	v_lshlrev_b32_e32 v5, 25, v5
	v_lshrrev_b32_e32 v7, 4, v5
	v_and_or_b32 v8, v6, s6, 0.5
	v_or_b32_e32 v7, 0x70000000, v7
	v_add_f32_e32 v8, -0.5, v8
	v_mul_f32_e32 v7, 0x7800000, v7
	v_cmp_gt_u32_e32 vcc, s7, v5
	v_bfe_i32 v6, v6, 0, 16
	v_cndmask_b32_e32 v5, v7, v8, vcc
	s_brev_b32 s6, 1
	v_and_or_b32 v5, v6, s6, v5
	v_cvt_f64_f32_e32 v[45:46], v5
.LBB85_1221:
	s_mov_b64 s[6:7], 0
	s_mov_b64 s[8:9], -1
.LBB85_1222:
	s_andn2_b64 vcc, exec, s[6:7]
	s_mov_b64 s[6:7], 0
	s_cbranch_vccnz .LBB85_1231
; %bb.1223:
	s_cmp_gt_i32 s14, 14
	s_cbranch_scc0 .LBB85_1226
; %bb.1224:
	s_cmp_eq_u32 s14, 15
	s_cbranch_scc0 .LBB85_1227
; %bb.1225:
	global_load_ushort v5, v[0:1], off
	s_mov_b64 s[4:5], 0
	s_mov_b64 s[8:9], -1
	s_waitcnt vmcnt(0)
	v_lshlrev_b32_e32 v5, 16, v5
	v_cvt_f64_f32_e32 v[45:46], v5
	s_branch .LBB85_1228
.LBB85_1226:
	s_mov_b64 s[10:11], -1
                                        ; implicit-def: $vgpr45_vgpr46
	s_branch .LBB85_1229
.LBB85_1227:
	s_mov_b64 s[4:5], -1
                                        ; implicit-def: $vgpr45_vgpr46
.LBB85_1228:
	s_mov_b64 s[10:11], 0
.LBB85_1229:
	s_and_b64 vcc, exec, s[10:11]
	s_cbranch_vccz .LBB85_1231
; %bb.1230:
	s_cmp_lg_u32 s14, 11
	s_mov_b64 s[6:7], -1
	s_cselect_b64 s[4:5], -1, 0
.LBB85_1231:
	s_and_b64 vcc, exec, s[4:5]
	s_cbranch_vccnz .LBB85_1294
; %bb.1232:
	s_andn2_b64 vcc, exec, s[6:7]
	s_cbranch_vccnz .LBB85_1234
.LBB85_1233:
	global_load_ubyte v5, v[0:1], off
	v_mov_b32_e32 v6, 0x3ff00000
	v_mov_b32_e32 v45, 0
	s_mov_b64 s[8:9], -1
	s_waitcnt vmcnt(0)
	v_cmp_ne_u16_e32 vcc, 0, v5
	v_cndmask_b32_e32 v46, 0, v6, vcc
.LBB85_1234:
	s_branch .LBB85_1161
.LBB85_1235:
	s_cmp_lt_i32 s14, 5
	s_cbranch_scc1 .LBB85_1240
; %bb.1236:
	s_cmp_lt_i32 s14, 8
	s_cbranch_scc1 .LBB85_1241
; %bb.1237:
	;; [unrolled: 3-line block ×3, first 2 shown]
	s_cmp_gt_i32 s14, 9
	s_cbranch_scc0 .LBB85_1243
; %bb.1239:
	global_load_dwordx2 v[45:46], v[0:1], off
	s_mov_b64 s[4:5], 0
	s_branch .LBB85_1244
.LBB85_1240:
                                        ; implicit-def: $vgpr45_vgpr46
	s_branch .LBB85_1262
.LBB85_1241:
	s_mov_b64 s[4:5], -1
                                        ; implicit-def: $vgpr45_vgpr46
	s_branch .LBB85_1250
.LBB85_1242:
	s_mov_b64 s[4:5], -1
                                        ; implicit-def: $vgpr45_vgpr46
	s_branch .LBB85_1247
.LBB85_1243:
	s_mov_b64 s[4:5], -1
                                        ; implicit-def: $vgpr45_vgpr46
.LBB85_1244:
	s_andn2_b64 vcc, exec, s[4:5]
	s_cbranch_vccnz .LBB85_1246
; %bb.1245:
	global_load_dword v5, v[0:1], off
	s_waitcnt vmcnt(0)
	v_cvt_f64_f32_e32 v[45:46], v5
.LBB85_1246:
	s_mov_b64 s[4:5], 0
.LBB85_1247:
	s_andn2_b64 vcc, exec, s[4:5]
	s_cbranch_vccnz .LBB85_1249
; %bb.1248:
	global_load_dword v5, v[0:1], off
	s_waitcnt vmcnt(0)
	v_cvt_f32_f16_e32 v5, v5
	v_cvt_f64_f32_e32 v[45:46], v5
.LBB85_1249:
	s_mov_b64 s[4:5], 0
.LBB85_1250:
	s_andn2_b64 vcc, exec, s[4:5]
	s_cbranch_vccnz .LBB85_1261
; %bb.1251:
	s_cmp_lt_i32 s14, 6
	s_cbranch_scc1 .LBB85_1254
; %bb.1252:
	s_cmp_gt_i32 s14, 6
	s_cbranch_scc0 .LBB85_1255
; %bb.1253:
	global_load_dwordx2 v[45:46], v[0:1], off
	s_mov_b64 s[4:5], 0
	s_branch .LBB85_1256
.LBB85_1254:
	s_mov_b64 s[4:5], -1
                                        ; implicit-def: $vgpr45_vgpr46
	s_branch .LBB85_1259
.LBB85_1255:
	s_mov_b64 s[4:5], -1
                                        ; implicit-def: $vgpr45_vgpr46
.LBB85_1256:
	s_andn2_b64 vcc, exec, s[4:5]
	s_cbranch_vccnz .LBB85_1258
; %bb.1257:
	global_load_dword v5, v[0:1], off
	s_waitcnt vmcnt(0)
	v_cvt_f64_f32_e32 v[45:46], v5
.LBB85_1258:
	s_mov_b64 s[4:5], 0
.LBB85_1259:
	s_andn2_b64 vcc, exec, s[4:5]
	s_cbranch_vccnz .LBB85_1261
; %bb.1260:
	global_load_ushort v5, v[0:1], off
	s_waitcnt vmcnt(0)
	v_cvt_f32_f16_e32 v5, v5
	v_cvt_f64_f32_e32 v[45:46], v5
.LBB85_1261:
	s_cbranch_execnz .LBB85_1281
.LBB85_1262:
	s_cmp_lt_i32 s14, 2
	s_cbranch_scc1 .LBB85_1266
; %bb.1263:
	s_cmp_lt_i32 s14, 3
	s_cbranch_scc1 .LBB85_1267
; %bb.1264:
	s_cmp_gt_i32 s14, 3
	s_cbranch_scc0 .LBB85_1268
; %bb.1265:
	global_load_dwordx2 v[5:6], v[0:1], off
	s_mov_b64 s[4:5], 0
	s_waitcnt vmcnt(0)
	v_cvt_f64_i32_e32 v[6:7], v6
	v_cvt_f64_u32_e32 v[8:9], v5
	v_ldexp_f64 v[6:7], v[6:7], 32
	v_add_f64 v[45:46], v[6:7], v[8:9]
	s_branch .LBB85_1269
.LBB85_1266:
	s_mov_b64 s[4:5], -1
                                        ; implicit-def: $vgpr45_vgpr46
	s_branch .LBB85_1275
.LBB85_1267:
	s_mov_b64 s[4:5], -1
                                        ; implicit-def: $vgpr45_vgpr46
	s_branch .LBB85_1272
.LBB85_1268:
	s_mov_b64 s[4:5], -1
                                        ; implicit-def: $vgpr45_vgpr46
.LBB85_1269:
	s_andn2_b64 vcc, exec, s[4:5]
	s_cbranch_vccnz .LBB85_1271
; %bb.1270:
	global_load_dword v5, v[0:1], off
	s_waitcnt vmcnt(0)
	v_cvt_f64_i32_e32 v[45:46], v5
.LBB85_1271:
	s_mov_b64 s[4:5], 0
.LBB85_1272:
	s_andn2_b64 vcc, exec, s[4:5]
	s_cbranch_vccnz .LBB85_1274
; %bb.1273:
	global_load_sshort v5, v[0:1], off
	s_waitcnt vmcnt(0)
	v_cvt_f64_i32_e32 v[45:46], v5
.LBB85_1274:
	s_mov_b64 s[4:5], 0
.LBB85_1275:
	s_andn2_b64 vcc, exec, s[4:5]
	s_cbranch_vccnz .LBB85_1281
; %bb.1276:
	s_cmp_gt_i32 s14, 0
	s_cbranch_scc0 .LBB85_1278
; %bb.1277:
	global_load_sbyte v5, v[0:1], off
	s_mov_b64 s[4:5], 0
	s_waitcnt vmcnt(0)
	v_cvt_f64_i32_e32 v[45:46], v5
	s_branch .LBB85_1279
.LBB85_1278:
	s_mov_b64 s[4:5], -1
                                        ; implicit-def: $vgpr45_vgpr46
.LBB85_1279:
	s_andn2_b64 vcc, exec, s[4:5]
	s_cbranch_vccnz .LBB85_1281
; %bb.1280:
	global_load_ubyte v0, v[0:1], off
	s_waitcnt vmcnt(0)
	v_cvt_f64_u32_e32 v[45:46], v0
.LBB85_1281:
.LBB85_1282:
	v_add_u32_e32 v4, s15, v4
	v_ashrrev_i32_e32 v1, 31, v4
	v_mov_b32_e32 v5, s39
	v_add_co_u32_e32 v0, vcc, s38, v4
	s_cmp_lt_i32 s14, 11
	v_addc_co_u32_e32 v1, vcc, v5, v1, vcc
	s_cbranch_scc1 .LBB85_1289
; %bb.1283:
	s_cmp_gt_i32 s14, 25
	s_mov_b64 s[6:7], 0
	s_cbranch_scc0 .LBB85_1291
; %bb.1284:
	s_cmp_gt_i32 s14, 28
	s_cbranch_scc0 .LBB85_1292
; %bb.1285:
	s_cmp_gt_i32 s14, 43
	;; [unrolled: 3-line block ×3, first 2 shown]
	s_cbranch_scc0 .LBB85_1295
; %bb.1287:
	s_cmp_eq_u32 s14, 46
	s_mov_b64 s[10:11], 0
	s_cbranch_scc0 .LBB85_1296
; %bb.1288:
	global_load_dword v5, v[0:1], off
	s_mov_b64 s[4:5], 0
	s_mov_b64 s[8:9], -1
	s_waitcnt vmcnt(0)
	v_lshlrev_b32_e32 v5, 16, v5
	v_cvt_f64_f32_e32 v[43:44], v5
	s_branch .LBB85_1297
.LBB85_1289:
	s_mov_b64 s[8:9], 0
                                        ; implicit-def: $vgpr43_vgpr44
	s_cbranch_execnz .LBB85_1363
.LBB85_1290:
	s_andn2_b64 vcc, exec, s[8:9]
	s_cbranch_vccnz .LBB85_1738
	s_branch .LBB85_1411
.LBB85_1291:
	s_mov_b64 s[10:11], -1
	s_mov_b64 s[8:9], 0
	s_mov_b64 s[4:5], 0
                                        ; implicit-def: $vgpr43_vgpr44
	s_branch .LBB85_1328
.LBB85_1292:
	s_mov_b64 s[10:11], -1
	s_mov_b64 s[8:9], 0
	s_mov_b64 s[4:5], 0
                                        ; implicit-def: $vgpr43_vgpr44
	s_branch .LBB85_1307
.LBB85_1293:
	s_mov_b64 s[10:11], -1
	s_mov_b64 s[8:9], 0
	s_mov_b64 s[4:5], 0
                                        ; implicit-def: $vgpr43_vgpr44
	s_branch .LBB85_1302
.LBB85_1294:
	s_trap 2
	s_or_b64 s[86:87], s[86:87], exec
	s_cbranch_execz .LBB85_1233
	s_branch .LBB85_1234
.LBB85_1295:
	s_mov_b64 s[10:11], -1
	s_mov_b64 s[8:9], 0
	s_mov_b64 s[4:5], 0
                                        ; implicit-def: $vgpr43_vgpr44
	s_branch .LBB85_1297
.LBB85_1296:
	s_mov_b64 s[4:5], -1
                                        ; implicit-def: $vgpr43_vgpr44
	s_mov_b64 s[8:9], 0
.LBB85_1297:
	s_and_b64 vcc, exec, s[10:11]
	s_cbranch_vccz .LBB85_1301
; %bb.1298:
	s_cmp_eq_u32 s14, 44
	s_cbranch_scc0 .LBB85_1300
; %bb.1299:
	global_load_ubyte v7, v[0:1], off
	s_movk_i32 s8, 0xff
	v_bfrev_b32_e32 v8, 4
	v_mov_b32_e32 v9, 0x7ff80000
	v_bfrev_b32_e32 v10, 28
	s_mov_b64 s[4:5], 0
	s_waitcnt vmcnt(0)
	v_lshlrev_b32_e32 v5, 23, v7
	v_cvt_f64_f32_e32 v[5:6], v5
	v_cmp_ne_u32_e32 vcc, s8, v7
	s_mov_b64 s[8:9], -1
	v_cndmask_b32_e32 v5, v8, v5, vcc
	v_cndmask_b32_e32 v6, v9, v6, vcc
	v_cmp_ne_u32_e32 vcc, 0, v7
	v_cndmask_b32_e32 v44, v10, v6, vcc
	v_cndmask_b32_e32 v43, 0, v5, vcc
	s_branch .LBB85_1301
.LBB85_1300:
	s_mov_b64 s[4:5], -1
                                        ; implicit-def: $vgpr43_vgpr44
.LBB85_1301:
	s_mov_b64 s[10:11], 0
.LBB85_1302:
	s_and_b64 vcc, exec, s[10:11]
	s_cbranch_vccz .LBB85_1306
; %bb.1303:
	s_cmp_eq_u32 s14, 29
	s_cbranch_scc0 .LBB85_1305
; %bb.1304:
	global_load_dwordx2 v[5:6], v[0:1], off
	s_mov_b64 s[4:5], 0
	s_mov_b64 s[8:9], -1
	s_mov_b64 s[10:11], 0
	s_waitcnt vmcnt(0)
	v_cvt_f64_u32_e32 v[6:7], v6
	v_cvt_f64_u32_e32 v[8:9], v5
	v_ldexp_f64 v[6:7], v[6:7], 32
	v_add_f64 v[43:44], v[6:7], v[8:9]
	s_branch .LBB85_1307
.LBB85_1305:
	s_mov_b64 s[4:5], -1
                                        ; implicit-def: $vgpr43_vgpr44
.LBB85_1306:
	s_mov_b64 s[10:11], 0
.LBB85_1307:
	s_and_b64 vcc, exec, s[10:11]
	s_cbranch_vccz .LBB85_1327
; %bb.1308:
	s_cmp_lt_i32 s14, 27
	s_cbranch_scc1 .LBB85_1311
; %bb.1309:
	s_cmp_gt_i32 s14, 27
	s_cbranch_scc0 .LBB85_1312
; %bb.1310:
	global_load_dword v5, v[0:1], off
	s_mov_b64 s[8:9], 0
	s_waitcnt vmcnt(0)
	v_cvt_f64_u32_e32 v[43:44], v5
	s_branch .LBB85_1313
.LBB85_1311:
	s_mov_b64 s[8:9], -1
                                        ; implicit-def: $vgpr43_vgpr44
	s_branch .LBB85_1316
.LBB85_1312:
	s_mov_b64 s[8:9], -1
                                        ; implicit-def: $vgpr43_vgpr44
.LBB85_1313:
	s_andn2_b64 vcc, exec, s[8:9]
	s_cbranch_vccnz .LBB85_1315
; %bb.1314:
	global_load_ushort v5, v[0:1], off
	s_waitcnt vmcnt(0)
	v_cvt_f64_u32_e32 v[43:44], v5
.LBB85_1315:
	s_mov_b64 s[8:9], 0
.LBB85_1316:
	s_andn2_b64 vcc, exec, s[8:9]
	s_cbranch_vccnz .LBB85_1326
; %bb.1317:
	global_load_ubyte v5, v[0:1], off
	s_movk_i32 s8, 0x7f
	s_waitcnt vmcnt(0)
	v_cmp_lt_i16_e32 vcc, s8, v5
	s_mov_b64 s[8:9], 0
	s_and_saveexec_b64 s[10:11], vcc
	s_xor_b64 s[10:11], exec, s[10:11]
	s_cbranch_execz .LBB85_1321
; %bb.1318:
	s_movk_i32 s8, 0x80
	v_cmp_eq_u16_e32 vcc, s8, v5
	s_mov_b64 s[8:9], -1
	s_and_saveexec_b64 s[12:13], vcc
; %bb.1319:
	s_xor_b64 s[8:9], exec, -1
; %bb.1320:
	s_or_b64 exec, exec, s[12:13]
	s_and_b64 s[8:9], s[8:9], exec
.LBB85_1321:
	s_or_saveexec_b64 s[10:11], s[10:11]
	v_bfrev_b32_e32 v43, 4
	v_mov_b32_e32 v44, 0x7ff80000
	s_xor_b64 exec, exec, s[10:11]
; %bb.1322:
	v_cmp_ne_u16_e32 vcc, 0, v5
	v_mov_b32_e32 v43, 0
	s_andn2_b64 s[8:9], s[8:9], exec
	s_and_b64 s[12:13], vcc, exec
	v_mov_b32_e32 v44, 0
	s_or_b64 s[8:9], s[8:9], s[12:13]
; %bb.1323:
	s_or_b64 exec, exec, s[10:11]
	s_and_saveexec_b64 s[10:11], s[8:9]
	s_cbranch_execz .LBB85_1325
; %bb.1324:
	v_lshlrev_b32_e32 v6, 24, v5
	v_and_b32_e32 v5, 0xffff, v5
	v_and_b32_e32 v7, 7, v5
	v_ffbh_u32_e32 v9, v7
	v_min_u32_e32 v9, 32, v9
	v_subrev_u32_e32 v10, 28, v9
	v_bfe_u32 v8, v5, 3, 4
	v_lshlrev_b32_e32 v5, v10, v5
	v_sub_u32_e32 v9, 29, v9
	v_and_b32_e32 v5, 7, v5
	v_cmp_eq_u32_e32 vcc, 0, v8
	v_cndmask_b32_e32 v8, v8, v9, vcc
	v_cndmask_b32_e32 v5, v7, v5, vcc
	v_mov_b32_e32 v7, 0x3b800000
	v_lshlrev_b32_e32 v5, 20, v5
	v_and_b32_e32 v6, 0x80000000, v6
	v_lshl_add_u32 v7, v8, 23, v7
	v_or3_b32 v5, v6, v7, v5
	v_cvt_f64_f32_e32 v[43:44], v5
.LBB85_1325:
	s_or_b64 exec, exec, s[10:11]
.LBB85_1326:
	s_mov_b64 s[8:9], -1
.LBB85_1327:
	s_mov_b64 s[10:11], 0
.LBB85_1328:
	s_and_b64 vcc, exec, s[10:11]
	s_cbranch_vccz .LBB85_1359
; %bb.1329:
	s_cmp_gt_i32 s14, 22
	s_cbranch_scc0 .LBB85_1341
; %bb.1330:
	s_cmp_lt_i32 s14, 24
	s_cbranch_scc1 .LBB85_1342
; %bb.1331:
	s_cmp_gt_i32 s14, 24
	s_cbranch_scc0 .LBB85_1343
; %bb.1332:
	global_load_ubyte v5, v[0:1], off
	s_movk_i32 s6, 0x7f
	s_waitcnt vmcnt(0)
	v_cmp_lt_i16_e32 vcc, s6, v5
	s_mov_b64 s[6:7], 0
	s_and_saveexec_b64 s[8:9], vcc
	s_xor_b64 s[8:9], exec, s[8:9]
	s_cbranch_execz .LBB85_1336
; %bb.1333:
	s_movk_i32 s6, 0x80
	v_cmp_eq_u16_e32 vcc, s6, v5
	s_mov_b64 s[6:7], -1
	s_and_saveexec_b64 s[10:11], vcc
; %bb.1334:
	s_xor_b64 s[6:7], exec, -1
; %bb.1335:
	s_or_b64 exec, exec, s[10:11]
	s_and_b64 s[6:7], s[6:7], exec
.LBB85_1336:
	s_or_saveexec_b64 s[8:9], s[8:9]
	v_bfrev_b32_e32 v43, 4
	v_mov_b32_e32 v44, 0x7ff80000
	s_xor_b64 exec, exec, s[8:9]
; %bb.1337:
	v_cmp_ne_u16_e32 vcc, 0, v5
	v_mov_b32_e32 v43, 0
	s_andn2_b64 s[6:7], s[6:7], exec
	s_and_b64 s[10:11], vcc, exec
	v_mov_b32_e32 v44, 0
	s_or_b64 s[6:7], s[6:7], s[10:11]
; %bb.1338:
	s_or_b64 exec, exec, s[8:9]
	s_and_saveexec_b64 s[8:9], s[6:7]
	s_cbranch_execz .LBB85_1340
; %bb.1339:
	v_lshlrev_b32_e32 v6, 24, v5
	v_and_b32_e32 v5, 0xffff, v5
	v_and_b32_e32 v7, 3, v5
	v_ffbh_u32_e32 v9, v7
	v_min_u32_e32 v9, 32, v9
	v_subrev_u32_e32 v10, 29, v9
	v_bfe_u32 v8, v5, 2, 5
	v_lshlrev_b32_e32 v5, v10, v5
	v_sub_u32_e32 v9, 30, v9
	v_and_b32_e32 v5, 3, v5
	v_cmp_eq_u32_e32 vcc, 0, v8
	v_cndmask_b32_e32 v8, v8, v9, vcc
	v_cndmask_b32_e32 v5, v7, v5, vcc
	v_mov_b32_e32 v7, 0x37800000
	v_lshlrev_b32_e32 v5, 21, v5
	v_and_b32_e32 v6, 0x80000000, v6
	v_lshl_add_u32 v7, v8, 23, v7
	v_or3_b32 v5, v6, v7, v5
	v_cvt_f64_f32_e32 v[43:44], v5
.LBB85_1340:
	s_or_b64 exec, exec, s[8:9]
	s_mov_b64 s[6:7], 0
	s_branch .LBB85_1344
.LBB85_1341:
	s_mov_b64 s[6:7], -1
                                        ; implicit-def: $vgpr43_vgpr44
	s_branch .LBB85_1350
.LBB85_1342:
	s_mov_b64 s[6:7], -1
                                        ; implicit-def: $vgpr43_vgpr44
	s_branch .LBB85_1347
.LBB85_1343:
	s_mov_b64 s[6:7], -1
                                        ; implicit-def: $vgpr43_vgpr44
.LBB85_1344:
	s_and_b64 vcc, exec, s[6:7]
	s_cbranch_vccz .LBB85_1346
; %bb.1345:
	global_load_ubyte v5, v[0:1], off
	s_mov_b32 s6, 0x7f800000
	s_waitcnt vmcnt(0)
	v_lshlrev_b32_e32 v5, 24, v5
	v_and_b32_e32 v6, 0x7f000000, v5
	v_ffbh_u32_e32 v7, v6
	v_min_u32_e32 v7, 32, v7
	v_sub_u32_e64 v7, v7, 4 clamp
	v_lshlrev_b32_e32 v9, v7, v6
	v_lshlrev_b32_e32 v7, 23, v7
	v_lshrrev_b32_e32 v9, 4, v9
	v_add_u32_e32 v8, 0x1000000, v6
	v_sub_u32_e32 v7, v9, v7
	v_ashrrev_i32_e32 v8, 8, v8
	v_add_u32_e32 v7, 0x3c000000, v7
	v_and_or_b32 v7, v8, s6, v7
	v_cmp_ne_u32_e32 vcc, 0, v6
	v_cndmask_b32_e32 v6, 0, v7, vcc
	s_brev_b32 s6, 1
	v_and_or_b32 v5, v5, s6, v6
	v_cvt_f64_f32_e32 v[43:44], v5
.LBB85_1346:
	s_mov_b64 s[6:7], 0
.LBB85_1347:
	s_andn2_b64 vcc, exec, s[6:7]
	s_cbranch_vccnz .LBB85_1349
; %bb.1348:
	global_load_ubyte v5, v[0:1], off
	s_movk_i32 s6, 0x7f00
	s_brev_b32 s7, 16
	s_waitcnt vmcnt(0)
	v_lshlrev_b16_e32 v6, 8, v5
	v_lshlrev_b32_e32 v5, 25, v5
	v_lshrrev_b32_e32 v7, 4, v5
	v_and_or_b32 v8, v6, s6, 0.5
	v_or_b32_e32 v7, 0x70000000, v7
	v_add_f32_e32 v8, -0.5, v8
	v_mul_f32_e32 v7, 0x7800000, v7
	v_cmp_gt_u32_e32 vcc, s7, v5
	v_bfe_i32 v6, v6, 0, 16
	v_cndmask_b32_e32 v5, v7, v8, vcc
	s_brev_b32 s6, 1
	v_and_or_b32 v5, v6, s6, v5
	v_cvt_f64_f32_e32 v[43:44], v5
.LBB85_1349:
	s_mov_b64 s[6:7], 0
	s_mov_b64 s[8:9], -1
.LBB85_1350:
	s_andn2_b64 vcc, exec, s[6:7]
	s_mov_b64 s[6:7], 0
	s_cbranch_vccnz .LBB85_1359
; %bb.1351:
	s_cmp_gt_i32 s14, 14
	s_cbranch_scc0 .LBB85_1354
; %bb.1352:
	s_cmp_eq_u32 s14, 15
	s_cbranch_scc0 .LBB85_1355
; %bb.1353:
	global_load_ushort v5, v[0:1], off
	s_mov_b64 s[4:5], 0
	s_mov_b64 s[8:9], -1
	s_waitcnt vmcnt(0)
	v_lshlrev_b32_e32 v5, 16, v5
	v_cvt_f64_f32_e32 v[43:44], v5
	s_branch .LBB85_1356
.LBB85_1354:
	s_mov_b64 s[10:11], -1
                                        ; implicit-def: $vgpr43_vgpr44
	s_branch .LBB85_1357
.LBB85_1355:
	s_mov_b64 s[4:5], -1
                                        ; implicit-def: $vgpr43_vgpr44
.LBB85_1356:
	s_mov_b64 s[10:11], 0
.LBB85_1357:
	s_and_b64 vcc, exec, s[10:11]
	s_cbranch_vccz .LBB85_1359
; %bb.1358:
	s_cmp_lg_u32 s14, 11
	s_mov_b64 s[6:7], -1
	s_cselect_b64 s[4:5], -1, 0
.LBB85_1359:
	s_and_b64 vcc, exec, s[4:5]
	s_cbranch_vccnz .LBB85_1422
; %bb.1360:
	s_andn2_b64 vcc, exec, s[6:7]
	s_cbranch_vccnz .LBB85_1362
.LBB85_1361:
	global_load_ubyte v5, v[0:1], off
	v_mov_b32_e32 v6, 0x3ff00000
	v_mov_b32_e32 v43, 0
	s_mov_b64 s[8:9], -1
	s_waitcnt vmcnt(0)
	v_cmp_ne_u16_e32 vcc, 0, v5
	v_cndmask_b32_e32 v44, 0, v6, vcc
.LBB85_1362:
	s_branch .LBB85_1290
.LBB85_1363:
	s_cmp_lt_i32 s14, 5
	s_cbranch_scc1 .LBB85_1368
; %bb.1364:
	s_cmp_lt_i32 s14, 8
	s_cbranch_scc1 .LBB85_1369
; %bb.1365:
	;; [unrolled: 3-line block ×3, first 2 shown]
	s_cmp_gt_i32 s14, 9
	s_cbranch_scc0 .LBB85_1371
; %bb.1367:
	global_load_dwordx2 v[43:44], v[0:1], off
	s_mov_b64 s[4:5], 0
	s_branch .LBB85_1372
.LBB85_1368:
	s_mov_b64 s[4:5], -1
                                        ; implicit-def: $vgpr43_vgpr44
	s_branch .LBB85_1390
.LBB85_1369:
	s_mov_b64 s[4:5], -1
                                        ; implicit-def: $vgpr43_vgpr44
	s_branch .LBB85_1378
.LBB85_1370:
	s_mov_b64 s[4:5], -1
                                        ; implicit-def: $vgpr43_vgpr44
	s_branch .LBB85_1375
.LBB85_1371:
	s_mov_b64 s[4:5], -1
                                        ; implicit-def: $vgpr43_vgpr44
.LBB85_1372:
	s_andn2_b64 vcc, exec, s[4:5]
	s_cbranch_vccnz .LBB85_1374
; %bb.1373:
	global_load_dword v5, v[0:1], off
	s_waitcnt vmcnt(0)
	v_cvt_f64_f32_e32 v[43:44], v5
.LBB85_1374:
	s_mov_b64 s[4:5], 0
.LBB85_1375:
	s_andn2_b64 vcc, exec, s[4:5]
	s_cbranch_vccnz .LBB85_1377
; %bb.1376:
	global_load_dword v5, v[0:1], off
	s_waitcnt vmcnt(0)
	v_cvt_f32_f16_e32 v5, v5
	v_cvt_f64_f32_e32 v[43:44], v5
.LBB85_1377:
	s_mov_b64 s[4:5], 0
.LBB85_1378:
	s_andn2_b64 vcc, exec, s[4:5]
	s_cbranch_vccnz .LBB85_1389
; %bb.1379:
	s_cmp_lt_i32 s14, 6
	s_cbranch_scc1 .LBB85_1382
; %bb.1380:
	s_cmp_gt_i32 s14, 6
	s_cbranch_scc0 .LBB85_1383
; %bb.1381:
	global_load_dwordx2 v[43:44], v[0:1], off
	s_mov_b64 s[4:5], 0
	s_branch .LBB85_1384
.LBB85_1382:
	s_mov_b64 s[4:5], -1
                                        ; implicit-def: $vgpr43_vgpr44
	s_branch .LBB85_1387
.LBB85_1383:
	s_mov_b64 s[4:5], -1
                                        ; implicit-def: $vgpr43_vgpr44
.LBB85_1384:
	s_andn2_b64 vcc, exec, s[4:5]
	s_cbranch_vccnz .LBB85_1386
; %bb.1385:
	global_load_dword v5, v[0:1], off
	s_waitcnt vmcnt(0)
	v_cvt_f64_f32_e32 v[43:44], v5
.LBB85_1386:
	s_mov_b64 s[4:5], 0
.LBB85_1387:
	s_andn2_b64 vcc, exec, s[4:5]
	s_cbranch_vccnz .LBB85_1389
; %bb.1388:
	global_load_ushort v5, v[0:1], off
	s_waitcnt vmcnt(0)
	v_cvt_f32_f16_e32 v5, v5
	v_cvt_f64_f32_e32 v[43:44], v5
.LBB85_1389:
	s_mov_b64 s[4:5], 0
.LBB85_1390:
	s_andn2_b64 vcc, exec, s[4:5]
	s_cbranch_vccnz .LBB85_1410
; %bb.1391:
	s_cmp_lt_i32 s14, 2
	s_cbranch_scc1 .LBB85_1395
; %bb.1392:
	s_cmp_lt_i32 s14, 3
	s_cbranch_scc1 .LBB85_1396
; %bb.1393:
	s_cmp_gt_i32 s14, 3
	s_cbranch_scc0 .LBB85_1397
; %bb.1394:
	global_load_dwordx2 v[5:6], v[0:1], off
	s_mov_b64 s[4:5], 0
	s_waitcnt vmcnt(0)
	v_cvt_f64_i32_e32 v[6:7], v6
	v_cvt_f64_u32_e32 v[8:9], v5
	v_ldexp_f64 v[6:7], v[6:7], 32
	v_add_f64 v[43:44], v[6:7], v[8:9]
	s_branch .LBB85_1398
.LBB85_1395:
	s_mov_b64 s[4:5], -1
                                        ; implicit-def: $vgpr43_vgpr44
	s_branch .LBB85_1404
.LBB85_1396:
	s_mov_b64 s[4:5], -1
                                        ; implicit-def: $vgpr43_vgpr44
	s_branch .LBB85_1401
.LBB85_1397:
	s_mov_b64 s[4:5], -1
                                        ; implicit-def: $vgpr43_vgpr44
.LBB85_1398:
	s_andn2_b64 vcc, exec, s[4:5]
	s_cbranch_vccnz .LBB85_1400
; %bb.1399:
	global_load_dword v5, v[0:1], off
	s_waitcnt vmcnt(0)
	v_cvt_f64_i32_e32 v[43:44], v5
.LBB85_1400:
	s_mov_b64 s[4:5], 0
.LBB85_1401:
	s_andn2_b64 vcc, exec, s[4:5]
	s_cbranch_vccnz .LBB85_1403
; %bb.1402:
	global_load_sshort v5, v[0:1], off
	s_waitcnt vmcnt(0)
	v_cvt_f64_i32_e32 v[43:44], v5
.LBB85_1403:
	s_mov_b64 s[4:5], 0
.LBB85_1404:
	s_andn2_b64 vcc, exec, s[4:5]
	s_cbranch_vccnz .LBB85_1410
; %bb.1405:
	s_cmp_gt_i32 s14, 0
	s_cbranch_scc0 .LBB85_1407
; %bb.1406:
	global_load_sbyte v5, v[0:1], off
	s_mov_b64 s[4:5], 0
	s_waitcnt vmcnt(0)
	v_cvt_f64_i32_e32 v[43:44], v5
	s_branch .LBB85_1408
.LBB85_1407:
	s_mov_b64 s[4:5], -1
                                        ; implicit-def: $vgpr43_vgpr44
.LBB85_1408:
	s_andn2_b64 vcc, exec, s[4:5]
	s_cbranch_vccnz .LBB85_1410
; %bb.1409:
	global_load_ubyte v0, v[0:1], off
	s_waitcnt vmcnt(0)
	v_cvt_f64_u32_e32 v[43:44], v0
.LBB85_1410:
.LBB85_1411:
	v_add_u32_e32 v0, s15, v4
	v_ashrrev_i32_e32 v1, 31, v0
	v_mov_b32_e32 v4, s39
	v_add_co_u32_e32 v0, vcc, s38, v0
	s_cmp_lt_i32 s14, 11
	v_addc_co_u32_e32 v1, vcc, v4, v1, vcc
	s_cbranch_scc1 .LBB85_1418
; %bb.1412:
	s_cmp_gt_i32 s14, 25
	s_mov_b64 s[6:7], 0
	s_cbranch_scc0 .LBB85_1419
; %bb.1413:
	s_cmp_gt_i32 s14, 28
	s_cbranch_scc0 .LBB85_1420
; %bb.1414:
	s_cmp_gt_i32 s14, 43
	;; [unrolled: 3-line block ×3, first 2 shown]
	s_cbranch_scc0 .LBB85_1423
; %bb.1416:
	s_cmp_eq_u32 s14, 46
	s_mov_b64 s[10:11], 0
	s_cbranch_scc0 .LBB85_1424
; %bb.1417:
	global_load_dword v4, v[0:1], off
	s_mov_b64 s[4:5], 0
	s_mov_b64 s[8:9], -1
	s_waitcnt vmcnt(0)
	v_lshlrev_b32_e32 v4, 16, v4
	v_cvt_f64_f32_e32 v[41:42], v4
	s_branch .LBB85_1425
.LBB85_1418:
	s_mov_b64 s[4:5], -1
	s_mov_b64 s[8:9], 0
                                        ; implicit-def: $vgpr41_vgpr42
	s_branch .LBB85_1491
.LBB85_1419:
	s_mov_b64 s[10:11], -1
	s_mov_b64 s[8:9], 0
	s_mov_b64 s[4:5], 0
                                        ; implicit-def: $vgpr41_vgpr42
	s_branch .LBB85_1456
.LBB85_1420:
	s_mov_b64 s[10:11], -1
	s_mov_b64 s[8:9], 0
	s_mov_b64 s[4:5], 0
                                        ; implicit-def: $vgpr41_vgpr42
	s_branch .LBB85_1435
.LBB85_1421:
	s_mov_b64 s[10:11], -1
	s_mov_b64 s[8:9], 0
	s_mov_b64 s[4:5], 0
                                        ; implicit-def: $vgpr41_vgpr42
	s_branch .LBB85_1430
.LBB85_1422:
	s_trap 2
	s_or_b64 s[86:87], s[86:87], exec
	s_cbranch_execz .LBB85_1361
	s_branch .LBB85_1362
.LBB85_1423:
	s_mov_b64 s[10:11], -1
	s_mov_b64 s[8:9], 0
	s_mov_b64 s[4:5], 0
                                        ; implicit-def: $vgpr41_vgpr42
	s_branch .LBB85_1425
.LBB85_1424:
	s_mov_b64 s[4:5], -1
                                        ; implicit-def: $vgpr41_vgpr42
	s_mov_b64 s[8:9], 0
.LBB85_1425:
	s_and_b64 vcc, exec, s[10:11]
	s_cbranch_vccz .LBB85_1429
; %bb.1426:
	s_cmp_eq_u32 s14, 44
	s_cbranch_scc0 .LBB85_1428
; %bb.1427:
	global_load_ubyte v6, v[0:1], off
	s_movk_i32 s8, 0xff
	v_bfrev_b32_e32 v7, 4
	v_mov_b32_e32 v8, 0x7ff80000
	v_bfrev_b32_e32 v9, 28
	s_mov_b64 s[4:5], 0
	s_waitcnt vmcnt(0)
	v_lshlrev_b32_e32 v4, 23, v6
	v_cvt_f64_f32_e32 v[4:5], v4
	v_cmp_ne_u32_e32 vcc, s8, v6
	s_mov_b64 s[8:9], -1
	v_cndmask_b32_e32 v4, v7, v4, vcc
	v_cndmask_b32_e32 v5, v8, v5, vcc
	v_cmp_ne_u32_e32 vcc, 0, v6
	v_cndmask_b32_e32 v42, v9, v5, vcc
	v_cndmask_b32_e32 v41, 0, v4, vcc
	s_branch .LBB85_1429
.LBB85_1428:
	s_mov_b64 s[4:5], -1
                                        ; implicit-def: $vgpr41_vgpr42
.LBB85_1429:
	s_mov_b64 s[10:11], 0
.LBB85_1430:
	s_and_b64 vcc, exec, s[10:11]
	s_cbranch_vccz .LBB85_1434
; %bb.1431:
	s_cmp_eq_u32 s14, 29
	s_cbranch_scc0 .LBB85_1433
; %bb.1432:
	global_load_dwordx2 v[4:5], v[0:1], off
	s_mov_b64 s[4:5], 0
	s_mov_b64 s[8:9], -1
	s_mov_b64 s[10:11], 0
	s_waitcnt vmcnt(0)
	v_cvt_f64_u32_e32 v[5:6], v5
	v_cvt_f64_u32_e32 v[7:8], v4
	v_ldexp_f64 v[5:6], v[5:6], 32
	v_add_f64 v[41:42], v[5:6], v[7:8]
	s_branch .LBB85_1435
.LBB85_1433:
	s_mov_b64 s[4:5], -1
                                        ; implicit-def: $vgpr41_vgpr42
.LBB85_1434:
	s_mov_b64 s[10:11], 0
.LBB85_1435:
	s_and_b64 vcc, exec, s[10:11]
	s_cbranch_vccz .LBB85_1455
; %bb.1436:
	s_cmp_lt_i32 s14, 27
	s_cbranch_scc1 .LBB85_1439
; %bb.1437:
	s_cmp_gt_i32 s14, 27
	s_cbranch_scc0 .LBB85_1440
; %bb.1438:
	global_load_dword v4, v[0:1], off
	s_mov_b64 s[8:9], 0
	s_waitcnt vmcnt(0)
	v_cvt_f64_u32_e32 v[41:42], v4
	s_branch .LBB85_1441
.LBB85_1439:
	s_mov_b64 s[8:9], -1
                                        ; implicit-def: $vgpr41_vgpr42
	s_branch .LBB85_1444
.LBB85_1440:
	s_mov_b64 s[8:9], -1
                                        ; implicit-def: $vgpr41_vgpr42
.LBB85_1441:
	s_andn2_b64 vcc, exec, s[8:9]
	s_cbranch_vccnz .LBB85_1443
; %bb.1442:
	global_load_ushort v4, v[0:1], off
	s_waitcnt vmcnt(0)
	v_cvt_f64_u32_e32 v[41:42], v4
.LBB85_1443:
	s_mov_b64 s[8:9], 0
.LBB85_1444:
	s_andn2_b64 vcc, exec, s[8:9]
	s_cbranch_vccnz .LBB85_1454
; %bb.1445:
	global_load_ubyte v4, v[0:1], off
	s_movk_i32 s8, 0x7f
	s_waitcnt vmcnt(0)
	v_cmp_lt_i16_e32 vcc, s8, v4
	s_mov_b64 s[8:9], 0
	s_and_saveexec_b64 s[10:11], vcc
	s_xor_b64 s[10:11], exec, s[10:11]
	s_cbranch_execz .LBB85_1449
; %bb.1446:
	s_movk_i32 s8, 0x80
	v_cmp_eq_u16_e32 vcc, s8, v4
	s_mov_b64 s[8:9], -1
	s_and_saveexec_b64 s[12:13], vcc
; %bb.1447:
	s_xor_b64 s[8:9], exec, -1
; %bb.1448:
	s_or_b64 exec, exec, s[12:13]
	s_and_b64 s[8:9], s[8:9], exec
.LBB85_1449:
	s_or_saveexec_b64 s[10:11], s[10:11]
	v_bfrev_b32_e32 v41, 4
	v_mov_b32_e32 v42, 0x7ff80000
	s_xor_b64 exec, exec, s[10:11]
; %bb.1450:
	v_cmp_ne_u16_e32 vcc, 0, v4
	v_mov_b32_e32 v41, 0
	s_andn2_b64 s[8:9], s[8:9], exec
	s_and_b64 s[12:13], vcc, exec
	v_mov_b32_e32 v42, 0
	s_or_b64 s[8:9], s[8:9], s[12:13]
; %bb.1451:
	s_or_b64 exec, exec, s[10:11]
	s_and_saveexec_b64 s[10:11], s[8:9]
	s_cbranch_execz .LBB85_1453
; %bb.1452:
	v_lshlrev_b32_e32 v5, 24, v4
	v_and_b32_e32 v4, 0xffff, v4
	v_and_b32_e32 v6, 7, v4
	v_ffbh_u32_e32 v8, v6
	v_min_u32_e32 v8, 32, v8
	v_subrev_u32_e32 v9, 28, v8
	v_bfe_u32 v7, v4, 3, 4
	v_lshlrev_b32_e32 v4, v9, v4
	v_sub_u32_e32 v8, 29, v8
	v_and_b32_e32 v4, 7, v4
	v_cmp_eq_u32_e32 vcc, 0, v7
	v_cndmask_b32_e32 v7, v7, v8, vcc
	v_cndmask_b32_e32 v4, v6, v4, vcc
	v_mov_b32_e32 v6, 0x3b800000
	v_lshlrev_b32_e32 v4, 20, v4
	v_and_b32_e32 v5, 0x80000000, v5
	v_lshl_add_u32 v6, v7, 23, v6
	v_or3_b32 v4, v5, v6, v4
	v_cvt_f64_f32_e32 v[41:42], v4
.LBB85_1453:
	s_or_b64 exec, exec, s[10:11]
.LBB85_1454:
	s_mov_b64 s[8:9], -1
.LBB85_1455:
	s_mov_b64 s[10:11], 0
.LBB85_1456:
	s_and_b64 vcc, exec, s[10:11]
	s_cbranch_vccz .LBB85_1487
; %bb.1457:
	s_cmp_gt_i32 s14, 22
	s_cbranch_scc0 .LBB85_1469
; %bb.1458:
	s_cmp_lt_i32 s14, 24
	s_cbranch_scc1 .LBB85_1470
; %bb.1459:
	s_cmp_gt_i32 s14, 24
	s_cbranch_scc0 .LBB85_1471
; %bb.1460:
	global_load_ubyte v4, v[0:1], off
	s_movk_i32 s6, 0x7f
	s_waitcnt vmcnt(0)
	v_cmp_lt_i16_e32 vcc, s6, v4
	s_mov_b64 s[6:7], 0
	s_and_saveexec_b64 s[8:9], vcc
	s_xor_b64 s[8:9], exec, s[8:9]
	s_cbranch_execz .LBB85_1464
; %bb.1461:
	s_movk_i32 s6, 0x80
	v_cmp_eq_u16_e32 vcc, s6, v4
	s_mov_b64 s[6:7], -1
	s_and_saveexec_b64 s[10:11], vcc
; %bb.1462:
	s_xor_b64 s[6:7], exec, -1
; %bb.1463:
	s_or_b64 exec, exec, s[10:11]
	s_and_b64 s[6:7], s[6:7], exec
.LBB85_1464:
	s_or_saveexec_b64 s[8:9], s[8:9]
	v_bfrev_b32_e32 v41, 4
	v_mov_b32_e32 v42, 0x7ff80000
	s_xor_b64 exec, exec, s[8:9]
; %bb.1465:
	v_cmp_ne_u16_e32 vcc, 0, v4
	v_mov_b32_e32 v41, 0
	s_andn2_b64 s[6:7], s[6:7], exec
	s_and_b64 s[10:11], vcc, exec
	v_mov_b32_e32 v42, 0
	s_or_b64 s[6:7], s[6:7], s[10:11]
; %bb.1466:
	s_or_b64 exec, exec, s[8:9]
	s_and_saveexec_b64 s[8:9], s[6:7]
	s_cbranch_execz .LBB85_1468
; %bb.1467:
	v_lshlrev_b32_e32 v5, 24, v4
	v_and_b32_e32 v4, 0xffff, v4
	v_and_b32_e32 v6, 3, v4
	v_ffbh_u32_e32 v8, v6
	v_min_u32_e32 v8, 32, v8
	v_subrev_u32_e32 v9, 29, v8
	v_bfe_u32 v7, v4, 2, 5
	v_lshlrev_b32_e32 v4, v9, v4
	v_sub_u32_e32 v8, 30, v8
	v_and_b32_e32 v4, 3, v4
	v_cmp_eq_u32_e32 vcc, 0, v7
	v_cndmask_b32_e32 v7, v7, v8, vcc
	v_cndmask_b32_e32 v4, v6, v4, vcc
	v_mov_b32_e32 v6, 0x37800000
	v_lshlrev_b32_e32 v4, 21, v4
	v_and_b32_e32 v5, 0x80000000, v5
	v_lshl_add_u32 v6, v7, 23, v6
	v_or3_b32 v4, v5, v6, v4
	v_cvt_f64_f32_e32 v[41:42], v4
.LBB85_1468:
	s_or_b64 exec, exec, s[8:9]
	s_mov_b64 s[6:7], 0
	s_branch .LBB85_1472
.LBB85_1469:
	s_mov_b64 s[6:7], -1
                                        ; implicit-def: $vgpr41_vgpr42
	s_branch .LBB85_1478
.LBB85_1470:
	s_mov_b64 s[6:7], -1
                                        ; implicit-def: $vgpr41_vgpr42
	s_branch .LBB85_1475
.LBB85_1471:
	s_mov_b64 s[6:7], -1
                                        ; implicit-def: $vgpr41_vgpr42
.LBB85_1472:
	s_and_b64 vcc, exec, s[6:7]
	s_cbranch_vccz .LBB85_1474
; %bb.1473:
	global_load_ubyte v4, v[0:1], off
	s_mov_b32 s6, 0x7f800000
	s_waitcnt vmcnt(0)
	v_lshlrev_b32_e32 v4, 24, v4
	v_and_b32_e32 v5, 0x7f000000, v4
	v_ffbh_u32_e32 v6, v5
	v_min_u32_e32 v6, 32, v6
	v_sub_u32_e64 v6, v6, 4 clamp
	v_lshlrev_b32_e32 v8, v6, v5
	v_lshlrev_b32_e32 v6, 23, v6
	v_lshrrev_b32_e32 v8, 4, v8
	v_add_u32_e32 v7, 0x1000000, v5
	v_sub_u32_e32 v6, v8, v6
	v_ashrrev_i32_e32 v7, 8, v7
	v_add_u32_e32 v6, 0x3c000000, v6
	v_and_or_b32 v6, v7, s6, v6
	v_cmp_ne_u32_e32 vcc, 0, v5
	v_cndmask_b32_e32 v5, 0, v6, vcc
	s_brev_b32 s6, 1
	v_and_or_b32 v4, v4, s6, v5
	v_cvt_f64_f32_e32 v[41:42], v4
.LBB85_1474:
	s_mov_b64 s[6:7], 0
.LBB85_1475:
	s_andn2_b64 vcc, exec, s[6:7]
	s_cbranch_vccnz .LBB85_1477
; %bb.1476:
	global_load_ubyte v4, v[0:1], off
	s_movk_i32 s6, 0x7f00
	s_brev_b32 s7, 16
	s_waitcnt vmcnt(0)
	v_lshlrev_b16_e32 v5, 8, v4
	v_lshlrev_b32_e32 v4, 25, v4
	v_lshrrev_b32_e32 v6, 4, v4
	v_and_or_b32 v7, v5, s6, 0.5
	v_or_b32_e32 v6, 0x70000000, v6
	v_add_f32_e32 v7, -0.5, v7
	v_mul_f32_e32 v6, 0x7800000, v6
	v_cmp_gt_u32_e32 vcc, s7, v4
	v_bfe_i32 v5, v5, 0, 16
	v_cndmask_b32_e32 v4, v6, v7, vcc
	s_brev_b32 s6, 1
	v_and_or_b32 v4, v5, s6, v4
	v_cvt_f64_f32_e32 v[41:42], v4
.LBB85_1477:
	s_mov_b64 s[6:7], 0
	s_mov_b64 s[8:9], -1
.LBB85_1478:
	s_andn2_b64 vcc, exec, s[6:7]
	s_mov_b64 s[6:7], 0
	s_cbranch_vccnz .LBB85_1487
; %bb.1479:
	s_cmp_gt_i32 s14, 14
	s_cbranch_scc0 .LBB85_1482
; %bb.1480:
	s_cmp_eq_u32 s14, 15
	s_cbranch_scc0 .LBB85_1483
; %bb.1481:
	global_load_ushort v4, v[0:1], off
	s_mov_b64 s[4:5], 0
	s_mov_b64 s[8:9], -1
	s_waitcnt vmcnt(0)
	v_lshlrev_b32_e32 v4, 16, v4
	v_cvt_f64_f32_e32 v[41:42], v4
	s_branch .LBB85_1484
.LBB85_1482:
	s_mov_b64 s[10:11], -1
                                        ; implicit-def: $vgpr41_vgpr42
	s_branch .LBB85_1485
.LBB85_1483:
	s_mov_b64 s[4:5], -1
                                        ; implicit-def: $vgpr41_vgpr42
.LBB85_1484:
	s_mov_b64 s[10:11], 0
.LBB85_1485:
	s_and_b64 vcc, exec, s[10:11]
	s_cbranch_vccz .LBB85_1487
; %bb.1486:
	s_cmp_lg_u32 s14, 11
	s_mov_b64 s[6:7], -1
	s_cselect_b64 s[4:5], -1, 0
.LBB85_1487:
	s_and_b64 vcc, exec, s[4:5]
	s_cbranch_vccnz .LBB85_2022
; %bb.1488:
	s_andn2_b64 vcc, exec, s[6:7]
	s_cbranch_vccnz .LBB85_1490
.LBB85_1489:
	global_load_ubyte v4, v[0:1], off
	v_mov_b32_e32 v5, 0x3ff00000
	v_mov_b32_e32 v41, 0
	s_mov_b64 s[8:9], -1
	s_waitcnt vmcnt(0)
	v_cmp_ne_u16_e32 vcc, 0, v4
	v_cndmask_b32_e32 v42, 0, v5, vcc
.LBB85_1490:
	s_mov_b64 s[4:5], 0
.LBB85_1491:
	s_and_b64 vcc, exec, s[4:5]
	s_cbranch_vccz .LBB85_1540
; %bb.1492:
	s_cmp_lt_i32 s14, 5
	s_cbranch_scc1 .LBB85_1497
; %bb.1493:
	s_cmp_lt_i32 s14, 8
	s_cbranch_scc1 .LBB85_1498
	;; [unrolled: 3-line block ×3, first 2 shown]
; %bb.1495:
	s_cmp_gt_i32 s14, 9
	s_cbranch_scc0 .LBB85_1500
; %bb.1496:
	global_load_dwordx2 v[41:42], v[0:1], off
	s_mov_b64 s[4:5], 0
	s_branch .LBB85_1501
.LBB85_1497:
	s_mov_b64 s[4:5], -1
                                        ; implicit-def: $vgpr41_vgpr42
	s_branch .LBB85_1519
.LBB85_1498:
	s_mov_b64 s[4:5], -1
                                        ; implicit-def: $vgpr41_vgpr42
	s_branch .LBB85_1507
.LBB85_1499:
	s_mov_b64 s[4:5], -1
                                        ; implicit-def: $vgpr41_vgpr42
	s_branch .LBB85_1504
.LBB85_1500:
	s_mov_b64 s[4:5], -1
                                        ; implicit-def: $vgpr41_vgpr42
.LBB85_1501:
	s_andn2_b64 vcc, exec, s[4:5]
	s_cbranch_vccnz .LBB85_1503
; %bb.1502:
	global_load_dword v4, v[0:1], off
	s_waitcnt vmcnt(0)
	v_cvt_f64_f32_e32 v[41:42], v4
.LBB85_1503:
	s_mov_b64 s[4:5], 0
.LBB85_1504:
	s_andn2_b64 vcc, exec, s[4:5]
	s_cbranch_vccnz .LBB85_1506
; %bb.1505:
	global_load_dword v4, v[0:1], off
	s_waitcnt vmcnt(0)
	v_cvt_f32_f16_e32 v4, v4
	v_cvt_f64_f32_e32 v[41:42], v4
.LBB85_1506:
	s_mov_b64 s[4:5], 0
.LBB85_1507:
	s_andn2_b64 vcc, exec, s[4:5]
	s_cbranch_vccnz .LBB85_1518
; %bb.1508:
	s_cmp_lt_i32 s14, 6
	s_cbranch_scc1 .LBB85_1511
; %bb.1509:
	s_cmp_gt_i32 s14, 6
	s_cbranch_scc0 .LBB85_1512
; %bb.1510:
	global_load_dwordx2 v[41:42], v[0:1], off
	s_mov_b64 s[4:5], 0
	s_branch .LBB85_1513
.LBB85_1511:
	s_mov_b64 s[4:5], -1
                                        ; implicit-def: $vgpr41_vgpr42
	s_branch .LBB85_1516
.LBB85_1512:
	s_mov_b64 s[4:5], -1
                                        ; implicit-def: $vgpr41_vgpr42
.LBB85_1513:
	s_andn2_b64 vcc, exec, s[4:5]
	s_cbranch_vccnz .LBB85_1515
; %bb.1514:
	global_load_dword v4, v[0:1], off
	s_waitcnt vmcnt(0)
	v_cvt_f64_f32_e32 v[41:42], v4
.LBB85_1515:
	s_mov_b64 s[4:5], 0
.LBB85_1516:
	s_andn2_b64 vcc, exec, s[4:5]
	s_cbranch_vccnz .LBB85_1518
; %bb.1517:
	global_load_ushort v4, v[0:1], off
	s_waitcnt vmcnt(0)
	v_cvt_f32_f16_e32 v4, v4
	v_cvt_f64_f32_e32 v[41:42], v4
.LBB85_1518:
	s_mov_b64 s[4:5], 0
.LBB85_1519:
	s_andn2_b64 vcc, exec, s[4:5]
	s_cbranch_vccnz .LBB85_1539
; %bb.1520:
	s_cmp_lt_i32 s14, 2
	s_cbranch_scc1 .LBB85_1524
; %bb.1521:
	s_cmp_lt_i32 s14, 3
	s_cbranch_scc1 .LBB85_1525
; %bb.1522:
	s_cmp_gt_i32 s14, 3
	s_cbranch_scc0 .LBB85_1526
; %bb.1523:
	global_load_dwordx2 v[4:5], v[0:1], off
	s_mov_b64 s[4:5], 0
	s_waitcnt vmcnt(0)
	v_cvt_f64_i32_e32 v[5:6], v5
	v_cvt_f64_u32_e32 v[7:8], v4
	v_ldexp_f64 v[5:6], v[5:6], 32
	v_add_f64 v[41:42], v[5:6], v[7:8]
	s_branch .LBB85_1527
.LBB85_1524:
	s_mov_b64 s[4:5], -1
                                        ; implicit-def: $vgpr41_vgpr42
	s_branch .LBB85_1533
.LBB85_1525:
	s_mov_b64 s[4:5], -1
                                        ; implicit-def: $vgpr41_vgpr42
	s_branch .LBB85_1530
.LBB85_1526:
	s_mov_b64 s[4:5], -1
                                        ; implicit-def: $vgpr41_vgpr42
.LBB85_1527:
	s_andn2_b64 vcc, exec, s[4:5]
	s_cbranch_vccnz .LBB85_1529
; %bb.1528:
	global_load_dword v4, v[0:1], off
	s_waitcnt vmcnt(0)
	v_cvt_f64_i32_e32 v[41:42], v4
.LBB85_1529:
	s_mov_b64 s[4:5], 0
.LBB85_1530:
	s_andn2_b64 vcc, exec, s[4:5]
	s_cbranch_vccnz .LBB85_1532
; %bb.1531:
	global_load_sshort v4, v[0:1], off
	s_waitcnt vmcnt(0)
	v_cvt_f64_i32_e32 v[41:42], v4
.LBB85_1532:
	s_mov_b64 s[4:5], 0
.LBB85_1533:
	s_andn2_b64 vcc, exec, s[4:5]
	s_cbranch_vccnz .LBB85_1539
; %bb.1534:
	s_cmp_gt_i32 s14, 0
	s_cbranch_scc0 .LBB85_1536
; %bb.1535:
	global_load_sbyte v4, v[0:1], off
	s_mov_b64 s[4:5], 0
	s_waitcnt vmcnt(0)
	v_cvt_f64_i32_e32 v[41:42], v4
	s_branch .LBB85_1537
.LBB85_1536:
	s_mov_b64 s[4:5], -1
                                        ; implicit-def: $vgpr41_vgpr42
.LBB85_1537:
	s_andn2_b64 vcc, exec, s[4:5]
	s_cbranch_vccnz .LBB85_1539
; %bb.1538:
	global_load_ubyte v0, v[0:1], off
	s_waitcnt vmcnt(0)
	v_cvt_f64_u32_e32 v[41:42], v0
.LBB85_1539:
	s_mov_b64 s[8:9], -1
.LBB85_1540:
	s_andn2_b64 vcc, exec, s[8:9]
	s_cbranch_vccnz .LBB85_1738
; %bb.1541:
	v_mov_b32_e32 v0, s42
	v_mov_b32_e32 v1, s43
	v_writelane_b32 v50, s36, 0
	v_writelane_b32 v50, s37, 1
	;; [unrolled: 1-line block ×6, first 2 shown]
	s_getpc_b64 s[4:5]
	s_add_u32 s4, s4, _ZZZZN2at6native21polygamma_kernel_cudaERNS_18TensorIteratorBaseElENKUlvE_clEvENKUlvE_clEvENKUldE_clEd@rel32@lo+4
	s_addc_u32 s5, s5, _ZZZZN2at6native21polygamma_kernel_cudaERNS_18TensorIteratorBaseElENKUlvE_clEvENKUlvE_clEvENKUldE_clEd@rel32@hi+12
	v_writelane_b32 v50, s42, 6
	v_writelane_b32 v50, s43, 7
	s_mov_b32 s33, s23
	s_swappc_b64 s[30:31], s[4:5]
	v_readlane_b32 s12, v50, 0
	v_readlane_b32 s16, v50, 4
	v_mul_lo_u32 v47, s16, v47
	v_readlane_b32 s13, v50, 1
	v_mov_b32_e32 v3, s13
	s_and_b32 s33, s33, 0xff
	v_ashrrev_i32_e32 v2, 31, v47
	v_add_co_u32_e32 v4, vcc, s12, v47
	v_readlane_b32 s18, v50, 6
	v_readlane_b32 s19, v50, 7
	s_cmp_lt_i32 s33, 11
	v_addc_co_u32_e32 v5, vcc, v3, v2, vcc
	v_readlane_b32 s14, v50, 2
	v_readlane_b32 s15, v50, 3
	;; [unrolled: 1-line block ×3, first 2 shown]
	s_cbranch_scc1 .LBB85_1619
; %bb.1542:
	s_and_b32 s14, 0xffff, s33
	s_mov_b64 s[10:11], -1
	s_mov_b64 s[6:7], 0
	s_cmp_gt_i32 s14, 25
	s_mov_b64 s[8:9], 0
	s_mov_b64 s[4:5], 0
	s_cbranch_scc0 .LBB85_1575
; %bb.1543:
	s_cmp_gt_i32 s14, 28
	s_cbranch_scc0 .LBB85_1558
; %bb.1544:
	s_cmp_gt_i32 s14, 43
	;; [unrolled: 3-line block ×3, first 2 shown]
	s_cbranch_scc0 .LBB85_1548
; %bb.1546:
	s_mov_b64 s[4:5], -1
	s_mov_b64 s[10:11], 0
	s_cmp_eq_u32 s14, 46
	s_cbranch_scc0 .LBB85_1548
; %bb.1547:
	v_cvt_f32_f64_e32 v2, v[0:1]
	s_movk_i32 s4, 0x7fff
	v_mov_b32_e32 v3, 0x7fc0
	s_mov_b64 s[8:9], -1
	v_bfe_u32 v6, v2, 16, 1
	v_cmp_o_f32_e32 vcc, v2, v2
	v_add3_u32 v2, v2, v6, s4
	v_cndmask_b32_sdwa v2, v3, v2, vcc dst_sel:DWORD dst_unused:UNUSED_PAD src0_sel:DWORD src1_sel:WORD_1
	global_store_dword v[4:5], v2, off
	s_mov_b64 s[4:5], 0
.LBB85_1548:
	s_and_b64 vcc, exec, s[10:11]
	s_cbranch_vccz .LBB85_1553
; %bb.1549:
	s_cmp_eq_u32 s14, 44
	s_mov_b64 s[4:5], -1
	s_cbranch_scc0 .LBB85_1553
; %bb.1550:
	v_cvt_f32_f64_e32 v2, v[0:1]
	s_movk_i32 s4, 0xff
	v_mov_b32_e32 v6, 0xff
	v_bfe_u32 v3, v2, 23, 8
	v_cmp_ne_u32_e32 vcc, s4, v3
	s_and_saveexec_b64 s[8:9], vcc
; %bb.1551:
	s_mov_b32 s4, 0x3fffff
	v_lshrrev_b32_e32 v6, 23, v2
	v_and_b32_e32 v7, 0x400000, v2
	v_and_or_b32 v2, v2, s4, v3
	v_cmp_ne_u32_e32 vcc, 0, v7
	v_cmp_ne_u32_e64 s[4:5], 0, v2
	s_and_b64 s[4:5], vcc, s[4:5]
	v_cndmask_b32_e64 v2, 0, 1, s[4:5]
	v_add_u32_e32 v6, v6, v2
; %bb.1552:
	s_or_b64 exec, exec, s[8:9]
	s_mov_b64 s[4:5], 0
	s_mov_b64 s[8:9], -1
	global_store_byte v[4:5], v6, off
.LBB85_1553:
	s_mov_b64 s[10:11], 0
.LBB85_1554:
	s_and_b64 vcc, exec, s[10:11]
	s_cbranch_vccz .LBB85_1557
; %bb.1555:
	s_cmp_eq_u32 s14, 29
	s_mov_b64 s[4:5], -1
	s_cbranch_scc0 .LBB85_1557
; %bb.1556:
	v_trunc_f64_e32 v[2:3], v[0:1]
	s_movk_i32 s4, 0xffe0
	s_mov_b64 s[8:9], -1
	v_ldexp_f64 v[6:7], v[2:3], s4
	s_mov_b32 s4, 0
	s_mov_b32 s5, 0xc1f00000
	v_floor_f64_e32 v[6:7], v[6:7]
	v_fma_f64 v[2:3], v[6:7], s[4:5], v[2:3]
	v_cvt_u32_f64_e32 v7, v[6:7]
	s_mov_b64 s[4:5], 0
	v_cvt_u32_f64_e32 v6, v[2:3]
	global_store_dwordx2 v[4:5], v[6:7], off
.LBB85_1557:
	s_mov_b64 s[10:11], 0
.LBB85_1558:
	s_and_b64 vcc, exec, s[10:11]
	s_cbranch_vccz .LBB85_1574
; %bb.1559:
	s_cmp_lt_i32 s14, 27
	s_mov_b64 s[8:9], -1
	s_cbranch_scc1 .LBB85_1565
; %bb.1560:
	v_cvt_u32_f64_e32 v2, v[0:1]
	s_cmp_gt_i32 s14, 27
	s_cbranch_scc0 .LBB85_1562
; %bb.1561:
	s_mov_b64 s[8:9], 0
	global_store_dword v[4:5], v2, off
.LBB85_1562:
	s_andn2_b64 vcc, exec, s[8:9]
	s_cbranch_vccnz .LBB85_1564
; %bb.1563:
	global_store_short v[4:5], v2, off
.LBB85_1564:
	s_mov_b64 s[8:9], 0
.LBB85_1565:
	s_andn2_b64 vcc, exec, s[8:9]
	s_cbranch_vccnz .LBB85_1573
; %bb.1566:
	v_cvt_f32_f64_e32 v2, v[0:1]
	s_mov_b32 s8, 0x43800000
	v_mov_b32_e32 v6, 0x80
	v_and_b32_e32 v3, 0x7fffffff, v2
	v_cmp_gt_u32_e32 vcc, s8, v3
	s_and_saveexec_b64 s[8:9], vcc
	s_cbranch_execz .LBB85_1572
; %bb.1567:
	s_mov_b32 s10, 0x3bffffff
	v_cmp_lt_u32_e32 vcc, s10, v3
	s_mov_b64 s[10:11], 0
                                        ; implicit-def: $vgpr3
	s_and_saveexec_b64 s[12:13], vcc
	s_xor_b64 s[12:13], exec, s[12:13]
	s_cbranch_execz .LBB85_2023
; %bb.1568:
	v_bfe_u32 v3, v2, 20, 1
	s_mov_b32 s15, 0x487ffff
	v_add3_u32 v3, v2, v3, s15
	s_mov_b64 s[10:11], exec
	v_lshrrev_b32_e32 v3, 20, v3
	s_andn2_saveexec_b64 s[12:13], s[12:13]
	s_cbranch_execnz .LBB85_2024
.LBB85_1569:
	s_or_b64 exec, exec, s[12:13]
	v_mov_b32_e32 v6, 0
	s_and_saveexec_b64 s[12:13], s[10:11]
.LBB85_1570:
	v_lshrrev_b32_e32 v2, 24, v2
	s_movk_i32 s10, 0x80
	v_and_or_b32 v6, v2, s10, v3
.LBB85_1571:
	s_or_b64 exec, exec, s[12:13]
.LBB85_1572:
	s_or_b64 exec, exec, s[8:9]
	global_store_byte v[4:5], v6, off
.LBB85_1573:
	s_mov_b64 s[8:9], -1
.LBB85_1574:
	s_mov_b64 s[10:11], 0
.LBB85_1575:
	s_and_b64 vcc, exec, s[10:11]
	s_cbranch_vccz .LBB85_1615
; %bb.1576:
	s_cmp_gt_i32 s14, 22
	s_mov_b64 s[6:7], -1
	s_cbranch_scc0 .LBB85_1608
; %bb.1577:
	s_cmp_lt_i32 s14, 24
	s_cbranch_scc1 .LBB85_1597
; %bb.1578:
	s_cmp_gt_i32 s14, 24
	s_cbranch_scc0 .LBB85_1586
; %bb.1579:
	v_cvt_f32_f64_e32 v2, v[0:1]
	s_mov_b32 s6, 0x47800000
	v_mov_b32_e32 v6, 0x80
	v_and_b32_e32 v3, 0x7fffffff, v2
	v_cmp_gt_u32_e32 vcc, s6, v3
	s_and_saveexec_b64 s[6:7], vcc
	s_cbranch_execz .LBB85_1585
; %bb.1580:
	s_mov_b32 s8, 0x37ffffff
	v_cmp_lt_u32_e32 vcc, s8, v3
	s_mov_b64 s[8:9], 0
                                        ; implicit-def: $vgpr3
	s_and_saveexec_b64 s[10:11], vcc
	s_xor_b64 s[10:11], exec, s[10:11]
	s_cbranch_execz .LBB85_2026
; %bb.1581:
	v_bfe_u32 v3, v2, 21, 1
	s_mov_b32 s12, 0x88fffff
	v_add3_u32 v3, v2, v3, s12
	s_mov_b64 s[8:9], exec
	v_lshrrev_b32_e32 v3, 21, v3
	s_andn2_saveexec_b64 s[10:11], s[10:11]
	s_cbranch_execnz .LBB85_2027
.LBB85_1582:
	s_or_b64 exec, exec, s[10:11]
	v_mov_b32_e32 v6, 0
	s_and_saveexec_b64 s[10:11], s[8:9]
.LBB85_1583:
	v_lshrrev_b32_e32 v2, 24, v2
	s_movk_i32 s8, 0x80
	v_and_or_b32 v6, v2, s8, v3
.LBB85_1584:
	s_or_b64 exec, exec, s[10:11]
.LBB85_1585:
	s_or_b64 exec, exec, s[6:7]
	s_mov_b64 s[6:7], 0
	global_store_byte v[4:5], v6, off
.LBB85_1586:
	s_and_b64 vcc, exec, s[6:7]
	s_cbranch_vccz .LBB85_1596
; %bb.1587:
	v_cvt_f32_f64_e32 v2, v[0:1]
	s_mov_b32 s6, 0x43f00000
                                        ; implicit-def: $vgpr3
	v_and_b32_e32 v6, 0x7fffffff, v2
	v_cmp_gt_u32_e32 vcc, s6, v6
	s_and_saveexec_b64 s[6:7], vcc
	s_xor_b64 s[6:7], exec, s[6:7]
	s_cbranch_execz .LBB85_1593
; %bb.1588:
	s_mov_b32 s8, 0x3c7fffff
	v_cmp_lt_u32_e32 vcc, s8, v6
                                        ; implicit-def: $vgpr3
	s_and_saveexec_b64 s[8:9], vcc
	s_xor_b64 s[8:9], exec, s[8:9]
; %bb.1589:
	v_bfe_u32 v3, v2, 20, 1
	s_mov_b32 s10, 0x407ffff
	v_add3_u32 v3, v2, v3, s10
	v_lshrrev_b32_e32 v6, 20, v3
	v_and_b32_e32 v3, 0xff00000, v3
	s_mov_b32 s10, 0x7f00000
	v_mov_b32_e32 v7, 0x7e
	v_cmp_ne_u32_e32 vcc, s10, v3
	v_cndmask_b32_e32 v3, v7, v6, vcc
; %bb.1590:
	s_andn2_saveexec_b64 s[8:9], s[8:9]
; %bb.1591:
	s_mov_b32 s10, 0x46800000
	v_add_f32_e64 v3, |v2|, s10
; %bb.1592:
	s_or_b64 exec, exec, s[8:9]
                                        ; implicit-def: $vgpr6
.LBB85_1593:
	s_andn2_saveexec_b64 s[6:7], s[6:7]
; %bb.1594:
	s_mov_b32 s8, 0x7f800000
	v_mov_b32_e32 v3, 0x7e
	v_mov_b32_e32 v7, 0x7f
	v_cmp_lt_u32_e32 vcc, s8, v6
	v_cndmask_b32_e32 v3, v3, v7, vcc
; %bb.1595:
	s_or_b64 exec, exec, s[6:7]
	v_lshrrev_b32_e32 v2, 24, v2
	s_movk_i32 s6, 0x80
	v_and_or_b32 v2, v2, s6, v3
	global_store_byte v[4:5], v2, off
.LBB85_1596:
	s_mov_b64 s[6:7], 0
.LBB85_1597:
	s_andn2_b64 vcc, exec, s[6:7]
	s_cbranch_vccnz .LBB85_1607
; %bb.1598:
	v_cvt_f32_f64_e32 v2, v[0:1]
	s_mov_b32 s6, 0x47800000
                                        ; implicit-def: $vgpr3
	v_and_b32_e32 v6, 0x7fffffff, v2
	v_cmp_gt_u32_e32 vcc, s6, v6
	s_and_saveexec_b64 s[6:7], vcc
	s_xor_b64 s[6:7], exec, s[6:7]
	s_cbranch_execz .LBB85_1604
; %bb.1599:
	s_mov_b32 s8, 0x387fffff
	v_cmp_lt_u32_e32 vcc, s8, v6
                                        ; implicit-def: $vgpr3
	s_and_saveexec_b64 s[8:9], vcc
	s_xor_b64 s[8:9], exec, s[8:9]
; %bb.1600:
	v_bfe_u32 v3, v2, 21, 1
	s_mov_b32 s10, 0x80fffff
	v_add3_u32 v3, v2, v3, s10
	v_lshrrev_b32_e32 v3, 21, v3
; %bb.1601:
	s_andn2_saveexec_b64 s[8:9], s[8:9]
; %bb.1602:
	s_mov_b32 s10, 0x43000000
	v_add_f32_e64 v3, |v2|, s10
; %bb.1603:
	s_or_b64 exec, exec, s[8:9]
                                        ; implicit-def: $vgpr6
.LBB85_1604:
	s_andn2_saveexec_b64 s[6:7], s[6:7]
; %bb.1605:
	s_mov_b32 s8, 0x7f800000
	v_mov_b32_e32 v3, 0x7c
	v_mov_b32_e32 v7, 0x7f
	v_cmp_lt_u32_e32 vcc, s8, v6
	v_cndmask_b32_e32 v3, v3, v7, vcc
; %bb.1606:
	s_or_b64 exec, exec, s[6:7]
	v_lshrrev_b32_e32 v2, 24, v2
	s_movk_i32 s6, 0x80
	v_and_or_b32 v2, v2, s6, v3
	global_store_byte v[4:5], v2, off
.LBB85_1607:
	s_mov_b64 s[6:7], 0
	s_mov_b64 s[8:9], -1
.LBB85_1608:
	s_andn2_b64 vcc, exec, s[6:7]
	s_mov_b64 s[6:7], 0
	s_cbranch_vccnz .LBB85_1615
; %bb.1609:
	s_cmp_gt_i32 s14, 14
	s_mov_b64 s[10:11], -1
	s_cbranch_scc0 .LBB85_1613
; %bb.1610:
	s_cmp_eq_u32 s14, 15
	s_mov_b64 s[4:5], -1
	s_cbranch_scc0 .LBB85_1612
; %bb.1611:
	v_cvt_f32_f64_e32 v2, v[0:1]
	s_movk_i32 s4, 0x7fff
	v_mov_b32_e32 v3, 0x7fc0
	s_mov_b64 s[8:9], -1
	v_bfe_u32 v6, v2, 16, 1
	v_cmp_o_f32_e32 vcc, v2, v2
	v_add3_u32 v2, v2, v6, s4
	v_cndmask_b32_sdwa v2, v3, v2, vcc dst_sel:DWORD dst_unused:UNUSED_PAD src0_sel:DWORD src1_sel:WORD_1
	global_store_short v[4:5], v2, off
	s_mov_b64 s[4:5], 0
.LBB85_1612:
	s_mov_b64 s[10:11], 0
.LBB85_1613:
	s_and_b64 vcc, exec, s[10:11]
	s_cbranch_vccz .LBB85_1615
; %bb.1614:
	s_cmp_lg_u32 s14, 11
	s_mov_b64 s[6:7], -1
	s_cselect_b64 s[4:5], -1, 0
.LBB85_1615:
	s_and_b64 vcc, exec, s[4:5]
	s_cbranch_vccnz .LBB85_2025
; %bb.1616:
	s_andn2_b64 vcc, exec, s[6:7]
	s_cbranch_vccnz .LBB85_1618
.LBB85_1617:
	v_cmp_neq_f64_e32 vcc, 0, v[0:1]
	s_mov_b64 s[8:9], -1
	v_cndmask_b32_e64 v2, 0, 1, vcc
	global_store_byte v[4:5], v2, off
.LBB85_1618:
	s_mov_b64 s[4:5], 0
	s_branch .LBB85_1620
.LBB85_1619:
	s_mov_b64 s[4:5], -1
	s_mov_b64 s[8:9], 0
.LBB85_1620:
	s_and_b64 vcc, exec, s[4:5]
	s_cbranch_vccz .LBB85_1659
; %bb.1621:
	s_and_b32 s6, 0xffff, s33
	s_cmp_lt_i32 s6, 5
	s_mov_b64 s[4:5], -1
	s_cbranch_scc1 .LBB85_1642
; %bb.1622:
	s_cmp_lt_i32 s6, 8
	s_cbranch_scc1 .LBB85_1632
; %bb.1623:
	s_cmp_lt_i32 s6, 9
	s_cbranch_scc1 .LBB85_1629
; %bb.1624:
	s_cmp_gt_i32 s6, 9
	s_cbranch_scc0 .LBB85_1626
; %bb.1625:
	v_mov_b32_e32 v2, 0
	v_mov_b32_e32 v3, v2
	global_store_dwordx4 v[4:5], v[0:3], off
	s_mov_b64 s[4:5], 0
.LBB85_1626:
	s_andn2_b64 vcc, exec, s[4:5]
	s_cbranch_vccnz .LBB85_1628
; %bb.1627:
	v_cvt_f32_f64_e32 v2, v[0:1]
	v_mov_b32_e32 v3, 0
	global_store_dwordx2 v[4:5], v[2:3], off
.LBB85_1628:
	s_mov_b64 s[4:5], 0
.LBB85_1629:
	s_andn2_b64 vcc, exec, s[4:5]
	s_cbranch_vccnz .LBB85_1631
; %bb.1630:
	s_movk_i32 s4, 0x1ff
	v_and_or_b32 v2, v1, s4, v0
	v_cmp_ne_u32_e32 vcc, 0, v2
	v_cndmask_b32_e64 v2, 0, 1, vcc
	v_lshrrev_b32_e32 v3, 8, v1
	s_movk_i32 s4, 0xffe
	v_bfe_u32 v6, v1, 20, 11
	v_and_or_b32 v2, v3, s4, v2
	v_sub_u32_e32 v7, 0x3f1, v6
	v_or_b32_e32 v3, 0x1000, v2
	v_med3_i32 v7, v7, 0, 13
	v_lshrrev_b32_e32 v8, v7, v3
	v_lshlrev_b32_e32 v7, v7, v8
	v_cmp_ne_u32_e32 vcc, v7, v3
	v_cndmask_b32_e64 v3, 0, 1, vcc
	v_add_u32_e32 v6, 0xfffffc10, v6
	v_or_b32_e32 v3, v8, v3
	v_lshl_or_b32 v7, v6, 12, v2
	v_cmp_gt_i32_e32 vcc, 1, v6
	v_cndmask_b32_e32 v3, v7, v3, vcc
	v_and_b32_e32 v7, 7, v3
	v_cmp_lt_i32_e32 vcc, 5, v7
	v_cndmask_b32_e64 v8, 0, 1, vcc
	v_cmp_eq_u32_e32 vcc, 3, v7
	v_cndmask_b32_e64 v7, 0, 1, vcc
	v_or_b32_e32 v7, v7, v8
	v_lshrrev_b32_e32 v3, 2, v3
	v_add_u32_e32 v3, v3, v7
	v_mov_b32_e32 v7, 0x7c00
	v_cmp_gt_i32_e32 vcc, 31, v6
	v_cndmask_b32_e32 v3, v7, v3, vcc
	v_mov_b32_e32 v8, 0x7e00
	v_cmp_ne_u32_e32 vcc, 0, v2
	s_movk_i32 s4, 0x40f
	v_cndmask_b32_e32 v2, v7, v8, vcc
	v_cmp_eq_u32_e32 vcc, s4, v6
	v_cndmask_b32_e32 v2, v3, v2, vcc
	v_lshrrev_b32_e32 v3, 16, v1
	s_mov_b32 s4, 0x8000
	v_and_or_b32 v2, v3, s4, v2
	v_and_b32_e32 v2, 0xffff, v2
	global_store_dword v[4:5], v2, off
.LBB85_1631:
	s_mov_b64 s[4:5], 0
.LBB85_1632:
	s_andn2_b64 vcc, exec, s[4:5]
	s_cbranch_vccnz .LBB85_1641
; %bb.1633:
	s_cmp_lt_i32 s6, 6
	s_mov_b64 s[4:5], -1
	s_cbranch_scc1 .LBB85_1639
; %bb.1634:
	s_cmp_gt_i32 s6, 6
	s_cbranch_scc0 .LBB85_1636
; %bb.1635:
	global_store_dwordx2 v[4:5], v[0:1], off
	s_mov_b64 s[4:5], 0
.LBB85_1636:
	s_andn2_b64 vcc, exec, s[4:5]
	s_cbranch_vccnz .LBB85_1638
; %bb.1637:
	v_cvt_f32_f64_e32 v2, v[0:1]
	global_store_dword v[4:5], v2, off
.LBB85_1638:
	s_mov_b64 s[4:5], 0
.LBB85_1639:
	s_andn2_b64 vcc, exec, s[4:5]
	s_cbranch_vccnz .LBB85_1641
; %bb.1640:
	s_movk_i32 s4, 0x1ff
	v_and_or_b32 v2, v1, s4, v0
	v_cmp_ne_u32_e32 vcc, 0, v2
	v_cndmask_b32_e64 v2, 0, 1, vcc
	v_lshrrev_b32_e32 v3, 8, v1
	s_movk_i32 s4, 0xffe
	v_bfe_u32 v6, v1, 20, 11
	v_and_or_b32 v2, v3, s4, v2
	v_sub_u32_e32 v7, 0x3f1, v6
	v_or_b32_e32 v3, 0x1000, v2
	v_med3_i32 v7, v7, 0, 13
	v_lshrrev_b32_e32 v8, v7, v3
	v_lshlrev_b32_e32 v7, v7, v8
	v_cmp_ne_u32_e32 vcc, v7, v3
	v_cndmask_b32_e64 v3, 0, 1, vcc
	v_add_u32_e32 v6, 0xfffffc10, v6
	v_or_b32_e32 v3, v8, v3
	v_lshl_or_b32 v7, v6, 12, v2
	v_cmp_gt_i32_e32 vcc, 1, v6
	v_cndmask_b32_e32 v3, v7, v3, vcc
	v_and_b32_e32 v7, 7, v3
	v_cmp_lt_i32_e32 vcc, 5, v7
	v_cndmask_b32_e64 v8, 0, 1, vcc
	v_cmp_eq_u32_e32 vcc, 3, v7
	v_cndmask_b32_e64 v7, 0, 1, vcc
	v_or_b32_e32 v7, v7, v8
	v_lshrrev_b32_e32 v3, 2, v3
	v_add_u32_e32 v3, v3, v7
	v_mov_b32_e32 v7, 0x7c00
	v_cmp_gt_i32_e32 vcc, 31, v6
	v_cndmask_b32_e32 v3, v7, v3, vcc
	v_mov_b32_e32 v8, 0x7e00
	v_cmp_ne_u32_e32 vcc, 0, v2
	s_movk_i32 s4, 0x40f
	v_cndmask_b32_e32 v2, v7, v8, vcc
	v_cmp_eq_u32_e32 vcc, s4, v6
	v_cndmask_b32_e32 v2, v3, v2, vcc
	v_lshrrev_b32_e32 v3, 16, v1
	s_mov_b32 s4, 0x8000
	v_and_or_b32 v2, v3, s4, v2
	global_store_short v[4:5], v2, off
.LBB85_1641:
	s_mov_b64 s[4:5], 0
.LBB85_1642:
	s_andn2_b64 vcc, exec, s[4:5]
	s_cbranch_vccnz .LBB85_1658
; %bb.1643:
	s_cmp_lt_i32 s6, 2
	s_mov_b64 s[4:5], -1
	s_cbranch_scc1 .LBB85_1653
; %bb.1644:
	s_cmp_lt_i32 s6, 3
	s_cbranch_scc1 .LBB85_1650
; %bb.1645:
	s_cmp_gt_i32 s6, 3
	s_cbranch_scc0 .LBB85_1647
; %bb.1646:
	v_trunc_f64_e32 v[2:3], v[0:1]
	s_movk_i32 s4, 0xffe0
	v_ldexp_f64 v[6:7], v[2:3], s4
	s_mov_b32 s4, 0
	s_mov_b32 s5, 0xc1f00000
	v_floor_f64_e32 v[6:7], v[6:7]
	v_fma_f64 v[2:3], v[6:7], s[4:5], v[2:3]
	v_cvt_i32_f64_e32 v7, v[6:7]
	s_mov_b64 s[4:5], 0
	v_cvt_u32_f64_e32 v6, v[2:3]
	global_store_dwordx2 v[4:5], v[6:7], off
.LBB85_1647:
	s_andn2_b64 vcc, exec, s[4:5]
	s_cbranch_vccnz .LBB85_1649
; %bb.1648:
	v_cvt_i32_f64_e32 v2, v[0:1]
	global_store_dword v[4:5], v2, off
.LBB85_1649:
	s_mov_b64 s[4:5], 0
.LBB85_1650:
	s_andn2_b64 vcc, exec, s[4:5]
	s_cbranch_vccnz .LBB85_1652
; %bb.1651:
	v_cvt_i32_f64_e32 v2, v[0:1]
	global_store_short v[4:5], v2, off
.LBB85_1652:
	s_mov_b64 s[4:5], 0
.LBB85_1653:
	s_andn2_b64 vcc, exec, s[4:5]
	s_cbranch_vccnz .LBB85_1658
; %bb.1654:
	s_cmp_gt_i32 s6, 0
	s_mov_b64 s[4:5], -1
	s_cbranch_scc0 .LBB85_1656
; %bb.1655:
	v_cvt_i32_f64_e32 v2, v[0:1]
	s_mov_b64 s[4:5], 0
	global_store_byte v[4:5], v2, off
.LBB85_1656:
	s_andn2_b64 vcc, exec, s[4:5]
	s_cbranch_vccnz .LBB85_1658
; %bb.1657:
	v_trunc_f64_e32 v[0:1], v[0:1]
	s_movk_i32 s4, 0xffe0
	v_ldexp_f64 v[2:3], v[0:1], s4
	s_mov_b32 s4, 0
	s_mov_b32 s5, 0xc1f00000
	v_floor_f64_e32 v[2:3], v[2:3]
	v_fma_f64 v[0:1], v[2:3], s[4:5], v[0:1]
	v_cvt_u32_f64_e32 v0, v[0:1]
	global_store_byte v[4:5], v0, off
.LBB85_1658:
	s_mov_b64 s[8:9], -1
.LBB85_1659:
	s_andn2_b64 vcc, exec, s[8:9]
	s_cbranch_vccnz .LBB85_1738
; %bb.1660:
	v_writelane_b32 v50, s86, 8
	s_getpc_b64 s[4:5]
	s_add_u32 s4, s4, _ZZZZN2at6native21polygamma_kernel_cudaERNS_18TensorIteratorBaseElENKUlvE_clEvENKUlvE_clEvENKUldE_clEd@rel32@lo+4
	s_addc_u32 s5, s5, _ZZZZN2at6native21polygamma_kernel_cudaERNS_18TensorIteratorBaseElENKUlvE_clEvENKUlvE_clEvENKUldE_clEd@rel32@hi+12
	v_mov_b32_e32 v0, s18
	v_mov_b32_e32 v1, s19
	;; [unrolled: 1-line block ×4, first 2 shown]
	v_writelane_b32 v50, s87, 9
	s_swappc_b64 s[30:31], s[4:5]
	v_readlane_b32 s12, v50, 0
	v_readlane_b32 s16, v50, 4
	s_lshl_b32 s86, s16, 7
	v_readlane_b32 s13, v50, 1
	v_add_u32_e32 v45, s86, v47
	v_ashrrev_i32_e32 v2, 31, v45
	v_mov_b32_e32 v3, s13
	v_add_co_u32_e32 v4, vcc, s12, v45
	v_readlane_b32 s18, v50, 6
	v_readlane_b32 s19, v50, 7
	s_cmp_lt_i32 s33, 11
	v_addc_co_u32_e32 v5, vcc, v3, v2, vcc
	v_readlane_b32 s14, v50, 2
	v_readlane_b32 s15, v50, 3
	v_readlane_b32 s17, v50, 5
	s_cbranch_scc1 .LBB85_1783
; %bb.1661:
	s_and_b32 s14, 0xffff, s33
	s_mov_b64 s[10:11], -1
	s_mov_b64 s[6:7], 0
	s_cmp_gt_i32 s14, 25
	s_mov_b64 s[8:9], 0
	s_mov_b64 s[4:5], 0
	s_cbranch_scc0 .LBB85_1694
; %bb.1662:
	s_cmp_gt_i32 s14, 28
	s_cbranch_scc0 .LBB85_1677
; %bb.1663:
	s_cmp_gt_i32 s14, 43
	;; [unrolled: 3-line block ×3, first 2 shown]
	s_cbranch_scc0 .LBB85_1667
; %bb.1665:
	s_mov_b64 s[4:5], -1
	s_mov_b64 s[10:11], 0
	s_cmp_eq_u32 s14, 46
	s_cbranch_scc0 .LBB85_1667
; %bb.1666:
	v_cvt_f32_f64_e32 v2, v[0:1]
	s_movk_i32 s4, 0x7fff
	v_mov_b32_e32 v3, 0x7fc0
	s_mov_b64 s[8:9], -1
	v_bfe_u32 v6, v2, 16, 1
	v_cmp_o_f32_e32 vcc, v2, v2
	v_add3_u32 v2, v2, v6, s4
	v_cndmask_b32_sdwa v2, v3, v2, vcc dst_sel:DWORD dst_unused:UNUSED_PAD src0_sel:DWORD src1_sel:WORD_1
	global_store_dword v[4:5], v2, off
	s_mov_b64 s[4:5], 0
.LBB85_1667:
	s_and_b64 vcc, exec, s[10:11]
	s_cbranch_vccz .LBB85_1672
; %bb.1668:
	s_cmp_eq_u32 s14, 44
	s_mov_b64 s[4:5], -1
	s_cbranch_scc0 .LBB85_1672
; %bb.1669:
	v_cvt_f32_f64_e32 v2, v[0:1]
	s_movk_i32 s4, 0xff
	v_mov_b32_e32 v6, 0xff
	v_bfe_u32 v3, v2, 23, 8
	v_cmp_ne_u32_e32 vcc, s4, v3
	s_and_saveexec_b64 s[8:9], vcc
; %bb.1670:
	s_mov_b32 s4, 0x3fffff
	v_lshrrev_b32_e32 v6, 23, v2
	v_and_b32_e32 v7, 0x400000, v2
	v_and_or_b32 v2, v2, s4, v3
	v_cmp_ne_u32_e32 vcc, 0, v7
	v_cmp_ne_u32_e64 s[4:5], 0, v2
	s_and_b64 s[4:5], vcc, s[4:5]
	v_cndmask_b32_e64 v2, 0, 1, s[4:5]
	v_add_u32_e32 v6, v6, v2
; %bb.1671:
	s_or_b64 exec, exec, s[8:9]
	s_mov_b64 s[4:5], 0
	s_mov_b64 s[8:9], -1
	global_store_byte v[4:5], v6, off
.LBB85_1672:
	s_mov_b64 s[10:11], 0
.LBB85_1673:
	s_and_b64 vcc, exec, s[10:11]
	s_cbranch_vccz .LBB85_1676
; %bb.1674:
	s_cmp_eq_u32 s14, 29
	s_mov_b64 s[4:5], -1
	s_cbranch_scc0 .LBB85_1676
; %bb.1675:
	v_trunc_f64_e32 v[2:3], v[0:1]
	s_movk_i32 s4, 0xffe0
	s_mov_b64 s[8:9], -1
	v_ldexp_f64 v[6:7], v[2:3], s4
	s_mov_b32 s4, 0
	s_mov_b32 s5, 0xc1f00000
	v_floor_f64_e32 v[6:7], v[6:7]
	v_fma_f64 v[2:3], v[6:7], s[4:5], v[2:3]
	v_cvt_u32_f64_e32 v7, v[6:7]
	s_mov_b64 s[4:5], 0
	v_cvt_u32_f64_e32 v6, v[2:3]
	global_store_dwordx2 v[4:5], v[6:7], off
.LBB85_1676:
	s_mov_b64 s[10:11], 0
.LBB85_1677:
	s_and_b64 vcc, exec, s[10:11]
	s_cbranch_vccz .LBB85_1693
; %bb.1678:
	s_cmp_lt_i32 s14, 27
	s_mov_b64 s[8:9], -1
	s_cbranch_scc1 .LBB85_1684
; %bb.1679:
	v_cvt_u32_f64_e32 v2, v[0:1]
	s_cmp_gt_i32 s14, 27
	s_cbranch_scc0 .LBB85_1681
; %bb.1680:
	s_mov_b64 s[8:9], 0
	global_store_dword v[4:5], v2, off
.LBB85_1681:
	s_andn2_b64 vcc, exec, s[8:9]
	s_cbranch_vccnz .LBB85_1683
; %bb.1682:
	global_store_short v[4:5], v2, off
.LBB85_1683:
	s_mov_b64 s[8:9], 0
.LBB85_1684:
	s_andn2_b64 vcc, exec, s[8:9]
	s_cbranch_vccnz .LBB85_1692
; %bb.1685:
	v_cvt_f32_f64_e32 v2, v[0:1]
	s_mov_b32 s8, 0x43800000
	v_mov_b32_e32 v6, 0x80
	v_and_b32_e32 v3, 0x7fffffff, v2
	v_cmp_gt_u32_e32 vcc, s8, v3
	s_and_saveexec_b64 s[8:9], vcc
	s_cbranch_execz .LBB85_1691
; %bb.1686:
	s_mov_b32 s10, 0x3bffffff
	v_cmp_lt_u32_e32 vcc, s10, v3
	s_mov_b64 s[10:11], 0
                                        ; implicit-def: $vgpr3
	s_and_saveexec_b64 s[12:13], vcc
	s_xor_b64 s[12:13], exec, s[12:13]
	s_cbranch_execz .LBB85_2028
; %bb.1687:
	v_bfe_u32 v3, v2, 20, 1
	s_mov_b32 s15, 0x487ffff
	v_add3_u32 v3, v2, v3, s15
	s_mov_b64 s[10:11], exec
	v_lshrrev_b32_e32 v3, 20, v3
	s_andn2_saveexec_b64 s[12:13], s[12:13]
	s_cbranch_execnz .LBB85_2029
.LBB85_1688:
	s_or_b64 exec, exec, s[12:13]
	v_mov_b32_e32 v6, 0
	s_and_saveexec_b64 s[12:13], s[10:11]
.LBB85_1689:
	v_lshrrev_b32_e32 v2, 24, v2
	s_movk_i32 s10, 0x80
	v_and_or_b32 v6, v2, s10, v3
.LBB85_1690:
	s_or_b64 exec, exec, s[12:13]
.LBB85_1691:
	s_or_b64 exec, exec, s[8:9]
	global_store_byte v[4:5], v6, off
.LBB85_1692:
	s_mov_b64 s[8:9], -1
.LBB85_1693:
	s_mov_b64 s[10:11], 0
.LBB85_1694:
	s_and_b64 vcc, exec, s[10:11]
	s_cbranch_vccz .LBB85_1734
; %bb.1695:
	s_cmp_gt_i32 s14, 22
	s_mov_b64 s[6:7], -1
	s_cbranch_scc0 .LBB85_1727
; %bb.1696:
	s_cmp_lt_i32 s14, 24
	s_cbranch_scc1 .LBB85_1716
; %bb.1697:
	s_cmp_gt_i32 s14, 24
	s_cbranch_scc0 .LBB85_1705
; %bb.1698:
	v_cvt_f32_f64_e32 v2, v[0:1]
	s_mov_b32 s6, 0x47800000
	v_mov_b32_e32 v6, 0x80
	v_and_b32_e32 v3, 0x7fffffff, v2
	v_cmp_gt_u32_e32 vcc, s6, v3
	s_and_saveexec_b64 s[6:7], vcc
	s_cbranch_execz .LBB85_1704
; %bb.1699:
	s_mov_b32 s8, 0x37ffffff
	v_cmp_lt_u32_e32 vcc, s8, v3
	s_mov_b64 s[8:9], 0
                                        ; implicit-def: $vgpr3
	s_and_saveexec_b64 s[10:11], vcc
	s_xor_b64 s[10:11], exec, s[10:11]
	s_cbranch_execz .LBB85_2031
; %bb.1700:
	v_bfe_u32 v3, v2, 21, 1
	s_mov_b32 s12, 0x88fffff
	v_add3_u32 v3, v2, v3, s12
	s_mov_b64 s[8:9], exec
	v_lshrrev_b32_e32 v3, 21, v3
	s_andn2_saveexec_b64 s[10:11], s[10:11]
	s_cbranch_execnz .LBB85_2032
.LBB85_1701:
	s_or_b64 exec, exec, s[10:11]
	v_mov_b32_e32 v6, 0
	s_and_saveexec_b64 s[10:11], s[8:9]
.LBB85_1702:
	v_lshrrev_b32_e32 v2, 24, v2
	s_movk_i32 s8, 0x80
	v_and_or_b32 v6, v2, s8, v3
.LBB85_1703:
	s_or_b64 exec, exec, s[10:11]
.LBB85_1704:
	s_or_b64 exec, exec, s[6:7]
	s_mov_b64 s[6:7], 0
	global_store_byte v[4:5], v6, off
.LBB85_1705:
	s_and_b64 vcc, exec, s[6:7]
	s_cbranch_vccz .LBB85_1715
; %bb.1706:
	v_cvt_f32_f64_e32 v2, v[0:1]
	s_mov_b32 s6, 0x43f00000
                                        ; implicit-def: $vgpr3
	v_and_b32_e32 v6, 0x7fffffff, v2
	v_cmp_gt_u32_e32 vcc, s6, v6
	s_and_saveexec_b64 s[6:7], vcc
	s_xor_b64 s[6:7], exec, s[6:7]
	s_cbranch_execz .LBB85_1712
; %bb.1707:
	s_mov_b32 s8, 0x3c7fffff
	v_cmp_lt_u32_e32 vcc, s8, v6
                                        ; implicit-def: $vgpr3
	s_and_saveexec_b64 s[8:9], vcc
	s_xor_b64 s[8:9], exec, s[8:9]
; %bb.1708:
	v_bfe_u32 v3, v2, 20, 1
	s_mov_b32 s10, 0x407ffff
	v_add3_u32 v3, v2, v3, s10
	v_lshrrev_b32_e32 v6, 20, v3
	v_and_b32_e32 v3, 0xff00000, v3
	s_mov_b32 s10, 0x7f00000
	v_mov_b32_e32 v7, 0x7e
	v_cmp_ne_u32_e32 vcc, s10, v3
	v_cndmask_b32_e32 v3, v7, v6, vcc
; %bb.1709:
	s_andn2_saveexec_b64 s[8:9], s[8:9]
; %bb.1710:
	s_mov_b32 s10, 0x46800000
	v_add_f32_e64 v3, |v2|, s10
; %bb.1711:
	s_or_b64 exec, exec, s[8:9]
                                        ; implicit-def: $vgpr6
.LBB85_1712:
	s_andn2_saveexec_b64 s[6:7], s[6:7]
; %bb.1713:
	s_mov_b32 s8, 0x7f800000
	v_mov_b32_e32 v3, 0x7e
	v_mov_b32_e32 v7, 0x7f
	v_cmp_lt_u32_e32 vcc, s8, v6
	v_cndmask_b32_e32 v3, v3, v7, vcc
; %bb.1714:
	s_or_b64 exec, exec, s[6:7]
	v_lshrrev_b32_e32 v2, 24, v2
	s_movk_i32 s6, 0x80
	v_and_or_b32 v2, v2, s6, v3
	global_store_byte v[4:5], v2, off
.LBB85_1715:
	s_mov_b64 s[6:7], 0
.LBB85_1716:
	s_andn2_b64 vcc, exec, s[6:7]
	s_cbranch_vccnz .LBB85_1726
; %bb.1717:
	v_cvt_f32_f64_e32 v2, v[0:1]
	s_mov_b32 s6, 0x47800000
                                        ; implicit-def: $vgpr3
	v_and_b32_e32 v6, 0x7fffffff, v2
	v_cmp_gt_u32_e32 vcc, s6, v6
	s_and_saveexec_b64 s[6:7], vcc
	s_xor_b64 s[6:7], exec, s[6:7]
	s_cbranch_execz .LBB85_1723
; %bb.1718:
	s_mov_b32 s8, 0x387fffff
	v_cmp_lt_u32_e32 vcc, s8, v6
                                        ; implicit-def: $vgpr3
	s_and_saveexec_b64 s[8:9], vcc
	s_xor_b64 s[8:9], exec, s[8:9]
; %bb.1719:
	v_bfe_u32 v3, v2, 21, 1
	s_mov_b32 s10, 0x80fffff
	v_add3_u32 v3, v2, v3, s10
	v_lshrrev_b32_e32 v3, 21, v3
; %bb.1720:
	s_andn2_saveexec_b64 s[8:9], s[8:9]
; %bb.1721:
	s_mov_b32 s10, 0x43000000
	v_add_f32_e64 v3, |v2|, s10
; %bb.1722:
	s_or_b64 exec, exec, s[8:9]
                                        ; implicit-def: $vgpr6
.LBB85_1723:
	s_andn2_saveexec_b64 s[6:7], s[6:7]
; %bb.1724:
	s_mov_b32 s8, 0x7f800000
	v_mov_b32_e32 v3, 0x7c
	v_mov_b32_e32 v7, 0x7f
	v_cmp_lt_u32_e32 vcc, s8, v6
	v_cndmask_b32_e32 v3, v3, v7, vcc
; %bb.1725:
	s_or_b64 exec, exec, s[6:7]
	v_lshrrev_b32_e32 v2, 24, v2
	s_movk_i32 s6, 0x80
	v_and_or_b32 v2, v2, s6, v3
	global_store_byte v[4:5], v2, off
.LBB85_1726:
	s_mov_b64 s[6:7], 0
	s_mov_b64 s[8:9], -1
.LBB85_1727:
	s_andn2_b64 vcc, exec, s[6:7]
	s_mov_b64 s[6:7], 0
	s_cbranch_vccnz .LBB85_1734
; %bb.1728:
	s_cmp_gt_i32 s14, 14
	s_mov_b64 s[10:11], -1
	s_cbranch_scc0 .LBB85_1732
; %bb.1729:
	s_cmp_eq_u32 s14, 15
	s_mov_b64 s[4:5], -1
	s_cbranch_scc0 .LBB85_1731
; %bb.1730:
	v_cvt_f32_f64_e32 v2, v[0:1]
	s_movk_i32 s4, 0x7fff
	v_mov_b32_e32 v3, 0x7fc0
	s_mov_b64 s[8:9], -1
	v_bfe_u32 v6, v2, 16, 1
	v_cmp_o_f32_e32 vcc, v2, v2
	v_add3_u32 v2, v2, v6, s4
	v_cndmask_b32_sdwa v2, v3, v2, vcc dst_sel:DWORD dst_unused:UNUSED_PAD src0_sel:DWORD src1_sel:WORD_1
	global_store_short v[4:5], v2, off
	s_mov_b64 s[4:5], 0
.LBB85_1731:
	s_mov_b64 s[10:11], 0
.LBB85_1732:
	s_and_b64 vcc, exec, s[10:11]
	s_cbranch_vccz .LBB85_1734
; %bb.1733:
	s_cmp_lg_u32 s14, 11
	s_mov_b64 s[6:7], -1
	s_cselect_b64 s[4:5], -1, 0
.LBB85_1734:
	s_and_b64 vcc, exec, s[4:5]
	s_cbranch_vccnz .LBB85_2030
; %bb.1735:
	s_andn2_b64 vcc, exec, s[6:7]
	s_cbranch_vccnz .LBB85_1737
.LBB85_1736:
	v_cmp_neq_f64_e32 vcc, 0, v[0:1]
	s_mov_b64 s[8:9], -1
	v_cndmask_b32_e64 v2, 0, 1, vcc
	global_store_byte v[4:5], v2, off
.LBB85_1737:
	s_mov_b64 s[4:5], 0
	s_branch .LBB85_1784
.LBB85_1738:
	s_mov_b64 s[4:5], 0
	s_mov_b64 s[6:7], 0
                                        ; implicit-def: $sgpr33
                                        ; implicit-def: $vgpr4_vgpr5
                                        ; implicit-def: $vgpr0_vgpr1
.LBB85_1739:
	s_and_b64 s[26:27], s[6:7], exec
	s_andn2_b64 s[6:7], s[98:99], exec
	s_and_b64 s[8:9], s[86:87], exec
	s_and_b64 s[4:5], s[4:5], exec
	s_or_b64 s[98:99], s[6:7], s[8:9]
.LBB85_1740:
	s_or_b64 exec, exec, s[96:97]
	s_and_saveexec_b64 s[6:7], s[98:99]
	s_cbranch_execz .LBB85_1743
; %bb.1741:
	; divergent unreachable
	s_or_b64 exec, exec, s[6:7]
	s_and_saveexec_b64 s[6:7], s[26:27]
	s_xor_b64 s[6:7], exec, s[6:7]
	s_cbranch_execnz .LBB85_1744
.LBB85_1742:
	s_or_b64 exec, exec, s[6:7]
	s_and_saveexec_b64 s[6:7], s[4:5]
	s_cbranch_execnz .LBB85_1745
	s_branch .LBB85_1782
.LBB85_1743:
	s_or_b64 exec, exec, s[6:7]
	s_and_saveexec_b64 s[6:7], s[26:27]
	s_xor_b64 s[6:7], exec, s[6:7]
	s_cbranch_execz .LBB85_1742
.LBB85_1744:
	v_cmp_neq_f64_e32 vcc, 0, v[0:1]
	s_waitcnt vmcnt(0)
	v_cndmask_b32_e64 v2, 0, 1, vcc
	global_store_byte v[4:5], v2, off
	s_or_b64 exec, exec, s[6:7]
	s_and_saveexec_b64 s[6:7], s[4:5]
	s_cbranch_execz .LBB85_1782
.LBB85_1745:
	s_sext_i32_i16 s6, s33
	s_cmp_lt_i32 s6, 5
	s_mov_b64 s[4:5], -1
	s_cbranch_scc1 .LBB85_1766
; %bb.1746:
	s_cmp_lt_i32 s6, 8
	s_cbranch_scc1 .LBB85_1756
; %bb.1747:
	s_cmp_lt_i32 s6, 9
	s_cbranch_scc1 .LBB85_1753
; %bb.1748:
	s_cmp_gt_i32 s6, 9
	s_cbranch_scc0 .LBB85_1750
; %bb.1749:
	s_waitcnt vmcnt(0)
	v_mov_b32_e32 v2, 0
	v_mov_b32_e32 v3, v2
	global_store_dwordx4 v[4:5], v[0:3], off
	s_mov_b64 s[4:5], 0
.LBB85_1750:
	s_andn2_b64 vcc, exec, s[4:5]
	s_cbranch_vccnz .LBB85_1752
; %bb.1751:
	s_waitcnt vmcnt(0)
	v_cvt_f32_f64_e32 v2, v[0:1]
	v_mov_b32_e32 v3, 0
	global_store_dwordx2 v[4:5], v[2:3], off
.LBB85_1752:
	s_mov_b64 s[4:5], 0
.LBB85_1753:
	s_andn2_b64 vcc, exec, s[4:5]
	s_cbranch_vccnz .LBB85_1755
; %bb.1754:
	s_movk_i32 s4, 0x1ff
	s_waitcnt vmcnt(0)
	v_and_or_b32 v2, v1, s4, v0
	v_cmp_ne_u32_e32 vcc, 0, v2
	v_cndmask_b32_e64 v2, 0, 1, vcc
	v_lshrrev_b32_e32 v3, 8, v1
	s_movk_i32 s4, 0xffe
	v_bfe_u32 v6, v1, 20, 11
	v_and_or_b32 v2, v3, s4, v2
	v_sub_u32_e32 v7, 0x3f1, v6
	v_or_b32_e32 v3, 0x1000, v2
	v_med3_i32 v7, v7, 0, 13
	v_lshrrev_b32_e32 v8, v7, v3
	v_lshlrev_b32_e32 v7, v7, v8
	v_cmp_ne_u32_e32 vcc, v7, v3
	v_cndmask_b32_e64 v3, 0, 1, vcc
	v_add_u32_e32 v6, 0xfffffc10, v6
	v_or_b32_e32 v3, v8, v3
	v_lshl_or_b32 v7, v6, 12, v2
	v_cmp_gt_i32_e32 vcc, 1, v6
	v_cndmask_b32_e32 v3, v7, v3, vcc
	v_and_b32_e32 v7, 7, v3
	v_cmp_lt_i32_e32 vcc, 5, v7
	v_cndmask_b32_e64 v8, 0, 1, vcc
	v_cmp_eq_u32_e32 vcc, 3, v7
	v_cndmask_b32_e64 v7, 0, 1, vcc
	v_or_b32_e32 v7, v7, v8
	v_lshrrev_b32_e32 v3, 2, v3
	v_add_u32_e32 v3, v3, v7
	v_mov_b32_e32 v7, 0x7c00
	v_cmp_gt_i32_e32 vcc, 31, v6
	v_cndmask_b32_e32 v3, v7, v3, vcc
	v_mov_b32_e32 v8, 0x7e00
	v_cmp_ne_u32_e32 vcc, 0, v2
	s_movk_i32 s4, 0x40f
	v_cndmask_b32_e32 v2, v7, v8, vcc
	v_cmp_eq_u32_e32 vcc, s4, v6
	v_cndmask_b32_e32 v2, v3, v2, vcc
	v_lshrrev_b32_e32 v3, 16, v1
	s_mov_b32 s4, 0x8000
	v_and_or_b32 v2, v3, s4, v2
	v_and_b32_e32 v2, 0xffff, v2
	global_store_dword v[4:5], v2, off
.LBB85_1755:
	s_mov_b64 s[4:5], 0
.LBB85_1756:
	s_andn2_b64 vcc, exec, s[4:5]
	s_cbranch_vccnz .LBB85_1765
; %bb.1757:
	s_sext_i32_i16 s6, s33
	s_cmp_lt_i32 s6, 6
	s_mov_b64 s[4:5], -1
	s_cbranch_scc1 .LBB85_1763
; %bb.1758:
	s_cmp_gt_i32 s6, 6
	s_cbranch_scc0 .LBB85_1760
; %bb.1759:
	global_store_dwordx2 v[4:5], v[0:1], off
	s_mov_b64 s[4:5], 0
.LBB85_1760:
	s_andn2_b64 vcc, exec, s[4:5]
	s_cbranch_vccnz .LBB85_1762
; %bb.1761:
	s_waitcnt vmcnt(0)
	v_cvt_f32_f64_e32 v2, v[0:1]
	global_store_dword v[4:5], v2, off
.LBB85_1762:
	s_mov_b64 s[4:5], 0
.LBB85_1763:
	s_andn2_b64 vcc, exec, s[4:5]
	s_cbranch_vccnz .LBB85_1765
; %bb.1764:
	s_movk_i32 s4, 0x1ff
	s_waitcnt vmcnt(0)
	v_and_or_b32 v2, v1, s4, v0
	v_cmp_ne_u32_e32 vcc, 0, v2
	v_cndmask_b32_e64 v2, 0, 1, vcc
	v_lshrrev_b32_e32 v3, 8, v1
	s_movk_i32 s4, 0xffe
	v_bfe_u32 v6, v1, 20, 11
	v_and_or_b32 v2, v3, s4, v2
	v_sub_u32_e32 v7, 0x3f1, v6
	v_or_b32_e32 v3, 0x1000, v2
	v_med3_i32 v7, v7, 0, 13
	v_lshrrev_b32_e32 v8, v7, v3
	v_lshlrev_b32_e32 v7, v7, v8
	v_cmp_ne_u32_e32 vcc, v7, v3
	v_cndmask_b32_e64 v3, 0, 1, vcc
	v_add_u32_e32 v6, 0xfffffc10, v6
	v_or_b32_e32 v3, v8, v3
	v_lshl_or_b32 v7, v6, 12, v2
	v_cmp_gt_i32_e32 vcc, 1, v6
	v_cndmask_b32_e32 v3, v7, v3, vcc
	v_and_b32_e32 v7, 7, v3
	v_cmp_lt_i32_e32 vcc, 5, v7
	v_cndmask_b32_e64 v8, 0, 1, vcc
	v_cmp_eq_u32_e32 vcc, 3, v7
	v_cndmask_b32_e64 v7, 0, 1, vcc
	v_or_b32_e32 v7, v7, v8
	v_lshrrev_b32_e32 v3, 2, v3
	v_add_u32_e32 v3, v3, v7
	v_mov_b32_e32 v7, 0x7c00
	v_cmp_gt_i32_e32 vcc, 31, v6
	v_cndmask_b32_e32 v3, v7, v3, vcc
	v_mov_b32_e32 v8, 0x7e00
	v_cmp_ne_u32_e32 vcc, 0, v2
	s_movk_i32 s4, 0x40f
	v_cndmask_b32_e32 v2, v7, v8, vcc
	v_cmp_eq_u32_e32 vcc, s4, v6
	v_cndmask_b32_e32 v2, v3, v2, vcc
	v_lshrrev_b32_e32 v3, 16, v1
	s_mov_b32 s4, 0x8000
	v_and_or_b32 v2, v3, s4, v2
	global_store_short v[4:5], v2, off
.LBB85_1765:
	s_mov_b64 s[4:5], 0
.LBB85_1766:
	s_andn2_b64 vcc, exec, s[4:5]
	s_cbranch_vccnz .LBB85_1782
; %bb.1767:
	s_sext_i32_i16 s6, s33
	s_cmp_lt_i32 s6, 2
	s_mov_b64 s[4:5], -1
	s_cbranch_scc1 .LBB85_1777
; %bb.1768:
	s_cmp_lt_i32 s6, 3
	s_cbranch_scc1 .LBB85_1774
; %bb.1769:
	s_cmp_gt_i32 s6, 3
	s_cbranch_scc0 .LBB85_1771
; %bb.1770:
	s_waitcnt vmcnt(0)
	v_trunc_f64_e32 v[2:3], v[0:1]
	s_movk_i32 s4, 0xffe0
	v_ldexp_f64 v[6:7], v[2:3], s4
	s_mov_b32 s4, 0
	s_mov_b32 s5, 0xc1f00000
	v_floor_f64_e32 v[6:7], v[6:7]
	v_fma_f64 v[2:3], v[6:7], s[4:5], v[2:3]
	v_cvt_i32_f64_e32 v7, v[6:7]
	s_mov_b64 s[4:5], 0
	v_cvt_u32_f64_e32 v6, v[2:3]
	global_store_dwordx2 v[4:5], v[6:7], off
.LBB85_1771:
	s_andn2_b64 vcc, exec, s[4:5]
	s_cbranch_vccnz .LBB85_1773
; %bb.1772:
	s_waitcnt vmcnt(0)
	v_cvt_i32_f64_e32 v2, v[0:1]
	global_store_dword v[4:5], v2, off
.LBB85_1773:
	s_mov_b64 s[4:5], 0
.LBB85_1774:
	s_andn2_b64 vcc, exec, s[4:5]
	s_cbranch_vccnz .LBB85_1776
; %bb.1775:
	s_waitcnt vmcnt(0)
	v_cvt_i32_f64_e32 v2, v[0:1]
	global_store_short v[4:5], v2, off
.LBB85_1776:
	s_mov_b64 s[4:5], 0
.LBB85_1777:
	s_andn2_b64 vcc, exec, s[4:5]
	s_cbranch_vccnz .LBB85_1782
; %bb.1778:
	s_sext_i32_i16 s4, s33
	s_cmp_gt_i32 s4, 0
	s_mov_b64 s[4:5], -1
	s_cbranch_scc0 .LBB85_1780
; %bb.1779:
	s_waitcnt vmcnt(0)
	v_cvt_i32_f64_e32 v2, v[0:1]
	s_mov_b64 s[4:5], 0
	global_store_byte v[4:5], v2, off
.LBB85_1780:
	s_andn2_b64 vcc, exec, s[4:5]
	s_cbranch_vccnz .LBB85_1782
; %bb.1781:
	v_trunc_f64_e32 v[0:1], v[0:1]
	s_movk_i32 s4, 0xffe0
	s_waitcnt vmcnt(0)
	v_ldexp_f64 v[2:3], v[0:1], s4
	s_mov_b32 s4, 0
	s_mov_b32 s5, 0xc1f00000
	v_floor_f64_e32 v[2:3], v[2:3]
	v_fma_f64 v[0:1], v[2:3], s[4:5], v[0:1]
	v_cvt_u32_f64_e32 v0, v[0:1]
	global_store_byte v[4:5], v0, off
	s_endpgm
.LBB85_1782:
	s_endpgm
.LBB85_1783:
	s_mov_b64 s[4:5], -1
	s_mov_b64 s[8:9], 0
.LBB85_1784:
	s_and_b64 vcc, exec, s[4:5]
	s_cbranch_vccz .LBB85_1823
; %bb.1785:
	s_and_b32 s6, 0xffff, s33
	s_cmp_lt_i32 s6, 5
	s_mov_b64 s[4:5], -1
	s_cbranch_scc1 .LBB85_1806
; %bb.1786:
	s_cmp_lt_i32 s6, 8
	s_cbranch_scc1 .LBB85_1796
; %bb.1787:
	s_cmp_lt_i32 s6, 9
	s_cbranch_scc1 .LBB85_1793
; %bb.1788:
	s_cmp_gt_i32 s6, 9
	s_cbranch_scc0 .LBB85_1790
; %bb.1789:
	v_mov_b32_e32 v2, 0
	v_mov_b32_e32 v3, v2
	global_store_dwordx4 v[4:5], v[0:3], off
	s_mov_b64 s[4:5], 0
.LBB85_1790:
	s_andn2_b64 vcc, exec, s[4:5]
	s_cbranch_vccnz .LBB85_1792
; %bb.1791:
	v_cvt_f32_f64_e32 v2, v[0:1]
	v_mov_b32_e32 v3, 0
	global_store_dwordx2 v[4:5], v[2:3], off
.LBB85_1792:
	s_mov_b64 s[4:5], 0
.LBB85_1793:
	s_andn2_b64 vcc, exec, s[4:5]
	s_cbranch_vccnz .LBB85_1795
; %bb.1794:
	s_movk_i32 s4, 0x1ff
	v_and_or_b32 v2, v1, s4, v0
	v_cmp_ne_u32_e32 vcc, 0, v2
	v_cndmask_b32_e64 v2, 0, 1, vcc
	v_lshrrev_b32_e32 v3, 8, v1
	s_movk_i32 s4, 0xffe
	v_bfe_u32 v6, v1, 20, 11
	v_and_or_b32 v2, v3, s4, v2
	v_sub_u32_e32 v7, 0x3f1, v6
	v_or_b32_e32 v3, 0x1000, v2
	v_med3_i32 v7, v7, 0, 13
	v_lshrrev_b32_e32 v8, v7, v3
	v_lshlrev_b32_e32 v7, v7, v8
	v_cmp_ne_u32_e32 vcc, v7, v3
	v_cndmask_b32_e64 v3, 0, 1, vcc
	v_add_u32_e32 v6, 0xfffffc10, v6
	v_or_b32_e32 v3, v8, v3
	v_lshl_or_b32 v7, v6, 12, v2
	v_cmp_gt_i32_e32 vcc, 1, v6
	v_cndmask_b32_e32 v3, v7, v3, vcc
	v_and_b32_e32 v7, 7, v3
	v_cmp_lt_i32_e32 vcc, 5, v7
	v_cndmask_b32_e64 v8, 0, 1, vcc
	v_cmp_eq_u32_e32 vcc, 3, v7
	v_cndmask_b32_e64 v7, 0, 1, vcc
	v_or_b32_e32 v7, v7, v8
	v_lshrrev_b32_e32 v3, 2, v3
	v_add_u32_e32 v3, v3, v7
	v_mov_b32_e32 v7, 0x7c00
	v_cmp_gt_i32_e32 vcc, 31, v6
	v_cndmask_b32_e32 v3, v7, v3, vcc
	v_mov_b32_e32 v8, 0x7e00
	v_cmp_ne_u32_e32 vcc, 0, v2
	s_movk_i32 s4, 0x40f
	v_cndmask_b32_e32 v2, v7, v8, vcc
	v_cmp_eq_u32_e32 vcc, s4, v6
	v_cndmask_b32_e32 v2, v3, v2, vcc
	v_lshrrev_b32_e32 v3, 16, v1
	s_mov_b32 s4, 0x8000
	v_and_or_b32 v2, v3, s4, v2
	v_and_b32_e32 v2, 0xffff, v2
	global_store_dword v[4:5], v2, off
.LBB85_1795:
	s_mov_b64 s[4:5], 0
.LBB85_1796:
	s_andn2_b64 vcc, exec, s[4:5]
	s_cbranch_vccnz .LBB85_1805
; %bb.1797:
	s_cmp_lt_i32 s6, 6
	s_mov_b64 s[4:5], -1
	s_cbranch_scc1 .LBB85_1803
; %bb.1798:
	s_cmp_gt_i32 s6, 6
	s_cbranch_scc0 .LBB85_1800
; %bb.1799:
	global_store_dwordx2 v[4:5], v[0:1], off
	s_mov_b64 s[4:5], 0
.LBB85_1800:
	s_andn2_b64 vcc, exec, s[4:5]
	s_cbranch_vccnz .LBB85_1802
; %bb.1801:
	v_cvt_f32_f64_e32 v2, v[0:1]
	global_store_dword v[4:5], v2, off
.LBB85_1802:
	s_mov_b64 s[4:5], 0
.LBB85_1803:
	s_andn2_b64 vcc, exec, s[4:5]
	s_cbranch_vccnz .LBB85_1805
; %bb.1804:
	s_movk_i32 s4, 0x1ff
	v_and_or_b32 v2, v1, s4, v0
	v_cmp_ne_u32_e32 vcc, 0, v2
	v_cndmask_b32_e64 v2, 0, 1, vcc
	v_lshrrev_b32_e32 v3, 8, v1
	s_movk_i32 s4, 0xffe
	v_bfe_u32 v6, v1, 20, 11
	v_and_or_b32 v2, v3, s4, v2
	v_sub_u32_e32 v7, 0x3f1, v6
	v_or_b32_e32 v3, 0x1000, v2
	v_med3_i32 v7, v7, 0, 13
	v_lshrrev_b32_e32 v8, v7, v3
	v_lshlrev_b32_e32 v7, v7, v8
	v_cmp_ne_u32_e32 vcc, v7, v3
	v_cndmask_b32_e64 v3, 0, 1, vcc
	v_add_u32_e32 v6, 0xfffffc10, v6
	v_or_b32_e32 v3, v8, v3
	v_lshl_or_b32 v7, v6, 12, v2
	v_cmp_gt_i32_e32 vcc, 1, v6
	v_cndmask_b32_e32 v3, v7, v3, vcc
	v_and_b32_e32 v7, 7, v3
	v_cmp_lt_i32_e32 vcc, 5, v7
	v_cndmask_b32_e64 v8, 0, 1, vcc
	v_cmp_eq_u32_e32 vcc, 3, v7
	v_cndmask_b32_e64 v7, 0, 1, vcc
	v_or_b32_e32 v7, v7, v8
	v_lshrrev_b32_e32 v3, 2, v3
	v_add_u32_e32 v3, v3, v7
	v_mov_b32_e32 v7, 0x7c00
	v_cmp_gt_i32_e32 vcc, 31, v6
	v_cndmask_b32_e32 v3, v7, v3, vcc
	v_mov_b32_e32 v8, 0x7e00
	v_cmp_ne_u32_e32 vcc, 0, v2
	s_movk_i32 s4, 0x40f
	v_cndmask_b32_e32 v2, v7, v8, vcc
	v_cmp_eq_u32_e32 vcc, s4, v6
	v_cndmask_b32_e32 v2, v3, v2, vcc
	v_lshrrev_b32_e32 v3, 16, v1
	s_mov_b32 s4, 0x8000
	v_and_or_b32 v2, v3, s4, v2
	global_store_short v[4:5], v2, off
.LBB85_1805:
	s_mov_b64 s[4:5], 0
.LBB85_1806:
	s_andn2_b64 vcc, exec, s[4:5]
	s_cbranch_vccnz .LBB85_1822
; %bb.1807:
	s_cmp_lt_i32 s6, 2
	s_mov_b64 s[4:5], -1
	s_cbranch_scc1 .LBB85_1817
; %bb.1808:
	s_cmp_lt_i32 s6, 3
	s_cbranch_scc1 .LBB85_1814
; %bb.1809:
	s_cmp_gt_i32 s6, 3
	s_cbranch_scc0 .LBB85_1811
; %bb.1810:
	v_trunc_f64_e32 v[2:3], v[0:1]
	s_movk_i32 s4, 0xffe0
	v_ldexp_f64 v[6:7], v[2:3], s4
	s_mov_b32 s4, 0
	s_mov_b32 s5, 0xc1f00000
	v_floor_f64_e32 v[6:7], v[6:7]
	v_fma_f64 v[2:3], v[6:7], s[4:5], v[2:3]
	v_cvt_i32_f64_e32 v7, v[6:7]
	s_mov_b64 s[4:5], 0
	v_cvt_u32_f64_e32 v6, v[2:3]
	global_store_dwordx2 v[4:5], v[6:7], off
.LBB85_1811:
	s_andn2_b64 vcc, exec, s[4:5]
	s_cbranch_vccnz .LBB85_1813
; %bb.1812:
	v_cvt_i32_f64_e32 v2, v[0:1]
	global_store_dword v[4:5], v2, off
.LBB85_1813:
	s_mov_b64 s[4:5], 0
.LBB85_1814:
	s_andn2_b64 vcc, exec, s[4:5]
	s_cbranch_vccnz .LBB85_1816
; %bb.1815:
	v_cvt_i32_f64_e32 v2, v[0:1]
	global_store_short v[4:5], v2, off
.LBB85_1816:
	s_mov_b64 s[4:5], 0
.LBB85_1817:
	s_andn2_b64 vcc, exec, s[4:5]
	s_cbranch_vccnz .LBB85_1822
; %bb.1818:
	s_cmp_gt_i32 s6, 0
	s_mov_b64 s[4:5], -1
	s_cbranch_scc0 .LBB85_1820
; %bb.1819:
	v_cvt_i32_f64_e32 v2, v[0:1]
	s_mov_b64 s[4:5], 0
	global_store_byte v[4:5], v2, off
.LBB85_1820:
	s_andn2_b64 vcc, exec, s[4:5]
	s_cbranch_vccnz .LBB85_1822
; %bb.1821:
	v_trunc_f64_e32 v[0:1], v[0:1]
	s_movk_i32 s4, 0xffe0
	v_ldexp_f64 v[2:3], v[0:1], s4
	s_mov_b32 s4, 0
	s_mov_b32 s5, 0xc1f00000
	v_floor_f64_e32 v[2:3], v[2:3]
	v_fma_f64 v[0:1], v[2:3], s[4:5], v[0:1]
	v_cvt_u32_f64_e32 v0, v[0:1]
	global_store_byte v[4:5], v0, off
.LBB85_1822:
	s_mov_b64 s[8:9], -1
.LBB85_1823:
	s_andn2_b64 vcc, exec, s[8:9]
                                        ; implicit-def: $vgpr2_vgpr3
	s_cbranch_vccnz .LBB85_2019
; %bb.1824:
	s_getpc_b64 s[4:5]
	s_add_u32 s4, s4, _ZZZZN2at6native21polygamma_kernel_cudaERNS_18TensorIteratorBaseElENKUlvE_clEvENKUlvE_clEvENKUldE_clEd@rel32@lo+4
	s_addc_u32 s5, s5, _ZZZZN2at6native21polygamma_kernel_cudaERNS_18TensorIteratorBaseElENKUlvE_clEvENKUlvE_clEvENKUldE_clEd@rel32@hi+12
	v_mov_b32_e32 v0, s18
	v_mov_b32_e32 v1, s19
	;; [unrolled: 1-line block ×4, first 2 shown]
	s_swappc_b64 s[30:31], s[4:5]
	v_readlane_b32 s20, v50, 0
	v_readlane_b32 s21, v50, 1
	v_add_u32_e32 v43, s86, v45
	v_ashrrev_i32_e32 v2, 31, v43
	v_mov_b32_e32 v3, s21
	v_add_co_u32_e32 v4, vcc, s20, v43
	v_readlane_b32 s26, v50, 6
	v_readlane_b32 s27, v50, 7
	s_cmp_lt_i32 s33, 11
	v_addc_co_u32_e32 v5, vcc, v3, v2, vcc
	v_readlane_b32 s22, v50, 2
	v_readlane_b32 s23, v50, 3
	v_readlane_b32 s24, v50, 4
	v_readlane_b32 s25, v50, 5
	s_cbranch_scc1 .LBB85_1902
; %bb.1825:
	s_and_b32 s14, 0xffff, s33
	s_mov_b64 s[10:11], -1
	s_mov_b64 s[6:7], 0
	s_cmp_gt_i32 s14, 25
	s_mov_b64 s[8:9], 0
	s_mov_b64 s[4:5], 0
	s_cbranch_scc0 .LBB85_1858
; %bb.1826:
	s_cmp_gt_i32 s14, 28
	s_cbranch_scc0 .LBB85_1841
; %bb.1827:
	s_cmp_gt_i32 s14, 43
	;; [unrolled: 3-line block ×3, first 2 shown]
	s_cbranch_scc0 .LBB85_1831
; %bb.1829:
	s_mov_b64 s[4:5], -1
	s_mov_b64 s[10:11], 0
	s_cmp_eq_u32 s14, 46
	s_cbranch_scc0 .LBB85_1831
; %bb.1830:
	v_cvt_f32_f64_e32 v2, v[0:1]
	s_movk_i32 s4, 0x7fff
	v_mov_b32_e32 v3, 0x7fc0
	s_mov_b64 s[8:9], -1
	v_bfe_u32 v6, v2, 16, 1
	v_cmp_o_f32_e32 vcc, v2, v2
	v_add3_u32 v2, v2, v6, s4
	v_cndmask_b32_sdwa v2, v3, v2, vcc dst_sel:DWORD dst_unused:UNUSED_PAD src0_sel:DWORD src1_sel:WORD_1
	global_store_dword v[4:5], v2, off
	s_mov_b64 s[4:5], 0
.LBB85_1831:
	s_and_b64 vcc, exec, s[10:11]
	s_cbranch_vccz .LBB85_1836
; %bb.1832:
	s_cmp_eq_u32 s14, 44
	s_mov_b64 s[4:5], -1
	s_cbranch_scc0 .LBB85_1836
; %bb.1833:
	v_cvt_f32_f64_e32 v2, v[0:1]
	s_movk_i32 s4, 0xff
	v_mov_b32_e32 v6, 0xff
	v_bfe_u32 v3, v2, 23, 8
	v_cmp_ne_u32_e32 vcc, s4, v3
	s_and_saveexec_b64 s[8:9], vcc
; %bb.1834:
	s_mov_b32 s4, 0x3fffff
	v_lshrrev_b32_e32 v6, 23, v2
	v_and_b32_e32 v7, 0x400000, v2
	v_and_or_b32 v2, v2, s4, v3
	v_cmp_ne_u32_e32 vcc, 0, v7
	v_cmp_ne_u32_e64 s[4:5], 0, v2
	s_and_b64 s[4:5], vcc, s[4:5]
	v_cndmask_b32_e64 v2, 0, 1, s[4:5]
	v_add_u32_e32 v6, v6, v2
; %bb.1835:
	s_or_b64 exec, exec, s[8:9]
	s_mov_b64 s[4:5], 0
	s_mov_b64 s[8:9], -1
	global_store_byte v[4:5], v6, off
.LBB85_1836:
	s_mov_b64 s[10:11], 0
.LBB85_1837:
	s_and_b64 vcc, exec, s[10:11]
	s_cbranch_vccz .LBB85_1840
; %bb.1838:
	s_cmp_eq_u32 s14, 29
	s_mov_b64 s[4:5], -1
	s_cbranch_scc0 .LBB85_1840
; %bb.1839:
	v_trunc_f64_e32 v[2:3], v[0:1]
	s_movk_i32 s4, 0xffe0
	s_mov_b64 s[8:9], -1
	v_ldexp_f64 v[6:7], v[2:3], s4
	s_mov_b32 s4, 0
	s_mov_b32 s5, 0xc1f00000
	v_floor_f64_e32 v[6:7], v[6:7]
	v_fma_f64 v[2:3], v[6:7], s[4:5], v[2:3]
	v_cvt_u32_f64_e32 v7, v[6:7]
	s_mov_b64 s[4:5], 0
	v_cvt_u32_f64_e32 v6, v[2:3]
	global_store_dwordx2 v[4:5], v[6:7], off
.LBB85_1840:
	s_mov_b64 s[10:11], 0
.LBB85_1841:
	s_and_b64 vcc, exec, s[10:11]
	s_cbranch_vccz .LBB85_1857
; %bb.1842:
	s_cmp_lt_i32 s14, 27
	s_mov_b64 s[8:9], -1
	s_cbranch_scc1 .LBB85_1848
; %bb.1843:
	v_cvt_u32_f64_e32 v2, v[0:1]
	s_cmp_gt_i32 s14, 27
	s_cbranch_scc0 .LBB85_1845
; %bb.1844:
	s_mov_b64 s[8:9], 0
	global_store_dword v[4:5], v2, off
.LBB85_1845:
	s_andn2_b64 vcc, exec, s[8:9]
	s_cbranch_vccnz .LBB85_1847
; %bb.1846:
	global_store_short v[4:5], v2, off
.LBB85_1847:
	s_mov_b64 s[8:9], 0
.LBB85_1848:
	s_andn2_b64 vcc, exec, s[8:9]
	s_cbranch_vccnz .LBB85_1856
; %bb.1849:
	v_cvt_f32_f64_e32 v2, v[0:1]
	s_mov_b32 s8, 0x43800000
	v_mov_b32_e32 v6, 0x80
	v_and_b32_e32 v3, 0x7fffffff, v2
	v_cmp_gt_u32_e32 vcc, s8, v3
	s_and_saveexec_b64 s[8:9], vcc
	s_cbranch_execz .LBB85_1855
; %bb.1850:
	s_mov_b32 s10, 0x3bffffff
	v_cmp_lt_u32_e32 vcc, s10, v3
	s_mov_b64 s[10:11], 0
                                        ; implicit-def: $vgpr3
	s_and_saveexec_b64 s[12:13], vcc
	s_xor_b64 s[12:13], exec, s[12:13]
	s_cbranch_execz .LBB85_2033
; %bb.1851:
	v_bfe_u32 v3, v2, 20, 1
	s_mov_b32 s15, 0x487ffff
	v_add3_u32 v3, v2, v3, s15
	s_mov_b64 s[10:11], exec
	v_lshrrev_b32_e32 v3, 20, v3
	s_andn2_saveexec_b64 s[12:13], s[12:13]
	s_cbranch_execnz .LBB85_2034
.LBB85_1852:
	s_or_b64 exec, exec, s[12:13]
	v_mov_b32_e32 v6, 0
	s_and_saveexec_b64 s[12:13], s[10:11]
.LBB85_1853:
	v_lshrrev_b32_e32 v2, 24, v2
	s_movk_i32 s10, 0x80
	v_and_or_b32 v6, v2, s10, v3
.LBB85_1854:
	s_or_b64 exec, exec, s[12:13]
.LBB85_1855:
	s_or_b64 exec, exec, s[8:9]
	global_store_byte v[4:5], v6, off
.LBB85_1856:
	s_mov_b64 s[8:9], -1
.LBB85_1857:
	s_mov_b64 s[10:11], 0
.LBB85_1858:
	s_and_b64 vcc, exec, s[10:11]
	s_cbranch_vccz .LBB85_1898
; %bb.1859:
	s_cmp_gt_i32 s14, 22
	s_mov_b64 s[6:7], -1
	s_cbranch_scc0 .LBB85_1891
; %bb.1860:
	s_cmp_lt_i32 s14, 24
	s_cbranch_scc1 .LBB85_1880
; %bb.1861:
	s_cmp_gt_i32 s14, 24
	s_cbranch_scc0 .LBB85_1869
; %bb.1862:
	v_cvt_f32_f64_e32 v2, v[0:1]
	s_mov_b32 s6, 0x47800000
	v_mov_b32_e32 v6, 0x80
	v_and_b32_e32 v3, 0x7fffffff, v2
	v_cmp_gt_u32_e32 vcc, s6, v3
	s_and_saveexec_b64 s[6:7], vcc
	s_cbranch_execz .LBB85_1868
; %bb.1863:
	s_mov_b32 s8, 0x37ffffff
	v_cmp_lt_u32_e32 vcc, s8, v3
	s_mov_b64 s[8:9], 0
                                        ; implicit-def: $vgpr3
	s_and_saveexec_b64 s[10:11], vcc
	s_xor_b64 s[10:11], exec, s[10:11]
	s_cbranch_execz .LBB85_2036
; %bb.1864:
	v_bfe_u32 v3, v2, 21, 1
	s_mov_b32 s12, 0x88fffff
	v_add3_u32 v3, v2, v3, s12
	s_mov_b64 s[8:9], exec
	v_lshrrev_b32_e32 v3, 21, v3
	s_andn2_saveexec_b64 s[10:11], s[10:11]
	s_cbranch_execnz .LBB85_2037
.LBB85_1865:
	s_or_b64 exec, exec, s[10:11]
	v_mov_b32_e32 v6, 0
	s_and_saveexec_b64 s[10:11], s[8:9]
.LBB85_1866:
	v_lshrrev_b32_e32 v2, 24, v2
	s_movk_i32 s8, 0x80
	v_and_or_b32 v6, v2, s8, v3
.LBB85_1867:
	s_or_b64 exec, exec, s[10:11]
.LBB85_1868:
	s_or_b64 exec, exec, s[6:7]
	s_mov_b64 s[6:7], 0
	global_store_byte v[4:5], v6, off
.LBB85_1869:
	s_and_b64 vcc, exec, s[6:7]
	s_cbranch_vccz .LBB85_1879
; %bb.1870:
	v_cvt_f32_f64_e32 v2, v[0:1]
	s_mov_b32 s6, 0x43f00000
                                        ; implicit-def: $vgpr3
	v_and_b32_e32 v6, 0x7fffffff, v2
	v_cmp_gt_u32_e32 vcc, s6, v6
	s_and_saveexec_b64 s[6:7], vcc
	s_xor_b64 s[6:7], exec, s[6:7]
	s_cbranch_execz .LBB85_1876
; %bb.1871:
	s_mov_b32 s8, 0x3c7fffff
	v_cmp_lt_u32_e32 vcc, s8, v6
                                        ; implicit-def: $vgpr3
	s_and_saveexec_b64 s[8:9], vcc
	s_xor_b64 s[8:9], exec, s[8:9]
; %bb.1872:
	v_bfe_u32 v3, v2, 20, 1
	s_mov_b32 s10, 0x407ffff
	v_add3_u32 v3, v2, v3, s10
	v_lshrrev_b32_e32 v6, 20, v3
	v_and_b32_e32 v3, 0xff00000, v3
	s_mov_b32 s10, 0x7f00000
	v_mov_b32_e32 v7, 0x7e
	v_cmp_ne_u32_e32 vcc, s10, v3
	v_cndmask_b32_e32 v3, v7, v6, vcc
; %bb.1873:
	s_andn2_saveexec_b64 s[8:9], s[8:9]
; %bb.1874:
	s_mov_b32 s10, 0x46800000
	v_add_f32_e64 v3, |v2|, s10
; %bb.1875:
	s_or_b64 exec, exec, s[8:9]
                                        ; implicit-def: $vgpr6
.LBB85_1876:
	s_andn2_saveexec_b64 s[6:7], s[6:7]
; %bb.1877:
	s_mov_b32 s8, 0x7f800000
	v_mov_b32_e32 v3, 0x7e
	v_mov_b32_e32 v7, 0x7f
	v_cmp_lt_u32_e32 vcc, s8, v6
	v_cndmask_b32_e32 v3, v3, v7, vcc
; %bb.1878:
	s_or_b64 exec, exec, s[6:7]
	v_lshrrev_b32_e32 v2, 24, v2
	s_movk_i32 s6, 0x80
	v_and_or_b32 v2, v2, s6, v3
	global_store_byte v[4:5], v2, off
.LBB85_1879:
	s_mov_b64 s[6:7], 0
.LBB85_1880:
	s_andn2_b64 vcc, exec, s[6:7]
	s_cbranch_vccnz .LBB85_1890
; %bb.1881:
	v_cvt_f32_f64_e32 v2, v[0:1]
	s_mov_b32 s6, 0x47800000
                                        ; implicit-def: $vgpr3
	v_and_b32_e32 v6, 0x7fffffff, v2
	v_cmp_gt_u32_e32 vcc, s6, v6
	s_and_saveexec_b64 s[6:7], vcc
	s_xor_b64 s[6:7], exec, s[6:7]
	s_cbranch_execz .LBB85_1887
; %bb.1882:
	s_mov_b32 s8, 0x387fffff
	v_cmp_lt_u32_e32 vcc, s8, v6
                                        ; implicit-def: $vgpr3
	s_and_saveexec_b64 s[8:9], vcc
	s_xor_b64 s[8:9], exec, s[8:9]
; %bb.1883:
	v_bfe_u32 v3, v2, 21, 1
	s_mov_b32 s10, 0x80fffff
	v_add3_u32 v3, v2, v3, s10
	v_lshrrev_b32_e32 v3, 21, v3
; %bb.1884:
	s_andn2_saveexec_b64 s[8:9], s[8:9]
; %bb.1885:
	s_mov_b32 s10, 0x43000000
	v_add_f32_e64 v3, |v2|, s10
; %bb.1886:
	s_or_b64 exec, exec, s[8:9]
                                        ; implicit-def: $vgpr6
.LBB85_1887:
	s_andn2_saveexec_b64 s[6:7], s[6:7]
; %bb.1888:
	s_mov_b32 s8, 0x7f800000
	v_mov_b32_e32 v3, 0x7c
	v_mov_b32_e32 v7, 0x7f
	v_cmp_lt_u32_e32 vcc, s8, v6
	v_cndmask_b32_e32 v3, v3, v7, vcc
; %bb.1889:
	s_or_b64 exec, exec, s[6:7]
	v_lshrrev_b32_e32 v2, 24, v2
	s_movk_i32 s6, 0x80
	v_and_or_b32 v2, v2, s6, v3
	global_store_byte v[4:5], v2, off
.LBB85_1890:
	s_mov_b64 s[6:7], 0
	s_mov_b64 s[8:9], -1
.LBB85_1891:
	s_andn2_b64 vcc, exec, s[6:7]
	s_mov_b64 s[6:7], 0
	s_cbranch_vccnz .LBB85_1898
; %bb.1892:
	s_cmp_gt_i32 s14, 14
	s_mov_b64 s[10:11], -1
	s_cbranch_scc0 .LBB85_1896
; %bb.1893:
	s_cmp_eq_u32 s14, 15
	s_mov_b64 s[4:5], -1
	s_cbranch_scc0 .LBB85_1895
; %bb.1894:
	v_cvt_f32_f64_e32 v2, v[0:1]
	s_movk_i32 s4, 0x7fff
	v_mov_b32_e32 v3, 0x7fc0
	s_mov_b64 s[8:9], -1
	v_bfe_u32 v6, v2, 16, 1
	v_cmp_o_f32_e32 vcc, v2, v2
	v_add3_u32 v2, v2, v6, s4
	v_cndmask_b32_sdwa v2, v3, v2, vcc dst_sel:DWORD dst_unused:UNUSED_PAD src0_sel:DWORD src1_sel:WORD_1
	global_store_short v[4:5], v2, off
	s_mov_b64 s[4:5], 0
.LBB85_1895:
	s_mov_b64 s[10:11], 0
.LBB85_1896:
	s_and_b64 vcc, exec, s[10:11]
	s_cbranch_vccz .LBB85_1898
; %bb.1897:
	s_cmp_lg_u32 s14, 11
	s_mov_b64 s[6:7], -1
	s_cselect_b64 s[4:5], -1, 0
.LBB85_1898:
	s_and_b64 vcc, exec, s[4:5]
	s_cbranch_vccnz .LBB85_2035
; %bb.1899:
	s_andn2_b64 vcc, exec, s[6:7]
	s_cbranch_vccnz .LBB85_1901
.LBB85_1900:
	v_cmp_neq_f64_e32 vcc, 0, v[0:1]
	s_mov_b64 s[8:9], -1
	v_cndmask_b32_e64 v2, 0, 1, vcc
	global_store_byte v[4:5], v2, off
.LBB85_1901:
	s_mov_b64 s[4:5], 0
	s_branch .LBB85_1903
.LBB85_1902:
	s_mov_b64 s[4:5], -1
	s_mov_b64 s[8:9], 0
.LBB85_1903:
	s_and_b64 vcc, exec, s[4:5]
	s_cbranch_vccz .LBB85_1942
; %bb.1904:
	s_and_b32 s6, 0xffff, s33
	s_cmp_lt_i32 s6, 5
	s_mov_b64 s[4:5], -1
	s_cbranch_scc1 .LBB85_1925
; %bb.1905:
	s_cmp_lt_i32 s6, 8
	s_cbranch_scc1 .LBB85_1915
; %bb.1906:
	s_cmp_lt_i32 s6, 9
	s_cbranch_scc1 .LBB85_1912
; %bb.1907:
	s_cmp_gt_i32 s6, 9
	s_cbranch_scc0 .LBB85_1909
; %bb.1908:
	v_mov_b32_e32 v2, 0
	v_mov_b32_e32 v3, v2
	global_store_dwordx4 v[4:5], v[0:3], off
	s_mov_b64 s[4:5], 0
.LBB85_1909:
	s_andn2_b64 vcc, exec, s[4:5]
	s_cbranch_vccnz .LBB85_1911
; %bb.1910:
	v_cvt_f32_f64_e32 v2, v[0:1]
	v_mov_b32_e32 v3, 0
	global_store_dwordx2 v[4:5], v[2:3], off
.LBB85_1911:
	s_mov_b64 s[4:5], 0
.LBB85_1912:
	s_andn2_b64 vcc, exec, s[4:5]
	s_cbranch_vccnz .LBB85_1914
; %bb.1913:
	s_movk_i32 s4, 0x1ff
	v_and_or_b32 v2, v1, s4, v0
	v_cmp_ne_u32_e32 vcc, 0, v2
	v_cndmask_b32_e64 v2, 0, 1, vcc
	v_lshrrev_b32_e32 v3, 8, v1
	s_movk_i32 s4, 0xffe
	v_bfe_u32 v6, v1, 20, 11
	v_and_or_b32 v2, v3, s4, v2
	v_sub_u32_e32 v7, 0x3f1, v6
	v_or_b32_e32 v3, 0x1000, v2
	v_med3_i32 v7, v7, 0, 13
	v_lshrrev_b32_e32 v8, v7, v3
	v_lshlrev_b32_e32 v7, v7, v8
	v_cmp_ne_u32_e32 vcc, v7, v3
	v_cndmask_b32_e64 v3, 0, 1, vcc
	v_add_u32_e32 v6, 0xfffffc10, v6
	v_or_b32_e32 v3, v8, v3
	v_lshl_or_b32 v7, v6, 12, v2
	v_cmp_gt_i32_e32 vcc, 1, v6
	v_cndmask_b32_e32 v3, v7, v3, vcc
	v_and_b32_e32 v7, 7, v3
	v_cmp_lt_i32_e32 vcc, 5, v7
	v_cndmask_b32_e64 v8, 0, 1, vcc
	v_cmp_eq_u32_e32 vcc, 3, v7
	v_cndmask_b32_e64 v7, 0, 1, vcc
	v_or_b32_e32 v7, v7, v8
	v_lshrrev_b32_e32 v3, 2, v3
	v_add_u32_e32 v3, v3, v7
	v_mov_b32_e32 v7, 0x7c00
	v_cmp_gt_i32_e32 vcc, 31, v6
	v_cndmask_b32_e32 v3, v7, v3, vcc
	v_mov_b32_e32 v8, 0x7e00
	v_cmp_ne_u32_e32 vcc, 0, v2
	s_movk_i32 s4, 0x40f
	v_cndmask_b32_e32 v2, v7, v8, vcc
	v_cmp_eq_u32_e32 vcc, s4, v6
	v_cndmask_b32_e32 v2, v3, v2, vcc
	v_lshrrev_b32_e32 v3, 16, v1
	s_mov_b32 s4, 0x8000
	v_and_or_b32 v2, v3, s4, v2
	v_and_b32_e32 v2, 0xffff, v2
	global_store_dword v[4:5], v2, off
.LBB85_1914:
	s_mov_b64 s[4:5], 0
.LBB85_1915:
	s_andn2_b64 vcc, exec, s[4:5]
	s_cbranch_vccnz .LBB85_1924
; %bb.1916:
	s_cmp_lt_i32 s6, 6
	s_mov_b64 s[4:5], -1
	s_cbranch_scc1 .LBB85_1922
; %bb.1917:
	s_cmp_gt_i32 s6, 6
	s_cbranch_scc0 .LBB85_1919
; %bb.1918:
	global_store_dwordx2 v[4:5], v[0:1], off
	s_mov_b64 s[4:5], 0
.LBB85_1919:
	s_andn2_b64 vcc, exec, s[4:5]
	s_cbranch_vccnz .LBB85_1921
; %bb.1920:
	v_cvt_f32_f64_e32 v2, v[0:1]
	global_store_dword v[4:5], v2, off
.LBB85_1921:
	s_mov_b64 s[4:5], 0
.LBB85_1922:
	s_andn2_b64 vcc, exec, s[4:5]
	s_cbranch_vccnz .LBB85_1924
; %bb.1923:
	s_movk_i32 s4, 0x1ff
	v_and_or_b32 v2, v1, s4, v0
	v_cmp_ne_u32_e32 vcc, 0, v2
	v_cndmask_b32_e64 v2, 0, 1, vcc
	v_lshrrev_b32_e32 v3, 8, v1
	s_movk_i32 s4, 0xffe
	v_bfe_u32 v6, v1, 20, 11
	v_and_or_b32 v2, v3, s4, v2
	v_sub_u32_e32 v7, 0x3f1, v6
	v_or_b32_e32 v3, 0x1000, v2
	v_med3_i32 v7, v7, 0, 13
	v_lshrrev_b32_e32 v8, v7, v3
	v_lshlrev_b32_e32 v7, v7, v8
	v_cmp_ne_u32_e32 vcc, v7, v3
	v_cndmask_b32_e64 v3, 0, 1, vcc
	v_add_u32_e32 v6, 0xfffffc10, v6
	v_or_b32_e32 v3, v8, v3
	v_lshl_or_b32 v7, v6, 12, v2
	v_cmp_gt_i32_e32 vcc, 1, v6
	v_cndmask_b32_e32 v3, v7, v3, vcc
	v_and_b32_e32 v7, 7, v3
	v_cmp_lt_i32_e32 vcc, 5, v7
	v_cndmask_b32_e64 v8, 0, 1, vcc
	v_cmp_eq_u32_e32 vcc, 3, v7
	v_cndmask_b32_e64 v7, 0, 1, vcc
	v_or_b32_e32 v7, v7, v8
	v_lshrrev_b32_e32 v3, 2, v3
	v_add_u32_e32 v3, v3, v7
	v_mov_b32_e32 v7, 0x7c00
	v_cmp_gt_i32_e32 vcc, 31, v6
	v_cndmask_b32_e32 v3, v7, v3, vcc
	v_mov_b32_e32 v8, 0x7e00
	v_cmp_ne_u32_e32 vcc, 0, v2
	s_movk_i32 s4, 0x40f
	v_cndmask_b32_e32 v2, v7, v8, vcc
	v_cmp_eq_u32_e32 vcc, s4, v6
	v_cndmask_b32_e32 v2, v3, v2, vcc
	v_lshrrev_b32_e32 v3, 16, v1
	s_mov_b32 s4, 0x8000
	v_and_or_b32 v2, v3, s4, v2
	global_store_short v[4:5], v2, off
.LBB85_1924:
	s_mov_b64 s[4:5], 0
.LBB85_1925:
	s_andn2_b64 vcc, exec, s[4:5]
	s_cbranch_vccnz .LBB85_1941
; %bb.1926:
	s_cmp_lt_i32 s6, 2
	s_mov_b64 s[4:5], -1
	s_cbranch_scc1 .LBB85_1936
; %bb.1927:
	s_cmp_lt_i32 s6, 3
	s_cbranch_scc1 .LBB85_1933
; %bb.1928:
	s_cmp_gt_i32 s6, 3
	s_cbranch_scc0 .LBB85_1930
; %bb.1929:
	v_trunc_f64_e32 v[2:3], v[0:1]
	s_movk_i32 s4, 0xffe0
	v_ldexp_f64 v[6:7], v[2:3], s4
	s_mov_b32 s4, 0
	s_mov_b32 s5, 0xc1f00000
	v_floor_f64_e32 v[6:7], v[6:7]
	v_fma_f64 v[2:3], v[6:7], s[4:5], v[2:3]
	v_cvt_i32_f64_e32 v7, v[6:7]
	s_mov_b64 s[4:5], 0
	v_cvt_u32_f64_e32 v6, v[2:3]
	global_store_dwordx2 v[4:5], v[6:7], off
.LBB85_1930:
	s_andn2_b64 vcc, exec, s[4:5]
	s_cbranch_vccnz .LBB85_1932
; %bb.1931:
	v_cvt_i32_f64_e32 v2, v[0:1]
	global_store_dword v[4:5], v2, off
.LBB85_1932:
	s_mov_b64 s[4:5], 0
.LBB85_1933:
	s_andn2_b64 vcc, exec, s[4:5]
	s_cbranch_vccnz .LBB85_1935
; %bb.1934:
	v_cvt_i32_f64_e32 v2, v[0:1]
	global_store_short v[4:5], v2, off
.LBB85_1935:
	s_mov_b64 s[4:5], 0
.LBB85_1936:
	s_andn2_b64 vcc, exec, s[4:5]
	s_cbranch_vccnz .LBB85_1941
; %bb.1937:
	s_cmp_gt_i32 s6, 0
	s_mov_b64 s[4:5], -1
	s_cbranch_scc0 .LBB85_1939
; %bb.1938:
	v_cvt_i32_f64_e32 v2, v[0:1]
	s_mov_b64 s[4:5], 0
	global_store_byte v[4:5], v2, off
.LBB85_1939:
	s_andn2_b64 vcc, exec, s[4:5]
	s_cbranch_vccnz .LBB85_1941
; %bb.1940:
	v_trunc_f64_e32 v[0:1], v[0:1]
	s_movk_i32 s4, 0xffe0
	v_ldexp_f64 v[2:3], v[0:1], s4
	s_mov_b32 s4, 0
	s_mov_b32 s5, 0xc1f00000
	v_floor_f64_e32 v[2:3], v[2:3]
	v_fma_f64 v[0:1], v[2:3], s[4:5], v[0:1]
	v_cvt_u32_f64_e32 v0, v[0:1]
	global_store_byte v[4:5], v0, off
.LBB85_1941:
	s_mov_b64 s[8:9], -1
.LBB85_1942:
	s_andn2_b64 vcc, exec, s[8:9]
	s_cbranch_vccnz .LBB85_2019
; %bb.1943:
	s_getpc_b64 s[4:5]
	s_add_u32 s4, s4, _ZZZZN2at6native21polygamma_kernel_cudaERNS_18TensorIteratorBaseElENKUlvE_clEvENKUlvE_clEvENKUldE_clEd@rel32@lo+4
	s_addc_u32 s5, s5, _ZZZZN2at6native21polygamma_kernel_cudaERNS_18TensorIteratorBaseElENKUlvE_clEvENKUlvE_clEvENKUldE_clEd@rel32@hi+12
	v_mov_b32_e32 v0, s26
	v_mov_b32_e32 v1, s27
	;; [unrolled: 1-line block ×4, first 2 shown]
	s_swappc_b64 s[30:31], s[4:5]
	v_readlane_b32 s4, v50, 0
	v_add_u32_e32 v2, s86, v43
	v_readlane_b32 s5, v50, 1
	v_ashrrev_i32_e32 v3, 31, v2
	v_mov_b32_e32 v5, s5
	v_add_co_u32_e32 v4, vcc, s4, v2
	s_cmp_lt_i32 s33, 11
	v_addc_co_u32_e32 v5, vcc, v5, v3, vcc
	v_readlane_b32 s6, v50, 2
	v_readlane_b32 s7, v50, 3
	;; [unrolled: 1-line block ×6, first 2 shown]
	s_cbranch_scc1 .LBB85_2021
; %bb.1944:
	s_and_b32 s14, 0xffff, s33
	v_readlane_b32 s86, v50, 8
	s_mov_b64 s[8:9], -1
	s_mov_b64 s[6:7], 0
	s_cmp_gt_i32 s14, 25
	s_mov_b64 s[4:5], 0
	v_readlane_b32 s87, v50, 9
	s_cbranch_scc0 .LBB85_1977
; %bb.1945:
	s_cmp_gt_i32 s14, 28
	s_cbranch_scc0 .LBB85_1961
; %bb.1946:
	s_cmp_gt_i32 s14, 43
	s_cbranch_scc0 .LBB85_1957
; %bb.1947:
	s_cmp_gt_i32 s14, 45
	s_cbranch_scc0 .LBB85_1951
; %bb.1948:
	s_cmp_eq_u32 s14, 46
	s_mov_b64 s[4:5], -1
	s_cbranch_scc0 .LBB85_1950
; %bb.1949:
	v_cvt_f32_f64_e32 v2, v[0:1]
	s_movk_i32 s4, 0x7fff
	v_mov_b32_e32 v3, 0x7fc0
	v_bfe_u32 v6, v2, 16, 1
	v_cmp_o_f32_e32 vcc, v2, v2
	v_add3_u32 v2, v2, v6, s4
	v_cndmask_b32_sdwa v2, v3, v2, vcc dst_sel:DWORD dst_unused:UNUSED_PAD src0_sel:DWORD src1_sel:WORD_1
	global_store_dword v[4:5], v2, off
	s_mov_b64 s[4:5], 0
.LBB85_1950:
	s_mov_b64 s[8:9], 0
.LBB85_1951:
	s_and_b64 vcc, exec, s[8:9]
	s_cbranch_vccz .LBB85_1956
; %bb.1952:
	s_cmp_eq_u32 s14, 44
	s_mov_b64 s[4:5], -1
	s_cbranch_scc0 .LBB85_1956
; %bb.1953:
	v_cvt_f32_f64_e32 v2, v[0:1]
	s_movk_i32 s4, 0xff
	v_mov_b32_e32 v6, 0xff
	v_bfe_u32 v3, v2, 23, 8
	v_cmp_ne_u32_e32 vcc, s4, v3
	s_and_saveexec_b64 s[8:9], vcc
; %bb.1954:
	s_mov_b32 s4, 0x3fffff
	v_lshrrev_b32_e32 v6, 23, v2
	v_and_b32_e32 v7, 0x400000, v2
	v_and_or_b32 v2, v2, s4, v3
	v_cmp_ne_u32_e32 vcc, 0, v7
	v_cmp_ne_u32_e64 s[4:5], 0, v2
	s_and_b64 s[4:5], vcc, s[4:5]
	v_cndmask_b32_e64 v2, 0, 1, s[4:5]
	v_add_u32_e32 v6, v6, v2
; %bb.1955:
	s_or_b64 exec, exec, s[8:9]
	s_mov_b64 s[4:5], 0
	global_store_byte v[4:5], v6, off
.LBB85_1956:
	s_mov_b64 s[8:9], 0
.LBB85_1957:
	s_and_b64 vcc, exec, s[8:9]
	s_cbranch_vccz .LBB85_1960
; %bb.1958:
	s_cmp_eq_u32 s14, 29
	s_mov_b64 s[4:5], -1
	s_cbranch_scc0 .LBB85_1960
; %bb.1959:
	v_trunc_f64_e32 v[2:3], v[0:1]
	s_movk_i32 s4, 0xffe0
	v_ldexp_f64 v[6:7], v[2:3], s4
	s_mov_b32 s4, 0
	s_mov_b32 s5, 0xc1f00000
	v_floor_f64_e32 v[6:7], v[6:7]
	v_fma_f64 v[2:3], v[6:7], s[4:5], v[2:3]
	v_cvt_u32_f64_e32 v7, v[6:7]
	s_mov_b64 s[4:5], 0
	v_cvt_u32_f64_e32 v6, v[2:3]
	global_store_dwordx2 v[4:5], v[6:7], off
.LBB85_1960:
	s_mov_b64 s[8:9], 0
.LBB85_1961:
	s_and_b64 vcc, exec, s[8:9]
	s_cbranch_vccz .LBB85_1976
; %bb.1962:
	s_cmp_lt_i32 s14, 27
	s_mov_b64 s[8:9], -1
	s_cbranch_scc1 .LBB85_1968
; %bb.1963:
	v_cvt_u32_f64_e32 v2, v[0:1]
	s_cmp_gt_i32 s14, 27
	s_cbranch_scc0 .LBB85_1965
; %bb.1964:
	global_store_dword v[4:5], v2, off
	s_mov_b64 s[8:9], 0
.LBB85_1965:
	s_andn2_b64 vcc, exec, s[8:9]
	s_cbranch_vccnz .LBB85_1967
; %bb.1966:
	global_store_short v[4:5], v2, off
.LBB85_1967:
	s_mov_b64 s[8:9], 0
.LBB85_1968:
	s_andn2_b64 vcc, exec, s[8:9]
	s_cbranch_vccnz .LBB85_1976
; %bb.1969:
	v_cvt_f32_f64_e32 v2, v[0:1]
	s_mov_b32 s8, 0x43800000
	v_mov_b32_e32 v6, 0x80
	v_and_b32_e32 v3, 0x7fffffff, v2
	v_cmp_gt_u32_e32 vcc, s8, v3
	s_and_saveexec_b64 s[8:9], vcc
	s_cbranch_execz .LBB85_1975
; %bb.1970:
	s_mov_b32 s10, 0x3bffffff
	v_cmp_lt_u32_e32 vcc, s10, v3
	s_mov_b64 s[10:11], 0
                                        ; implicit-def: $vgpr3
	s_and_saveexec_b64 s[12:13], vcc
	s_xor_b64 s[12:13], exec, s[12:13]
	s_cbranch_execz .LBB85_2038
; %bb.1971:
	v_bfe_u32 v3, v2, 20, 1
	s_mov_b32 s15, 0x487ffff
	v_add3_u32 v3, v2, v3, s15
	s_mov_b64 s[10:11], exec
	v_lshrrev_b32_e32 v3, 20, v3
	s_andn2_saveexec_b64 s[12:13], s[12:13]
	s_cbranch_execnz .LBB85_2039
.LBB85_1972:
	s_or_b64 exec, exec, s[12:13]
	v_mov_b32_e32 v6, 0
	s_and_saveexec_b64 s[12:13], s[10:11]
.LBB85_1973:
	v_lshrrev_b32_e32 v2, 24, v2
	s_movk_i32 s10, 0x80
	v_and_or_b32 v6, v2, s10, v3
.LBB85_1974:
	s_or_b64 exec, exec, s[12:13]
.LBB85_1975:
	s_or_b64 exec, exec, s[8:9]
	global_store_byte v[4:5], v6, off
.LBB85_1976:
	s_mov_b64 s[8:9], 0
.LBB85_1977:
	s_and_b64 vcc, exec, s[8:9]
	s_cbranch_vccz .LBB85_2017
; %bb.1978:
	s_cmp_gt_i32 s14, 22
	s_mov_b64 s[6:7], -1
	s_cbranch_scc0 .LBB85_2010
; %bb.1979:
	s_cmp_lt_i32 s14, 24
	s_cbranch_scc1 .LBB85_1999
; %bb.1980:
	s_cmp_gt_i32 s14, 24
	s_cbranch_scc0 .LBB85_1988
; %bb.1981:
	v_cvt_f32_f64_e32 v2, v[0:1]
	s_mov_b32 s6, 0x47800000
	v_mov_b32_e32 v6, 0x80
	v_and_b32_e32 v3, 0x7fffffff, v2
	v_cmp_gt_u32_e32 vcc, s6, v3
	s_and_saveexec_b64 s[6:7], vcc
	s_cbranch_execz .LBB85_1987
; %bb.1982:
	s_mov_b32 s8, 0x37ffffff
	v_cmp_lt_u32_e32 vcc, s8, v3
	s_mov_b64 s[8:9], 0
                                        ; implicit-def: $vgpr3
	s_and_saveexec_b64 s[10:11], vcc
	s_xor_b64 s[10:11], exec, s[10:11]
	s_cbranch_execz .LBB85_2041
; %bb.1983:
	v_bfe_u32 v3, v2, 21, 1
	s_mov_b32 s12, 0x88fffff
	v_add3_u32 v3, v2, v3, s12
	s_mov_b64 s[8:9], exec
	v_lshrrev_b32_e32 v3, 21, v3
	s_andn2_saveexec_b64 s[10:11], s[10:11]
	s_cbranch_execnz .LBB85_2042
.LBB85_1984:
	s_or_b64 exec, exec, s[10:11]
	v_mov_b32_e32 v6, 0
	s_and_saveexec_b64 s[10:11], s[8:9]
.LBB85_1985:
	v_lshrrev_b32_e32 v2, 24, v2
	s_movk_i32 s8, 0x80
	v_and_or_b32 v6, v2, s8, v3
.LBB85_1986:
	s_or_b64 exec, exec, s[10:11]
	v_readlane_b32 s86, v50, 8
	v_readlane_b32 s87, v50, 9
.LBB85_1987:
	s_or_b64 exec, exec, s[6:7]
	s_mov_b64 s[6:7], 0
	global_store_byte v[4:5], v6, off
.LBB85_1988:
	s_and_b64 vcc, exec, s[6:7]
	s_cbranch_vccz .LBB85_1998
; %bb.1989:
	v_cvt_f32_f64_e32 v2, v[0:1]
	s_mov_b32 s6, 0x43f00000
                                        ; implicit-def: $vgpr3
	v_and_b32_e32 v6, 0x7fffffff, v2
	v_cmp_gt_u32_e32 vcc, s6, v6
	s_and_saveexec_b64 s[6:7], vcc
	s_xor_b64 s[6:7], exec, s[6:7]
	s_cbranch_execz .LBB85_1995
; %bb.1990:
	s_mov_b32 s8, 0x3c7fffff
	v_cmp_lt_u32_e32 vcc, s8, v6
                                        ; implicit-def: $vgpr3
	s_and_saveexec_b64 s[8:9], vcc
	s_xor_b64 s[8:9], exec, s[8:9]
; %bb.1991:
	v_bfe_u32 v3, v2, 20, 1
	s_mov_b32 s10, 0x407ffff
	v_add3_u32 v3, v2, v3, s10
	v_lshrrev_b32_e32 v6, 20, v3
	v_and_b32_e32 v3, 0xff00000, v3
	s_mov_b32 s10, 0x7f00000
	v_mov_b32_e32 v7, 0x7e
	v_cmp_ne_u32_e32 vcc, s10, v3
	v_cndmask_b32_e32 v3, v7, v6, vcc
; %bb.1992:
	s_andn2_saveexec_b64 s[8:9], s[8:9]
; %bb.1993:
	s_mov_b32 s10, 0x46800000
	v_add_f32_e64 v3, |v2|, s10
; %bb.1994:
	s_or_b64 exec, exec, s[8:9]
	v_readlane_b32 s86, v50, 8
                                        ; implicit-def: $vgpr6
	v_readlane_b32 s87, v50, 9
.LBB85_1995:
	s_andn2_saveexec_b64 s[6:7], s[6:7]
; %bb.1996:
	s_mov_b32 s8, 0x7f800000
	v_mov_b32_e32 v3, 0x7e
	v_mov_b32_e32 v7, 0x7f
	v_cmp_lt_u32_e32 vcc, s8, v6
	v_cndmask_b32_e32 v3, v3, v7, vcc
; %bb.1997:
	s_or_b64 exec, exec, s[6:7]
	v_lshrrev_b32_e32 v2, 24, v2
	s_movk_i32 s6, 0x80
	v_and_or_b32 v2, v2, s6, v3
	global_store_byte v[4:5], v2, off
.LBB85_1998:
	s_mov_b64 s[6:7], 0
.LBB85_1999:
	s_andn2_b64 vcc, exec, s[6:7]
	s_cbranch_vccnz .LBB85_2009
; %bb.2000:
	v_cvt_f32_f64_e32 v2, v[0:1]
	s_mov_b32 s6, 0x47800000
                                        ; implicit-def: $vgpr3
	v_and_b32_e32 v6, 0x7fffffff, v2
	v_cmp_gt_u32_e32 vcc, s6, v6
	s_and_saveexec_b64 s[6:7], vcc
	s_xor_b64 s[6:7], exec, s[6:7]
	s_cbranch_execz .LBB85_2006
; %bb.2001:
	s_mov_b32 s8, 0x387fffff
	v_cmp_lt_u32_e32 vcc, s8, v6
                                        ; implicit-def: $vgpr3
	s_and_saveexec_b64 s[8:9], vcc
	s_xor_b64 s[8:9], exec, s[8:9]
; %bb.2002:
	v_bfe_u32 v3, v2, 21, 1
	s_mov_b32 s10, 0x80fffff
	v_add3_u32 v3, v2, v3, s10
	v_lshrrev_b32_e32 v3, 21, v3
; %bb.2003:
	s_andn2_saveexec_b64 s[8:9], s[8:9]
; %bb.2004:
	s_mov_b32 s10, 0x43000000
	v_add_f32_e64 v3, |v2|, s10
; %bb.2005:
	s_or_b64 exec, exec, s[8:9]
                                        ; implicit-def: $vgpr6
.LBB85_2006:
	s_andn2_saveexec_b64 s[6:7], s[6:7]
; %bb.2007:
	s_mov_b32 s8, 0x7f800000
	v_mov_b32_e32 v3, 0x7c
	v_mov_b32_e32 v7, 0x7f
	v_cmp_lt_u32_e32 vcc, s8, v6
	v_cndmask_b32_e32 v3, v3, v7, vcc
; %bb.2008:
	s_or_b64 exec, exec, s[6:7]
	v_lshrrev_b32_e32 v2, 24, v2
	s_movk_i32 s6, 0x80
	v_and_or_b32 v2, v2, s6, v3
	global_store_byte v[4:5], v2, off
.LBB85_2009:
	s_mov_b64 s[6:7], 0
.LBB85_2010:
	s_andn2_b64 vcc, exec, s[6:7]
	s_mov_b64 s[6:7], 0
	s_cbranch_vccnz .LBB85_2017
; %bb.2011:
	s_cmp_gt_i32 s14, 14
	s_mov_b64 s[8:9], -1
	s_cbranch_scc0 .LBB85_2015
; %bb.2012:
	s_cmp_eq_u32 s14, 15
	s_mov_b64 s[4:5], -1
	s_cbranch_scc0 .LBB85_2014
; %bb.2013:
	v_cvt_f32_f64_e32 v2, v[0:1]
	s_movk_i32 s4, 0x7fff
	v_mov_b32_e32 v3, 0x7fc0
	v_bfe_u32 v6, v2, 16, 1
	v_cmp_o_f32_e32 vcc, v2, v2
	v_add3_u32 v2, v2, v6, s4
	v_cndmask_b32_sdwa v2, v3, v2, vcc dst_sel:DWORD dst_unused:UNUSED_PAD src0_sel:DWORD src1_sel:WORD_1
	global_store_short v[4:5], v2, off
	s_mov_b64 s[4:5], 0
.LBB85_2014:
	s_mov_b64 s[8:9], 0
.LBB85_2015:
	s_and_b64 vcc, exec, s[8:9]
	s_cbranch_vccz .LBB85_2017
; %bb.2016:
	s_cmp_lg_u32 s14, 11
	s_mov_b64 s[6:7], -1
	s_cselect_b64 s[4:5], -1, 0
.LBB85_2017:
	s_and_b64 vcc, exec, s[4:5]
	s_cbranch_vccnz .LBB85_2040
.LBB85_2018:
	s_mov_b64 s[4:5], 0
	s_branch .LBB85_1739
.LBB85_2019:
	s_mov_b64 s[4:5], 0
                                        ; implicit-def: $sgpr33
                                        ; implicit-def: $vgpr4_vgpr5
                                        ; implicit-def: $vgpr0_vgpr1
	s_mov_b64 s[6:7], 0
.LBB85_2020:
	v_readlane_b32 s86, v50, 8
	v_readlane_b32 s87, v50, 9
	s_branch .LBB85_1739
.LBB85_2021:
	s_mov_b64 s[6:7], 0
	s_mov_b64 s[4:5], -1
	s_branch .LBB85_2020
.LBB85_2022:
	s_trap 2
	s_or_b64 s[86:87], s[86:87], exec
	s_cbranch_execz .LBB85_1489
	s_branch .LBB85_1490
.LBB85_2023:
	s_andn2_saveexec_b64 s[12:13], s[12:13]
	s_cbranch_execz .LBB85_1569
.LBB85_2024:
	s_mov_b32 s15, 0x46000000
	v_add_f32_e64 v3, |v2|, s15
	v_and_b32_e32 v3, 0xff, v3
	v_cmp_ne_u32_e32 vcc, 0, v3
	s_andn2_b64 s[10:11], s[10:11], exec
	s_and_b64 s[16:17], vcc, exec
	s_or_b64 s[10:11], s[10:11], s[16:17]
	s_or_b64 exec, exec, s[12:13]
	v_mov_b32_e32 v6, 0
	s_and_saveexec_b64 s[12:13], s[10:11]
	s_cbranch_execnz .LBB85_1570
	s_branch .LBB85_1571
.LBB85_2025:
	s_trap 2
	s_or_b64 s[86:87], s[86:87], exec
	s_cbranch_execz .LBB85_1617
	s_branch .LBB85_1618
.LBB85_2026:
	s_andn2_saveexec_b64 s[10:11], s[10:11]
	s_cbranch_execz .LBB85_1582
.LBB85_2027:
	s_mov_b32 s12, 0x42800000
	v_add_f32_e64 v3, |v2|, s12
	v_and_b32_e32 v3, 0xff, v3
	v_cmp_ne_u32_e32 vcc, 0, v3
	s_andn2_b64 s[8:9], s[8:9], exec
	s_and_b64 s[12:13], vcc, exec
	s_or_b64 s[8:9], s[8:9], s[12:13]
	s_or_b64 exec, exec, s[10:11]
	v_mov_b32_e32 v6, 0
	s_and_saveexec_b64 s[10:11], s[8:9]
	s_cbranch_execnz .LBB85_1583
	s_branch .LBB85_1584
.LBB85_2028:
	s_andn2_saveexec_b64 s[12:13], s[12:13]
	s_cbranch_execz .LBB85_1688
.LBB85_2029:
	s_mov_b32 s15, 0x46000000
	v_add_f32_e64 v3, |v2|, s15
	v_and_b32_e32 v3, 0xff, v3
	v_cmp_ne_u32_e32 vcc, 0, v3
	s_andn2_b64 s[10:11], s[10:11], exec
	s_and_b64 s[16:17], vcc, exec
	s_or_b64 s[10:11], s[10:11], s[16:17]
	s_or_b64 exec, exec, s[12:13]
	v_mov_b32_e32 v6, 0
	s_and_saveexec_b64 s[12:13], s[10:11]
	s_cbranch_execnz .LBB85_1689
	s_branch .LBB85_1690
.LBB85_2030:
	v_readlane_b32 s4, v50, 8
	v_readlane_b32 s5, v50, 9
	s_or_b64 s[4:5], s[4:5], exec
	v_writelane_b32 v50, s4, 8
	s_trap 2
	v_writelane_b32 v50, s5, 9
	s_cbranch_execz .LBB85_1736
	s_branch .LBB85_1737
.LBB85_2031:
	s_andn2_saveexec_b64 s[10:11], s[10:11]
	s_cbranch_execz .LBB85_1701
.LBB85_2032:
	s_mov_b32 s12, 0x42800000
	v_add_f32_e64 v3, |v2|, s12
	v_and_b32_e32 v3, 0xff, v3
	v_cmp_ne_u32_e32 vcc, 0, v3
	s_andn2_b64 s[8:9], s[8:9], exec
	s_and_b64 s[12:13], vcc, exec
	s_or_b64 s[8:9], s[8:9], s[12:13]
	s_or_b64 exec, exec, s[10:11]
	v_mov_b32_e32 v6, 0
	s_and_saveexec_b64 s[10:11], s[8:9]
	s_cbranch_execnz .LBB85_1702
	s_branch .LBB85_1703
.LBB85_2033:
	s_andn2_saveexec_b64 s[12:13], s[12:13]
	s_cbranch_execz .LBB85_1852
.LBB85_2034:
	s_mov_b32 s15, 0x46000000
	v_add_f32_e64 v3, |v2|, s15
	v_and_b32_e32 v3, 0xff, v3
	v_cmp_ne_u32_e32 vcc, 0, v3
	s_andn2_b64 s[10:11], s[10:11], exec
	s_and_b64 s[16:17], vcc, exec
	s_or_b64 s[10:11], s[10:11], s[16:17]
	s_or_b64 exec, exec, s[12:13]
	v_mov_b32_e32 v6, 0
	s_and_saveexec_b64 s[12:13], s[10:11]
	s_cbranch_execnz .LBB85_1853
	s_branch .LBB85_1854
.LBB85_2035:
	v_readlane_b32 s4, v50, 8
	v_readlane_b32 s5, v50, 9
	s_or_b64 s[4:5], s[4:5], exec
	v_writelane_b32 v50, s4, 8
	s_trap 2
	v_writelane_b32 v50, s5, 9
	s_cbranch_execz .LBB85_1900
	s_branch .LBB85_1901
.LBB85_2036:
	s_andn2_saveexec_b64 s[10:11], s[10:11]
	s_cbranch_execz .LBB85_1865
.LBB85_2037:
	s_mov_b32 s12, 0x42800000
	v_add_f32_e64 v3, |v2|, s12
	v_and_b32_e32 v3, 0xff, v3
	v_cmp_ne_u32_e32 vcc, 0, v3
	s_andn2_b64 s[8:9], s[8:9], exec
	s_and_b64 s[12:13], vcc, exec
	s_or_b64 s[8:9], s[8:9], s[12:13]
	s_or_b64 exec, exec, s[10:11]
	v_mov_b32_e32 v6, 0
	s_and_saveexec_b64 s[10:11], s[8:9]
	s_cbranch_execnz .LBB85_1866
	s_branch .LBB85_1867
.LBB85_2038:
	s_andn2_saveexec_b64 s[12:13], s[12:13]
	s_cbranch_execz .LBB85_1972
.LBB85_2039:
	s_mov_b32 s15, 0x46000000
	v_add_f32_e64 v3, |v2|, s15
	v_and_b32_e32 v3, 0xff, v3
	v_cmp_ne_u32_e32 vcc, 0, v3
	s_andn2_b64 s[10:11], s[10:11], exec
	s_and_b64 s[16:17], vcc, exec
	s_or_b64 s[10:11], s[10:11], s[16:17]
	s_or_b64 exec, exec, s[12:13]
	v_mov_b32_e32 v6, 0
	s_and_saveexec_b64 s[12:13], s[10:11]
	s_cbranch_execnz .LBB85_1973
	s_branch .LBB85_1974
.LBB85_2040:
	s_mov_b64 s[6:7], 0
	s_or_b64 s[86:87], s[86:87], exec
	s_trap 2
	s_branch .LBB85_2018
.LBB85_2041:
	s_andn2_saveexec_b64 s[10:11], s[10:11]
	s_cbranch_execz .LBB85_1984
.LBB85_2042:
	s_mov_b32 s12, 0x42800000
	v_add_f32_e64 v3, |v2|, s12
	v_and_b32_e32 v3, 0xff, v3
	v_cmp_ne_u32_e32 vcc, 0, v3
	s_andn2_b64 s[8:9], s[8:9], exec
	s_and_b64 s[12:13], vcc, exec
	s_or_b64 s[8:9], s[8:9], s[12:13]
	s_or_b64 exec, exec, s[10:11]
	v_mov_b32_e32 v6, 0
	s_and_saveexec_b64 s[10:11], s[8:9]
	s_cbranch_execnz .LBB85_1985
	s_branch .LBB85_1986
	.section	.rodata,"a",@progbits
	.p2align	6, 0x0
	.amdhsa_kernel _ZN2at6native32elementwise_kernel_manual_unrollILi128ELi4EZNS0_15gpu_kernel_implIZZZNS0_21polygamma_kernel_cudaERNS_18TensorIteratorBaseElENKUlvE_clEvENKUlvE_clEvEUldE_EEvS4_RKT_EUlibE_EEviT1_
		.amdhsa_group_segment_fixed_size 0
		.amdhsa_private_segment_fixed_size 8
		.amdhsa_kernarg_size 48
		.amdhsa_user_sgpr_count 6
		.amdhsa_user_sgpr_private_segment_buffer 1
		.amdhsa_user_sgpr_dispatch_ptr 0
		.amdhsa_user_sgpr_queue_ptr 0
		.amdhsa_user_sgpr_kernarg_segment_ptr 1
		.amdhsa_user_sgpr_dispatch_id 0
		.amdhsa_user_sgpr_flat_scratch_init 0
		.amdhsa_user_sgpr_private_segment_size 0
		.amdhsa_uses_dynamic_stack 0
		.amdhsa_system_sgpr_private_segment_wavefront_offset 1
		.amdhsa_system_sgpr_workgroup_id_x 1
		.amdhsa_system_sgpr_workgroup_id_y 0
		.amdhsa_system_sgpr_workgroup_id_z 0
		.amdhsa_system_sgpr_workgroup_info 0
		.amdhsa_system_vgpr_workitem_id 0
		.amdhsa_next_free_vgpr 51
		.amdhsa_next_free_sgpr 100
		.amdhsa_reserve_vcc 1
		.amdhsa_reserve_flat_scratch 0
		.amdhsa_float_round_mode_32 0
		.amdhsa_float_round_mode_16_64 0
		.amdhsa_float_denorm_mode_32 3
		.amdhsa_float_denorm_mode_16_64 3
		.amdhsa_dx10_clamp 1
		.amdhsa_ieee_mode 1
		.amdhsa_fp16_overflow 0
		.amdhsa_exception_fp_ieee_invalid_op 0
		.amdhsa_exception_fp_denorm_src 0
		.amdhsa_exception_fp_ieee_div_zero 0
		.amdhsa_exception_fp_ieee_overflow 0
		.amdhsa_exception_fp_ieee_underflow 0
		.amdhsa_exception_fp_ieee_inexact 0
		.amdhsa_exception_int_div_zero 0
	.end_amdhsa_kernel
	.section	.text._ZN2at6native32elementwise_kernel_manual_unrollILi128ELi4EZNS0_15gpu_kernel_implIZZZNS0_21polygamma_kernel_cudaERNS_18TensorIteratorBaseElENKUlvE_clEvENKUlvE_clEvEUldE_EEvS4_RKT_EUlibE_EEviT1_,"axG",@progbits,_ZN2at6native32elementwise_kernel_manual_unrollILi128ELi4EZNS0_15gpu_kernel_implIZZZNS0_21polygamma_kernel_cudaERNS_18TensorIteratorBaseElENKUlvE_clEvENKUlvE_clEvEUldE_EEvS4_RKT_EUlibE_EEviT1_,comdat
.Lfunc_end85:
	.size	_ZN2at6native32elementwise_kernel_manual_unrollILi128ELi4EZNS0_15gpu_kernel_implIZZZNS0_21polygamma_kernel_cudaERNS_18TensorIteratorBaseElENKUlvE_clEvENKUlvE_clEvEUldE_EEvS4_RKT_EUlibE_EEviT1_, .Lfunc_end85-_ZN2at6native32elementwise_kernel_manual_unrollILi128ELi4EZNS0_15gpu_kernel_implIZZZNS0_21polygamma_kernel_cudaERNS_18TensorIteratorBaseElENKUlvE_clEvENKUlvE_clEvEUldE_EEvS4_RKT_EUlibE_EEviT1_
                                        ; -- End function
	.set _ZN2at6native32elementwise_kernel_manual_unrollILi128ELi4EZNS0_15gpu_kernel_implIZZZNS0_21polygamma_kernel_cudaERNS_18TensorIteratorBaseElENKUlvE_clEvENKUlvE_clEvEUldE_EEvS4_RKT_EUlibE_EEviT1_.num_vgpr, max(51, .L_ZZZZN2at6native21polygamma_kernel_cudaERNS_18TensorIteratorBaseElENKUlvE_clEvENKUlvE_clEvENKUldE_clEd.num_vgpr)
	.set _ZN2at6native32elementwise_kernel_manual_unrollILi128ELi4EZNS0_15gpu_kernel_implIZZZNS0_21polygamma_kernel_cudaERNS_18TensorIteratorBaseElENKUlvE_clEvENKUlvE_clEvEUldE_EEvS4_RKT_EUlibE_EEviT1_.num_agpr, max(0, .L_ZZZZN2at6native21polygamma_kernel_cudaERNS_18TensorIteratorBaseElENKUlvE_clEvENKUlvE_clEvENKUldE_clEd.num_agpr)
	.set _ZN2at6native32elementwise_kernel_manual_unrollILi128ELi4EZNS0_15gpu_kernel_implIZZZNS0_21polygamma_kernel_cudaERNS_18TensorIteratorBaseElENKUlvE_clEvENKUlvE_clEvEUldE_EEvS4_RKT_EUlibE_EEviT1_.numbered_sgpr, max(100, .L_ZZZZN2at6native21polygamma_kernel_cudaERNS_18TensorIteratorBaseElENKUlvE_clEvENKUlvE_clEvENKUldE_clEd.numbered_sgpr)
	.set _ZN2at6native32elementwise_kernel_manual_unrollILi128ELi4EZNS0_15gpu_kernel_implIZZZNS0_21polygamma_kernel_cudaERNS_18TensorIteratorBaseElENKUlvE_clEvENKUlvE_clEvEUldE_EEvS4_RKT_EUlibE_EEviT1_.num_named_barrier, max(0, .L_ZZZZN2at6native21polygamma_kernel_cudaERNS_18TensorIteratorBaseElENKUlvE_clEvENKUlvE_clEvENKUldE_clEd.num_named_barrier)
	.set _ZN2at6native32elementwise_kernel_manual_unrollILi128ELi4EZNS0_15gpu_kernel_implIZZZNS0_21polygamma_kernel_cudaERNS_18TensorIteratorBaseElENKUlvE_clEvENKUlvE_clEvEUldE_EEvS4_RKT_EUlibE_EEviT1_.private_seg_size, 0+max(.L_ZZZZN2at6native21polygamma_kernel_cudaERNS_18TensorIteratorBaseElENKUlvE_clEvENKUlvE_clEvENKUldE_clEd.private_seg_size)
	.set _ZN2at6native32elementwise_kernel_manual_unrollILi128ELi4EZNS0_15gpu_kernel_implIZZZNS0_21polygamma_kernel_cudaERNS_18TensorIteratorBaseElENKUlvE_clEvENKUlvE_clEvEUldE_EEvS4_RKT_EUlibE_EEviT1_.uses_vcc, or(1, .L_ZZZZN2at6native21polygamma_kernel_cudaERNS_18TensorIteratorBaseElENKUlvE_clEvENKUlvE_clEvENKUldE_clEd.uses_vcc)
	.set _ZN2at6native32elementwise_kernel_manual_unrollILi128ELi4EZNS0_15gpu_kernel_implIZZZNS0_21polygamma_kernel_cudaERNS_18TensorIteratorBaseElENKUlvE_clEvENKUlvE_clEvEUldE_EEvS4_RKT_EUlibE_EEviT1_.uses_flat_scratch, or(0, .L_ZZZZN2at6native21polygamma_kernel_cudaERNS_18TensorIteratorBaseElENKUlvE_clEvENKUlvE_clEvENKUldE_clEd.uses_flat_scratch)
	.set _ZN2at6native32elementwise_kernel_manual_unrollILi128ELi4EZNS0_15gpu_kernel_implIZZZNS0_21polygamma_kernel_cudaERNS_18TensorIteratorBaseElENKUlvE_clEvENKUlvE_clEvEUldE_EEvS4_RKT_EUlibE_EEviT1_.has_dyn_sized_stack, or(0, .L_ZZZZN2at6native21polygamma_kernel_cudaERNS_18TensorIteratorBaseElENKUlvE_clEvENKUlvE_clEvENKUldE_clEd.has_dyn_sized_stack)
	.set _ZN2at6native32elementwise_kernel_manual_unrollILi128ELi4EZNS0_15gpu_kernel_implIZZZNS0_21polygamma_kernel_cudaERNS_18TensorIteratorBaseElENKUlvE_clEvENKUlvE_clEvEUldE_EEvS4_RKT_EUlibE_EEviT1_.has_recursion, or(0, .L_ZZZZN2at6native21polygamma_kernel_cudaERNS_18TensorIteratorBaseElENKUlvE_clEvENKUlvE_clEvENKUldE_clEd.has_recursion)
	.set _ZN2at6native32elementwise_kernel_manual_unrollILi128ELi4EZNS0_15gpu_kernel_implIZZZNS0_21polygamma_kernel_cudaERNS_18TensorIteratorBaseElENKUlvE_clEvENKUlvE_clEvEUldE_EEvS4_RKT_EUlibE_EEviT1_.has_indirect_call, or(0, .L_ZZZZN2at6native21polygamma_kernel_cudaERNS_18TensorIteratorBaseElENKUlvE_clEvENKUlvE_clEvENKUldE_clEd.has_indirect_call)
	.section	.AMDGPU.csdata,"",@progbits
; Kernel info:
; codeLenInByte = 37988
; TotalNumSgprs: 104
; NumVgprs: 51
; ScratchSize: 8
; MemoryBound: 1
; FloatMode: 240
; IeeeMode: 1
; LDSByteSize: 0 bytes/workgroup (compile time only)
; SGPRBlocks: 12
; VGPRBlocks: 12
; NumSGPRsForWavesPerEU: 104
; NumVGPRsForWavesPerEU: 51
; Occupancy: 4
; WaveLimiterHint : 0
; COMPUTE_PGM_RSRC2:SCRATCH_EN: 1
; COMPUTE_PGM_RSRC2:USER_SGPR: 6
; COMPUTE_PGM_RSRC2:TRAP_HANDLER: 0
; COMPUTE_PGM_RSRC2:TGID_X_EN: 1
; COMPUTE_PGM_RSRC2:TGID_Y_EN: 0
; COMPUTE_PGM_RSRC2:TGID_Z_EN: 0
; COMPUTE_PGM_RSRC2:TIDIG_COMP_CNT: 0
	.section	.text._ZN2at6native32elementwise_kernel_manual_unrollILi128ELi4EZNS0_15gpu_kernel_implIZZZNS0_21polygamma_kernel_cudaERNS_18TensorIteratorBaseElENKUlvE_clEvENKUlvE_clEvEUldE_EEvS4_RKT_EUlibE0_EEviT1_,"axG",@progbits,_ZN2at6native32elementwise_kernel_manual_unrollILi128ELi4EZNS0_15gpu_kernel_implIZZZNS0_21polygamma_kernel_cudaERNS_18TensorIteratorBaseElENKUlvE_clEvENKUlvE_clEvEUldE_EEvS4_RKT_EUlibE0_EEviT1_,comdat
	.globl	_ZN2at6native32elementwise_kernel_manual_unrollILi128ELi4EZNS0_15gpu_kernel_implIZZZNS0_21polygamma_kernel_cudaERNS_18TensorIteratorBaseElENKUlvE_clEvENKUlvE_clEvEUldE_EEvS4_RKT_EUlibE0_EEviT1_ ; -- Begin function _ZN2at6native32elementwise_kernel_manual_unrollILi128ELi4EZNS0_15gpu_kernel_implIZZZNS0_21polygamma_kernel_cudaERNS_18TensorIteratorBaseElENKUlvE_clEvENKUlvE_clEvEUldE_EEvS4_RKT_EUlibE0_EEviT1_
	.p2align	8
	.type	_ZN2at6native32elementwise_kernel_manual_unrollILi128ELi4EZNS0_15gpu_kernel_implIZZZNS0_21polygamma_kernel_cudaERNS_18TensorIteratorBaseElENKUlvE_clEvENKUlvE_clEvEUldE_EEvS4_RKT_EUlibE0_EEviT1_,@function
_ZN2at6native32elementwise_kernel_manual_unrollILi128ELi4EZNS0_15gpu_kernel_implIZZZNS0_21polygamma_kernel_cudaERNS_18TensorIteratorBaseElENKUlvE_clEvENKUlvE_clEvEUldE_EEvS4_RKT_EUlibE0_EEviT1_: ; @_ZN2at6native32elementwise_kernel_manual_unrollILi128ELi4EZNS0_15gpu_kernel_implIZZZNS0_21polygamma_kernel_cudaERNS_18TensorIteratorBaseElENKUlvE_clEvENKUlvE_clEvEUldE_EEvS4_RKT_EUlibE0_EEviT1_
; %bb.0:
	s_load_dword s8, s[4:5], 0x0
	s_load_dword s39, s[4:5], 0x8
	s_add_u32 s0, s0, s7
	s_addc_u32 s1, s1, 0
	s_mov_b64 s[40:41], s[4:5]
	s_add_u32 s46, s40, 8
	s_addc_u32 s47, s41, 0
	v_lshl_or_b32 v43, s6, 9, v0
	s_waitcnt lgkmcnt(0)
	s_add_i32 s52, s39, -1
	v_or_b32_e32 v8, 0x180, v43
	s_cmp_gt_u32 s52, 1
	v_cmp_le_i32_e32 vcc, s8, v8
	s_cselect_b64 s[44:45], -1, 0
	s_mov_b64 s[42:43], 0
	s_mov_b64 s[98:99], 0
	s_mov_b32 s32, 0
	s_and_saveexec_b64 s[4:5], vcc
	s_xor_b64 s[4:5], exec, s[4:5]
                                        ; implicit-def: $vgpr47 : SGPR spill to VGPR lane
	s_cbranch_execz .LBB86_1087
; %bb.1:
	v_writelane_b32 v47, s4, 0
	s_cmp_lg_u32 s39, 0
	v_writelane_b32 v47, s5, 1
	s_cselect_b64 s[4:5], -1, 0
	v_writelane_b32 v47, s4, 2
	v_writelane_b32 v47, s5, 3
	s_add_u32 s4, s46, 0xc4
	s_addc_u32 s5, s47, 0
	v_writelane_b32 v47, s4, 4
	v_writelane_b32 v47, s5, 5
	s_min_u32 s4, s52, 15
	v_writelane_b32 v47, s4, 6
	s_load_dwordx4 s[4:7], s[46:47], 0x4
	s_load_dwordx4 s[96:99], s[46:47], 0x148
	s_cmp_gt_u32 s39, 1
	s_load_dwordx2 s[54:55], s[46:47], 0x158
	s_load_dword s87, s[46:47], 0x160
	v_cmp_gt_i32_e32 vcc, s8, v43
	s_waitcnt lgkmcnt(0)
	v_writelane_b32 v47, s4, 7
	v_writelane_b32 v47, s5, 8
	v_writelane_b32 v47, s6, 9
	v_writelane_b32 v47, s7, 10
	s_load_dwordx2 s[4:5], s[46:47], 0x14
	s_waitcnt lgkmcnt(0)
	v_writelane_b32 v47, s4, 11
	v_writelane_b32 v47, s5, 12
	s_cselect_b64 s[4:5], -1, 0
	v_writelane_b32 v47, s4, 13
	v_writelane_b32 v47, s5, 14
	s_load_dwordx4 s[4:7], s[46:47], 0xc4
	s_waitcnt lgkmcnt(0)
	v_writelane_b32 v47, s4, 15
	v_writelane_b32 v47, s5, 16
	v_writelane_b32 v47, s6, 17
	v_writelane_b32 v47, s7, 18
	s_bfe_u32 s4, s87, 0x80008
	v_writelane_b32 v47, s4, 19
	v_writelane_b32 v47, s8, 21
	s_mov_b64 s[4:5], 0
	v_writelane_b32 v47, s4, 22
	v_writelane_b32 v47, s5, 23
	s_mov_b64 s[4:5], 0
	s_mov_b64 s[6:7], -1
	v_writelane_b32 v47, s4, 24
	v_writelane_b32 v47, s5, 25
	s_mov_b64 s[4:5], exec
	v_writelane_b32 v47, s4, 28
	v_writelane_b32 v47, s5, 29
	;; [unrolled: 1-line block ×4, first 2 shown]
	s_and_b64 s[4:5], s[4:5], vcc
	v_writelane_b32 v47, s46, 32
	v_writelane_b32 v47, s47, 33
	s_mov_b64 exec, s[4:5]
	s_cbranch_execz .LBB86_266
; %bb.2:
	s_andn2_b64 vcc, exec, s[44:45]
	s_cbranch_vccnz .LBB86_7
; %bb.3:
	v_readlane_b32 s4, v47, 2
	v_readlane_b32 s5, v47, 3
	s_andn2_b64 vcc, exec, s[4:5]
	s_cbranch_vccnz .LBB86_8
; %bb.4:
	v_readlane_b32 s4, v47, 6
	s_add_i32 s29, s4, 1
	s_cmp_eq_u32 s52, 2
	s_cbranch_scc1 .LBB86_9
; %bb.5:
	v_readlane_b32 s26, v47, 4
	s_and_b32 s28, s29, 28
	v_mov_b32_e32 v0, 0
	s_mov_b32 s30, 0
	s_mov_b64 s[24:25], s[46:47]
	v_readlane_b32 s27, v47, 5
	v_mov_b32_e32 v41, 0
	v_mov_b32_e32 v1, v43
.LBB86_6:                               ; =>This Inner Loop Header: Depth=1
	s_load_dwordx8 s[12:19], s[24:25], 0x4
	s_load_dwordx4 s[20:23], s[24:25], 0x24
	s_load_dwordx8 s[4:11], s[26:27], 0x0
	s_add_u32 s24, s24, 48
	s_addc_u32 s25, s25, 0
	s_waitcnt lgkmcnt(0)
	v_mul_hi_u32 v2, s13, v1
	s_add_i32 s30, s30, 4
	s_add_u32 s26, s26, 32
	s_addc_u32 s27, s27, 0
	v_add_u32_e32 v2, v1, v2
	v_lshrrev_b32_e32 v2, s14, v2
	v_mul_lo_u32 v3, v2, s12
	v_mul_hi_u32 v4, s16, v2
	s_cmp_lg_u32 s28, s30
	v_sub_u32_e32 v1, v1, v3
	v_add_u32_e32 v3, v2, v4
	v_mul_lo_u32 v4, v1, s4
	v_mul_lo_u32 v5, v1, s5
	v_lshrrev_b32_e32 v1, s17, v3
	v_mul_lo_u32 v3, v1, s15
	v_mul_hi_u32 v6, s19, v1
	v_sub_u32_e32 v2, v2, v3
	v_add_u32_e32 v3, v1, v6
	v_lshrrev_b32_e32 v3, s20, v3
	v_mul_hi_u32 v7, s22, v3
	v_mul_lo_u32 v8, v3, s18
	v_mul_lo_u32 v6, v2, s6
	;; [unrolled: 1-line block ×3, first 2 shown]
	v_sub_u32_e32 v8, v1, v8
	v_add_u32_e32 v1, v3, v7
	v_lshrrev_b32_e32 v1, s23, v1
	v_mul_lo_u32 v7, v1, s21
	v_mul_lo_u32 v9, v8, s8
	v_mul_lo_u32 v8, v8, s9
	v_add3_u32 v4, v4, v41, v6
	v_sub_u32_e32 v3, v3, v7
	v_mul_lo_u32 v7, v3, s10
	v_mul_lo_u32 v3, v3, s11
	v_add3_u32 v0, v5, v0, v2
	v_add3_u32 v41, v9, v4, v7
	;; [unrolled: 1-line block ×3, first 2 shown]
	s_cbranch_scc1 .LBB86_6
	s_branch .LBB86_10
.LBB86_7:
                                        ; implicit-def: $vgpr41
                                        ; implicit-def: $vgpr0
	s_branch .LBB86_14
.LBB86_8:
	v_mov_b32_e32 v41, 0
	v_mov_b32_e32 v0, 0
	s_branch .LBB86_13
.LBB86_9:
	s_mov_b32 s28, 0
	v_mov_b32_e32 v41, 0
	v_mov_b32_e32 v0, 0
	;; [unrolled: 1-line block ×3, first 2 shown]
.LBB86_10:
	s_and_b32 s8, s29, 3
	s_cmp_eq_u32 s8, 0
	s_cbranch_scc1 .LBB86_13
; %bb.11:
	s_lshl_b32 s4, s28, 3
	s_add_u32 s4, s46, s4
	s_addc_u32 s5, s47, 0
	s_add_u32 s4, s4, 0xc4
	s_addc_u32 s5, s5, 0
	s_mul_i32 s6, s28, 12
	s_add_u32 s6, s46, s6
	s_addc_u32 s7, s47, 0
.LBB86_12:                              ; =>This Inner Loop Header: Depth=1
	s_load_dwordx2 s[10:11], s[6:7], 0x4
	s_load_dword s9, s[6:7], 0xc
	s_load_dwordx2 s[12:13], s[4:5], 0x0
	s_add_u32 s6, s6, 12
	s_addc_u32 s7, s7, 0
	s_waitcnt lgkmcnt(0)
	v_mul_hi_u32 v2, s11, v1
	s_add_u32 s4, s4, 8
	s_addc_u32 s5, s5, 0
	s_add_i32 s8, s8, -1
	v_add_u32_e32 v2, v1, v2
	v_lshrrev_b32_e32 v2, s9, v2
	v_mul_lo_u32 v3, v2, s10
	s_cmp_lg_u32 s8, 0
	v_sub_u32_e32 v1, v1, v3
	v_mad_u64_u32 v[41:42], s[10:11], v1, s12, v[41:42]
	v_mad_u64_u32 v[0:1], s[10:11], v1, s13, v[0:1]
	v_mov_b32_e32 v1, v2
	s_cbranch_scc1 .LBB86_12
.LBB86_13:
	s_cbranch_execnz .LBB86_16
.LBB86_14:
	s_load_dwordx4 s[4:7], s[46:47], 0x4
	s_load_dwordx4 s[8:11], s[46:47], 0xc4
	s_waitcnt lgkmcnt(0)
	v_mul_hi_u32 v0, s5, v43
	v_add_u32_e32 v0, v43, v0
	v_lshrrev_b32_e32 v1, s6, v0
	v_mul_lo_u32 v0, v1, s4
	v_readlane_b32 s4, v47, 13
	v_readlane_b32 s5, v47, 14
	s_andn2_b64 vcc, exec, s[4:5]
	v_sub_u32_e32 v0, v43, v0
	v_mul_lo_u32 v41, v0, s8
	v_mul_lo_u32 v0, v0, s9
	s_cbranch_vccnz .LBB86_16
; %bb.15:
	s_load_dwordx2 s[4:5], s[46:47], 0x14
	s_waitcnt lgkmcnt(0)
	v_mul_hi_u32 v2, s4, v1
	v_add_u32_e32 v2, v1, v2
	v_lshrrev_b32_e32 v2, s5, v2
	v_mul_lo_u32 v2, v2, s7
	v_sub_u32_e32 v1, v1, v2
	v_mad_u64_u32 v[41:42], s[4:5], v1, s10, v[41:42]
	v_mad_u64_u32 v[0:1], s[4:5], v1, s11, v[0:1]
.LBB86_16:
	v_readlane_b32 s4, v47, 19
	v_mov_b32_e32 v1, s99
	s_and_b32 s10, 0xffff, s4
	v_add_co_u32_e32 v0, vcc, s98, v0
	s_cmp_lt_i32 s10, 11
	v_addc_co_u32_e32 v1, vcc, 0, v1, vcc
	s_cbranch_scc1 .LBB86_23
; %bb.17:
	s_cmp_gt_i32 s10, 25
	s_cbranch_scc0 .LBB86_32
; %bb.18:
	s_cmp_gt_i32 s10, 28
	s_cbranch_scc0 .LBB86_35
	;; [unrolled: 3-line block ×4, first 2 shown]
; %bb.21:
	s_cmp_eq_u32 s10, 46
	s_mov_b64 s[6:7], 0
	s_cbranch_scc0 .LBB86_41
; %bb.22:
	global_load_dword v2, v[0:1], off
	s_mov_b64 s[8:9], 0
	v_writelane_b32 v47, s8, 22
	s_mov_b64 s[4:5], -1
	v_writelane_b32 v47, s9, 23
	s_waitcnt vmcnt(0)
	v_lshlrev_b32_e32 v2, 16, v2
	v_cvt_f64_f32_e32 v[2:3], v2
	s_branch .LBB86_43
.LBB86_23:
	s_mov_b64 s[4:5], 0
	v_writelane_b32 v47, s4, 22
	v_writelane_b32 v47, s5, 23
                                        ; implicit-def: $vgpr2_vgpr3
	s_mov_b64 s[4:5], 0
	s_cbranch_execnz .LBB86_216
.LBB86_24:
	s_andn2_b64 vcc, exec, s[4:5]
	s_cbranch_vccnz .LBB86_263
.LBB86_25:
	v_writelane_b32 v47, s52, 36
	v_writelane_b32 v47, s39, 37
	;; [unrolled: 1-line block ×3, first 2 shown]
	s_getpc_b64 s[4:5]
	s_add_u32 s4, s4, _ZZZZN2at6native21polygamma_kernel_cudaERNS_18TensorIteratorBaseElENKUlvE_clEvENKUlvE_clEvENKUldE_clEd@rel32@lo+4
	s_addc_u32 s5, s5, _ZZZZN2at6native21polygamma_kernel_cudaERNS_18TensorIteratorBaseElENKUlvE_clEvENKUlvE_clEvENKUldE_clEd@rel32@hi+12
	v_mov_b32_e32 v0, s54
	v_mov_b32_e32 v1, s55
	s_mov_b32 s33, s87
	v_writelane_b32 v47, s41, 39
	s_mov_b64 s[86:87], s[54:55]
	s_swappc_b64 s[30:31], s[4:5]
	v_mov_b32_e32 v2, s97
	s_and_b32 s12, s33, 0xff
	v_add_co_u32_e32 v4, vcc, s96, v41
	s_mov_b32 s10, s33
	s_cmp_lt_i32 s12, 11
	v_addc_co_u32_e32 v5, vcc, 0, v2, vcc
	s_cbranch_scc1 .LBB86_33
; %bb.26:
	s_and_b32 s13, 0xffff, s12
	s_cmp_gt_i32 s13, 25
	s_cbranch_scc0 .LBB86_36
; %bb.27:
	v_readlane_b32 s40, v47, 38
	v_readlane_b32 s44, v47, 30
	s_cmp_gt_i32 s13, 28
	v_readlane_b32 s41, v47, 39
	v_readlane_b32 s39, v47, 37
	s_mov_b64 s[42:43], 0
	v_readlane_b32 s45, v47, 31
	s_mov_b64 s[54:55], s[86:87]
	s_cbranch_scc0 .LBB86_38
; %bb.28:
	v_readlane_b32 s46, v47, 32
	s_cmp_gt_i32 s13, 43
	v_readlane_b32 s52, v47, 36
	v_readlane_b32 s47, v47, 33
	s_mov_b32 s87, s10
	s_cbranch_scc0 .LBB86_40
; %bb.29:
	s_cmp_gt_i32 s13, 45
	s_cbranch_scc0 .LBB86_46
; %bb.30:
	s_mov_b64 s[8:9], 0
	s_mov_b64 s[4:5], -1
	s_cmp_eq_u32 s13, 46
	s_mov_b64 s[6:7], 0
	s_cbranch_scc0 .LBB86_47
; %bb.31:
	v_cvt_f32_f64_e32 v2, v[0:1]
	s_movk_i32 s4, 0x7fff
	v_mov_b32_e32 v3, 0x7fc0
	s_mov_b64 s[6:7], -1
	v_bfe_u32 v6, v2, 16, 1
	v_cmp_o_f32_e32 vcc, v2, v2
	v_add3_u32 v2, v2, v6, s4
	v_cndmask_b32_sdwa v2, v3, v2, vcc dst_sel:DWORD dst_unused:UNUSED_PAD src0_sel:DWORD src1_sel:WORD_1
	global_store_dword v[4:5], v2, off
	s_mov_b64 s[4:5], 0
	s_branch .LBB86_47
.LBB86_32:
	s_mov_b64 s[4:5], 0
	v_writelane_b32 v47, s4, 22
	v_writelane_b32 v47, s5, 23
	s_mov_b64 s[4:5], 0
                                        ; implicit-def: $vgpr2_vgpr3
	s_cbranch_execnz .LBB86_183
	s_branch .LBB86_215
.LBB86_33:
	v_readlane_b32 s40, v47, 38
	v_readlane_b32 s44, v47, 30
	;; [unrolled: 1-line block ×3, first 2 shown]
	s_mov_b64 s[4:5], 0
	s_mov_b64 s[6:7], 0
	v_readlane_b32 s41, v47, 39
	v_readlane_b32 s39, v47, 37
	;; [unrolled: 1-line block ×3, first 2 shown]
	s_mov_b64 s[42:43], 0
	v_readlane_b32 s45, v47, 31
	v_readlane_b32 s47, v47, 33
	s_mov_b64 s[54:55], s[86:87]
	s_mov_b32 s87, s10
	s_cbranch_execnz .LBB86_116
.LBB86_34:
	s_andn2_b64 vcc, exec, s[6:7]
	s_cbranch_vccnz .LBB86_264
	s_branch .LBB86_154
.LBB86_35:
	s_mov_b64 s[4:5], 0
	v_writelane_b32 v47, s4, 22
	s_mov_b64 s[6:7], -1
	v_writelane_b32 v47, s5, 23
	s_mov_b64 s[4:5], 0
                                        ; implicit-def: $vgpr2_vgpr3
	s_branch .LBB86_162
.LBB86_36:
	v_readlane_b32 s40, v47, 38
	v_readlane_b32 s44, v47, 30
	;; [unrolled: 1-line block ×3, first 2 shown]
	s_mov_b64 s[8:9], -1
	s_mov_b64 s[4:5], 0
	s_mov_b64 s[6:7], 0
	v_readlane_b32 s41, v47, 39
	v_readlane_b32 s39, v47, 37
	;; [unrolled: 1-line block ×3, first 2 shown]
	s_mov_b64 s[42:43], 0
	v_readlane_b32 s45, v47, 31
	v_readlane_b32 s47, v47, 33
	s_mov_b64 s[54:55], s[86:87]
	s_mov_b32 s87, s10
	s_branch .LBB86_74
.LBB86_37:
	s_mov_b64 s[4:5], 0
	v_writelane_b32 v47, s4, 22
	s_mov_b64 s[6:7], -1
	v_writelane_b32 v47, s5, 23
	s_mov_b64 s[4:5], 0
                                        ; implicit-def: $vgpr2_vgpr3
	s_branch .LBB86_157
.LBB86_38:
	v_readlane_b32 s46, v47, 32
	s_mov_b64 s[8:9], -1
	s_mov_b64 s[4:5], 0
	s_mov_b64 s[6:7], 0
	v_readlane_b32 s52, v47, 36
	v_readlane_b32 s47, v47, 33
	s_mov_b32 s87, s10
	s_branch .LBB86_57
.LBB86_39:
	s_mov_b64 s[6:7], -1
	s_mov_b64 s[4:5], 0
	s_branch .LBB86_42
.LBB86_40:
	s_mov_b64 s[8:9], -1
	s_mov_b64 s[4:5], 0
	s_mov_b64 s[6:7], 0
	s_branch .LBB86_53
.LBB86_41:
	s_mov_b64 s[4:5], -1
.LBB86_42:
	v_writelane_b32 v47, s4, 22
	v_writelane_b32 v47, s5, 23
	s_mov_b64 s[4:5], 0
                                        ; implicit-def: $vgpr2_vgpr3
.LBB86_43:
	s_and_b64 vcc, exec, s[6:7]
	s_cbranch_vccz .LBB86_156
; %bb.44:
	s_cmp_eq_u32 s10, 44
	s_cbranch_scc0 .LBB86_155
; %bb.45:
	global_load_ubyte v4, v[0:1], off
	s_movk_i32 s6, 0xff
	v_bfrev_b32_e32 v5, 4
	v_mov_b32_e32 v6, 0x7ff80000
	v_bfrev_b32_e32 v7, 28
	s_mov_b64 s[4:5], -1
	s_waitcnt vmcnt(0)
	v_lshlrev_b32_e32 v2, 23, v4
	v_cvt_f64_f32_e32 v[2:3], v2
	v_cmp_ne_u32_e32 vcc, s6, v4
	s_mov_b64 s[6:7], 0
	v_writelane_b32 v47, s6, 22
	v_cndmask_b32_e32 v2, v5, v2, vcc
	v_cndmask_b32_e32 v3, v6, v3, vcc
	v_cmp_ne_u32_e32 vcc, 0, v4
	v_cndmask_b32_e32 v3, v7, v3, vcc
	v_cndmask_b32_e32 v2, 0, v2, vcc
	v_writelane_b32 v47, s7, 23
	s_branch .LBB86_156
.LBB86_46:
	s_mov_b64 s[8:9], -1
	s_mov_b64 s[4:5], 0
	s_mov_b64 s[6:7], 0
.LBB86_47:
	s_and_b64 vcc, exec, s[8:9]
	s_cbranch_vccz .LBB86_52
; %bb.48:
	s_cmp_eq_u32 s13, 44
	s_mov_b64 s[4:5], -1
	s_cbranch_scc0 .LBB86_52
; %bb.49:
	v_cvt_f32_f64_e32 v2, v[0:1]
	s_movk_i32 s4, 0xff
	v_mov_b32_e32 v6, 0xff
	v_bfe_u32 v3, v2, 23, 8
	v_cmp_ne_u32_e32 vcc, s4, v3
	s_and_saveexec_b64 s[6:7], vcc
; %bb.50:
	s_mov_b32 s4, 0x3fffff
	v_lshrrev_b32_e32 v6, 23, v2
	v_and_b32_e32 v7, 0x400000, v2
	v_and_or_b32 v2, v2, s4, v3
	v_cmp_ne_u32_e32 vcc, 0, v7
	v_cmp_ne_u32_e64 s[4:5], 0, v2
	s_and_b64 s[4:5], vcc, s[4:5]
	v_cndmask_b32_e64 v2, 0, 1, s[4:5]
	v_add_u32_e32 v6, v6, v2
; %bb.51:
	s_or_b64 exec, exec, s[6:7]
	s_mov_b64 s[6:7], -1
	s_mov_b64 s[4:5], 0
	global_store_byte v[4:5], v6, off
.LBB86_52:
	s_mov_b64 s[8:9], 0
.LBB86_53:
	s_and_b64 vcc, exec, s[8:9]
	s_cbranch_vccz .LBB86_56
; %bb.54:
	s_cmp_eq_u32 s13, 29
	s_mov_b64 s[4:5], -1
	s_cbranch_scc0 .LBB86_56
; %bb.55:
	v_trunc_f64_e32 v[2:3], v[0:1]
	s_movk_i32 s4, 0xffe0
	s_mov_b64 s[6:7], -1
	s_mov_b64 s[8:9], 0
	v_ldexp_f64 v[6:7], v[2:3], s4
	s_mov_b32 s4, 0
	s_mov_b32 s5, 0xc1f00000
	v_floor_f64_e32 v[6:7], v[6:7]
	v_fma_f64 v[2:3], v[6:7], s[4:5], v[2:3]
	v_cvt_u32_f64_e32 v7, v[6:7]
	s_mov_b64 s[4:5], 0
	v_cvt_u32_f64_e32 v6, v[2:3]
	global_store_dwordx2 v[4:5], v[6:7], off
	s_branch .LBB86_57
.LBB86_56:
	s_mov_b64 s[8:9], 0
.LBB86_57:
	s_and_b64 vcc, exec, s[8:9]
	s_cbranch_vccz .LBB86_73
; %bb.58:
	s_cmp_lt_i32 s13, 27
	s_mov_b64 s[6:7], -1
	s_cbranch_scc1 .LBB86_64
; %bb.59:
	v_cvt_u32_f64_e32 v2, v[0:1]
	s_cmp_gt_i32 s13, 27
	s_cbranch_scc0 .LBB86_61
; %bb.60:
	s_mov_b64 s[6:7], 0
	global_store_dword v[4:5], v2, off
.LBB86_61:
	s_andn2_b64 vcc, exec, s[6:7]
	s_cbranch_vccnz .LBB86_63
; %bb.62:
	global_store_short v[4:5], v2, off
.LBB86_63:
	s_mov_b64 s[6:7], 0
.LBB86_64:
	s_andn2_b64 vcc, exec, s[6:7]
	s_cbranch_vccnz .LBB86_72
; %bb.65:
	v_cvt_f32_f64_e32 v2, v[0:1]
	s_mov_b32 s6, 0x43800000
	v_mov_b32_e32 v6, 0x80
	v_and_b32_e32 v3, 0x7fffffff, v2
	v_cmp_gt_u32_e32 vcc, s6, v3
	s_and_saveexec_b64 s[6:7], vcc
	s_cbranch_execz .LBB86_71
; %bb.66:
	s_mov_b32 s8, 0x3bffffff
	v_cmp_lt_u32_e32 vcc, s8, v3
	s_mov_b64 s[8:9], 0
                                        ; implicit-def: $vgpr3
	s_and_saveexec_b64 s[10:11], vcc
	s_xor_b64 s[10:11], exec, s[10:11]
	s_cbranch_execz .LBB86_304
; %bb.67:
	v_bfe_u32 v3, v2, 20, 1
	s_mov_b32 s14, 0x487ffff
	v_add3_u32 v3, v2, v3, s14
	s_mov_b64 s[8:9], exec
	v_lshrrev_b32_e32 v3, 20, v3
	s_andn2_saveexec_b64 s[10:11], s[10:11]
	s_cbranch_execnz .LBB86_305
.LBB86_68:
	s_or_b64 exec, exec, s[10:11]
	v_mov_b32_e32 v6, 0
	s_and_saveexec_b64 s[10:11], s[8:9]
.LBB86_69:
	v_lshrrev_b32_e32 v2, 24, v2
	s_movk_i32 s8, 0x80
	v_and_or_b32 v6, v2, s8, v3
.LBB86_70:
	s_or_b64 exec, exec, s[10:11]
.LBB86_71:
	s_or_b64 exec, exec, s[6:7]
	global_store_byte v[4:5], v6, off
.LBB86_72:
	s_mov_b64 s[6:7], -1
.LBB86_73:
	s_mov_b64 s[8:9], 0
.LBB86_74:
	s_and_b64 vcc, exec, s[8:9]
	s_cbranch_vccz .LBB86_115
; %bb.75:
	s_cmp_gt_i32 s13, 22
	s_mov_b64 s[8:9], -1
	s_cbranch_scc0 .LBB86_107
; %bb.76:
	s_cmp_lt_i32 s13, 24
	s_mov_b64 s[6:7], -1
	s_cbranch_scc1 .LBB86_96
; %bb.77:
	s_cmp_gt_i32 s13, 24
	s_cbranch_scc0 .LBB86_85
; %bb.78:
	v_cvt_f32_f64_e32 v2, v[0:1]
	s_mov_b32 s6, 0x47800000
	v_mov_b32_e32 v6, 0x80
	v_and_b32_e32 v3, 0x7fffffff, v2
	v_cmp_gt_u32_e32 vcc, s6, v3
	s_and_saveexec_b64 s[6:7], vcc
	s_cbranch_execz .LBB86_84
; %bb.79:
	s_mov_b32 s8, 0x37ffffff
	v_cmp_lt_u32_e32 vcc, s8, v3
	s_mov_b64 s[8:9], 0
                                        ; implicit-def: $vgpr3
	s_and_saveexec_b64 s[10:11], vcc
	s_xor_b64 s[10:11], exec, s[10:11]
	s_cbranch_execz .LBB86_308
; %bb.80:
	v_bfe_u32 v3, v2, 21, 1
	s_mov_b32 s14, 0x88fffff
	v_add3_u32 v3, v2, v3, s14
	s_mov_b64 s[8:9], exec
	v_lshrrev_b32_e32 v3, 21, v3
	s_andn2_saveexec_b64 s[10:11], s[10:11]
	s_cbranch_execnz .LBB86_309
.LBB86_81:
	s_or_b64 exec, exec, s[10:11]
	v_mov_b32_e32 v6, 0
	s_and_saveexec_b64 s[10:11], s[8:9]
.LBB86_82:
	v_lshrrev_b32_e32 v2, 24, v2
	s_movk_i32 s8, 0x80
	v_and_or_b32 v6, v2, s8, v3
.LBB86_83:
	s_or_b64 exec, exec, s[10:11]
.LBB86_84:
	s_or_b64 exec, exec, s[6:7]
	s_mov_b64 s[6:7], 0
	global_store_byte v[4:5], v6, off
.LBB86_85:
	s_and_b64 vcc, exec, s[6:7]
	s_cbranch_vccz .LBB86_95
; %bb.86:
	v_cvt_f32_f64_e32 v2, v[0:1]
	s_mov_b32 s6, 0x43f00000
                                        ; implicit-def: $vgpr3
	v_and_b32_e32 v6, 0x7fffffff, v2
	v_cmp_gt_u32_e32 vcc, s6, v6
	s_and_saveexec_b64 s[6:7], vcc
	s_xor_b64 s[6:7], exec, s[6:7]
	s_cbranch_execz .LBB86_92
; %bb.87:
	s_mov_b32 s8, 0x3c7fffff
	v_cmp_lt_u32_e32 vcc, s8, v6
                                        ; implicit-def: $vgpr3
	s_and_saveexec_b64 s[8:9], vcc
	s_xor_b64 s[8:9], exec, s[8:9]
; %bb.88:
	v_bfe_u32 v3, v2, 20, 1
	s_mov_b32 s10, 0x407ffff
	v_add3_u32 v3, v2, v3, s10
	v_lshrrev_b32_e32 v6, 20, v3
	v_and_b32_e32 v3, 0xff00000, v3
	s_mov_b32 s10, 0x7f00000
	v_mov_b32_e32 v7, 0x7e
	v_cmp_ne_u32_e32 vcc, s10, v3
	v_cndmask_b32_e32 v3, v7, v6, vcc
; %bb.89:
	s_andn2_saveexec_b64 s[8:9], s[8:9]
; %bb.90:
	s_mov_b32 s10, 0x46800000
	v_add_f32_e64 v3, |v2|, s10
; %bb.91:
	s_or_b64 exec, exec, s[8:9]
                                        ; implicit-def: $vgpr6
.LBB86_92:
	s_andn2_saveexec_b64 s[6:7], s[6:7]
; %bb.93:
	s_mov_b32 s8, 0x7f800000
	v_mov_b32_e32 v3, 0x7e
	v_mov_b32_e32 v7, 0x7f
	v_cmp_lt_u32_e32 vcc, s8, v6
	v_cndmask_b32_e32 v3, v3, v7, vcc
; %bb.94:
	s_or_b64 exec, exec, s[6:7]
	v_lshrrev_b32_e32 v2, 24, v2
	s_movk_i32 s6, 0x80
	v_and_or_b32 v2, v2, s6, v3
	global_store_byte v[4:5], v2, off
.LBB86_95:
	s_mov_b64 s[6:7], 0
.LBB86_96:
	s_andn2_b64 vcc, exec, s[6:7]
	s_cbranch_vccnz .LBB86_106
; %bb.97:
	v_cvt_f32_f64_e32 v2, v[0:1]
	s_mov_b32 s6, 0x47800000
                                        ; implicit-def: $vgpr3
	v_and_b32_e32 v6, 0x7fffffff, v2
	v_cmp_gt_u32_e32 vcc, s6, v6
	s_and_saveexec_b64 s[6:7], vcc
	s_xor_b64 s[6:7], exec, s[6:7]
	s_cbranch_execz .LBB86_103
; %bb.98:
	s_mov_b32 s8, 0x387fffff
	v_cmp_lt_u32_e32 vcc, s8, v6
                                        ; implicit-def: $vgpr3
	s_and_saveexec_b64 s[8:9], vcc
	s_xor_b64 s[8:9], exec, s[8:9]
; %bb.99:
	v_bfe_u32 v3, v2, 21, 1
	s_mov_b32 s10, 0x80fffff
	v_add3_u32 v3, v2, v3, s10
	v_lshrrev_b32_e32 v3, 21, v3
; %bb.100:
	s_andn2_saveexec_b64 s[8:9], s[8:9]
; %bb.101:
	s_mov_b32 s10, 0x43000000
	v_add_f32_e64 v3, |v2|, s10
; %bb.102:
	s_or_b64 exec, exec, s[8:9]
                                        ; implicit-def: $vgpr6
.LBB86_103:
	s_andn2_saveexec_b64 s[6:7], s[6:7]
; %bb.104:
	s_mov_b32 s8, 0x7f800000
	v_mov_b32_e32 v3, 0x7c
	v_mov_b32_e32 v7, 0x7f
	v_cmp_lt_u32_e32 vcc, s8, v6
	v_cndmask_b32_e32 v3, v3, v7, vcc
; %bb.105:
	s_or_b64 exec, exec, s[6:7]
	v_lshrrev_b32_e32 v2, 24, v2
	s_movk_i32 s6, 0x80
	v_and_or_b32 v2, v2, s6, v3
	global_store_byte v[4:5], v2, off
.LBB86_106:
	s_mov_b64 s[8:9], 0
	s_mov_b64 s[6:7], -1
.LBB86_107:
	s_andn2_b64 vcc, exec, s[8:9]
	s_cbranch_vccnz .LBB86_115
; %bb.108:
	s_cmp_gt_i32 s13, 14
	s_mov_b64 s[8:9], -1
	s_cbranch_scc0 .LBB86_112
; %bb.109:
	s_cmp_eq_u32 s13, 15
	s_mov_b64 s[4:5], -1
	s_cbranch_scc0 .LBB86_111
; %bb.110:
	v_cvt_f32_f64_e32 v2, v[0:1]
	s_movk_i32 s4, 0x7fff
	v_mov_b32_e32 v3, 0x7fc0
	s_mov_b64 s[6:7], -1
	v_bfe_u32 v6, v2, 16, 1
	v_cmp_o_f32_e32 vcc, v2, v2
	v_add3_u32 v2, v2, v6, s4
	v_cndmask_b32_sdwa v2, v3, v2, vcc dst_sel:DWORD dst_unused:UNUSED_PAD src0_sel:DWORD src1_sel:WORD_1
	global_store_short v[4:5], v2, off
	s_mov_b64 s[4:5], 0
.LBB86_111:
	s_mov_b64 s[8:9], 0
.LBB86_112:
	s_and_b64 vcc, exec, s[8:9]
	s_cbranch_vccz .LBB86_115
; %bb.113:
	s_cmp_eq_u32 s13, 11
	s_mov_b64 s[4:5], -1
	s_cbranch_scc0 .LBB86_115
; %bb.114:
	v_cmp_neq_f64_e32 vcc, 0, v[0:1]
	s_mov_b64 s[4:5], 0
	s_mov_b64 s[6:7], -1
	v_cndmask_b32_e64 v2, 0, 1, vcc
	global_store_byte v[4:5], v2, off
.LBB86_115:
	s_branch .LBB86_34
.LBB86_116:
	s_and_b32 s8, 0xffff, s12
	s_cmp_lt_i32 s8, 5
	s_mov_b64 s[6:7], -1
	s_cbranch_scc1 .LBB86_137
; %bb.117:
	s_cmp_lt_i32 s8, 8
	s_cbranch_scc1 .LBB86_127
; %bb.118:
	s_cmp_lt_i32 s8, 9
	s_cbranch_scc1 .LBB86_124
; %bb.119:
	s_cmp_gt_i32 s8, 9
	s_cbranch_scc0 .LBB86_121
; %bb.120:
	v_mov_b32_e32 v2, 0
	v_mov_b32_e32 v3, v2
	global_store_dwordx4 v[4:5], v[0:3], off
	s_mov_b64 s[6:7], 0
.LBB86_121:
	s_andn2_b64 vcc, exec, s[6:7]
	s_cbranch_vccnz .LBB86_123
; %bb.122:
	v_cvt_f32_f64_e32 v2, v[0:1]
	v_mov_b32_e32 v3, 0
	global_store_dwordx2 v[4:5], v[2:3], off
.LBB86_123:
	s_mov_b64 s[6:7], 0
.LBB86_124:
	s_andn2_b64 vcc, exec, s[6:7]
	s_cbranch_vccnz .LBB86_126
; %bb.125:
	s_movk_i32 s6, 0x1ff
	v_and_or_b32 v2, v1, s6, v0
	v_cmp_ne_u32_e32 vcc, 0, v2
	v_cndmask_b32_e64 v2, 0, 1, vcc
	v_lshrrev_b32_e32 v3, 8, v1
	s_movk_i32 s6, 0xffe
	v_bfe_u32 v6, v1, 20, 11
	v_and_or_b32 v2, v3, s6, v2
	v_sub_u32_e32 v7, 0x3f1, v6
	v_or_b32_e32 v3, 0x1000, v2
	v_med3_i32 v7, v7, 0, 13
	v_lshrrev_b32_e32 v8, v7, v3
	v_lshlrev_b32_e32 v7, v7, v8
	v_cmp_ne_u32_e32 vcc, v7, v3
	v_cndmask_b32_e64 v3, 0, 1, vcc
	v_add_u32_e32 v6, 0xfffffc10, v6
	v_or_b32_e32 v3, v8, v3
	v_lshl_or_b32 v7, v6, 12, v2
	v_cmp_gt_i32_e32 vcc, 1, v6
	v_cndmask_b32_e32 v3, v7, v3, vcc
	v_and_b32_e32 v7, 7, v3
	v_cmp_lt_i32_e32 vcc, 5, v7
	v_cndmask_b32_e64 v8, 0, 1, vcc
	v_cmp_eq_u32_e32 vcc, 3, v7
	v_cndmask_b32_e64 v7, 0, 1, vcc
	v_or_b32_e32 v7, v7, v8
	v_lshrrev_b32_e32 v3, 2, v3
	v_add_u32_e32 v3, v3, v7
	v_mov_b32_e32 v7, 0x7c00
	v_cmp_gt_i32_e32 vcc, 31, v6
	v_cndmask_b32_e32 v3, v7, v3, vcc
	v_mov_b32_e32 v8, 0x7e00
	v_cmp_ne_u32_e32 vcc, 0, v2
	s_movk_i32 s6, 0x40f
	v_cndmask_b32_e32 v2, v7, v8, vcc
	v_cmp_eq_u32_e32 vcc, s6, v6
	v_cndmask_b32_e32 v2, v3, v2, vcc
	v_lshrrev_b32_e32 v3, 16, v1
	s_mov_b32 s6, 0x8000
	v_and_or_b32 v2, v3, s6, v2
	v_and_b32_e32 v2, 0xffff, v2
	global_store_dword v[4:5], v2, off
.LBB86_126:
	s_mov_b64 s[6:7], 0
.LBB86_127:
	s_andn2_b64 vcc, exec, s[6:7]
	s_cbranch_vccnz .LBB86_136
; %bb.128:
	s_cmp_lt_i32 s8, 6
	s_mov_b64 s[6:7], -1
	s_cbranch_scc1 .LBB86_134
; %bb.129:
	s_cmp_gt_i32 s8, 6
	s_cbranch_scc0 .LBB86_131
; %bb.130:
	global_store_dwordx2 v[4:5], v[0:1], off
	s_mov_b64 s[6:7], 0
.LBB86_131:
	s_andn2_b64 vcc, exec, s[6:7]
	s_cbranch_vccnz .LBB86_133
; %bb.132:
	v_cvt_f32_f64_e32 v2, v[0:1]
	global_store_dword v[4:5], v2, off
.LBB86_133:
	s_mov_b64 s[6:7], 0
.LBB86_134:
	s_andn2_b64 vcc, exec, s[6:7]
	s_cbranch_vccnz .LBB86_136
; %bb.135:
	s_movk_i32 s6, 0x1ff
	v_and_or_b32 v2, v1, s6, v0
	v_cmp_ne_u32_e32 vcc, 0, v2
	v_cndmask_b32_e64 v2, 0, 1, vcc
	v_lshrrev_b32_e32 v3, 8, v1
	s_movk_i32 s6, 0xffe
	v_bfe_u32 v6, v1, 20, 11
	v_and_or_b32 v2, v3, s6, v2
	v_sub_u32_e32 v7, 0x3f1, v6
	v_or_b32_e32 v3, 0x1000, v2
	v_med3_i32 v7, v7, 0, 13
	v_lshrrev_b32_e32 v8, v7, v3
	v_lshlrev_b32_e32 v7, v7, v8
	v_cmp_ne_u32_e32 vcc, v7, v3
	v_cndmask_b32_e64 v3, 0, 1, vcc
	v_add_u32_e32 v6, 0xfffffc10, v6
	v_or_b32_e32 v3, v8, v3
	v_lshl_or_b32 v7, v6, 12, v2
	v_cmp_gt_i32_e32 vcc, 1, v6
	v_cndmask_b32_e32 v3, v7, v3, vcc
	v_and_b32_e32 v7, 7, v3
	v_cmp_lt_i32_e32 vcc, 5, v7
	v_cndmask_b32_e64 v8, 0, 1, vcc
	v_cmp_eq_u32_e32 vcc, 3, v7
	v_cndmask_b32_e64 v7, 0, 1, vcc
	v_or_b32_e32 v7, v7, v8
	v_lshrrev_b32_e32 v3, 2, v3
	v_add_u32_e32 v3, v3, v7
	v_mov_b32_e32 v7, 0x7c00
	v_cmp_gt_i32_e32 vcc, 31, v6
	v_cndmask_b32_e32 v3, v7, v3, vcc
	v_mov_b32_e32 v8, 0x7e00
	v_cmp_ne_u32_e32 vcc, 0, v2
	s_movk_i32 s6, 0x40f
	v_cndmask_b32_e32 v2, v7, v8, vcc
	v_cmp_eq_u32_e32 vcc, s6, v6
	v_cndmask_b32_e32 v2, v3, v2, vcc
	v_lshrrev_b32_e32 v3, 16, v1
	s_mov_b32 s6, 0x8000
	v_and_or_b32 v2, v3, s6, v2
	global_store_short v[4:5], v2, off
.LBB86_136:
	s_mov_b64 s[6:7], 0
.LBB86_137:
	s_andn2_b64 vcc, exec, s[6:7]
	s_cbranch_vccnz .LBB86_153
; %bb.138:
	s_cmp_lt_i32 s8, 2
	s_mov_b64 s[6:7], -1
	s_cbranch_scc1 .LBB86_148
; %bb.139:
	s_cmp_lt_i32 s8, 3
	s_cbranch_scc1 .LBB86_145
; %bb.140:
	s_cmp_gt_i32 s8, 3
	s_cbranch_scc0 .LBB86_142
; %bb.141:
	v_trunc_f64_e32 v[2:3], v[0:1]
	s_movk_i32 s6, 0xffe0
	v_ldexp_f64 v[6:7], v[2:3], s6
	s_mov_b32 s6, 0
	s_mov_b32 s7, 0xc1f00000
	v_floor_f64_e32 v[6:7], v[6:7]
	v_fma_f64 v[2:3], v[6:7], s[6:7], v[2:3]
	v_cvt_i32_f64_e32 v7, v[6:7]
	s_mov_b64 s[6:7], 0
	v_cvt_u32_f64_e32 v6, v[2:3]
	global_store_dwordx2 v[4:5], v[6:7], off
.LBB86_142:
	s_andn2_b64 vcc, exec, s[6:7]
	s_cbranch_vccnz .LBB86_144
; %bb.143:
	v_cvt_i32_f64_e32 v2, v[0:1]
	global_store_dword v[4:5], v2, off
.LBB86_144:
	s_mov_b64 s[6:7], 0
.LBB86_145:
	s_andn2_b64 vcc, exec, s[6:7]
	s_cbranch_vccnz .LBB86_147
; %bb.146:
	v_cvt_i32_f64_e32 v2, v[0:1]
	global_store_short v[4:5], v2, off
.LBB86_147:
	s_mov_b64 s[6:7], 0
.LBB86_148:
	s_andn2_b64 vcc, exec, s[6:7]
	s_cbranch_vccnz .LBB86_153
; %bb.149:
	s_cmp_gt_i32 s8, 0
	s_mov_b64 s[6:7], -1
	s_cbranch_scc0 .LBB86_151
; %bb.150:
	v_cvt_i32_f64_e32 v2, v[0:1]
	s_mov_b64 s[6:7], 0
	global_store_byte v[4:5], v2, off
.LBB86_151:
	s_andn2_b64 vcc, exec, s[6:7]
	s_cbranch_vccnz .LBB86_153
; %bb.152:
	v_trunc_f64_e32 v[0:1], v[0:1]
	s_movk_i32 s6, 0xffe0
	v_ldexp_f64 v[2:3], v[0:1], s6
	s_mov_b32 s6, 0
	s_mov_b32 s7, 0xc1f00000
	v_floor_f64_e32 v[2:3], v[2:3]
	v_fma_f64 v[0:1], v[2:3], s[6:7], v[0:1]
	v_cvt_u32_f64_e32 v0, v[0:1]
	global_store_byte v[4:5], v0, off
.LBB86_153:
.LBB86_154:
	v_add_u32_e32 v43, 0x80, v43
	s_mov_b64 s[6:7], -1
	s_branch .LBB86_265
.LBB86_155:
	s_mov_b64 s[6:7], -1
	v_writelane_b32 v47, s6, 22
	v_writelane_b32 v47, s7, 23
                                        ; implicit-def: $vgpr2_vgpr3
.LBB86_156:
	s_mov_b64 s[6:7], 0
.LBB86_157:
	s_and_b64 vcc, exec, s[6:7]
	s_cbranch_vccz .LBB86_161
; %bb.158:
	s_cmp_eq_u32 s10, 29
	s_cbranch_scc0 .LBB86_160
; %bb.159:
	global_load_dwordx2 v[2:3], v[0:1], off
	s_mov_b64 s[6:7], 0
	v_writelane_b32 v47, s6, 22
	s_mov_b64 s[4:5], -1
	v_writelane_b32 v47, s7, 23
	s_mov_b64 s[6:7], 0
	s_waitcnt vmcnt(0)
	v_cvt_f64_u32_e32 v[3:4], v3
	v_cvt_f64_u32_e32 v[5:6], v2
	v_ldexp_f64 v[3:4], v[3:4], 32
	v_add_f64 v[2:3], v[3:4], v[5:6]
	s_branch .LBB86_162
.LBB86_160:
	s_mov_b64 s[6:7], -1
	v_writelane_b32 v47, s6, 22
	v_writelane_b32 v47, s7, 23
                                        ; implicit-def: $vgpr2_vgpr3
.LBB86_161:
	s_mov_b64 s[6:7], 0
.LBB86_162:
	s_and_b64 vcc, exec, s[6:7]
	s_cbranch_vccz .LBB86_182
; %bb.163:
	s_cmp_lt_i32 s10, 27
	s_cbranch_scc1 .LBB86_166
; %bb.164:
	s_cmp_gt_i32 s10, 27
	s_cbranch_scc0 .LBB86_167
; %bb.165:
	global_load_dword v2, v[0:1], off
	s_mov_b64 s[4:5], 0
	s_waitcnt vmcnt(0)
	v_cvt_f64_u32_e32 v[2:3], v2
	s_branch .LBB86_168
.LBB86_166:
	s_mov_b64 s[4:5], -1
                                        ; implicit-def: $vgpr2_vgpr3
	s_branch .LBB86_171
.LBB86_167:
	s_mov_b64 s[4:5], -1
                                        ; implicit-def: $vgpr2_vgpr3
.LBB86_168:
	s_andn2_b64 vcc, exec, s[4:5]
	s_cbranch_vccnz .LBB86_170
; %bb.169:
	global_load_ushort v2, v[0:1], off
	s_waitcnt vmcnt(0)
	v_cvt_f64_u32_e32 v[2:3], v2
.LBB86_170:
	s_mov_b64 s[4:5], 0
.LBB86_171:
	s_andn2_b64 vcc, exec, s[4:5]
	s_cbranch_vccnz .LBB86_181
; %bb.172:
	global_load_ubyte v4, v[0:1], off
	s_movk_i32 s4, 0x7f
	s_waitcnt vmcnt(0)
	v_cmp_lt_i16_e32 vcc, s4, v4
	s_mov_b64 s[4:5], 0
	s_and_saveexec_b64 s[6:7], vcc
	s_xor_b64 s[6:7], exec, s[6:7]
	s_cbranch_execz .LBB86_176
; %bb.173:
	s_movk_i32 s4, 0x80
	v_cmp_eq_u16_e32 vcc, s4, v4
	s_mov_b64 s[4:5], -1
	s_and_saveexec_b64 s[8:9], vcc
; %bb.174:
	s_xor_b64 s[4:5], exec, -1
; %bb.175:
	s_or_b64 exec, exec, s[8:9]
	s_and_b64 s[4:5], s[4:5], exec
.LBB86_176:
	s_or_saveexec_b64 s[6:7], s[6:7]
	v_bfrev_b32_e32 v2, 4
	v_mov_b32_e32 v3, 0x7ff80000
	s_xor_b64 exec, exec, s[6:7]
; %bb.177:
	v_cmp_ne_u16_e32 vcc, 0, v4
	v_mov_b32_e32 v2, 0
	s_andn2_b64 s[4:5], s[4:5], exec
	s_and_b64 s[8:9], vcc, exec
	v_mov_b32_e32 v3, 0
	s_or_b64 s[4:5], s[4:5], s[8:9]
; %bb.178:
	s_or_b64 exec, exec, s[6:7]
	s_and_saveexec_b64 s[6:7], s[4:5]
	s_cbranch_execz .LBB86_180
; %bb.179:
	v_and_b32_e32 v3, 0xffff, v4
	v_lshlrev_b32_e32 v2, 24, v4
	v_and_b32_e32 v4, 7, v3
	v_ffbh_u32_e32 v6, v4
	v_min_u32_e32 v6, 32, v6
	v_subrev_u32_e32 v7, 28, v6
	v_bfe_u32 v5, v3, 3, 4
	v_lshlrev_b32_e32 v3, v7, v3
	v_sub_u32_e32 v6, 29, v6
	v_and_b32_e32 v3, 7, v3
	v_cmp_eq_u32_e32 vcc, 0, v5
	v_cndmask_b32_e32 v5, v5, v6, vcc
	v_cndmask_b32_e32 v3, v4, v3, vcc
	v_mov_b32_e32 v4, 0x3b800000
	v_lshlrev_b32_e32 v3, 20, v3
	v_and_b32_e32 v2, 0x80000000, v2
	v_lshl_add_u32 v4, v5, 23, v4
	v_or3_b32 v2, v2, v4, v3
	v_cvt_f64_f32_e32 v[2:3], v2
.LBB86_180:
	s_or_b64 exec, exec, s[6:7]
.LBB86_181:
	s_mov_b64 s[4:5], -1
.LBB86_182:
	s_branch .LBB86_215
.LBB86_183:
	s_cmp_gt_i32 s10, 22
	s_cbranch_scc0 .LBB86_195
; %bb.184:
	s_cmp_lt_i32 s10, 24
	s_cbranch_scc1 .LBB86_196
; %bb.185:
	s_cmp_gt_i32 s10, 24
	s_cbranch_scc0 .LBB86_197
; %bb.186:
	global_load_ubyte v4, v[0:1], off
	s_movk_i32 s4, 0x7f
	s_waitcnt vmcnt(0)
	v_cmp_lt_i16_e32 vcc, s4, v4
	s_mov_b64 s[4:5], 0
	s_and_saveexec_b64 s[6:7], vcc
	s_xor_b64 s[6:7], exec, s[6:7]
	s_cbranch_execz .LBB86_190
; %bb.187:
	s_movk_i32 s4, 0x80
	v_cmp_eq_u16_e32 vcc, s4, v4
	s_mov_b64 s[4:5], -1
	s_and_saveexec_b64 s[8:9], vcc
; %bb.188:
	s_xor_b64 s[4:5], exec, -1
; %bb.189:
	s_or_b64 exec, exec, s[8:9]
	s_and_b64 s[4:5], s[4:5], exec
.LBB86_190:
	s_or_saveexec_b64 s[6:7], s[6:7]
	v_bfrev_b32_e32 v2, 4
	v_mov_b32_e32 v3, 0x7ff80000
	s_xor_b64 exec, exec, s[6:7]
; %bb.191:
	v_cmp_ne_u16_e32 vcc, 0, v4
	v_mov_b32_e32 v2, 0
	s_andn2_b64 s[4:5], s[4:5], exec
	s_and_b64 s[8:9], vcc, exec
	v_mov_b32_e32 v3, 0
	s_or_b64 s[4:5], s[4:5], s[8:9]
; %bb.192:
	s_or_b64 exec, exec, s[6:7]
	s_and_saveexec_b64 s[6:7], s[4:5]
	s_cbranch_execz .LBB86_194
; %bb.193:
	v_and_b32_e32 v3, 0xffff, v4
	v_lshlrev_b32_e32 v2, 24, v4
	v_and_b32_e32 v4, 3, v3
	v_ffbh_u32_e32 v6, v4
	v_min_u32_e32 v6, 32, v6
	v_subrev_u32_e32 v7, 29, v6
	v_bfe_u32 v5, v3, 2, 5
	v_lshlrev_b32_e32 v3, v7, v3
	v_sub_u32_e32 v6, 30, v6
	v_and_b32_e32 v3, 3, v3
	v_cmp_eq_u32_e32 vcc, 0, v5
	v_cndmask_b32_e32 v5, v5, v6, vcc
	v_cndmask_b32_e32 v3, v4, v3, vcc
	v_mov_b32_e32 v4, 0x37800000
	v_lshlrev_b32_e32 v3, 21, v3
	v_and_b32_e32 v2, 0x80000000, v2
	v_lshl_add_u32 v4, v5, 23, v4
	v_or3_b32 v2, v2, v4, v3
	v_cvt_f64_f32_e32 v[2:3], v2
.LBB86_194:
	s_or_b64 exec, exec, s[6:7]
	s_mov_b64 s[4:5], 0
	s_branch .LBB86_198
.LBB86_195:
	s_mov_b64 s[6:7], -1
                                        ; implicit-def: $vgpr2_vgpr3
	s_branch .LBB86_204
.LBB86_196:
	s_mov_b64 s[4:5], -1
                                        ; implicit-def: $vgpr2_vgpr3
	s_branch .LBB86_201
.LBB86_197:
	s_mov_b64 s[4:5], -1
                                        ; implicit-def: $vgpr2_vgpr3
.LBB86_198:
	s_and_b64 vcc, exec, s[4:5]
	s_cbranch_vccz .LBB86_200
; %bb.199:
	global_load_ubyte v2, v[0:1], off
	s_mov_b32 s4, 0x7f800000
	s_waitcnt vmcnt(0)
	v_lshlrev_b32_e32 v2, 24, v2
	v_and_b32_e32 v3, 0x7f000000, v2
	v_ffbh_u32_e32 v4, v3
	v_min_u32_e32 v4, 32, v4
	v_sub_u32_e64 v4, v4, 4 clamp
	v_lshlrev_b32_e32 v6, v4, v3
	v_lshlrev_b32_e32 v4, 23, v4
	v_lshrrev_b32_e32 v6, 4, v6
	v_add_u32_e32 v5, 0x1000000, v3
	v_sub_u32_e32 v4, v6, v4
	v_ashrrev_i32_e32 v5, 8, v5
	v_add_u32_e32 v4, 0x3c000000, v4
	v_and_or_b32 v4, v5, s4, v4
	v_cmp_ne_u32_e32 vcc, 0, v3
	v_cndmask_b32_e32 v3, 0, v4, vcc
	s_brev_b32 s4, 1
	v_and_or_b32 v2, v2, s4, v3
	v_cvt_f64_f32_e32 v[2:3], v2
.LBB86_200:
	s_mov_b64 s[4:5], 0
.LBB86_201:
	s_andn2_b64 vcc, exec, s[4:5]
	s_cbranch_vccnz .LBB86_203
; %bb.202:
	global_load_ubyte v2, v[0:1], off
	s_movk_i32 s4, 0x7f00
	s_brev_b32 s5, 16
	s_waitcnt vmcnt(0)
	v_lshlrev_b16_e32 v3, 8, v2
	v_lshlrev_b32_e32 v2, 25, v2
	v_lshrrev_b32_e32 v4, 4, v2
	v_and_or_b32 v5, v3, s4, 0.5
	v_or_b32_e32 v4, 0x70000000, v4
	v_add_f32_e32 v5, -0.5, v5
	v_mul_f32_e32 v4, 0x7800000, v4
	v_cmp_gt_u32_e32 vcc, s5, v2
	v_bfe_i32 v3, v3, 0, 16
	v_cndmask_b32_e32 v2, v4, v5, vcc
	s_brev_b32 s4, 1
	v_and_or_b32 v2, v3, s4, v2
	v_cvt_f64_f32_e32 v[2:3], v2
.LBB86_203:
	s_mov_b64 s[6:7], 0
	s_mov_b64 s[4:5], -1
.LBB86_204:
	s_andn2_b64 vcc, exec, s[6:7]
	s_cbranch_vccnz .LBB86_215
; %bb.205:
	s_cmp_gt_i32 s10, 14
	s_cbranch_scc0 .LBB86_208
; %bb.206:
	s_cmp_eq_u32 s10, 15
	s_cbranch_scc0 .LBB86_209
; %bb.207:
	global_load_ushort v2, v[0:1], off
	s_mov_b64 s[6:7], 0
	v_writelane_b32 v47, s6, 22
	s_mov_b64 s[4:5], -1
	v_writelane_b32 v47, s7, 23
	s_waitcnt vmcnt(0)
	v_lshlrev_b32_e32 v2, 16, v2
	v_cvt_f64_f32_e32 v[2:3], v2
	s_branch .LBB86_210
.LBB86_208:
	s_mov_b64 s[6:7], -1
                                        ; implicit-def: $vgpr2_vgpr3
	s_branch .LBB86_211
.LBB86_209:
	s_mov_b64 s[6:7], -1
	v_writelane_b32 v47, s6, 22
	v_writelane_b32 v47, s7, 23
                                        ; implicit-def: $vgpr2_vgpr3
.LBB86_210:
	s_mov_b64 s[6:7], 0
.LBB86_211:
	s_and_b64 vcc, exec, s[6:7]
	s_cbranch_vccz .LBB86_215
; %bb.212:
	s_cmp_eq_u32 s10, 11
	s_cbranch_scc0 .LBB86_214
; %bb.213:
	global_load_ubyte v3, v[0:1], off
	v_mov_b32_e32 v4, 0x3ff00000
	s_mov_b64 s[6:7], 0
	v_mov_b32_e32 v2, 0
	s_mov_b64 s[4:5], -1
	v_writelane_b32 v47, s6, 22
	v_writelane_b32 v47, s7, 23
	s_waitcnt vmcnt(0)
	v_cmp_ne_u16_e32 vcc, 0, v3
	v_cndmask_b32_e32 v3, 0, v4, vcc
	s_branch .LBB86_215
.LBB86_214:
	s_mov_b64 s[6:7], -1
	v_writelane_b32 v47, s6, 22
	v_writelane_b32 v47, s7, 23
                                        ; implicit-def: $vgpr2_vgpr3
.LBB86_215:
	s_branch .LBB86_24
.LBB86_216:
	s_cmp_lt_i32 s10, 5
	s_cbranch_scc1 .LBB86_221
; %bb.217:
	s_cmp_lt_i32 s10, 8
	s_cbranch_scc1 .LBB86_222
; %bb.218:
	;; [unrolled: 3-line block ×3, first 2 shown]
	s_cmp_gt_i32 s10, 9
	s_cbranch_scc0 .LBB86_224
; %bb.220:
	global_load_dwordx2 v[2:3], v[0:1], off
	s_mov_b64 s[4:5], 0
	s_branch .LBB86_225
.LBB86_221:
                                        ; implicit-def: $vgpr2_vgpr3
	s_branch .LBB86_243
.LBB86_222:
	s_mov_b64 s[4:5], -1
                                        ; implicit-def: $vgpr2_vgpr3
	s_branch .LBB86_231
.LBB86_223:
	s_mov_b64 s[4:5], -1
                                        ; implicit-def: $vgpr2_vgpr3
	s_branch .LBB86_228
.LBB86_224:
	s_mov_b64 s[4:5], -1
                                        ; implicit-def: $vgpr2_vgpr3
.LBB86_225:
	s_andn2_b64 vcc, exec, s[4:5]
	s_cbranch_vccnz .LBB86_227
; %bb.226:
	global_load_dword v2, v[0:1], off
	s_waitcnt vmcnt(0)
	v_cvt_f64_f32_e32 v[2:3], v2
.LBB86_227:
	s_mov_b64 s[4:5], 0
.LBB86_228:
	s_andn2_b64 vcc, exec, s[4:5]
	s_cbranch_vccnz .LBB86_230
; %bb.229:
	global_load_dword v2, v[0:1], off
	s_waitcnt vmcnt(0)
	v_cvt_f32_f16_e32 v2, v2
	v_cvt_f64_f32_e32 v[2:3], v2
.LBB86_230:
	s_mov_b64 s[4:5], 0
.LBB86_231:
	s_andn2_b64 vcc, exec, s[4:5]
	s_cbranch_vccnz .LBB86_242
; %bb.232:
	s_cmp_lt_i32 s10, 6
	s_cbranch_scc1 .LBB86_235
; %bb.233:
	s_cmp_gt_i32 s10, 6
	s_cbranch_scc0 .LBB86_236
; %bb.234:
	global_load_dwordx2 v[2:3], v[0:1], off
	s_mov_b64 s[4:5], 0
	s_branch .LBB86_237
.LBB86_235:
	s_mov_b64 s[4:5], -1
                                        ; implicit-def: $vgpr2_vgpr3
	s_branch .LBB86_240
.LBB86_236:
	s_mov_b64 s[4:5], -1
                                        ; implicit-def: $vgpr2_vgpr3
.LBB86_237:
	s_andn2_b64 vcc, exec, s[4:5]
	s_cbranch_vccnz .LBB86_239
; %bb.238:
	global_load_dword v2, v[0:1], off
	s_waitcnt vmcnt(0)
	v_cvt_f64_f32_e32 v[2:3], v2
.LBB86_239:
	s_mov_b64 s[4:5], 0
.LBB86_240:
	s_andn2_b64 vcc, exec, s[4:5]
	s_cbranch_vccnz .LBB86_242
; %bb.241:
	global_load_ushort v2, v[0:1], off
	s_waitcnt vmcnt(0)
	v_cvt_f32_f16_e32 v2, v2
	v_cvt_f64_f32_e32 v[2:3], v2
.LBB86_242:
	s_cbranch_execnz .LBB86_262
.LBB86_243:
	s_cmp_lt_i32 s10, 2
	s_cbranch_scc1 .LBB86_247
; %bb.244:
	s_cmp_lt_i32 s10, 3
	s_cbranch_scc1 .LBB86_248
; %bb.245:
	s_cmp_gt_i32 s10, 3
	s_cbranch_scc0 .LBB86_249
; %bb.246:
	global_load_dwordx2 v[2:3], v[0:1], off
	s_mov_b64 s[4:5], 0
	s_waitcnt vmcnt(0)
	v_cvt_f64_i32_e32 v[3:4], v3
	v_cvt_f64_u32_e32 v[5:6], v2
	v_ldexp_f64 v[3:4], v[3:4], 32
	v_add_f64 v[2:3], v[3:4], v[5:6]
	s_branch .LBB86_250
.LBB86_247:
	s_mov_b64 s[4:5], -1
                                        ; implicit-def: $vgpr2_vgpr3
	s_branch .LBB86_256
.LBB86_248:
	s_mov_b64 s[4:5], -1
                                        ; implicit-def: $vgpr2_vgpr3
	s_branch .LBB86_253
.LBB86_249:
	s_mov_b64 s[4:5], -1
                                        ; implicit-def: $vgpr2_vgpr3
.LBB86_250:
	s_andn2_b64 vcc, exec, s[4:5]
	s_cbranch_vccnz .LBB86_252
; %bb.251:
	global_load_dword v2, v[0:1], off
	s_waitcnt vmcnt(0)
	v_cvt_f64_i32_e32 v[2:3], v2
.LBB86_252:
	s_mov_b64 s[4:5], 0
.LBB86_253:
	s_andn2_b64 vcc, exec, s[4:5]
	s_cbranch_vccnz .LBB86_255
; %bb.254:
	global_load_sshort v2, v[0:1], off
	s_waitcnt vmcnt(0)
	v_cvt_f64_i32_e32 v[2:3], v2
.LBB86_255:
	s_mov_b64 s[4:5], 0
.LBB86_256:
	s_andn2_b64 vcc, exec, s[4:5]
	s_cbranch_vccnz .LBB86_262
; %bb.257:
	s_cmp_gt_i32 s10, 0
	s_cbranch_scc0 .LBB86_259
; %bb.258:
	global_load_sbyte v2, v[0:1], off
	s_mov_b64 s[4:5], 0
	s_waitcnt vmcnt(0)
	v_cvt_f64_i32_e32 v[2:3], v2
	s_branch .LBB86_260
.LBB86_259:
	s_mov_b64 s[4:5], -1
                                        ; implicit-def: $vgpr2_vgpr3
.LBB86_260:
	s_andn2_b64 vcc, exec, s[4:5]
	s_cbranch_vccnz .LBB86_262
; %bb.261:
	global_load_ubyte v0, v[0:1], off
	s_waitcnt vmcnt(0)
	v_cvt_f64_u32_e32 v[2:3], v0
.LBB86_262:
	s_branch .LBB86_25
.LBB86_263:
	s_mov_b64 s[4:5], 0
.LBB86_264:
	s_mov_b64 s[6:7], 0
                                        ; implicit-def: $vgpr43
.LBB86_265:
	s_and_b64 s[4:5], s[4:5], exec
	v_writelane_b32 v47, s4, 24
	v_writelane_b32 v47, s5, 25
	v_readlane_b32 s4, v47, 22
	v_readlane_b32 s5, v47, 23
	s_and_b64 s[4:5], s[4:5], exec
	v_writelane_b32 v47, s4, 22
	s_orn2_b64 s[6:7], s[6:7], exec
	v_writelane_b32 v47, s5, 23
.LBB86_266:
	v_readlane_b32 s4, v47, 28
	v_readlane_b32 s5, v47, 29
	s_or_b64 exec, exec, s[4:5]
	s_mov_b64 s[8:9], 0
	s_mov_b64 s[4:5], 0
                                        ; implicit-def: $vgpr0_vgpr1
                                        ; implicit-def: $vgpr41
                                        ; implicit-def: $vgpr2_vgpr3
	s_mov_b64 s[10:11], exec
	v_writelane_b32 v47, s10, 34
	s_and_b64 s[6:7], s[10:11], s[6:7]
	s_mov_b64 s[12:13], 0
	v_writelane_b32 v47, s11, 35
	s_mov_b64 exec, s[6:7]
	s_cbranch_execz .LBB86_915
; %bb.267:
	v_readlane_b32 s6, v47, 22
	v_readlane_b32 s7, v47, 23
	v_readlane_b32 s4, v47, 21
	v_writelane_b32 v47, s6, 28
	v_writelane_b32 v47, s7, 29
	v_readlane_b32 s6, v47, 24
	v_readlane_b32 s7, v47, 25
	v_cmp_gt_i32_e32 vcc, s4, v43
	s_mov_b64 s[4:5], -1
	v_writelane_b32 v47, s6, 40
	v_writelane_b32 v47, s7, 41
	s_mov_b64 s[6:7], exec
	v_writelane_b32 v47, s6, 42
	v_writelane_b32 v47, s7, 43
	s_and_b64 s[6:7], s[6:7], vcc
	s_mov_b64 exec, s[6:7]
	s_cbranch_execz .LBB86_539
; %bb.268:
	s_andn2_b64 vcc, exec, s[44:45]
	s_cbranch_vccnz .LBB86_273
; %bb.269:
	v_readlane_b32 s4, v47, 2
	v_readlane_b32 s5, v47, 3
	s_andn2_b64 vcc, exec, s[4:5]
	s_cbranch_vccnz .LBB86_274
; %bb.270:
	v_readlane_b32 s4, v47, 6
	s_add_i32 s29, s4, 1
	s_cmp_eq_u32 s52, 2
	s_cbranch_scc1 .LBB86_275
; %bb.271:
	v_readlane_b32 s26, v47, 4
	s_and_b32 s28, s29, 28
	v_mov_b32_e32 v0, 0
	s_mov_b32 s30, 0
	s_mov_b64 s[24:25], s[46:47]
	v_readlane_b32 s27, v47, 5
	v_mov_b32_e32 v41, 0
	v_mov_b32_e32 v1, v43
.LBB86_272:                             ; =>This Inner Loop Header: Depth=1
	s_load_dwordx8 s[12:19], s[24:25], 0x4
	s_load_dwordx4 s[20:23], s[24:25], 0x24
	s_load_dwordx8 s[4:11], s[26:27], 0x0
	s_add_u32 s24, s24, 48
	s_addc_u32 s25, s25, 0
	s_waitcnt vmcnt(0) lgkmcnt(0)
	v_mul_hi_u32 v2, s13, v1
	s_add_i32 s30, s30, 4
	s_add_u32 s26, s26, 32
	s_addc_u32 s27, s27, 0
	v_add_u32_e32 v2, v1, v2
	v_lshrrev_b32_e32 v2, s14, v2
	v_mul_lo_u32 v3, v2, s12
	v_mul_hi_u32 v4, s16, v2
	s_cmp_eq_u32 s28, s30
	v_sub_u32_e32 v1, v1, v3
	v_add_u32_e32 v3, v2, v4
	v_mul_lo_u32 v4, v1, s4
	v_mul_lo_u32 v5, v1, s5
	v_lshrrev_b32_e32 v1, s17, v3
	v_mul_lo_u32 v3, v1, s15
	v_mul_hi_u32 v6, s19, v1
	v_sub_u32_e32 v2, v2, v3
	v_add_u32_e32 v3, v1, v6
	v_lshrrev_b32_e32 v3, s20, v3
	v_mul_hi_u32 v7, s22, v3
	v_mul_lo_u32 v8, v3, s18
	v_mul_lo_u32 v6, v2, s6
	v_mul_lo_u32 v2, v2, s7
	v_sub_u32_e32 v8, v1, v8
	v_add_u32_e32 v1, v3, v7
	v_lshrrev_b32_e32 v1, s23, v1
	v_mul_lo_u32 v7, v1, s21
	v_mul_lo_u32 v9, v8, s8
	;; [unrolled: 1-line block ×3, first 2 shown]
	v_add3_u32 v4, v4, v41, v6
	v_sub_u32_e32 v3, v3, v7
	v_mul_lo_u32 v7, v3, s10
	v_mul_lo_u32 v3, v3, s11
	v_add3_u32 v0, v5, v0, v2
	v_add3_u32 v41, v9, v4, v7
	;; [unrolled: 1-line block ×3, first 2 shown]
	s_cbranch_scc0 .LBB86_272
	s_branch .LBB86_276
.LBB86_273:
                                        ; implicit-def: $vgpr41
                                        ; implicit-def: $vgpr0
	s_andn2_b64 vcc, exec, s[4:5]
	s_cbranch_vccz .LBB86_280
	s_branch .LBB86_282
.LBB86_274:
	v_mov_b32_e32 v41, 0
	v_mov_b32_e32 v0, 0
	s_branch .LBB86_279
.LBB86_275:
	s_mov_b32 s28, 0
	v_mov_b32_e32 v41, 0
	v_mov_b32_e32 v0, 0
	v_mov_b32_e32 v1, v43
.LBB86_276:
	s_and_b32 s8, s29, 3
	s_cmp_eq_u32 s8, 0
	s_cbranch_scc1 .LBB86_279
; %bb.277:
	s_lshl_b32 s4, s28, 3
	s_add_u32 s4, s46, s4
	s_addc_u32 s5, s47, 0
	s_add_u32 s4, s4, 0xc4
	s_addc_u32 s5, s5, 0
	s_mul_i32 s6, s28, 12
	s_add_u32 s6, s46, s6
	s_addc_u32 s7, s47, 0
.LBB86_278:                             ; =>This Inner Loop Header: Depth=1
	s_load_dwordx2 s[10:11], s[6:7], 0x4
	s_load_dword s9, s[6:7], 0xc
	s_load_dwordx2 s[12:13], s[4:5], 0x0
	s_add_u32 s6, s6, 12
	s_addc_u32 s7, s7, 0
	s_waitcnt vmcnt(0) lgkmcnt(0)
	v_mul_hi_u32 v2, s11, v1
	s_add_u32 s4, s4, 8
	s_addc_u32 s5, s5, 0
	s_add_i32 s8, s8, -1
	v_add_u32_e32 v2, v1, v2
	v_lshrrev_b32_e32 v2, s9, v2
	v_mul_lo_u32 v3, v2, s10
	s_cmp_lg_u32 s8, 0
	v_sub_u32_e32 v1, v1, v3
	v_mad_u64_u32 v[41:42], s[10:11], v1, s12, v[41:42]
	v_mad_u64_u32 v[0:1], s[10:11], v1, s13, v[0:1]
	v_mov_b32_e32 v1, v2
	s_cbranch_scc1 .LBB86_278
.LBB86_279:
	s_cbranch_execnz .LBB86_282
.LBB86_280:
	v_readlane_b32 s4, v47, 7
	v_readlane_b32 s5, v47, 8
	v_mul_hi_u32 v0, s5, v43
	v_readlane_b32 s6, v47, 9
	v_readlane_b32 s8, v47, 15
	;; [unrolled: 1-line block ×3, first 2 shown]
	v_add_u32_e32 v0, v43, v0
	v_lshrrev_b32_e32 v1, s6, v0
	v_mul_lo_u32 v0, v1, s4
	v_readlane_b32 s4, v47, 13
	v_readlane_b32 s5, v47, 14
	;; [unrolled: 1-line block ×3, first 2 shown]
	v_sub_u32_e32 v0, v43, v0
	v_mul_lo_u32 v41, v0, s8
	v_mul_lo_u32 v0, v0, s9
	v_readlane_b32 s10, v47, 17
	v_readlane_b32 s11, v47, 18
	s_andn2_b64 vcc, exec, s[4:5]
	s_cbranch_vccnz .LBB86_282
; %bb.281:
	v_readlane_b32 s4, v47, 11
	s_waitcnt vmcnt(0)
	v_mul_hi_u32 v2, s4, v1
	v_readlane_b32 s5, v47, 12
	v_add_u32_e32 v2, v1, v2
	v_lshrrev_b32_e32 v2, s5, v2
	v_mul_lo_u32 v2, v2, s7
	v_sub_u32_e32 v1, v1, v2
	v_mad_u64_u32 v[41:42], s[4:5], v1, s10, v[41:42]
	v_mad_u64_u32 v[0:1], s[4:5], v1, s11, v[0:1]
.LBB86_282:
	v_readlane_b32 s4, v47, 19
	v_mov_b32_e32 v1, s99
	s_and_b32 s10, 0xffff, s4
	v_add_co_u32_e32 v0, vcc, s98, v0
	s_cmp_lt_i32 s10, 11
	v_addc_co_u32_e32 v1, vcc, 0, v1, vcc
	s_cbranch_scc1 .LBB86_289
; %bb.283:
	s_cmp_gt_i32 s10, 25
	s_cbranch_scc0 .LBB86_298
; %bb.284:
	s_cmp_gt_i32 s10, 28
	s_cbranch_scc0 .LBB86_300
; %bb.285:
	s_cmp_gt_i32 s10, 43
	s_cbranch_scc0 .LBB86_302
; %bb.286:
	s_cmp_gt_i32 s10, 45
	s_cbranch_scc0 .LBB86_306
; %bb.287:
	s_cmp_eq_u32 s10, 46
	s_mov_b64 s[6:7], 0
	s_cbranch_scc0 .LBB86_310
; %bb.288:
	global_load_dword v2, v[0:1], off
	s_mov_b64 s[8:9], 0
	v_writelane_b32 v47, s8, 28
	s_mov_b64 s[4:5], -1
	v_writelane_b32 v47, s9, 29
	s_waitcnt vmcnt(0)
	v_lshlrev_b32_e32 v2, 16, v2
	v_cvt_f64_f32_e32 v[2:3], v2
	s_branch .LBB86_311
.LBB86_289:
	v_readlane_b32 s8, v47, 22
	v_readlane_b32 s9, v47, 23
	v_writelane_b32 v47, s8, 28
	s_mov_b64 s[4:5], 0
                                        ; implicit-def: $vgpr2_vgpr3
	v_writelane_b32 v47, s9, 29
	s_cbranch_execnz .LBB86_489
.LBB86_290:
	s_andn2_b64 vcc, exec, s[4:5]
	s_cbranch_vccnz .LBB86_537
.LBB86_291:
	v_writelane_b32 v47, s52, 36
	v_writelane_b32 v47, s39, 37
	v_writelane_b32 v47, s40, 38
	s_getpc_b64 s[4:5]
	s_add_u32 s4, s4, _ZZZZN2at6native21polygamma_kernel_cudaERNS_18TensorIteratorBaseElENKUlvE_clEvENKUlvE_clEvENKUldE_clEd@rel32@lo+4
	s_addc_u32 s5, s5, _ZZZZN2at6native21polygamma_kernel_cudaERNS_18TensorIteratorBaseElENKUlvE_clEvENKUlvE_clEvENKUldE_clEd@rel32@hi+12
	v_mov_b32_e32 v0, s54
	v_mov_b32_e32 v1, s55
	s_mov_b32 s33, s87
	v_writelane_b32 v47, s41, 39
	s_mov_b64 s[86:87], s[54:55]
	s_swappc_b64 s[30:31], s[4:5]
	v_mov_b32_e32 v2, s97
	s_and_b32 s12, s33, 0xff
	v_add_co_u32_e32 v4, vcc, s96, v41
	s_mov_b32 s10, s33
	s_cmp_lt_i32 s12, 11
	v_addc_co_u32_e32 v5, vcc, 0, v2, vcc
	s_cbranch_scc1 .LBB86_299
; %bb.292:
	s_and_b32 s13, 0xffff, s12
	s_cmp_gt_i32 s13, 25
	s_cbranch_scc0 .LBB86_301
; %bb.293:
	v_readlane_b32 s40, v47, 38
	v_readlane_b32 s44, v47, 30
	s_cmp_gt_i32 s13, 28
	v_readlane_b32 s41, v47, 39
	v_readlane_b32 s39, v47, 37
	s_mov_b64 s[42:43], 0
	v_readlane_b32 s45, v47, 31
	s_mov_b64 s[54:55], s[86:87]
	s_cbranch_scc0 .LBB86_303
; %bb.294:
	v_readlane_b32 s46, v47, 32
	s_cmp_gt_i32 s13, 43
	v_readlane_b32 s52, v47, 36
	v_readlane_b32 s47, v47, 33
	s_mov_b32 s87, s10
	s_cbranch_scc0 .LBB86_307
; %bb.295:
	s_cmp_gt_i32 s13, 45
	s_cbranch_scc0 .LBB86_314
; %bb.296:
	s_mov_b64 s[8:9], 0
	s_mov_b64 s[4:5], -1
	s_cmp_eq_u32 s13, 46
	s_mov_b64 s[6:7], 0
	s_cbranch_scc0 .LBB86_315
; %bb.297:
	v_cvt_f32_f64_e32 v2, v[0:1]
	s_movk_i32 s4, 0x7fff
	v_mov_b32_e32 v3, 0x7fc0
	s_mov_b64 s[6:7], -1
	v_bfe_u32 v6, v2, 16, 1
	v_cmp_o_f32_e32 vcc, v2, v2
	v_add3_u32 v2, v2, v6, s4
	v_cndmask_b32_sdwa v2, v3, v2, vcc dst_sel:DWORD dst_unused:UNUSED_PAD src0_sel:DWORD src1_sel:WORD_1
	global_store_dword v[4:5], v2, off
	s_mov_b64 s[4:5], 0
	s_branch .LBB86_315
.LBB86_298:
	v_readlane_b32 s8, v47, 22
	v_readlane_b32 s9, v47, 23
	s_mov_b64 s[6:7], -1
	s_mov_b64 s[4:5], 0
	v_writelane_b32 v47, s8, 28
                                        ; implicit-def: $vgpr2_vgpr3
	v_writelane_b32 v47, s9, 29
	s_branch .LBB86_455
.LBB86_299:
	v_readlane_b32 s4, v47, 24
	v_readlane_b32 s40, v47, 38
	;; [unrolled: 1-line block ×4, first 2 shown]
	s_mov_b64 s[8:9], -1
	s_mov_b64 s[6:7], 0
	v_readlane_b32 s5, v47, 25
	v_readlane_b32 s41, v47, 39
	;; [unrolled: 1-line block ×4, first 2 shown]
	s_mov_b64 s[42:43], 0
	v_readlane_b32 s45, v47, 31
	v_readlane_b32 s47, v47, 33
	s_mov_b64 s[54:55], s[86:87]
	s_mov_b32 s87, s10
	s_branch .LBB86_384
.LBB86_300:
	v_readlane_b32 s8, v47, 22
	v_readlane_b32 s9, v47, 23
	s_mov_b64 s[6:7], -1
	s_mov_b64 s[4:5], 0
	v_writelane_b32 v47, s8, 28
                                        ; implicit-def: $vgpr2_vgpr3
	v_writelane_b32 v47, s9, 29
	s_branch .LBB86_434
.LBB86_301:
	v_readlane_b32 s4, v47, 24
	v_readlane_b32 s40, v47, 38
	v_readlane_b32 s44, v47, 30
	v_readlane_b32 s46, v47, 32
	s_mov_b64 s[8:9], -1
	s_mov_b64 s[6:7], 0
	v_readlane_b32 s5, v47, 25
	v_readlane_b32 s41, v47, 39
	;; [unrolled: 1-line block ×4, first 2 shown]
	s_mov_b64 s[42:43], 0
	v_readlane_b32 s45, v47, 31
	v_readlane_b32 s47, v47, 33
	s_mov_b64 s[54:55], s[86:87]
	s_mov_b32 s87, s10
	s_branch .LBB86_342
.LBB86_302:
	v_readlane_b32 s8, v47, 22
	v_readlane_b32 s9, v47, 23
	s_mov_b64 s[6:7], -1
	s_mov_b64 s[4:5], 0
	v_writelane_b32 v47, s8, 28
                                        ; implicit-def: $vgpr2_vgpr3
	v_writelane_b32 v47, s9, 29
	s_branch .LBB86_429
.LBB86_303:
	v_readlane_b32 s4, v47, 24
	v_readlane_b32 s46, v47, 32
	s_mov_b64 s[8:9], -1
	s_mov_b64 s[6:7], 0
	v_readlane_b32 s5, v47, 25
	v_readlane_b32 s52, v47, 36
	;; [unrolled: 1-line block ×3, first 2 shown]
	s_mov_b32 s87, s10
	s_branch .LBB86_325
.LBB86_304:
	s_andn2_saveexec_b64 s[10:11], s[10:11]
	s_cbranch_execz .LBB86_68
.LBB86_305:
	s_mov_b32 s14, 0x46000000
	v_add_f32_e64 v3, |v2|, s14
	v_and_b32_e32 v3, 0xff, v3
	v_cmp_ne_u32_e32 vcc, 0, v3
	s_andn2_b64 s[8:9], s[8:9], exec
	s_and_b64 s[14:15], vcc, exec
	s_or_b64 s[8:9], s[8:9], s[14:15]
	s_or_b64 exec, exec, s[10:11]
	v_mov_b32_e32 v6, 0
	s_and_saveexec_b64 s[10:11], s[8:9]
	s_cbranch_execnz .LBB86_69
	s_branch .LBB86_70
.LBB86_306:
	v_readlane_b32 s8, v47, 22
	v_readlane_b32 s9, v47, 23
	s_mov_b64 s[6:7], -1
	s_mov_b64 s[4:5], 0
	v_writelane_b32 v47, s8, 28
	v_writelane_b32 v47, s9, 29
                                        ; implicit-def: $vgpr2_vgpr3
	s_branch .LBB86_311
.LBB86_307:
	v_readlane_b32 s4, v47, 24
	s_mov_b64 s[8:9], -1
	s_mov_b64 s[6:7], 0
	v_readlane_b32 s5, v47, 25
	s_branch .LBB86_321
.LBB86_308:
	s_andn2_saveexec_b64 s[10:11], s[10:11]
	s_cbranch_execz .LBB86_81
.LBB86_309:
	s_mov_b32 s14, 0x42800000
	v_add_f32_e64 v3, |v2|, s14
	v_and_b32_e32 v3, 0xff, v3
	v_cmp_ne_u32_e32 vcc, 0, v3
	s_andn2_b64 s[8:9], s[8:9], exec
	s_and_b64 s[14:15], vcc, exec
	s_or_b64 s[8:9], s[8:9], s[14:15]
	s_or_b64 exec, exec, s[10:11]
	v_mov_b32_e32 v6, 0
	s_and_saveexec_b64 s[10:11], s[8:9]
	s_cbranch_execnz .LBB86_82
	s_branch .LBB86_83
.LBB86_310:
	s_mov_b64 s[4:5], -1
	v_writelane_b32 v47, s4, 28
	v_writelane_b32 v47, s5, 29
                                        ; implicit-def: $vgpr2_vgpr3
	s_mov_b64 s[4:5], 0
.LBB86_311:
	s_and_b64 vcc, exec, s[6:7]
	s_cbranch_vccz .LBB86_428
; %bb.312:
	s_cmp_eq_u32 s10, 44
	s_cbranch_scc0 .LBB86_427
; %bb.313:
	global_load_ubyte v4, v[0:1], off
	s_movk_i32 s6, 0xff
	v_bfrev_b32_e32 v5, 4
	v_mov_b32_e32 v6, 0x7ff80000
	v_bfrev_b32_e32 v7, 28
	s_mov_b64 s[4:5], -1
	s_waitcnt vmcnt(0)
	v_lshlrev_b32_e32 v2, 23, v4
	v_cvt_f64_f32_e32 v[2:3], v2
	v_cmp_ne_u32_e32 vcc, s6, v4
	s_mov_b64 s[6:7], 0
	v_writelane_b32 v47, s6, 28
	v_cndmask_b32_e32 v2, v5, v2, vcc
	v_cndmask_b32_e32 v3, v6, v3, vcc
	v_cmp_ne_u32_e32 vcc, 0, v4
	v_cndmask_b32_e32 v3, v7, v3, vcc
	v_cndmask_b32_e32 v2, 0, v2, vcc
	v_writelane_b32 v47, s7, 29
	s_branch .LBB86_428
.LBB86_314:
	v_readlane_b32 s4, v47, 24
	s_mov_b64 s[8:9], -1
	s_mov_b64 s[6:7], 0
	v_readlane_b32 s5, v47, 25
.LBB86_315:
	s_and_b64 vcc, exec, s[8:9]
	s_cbranch_vccz .LBB86_320
; %bb.316:
	s_cmp_eq_u32 s13, 44
	s_mov_b64 s[4:5], -1
	s_cbranch_scc0 .LBB86_320
; %bb.317:
	v_cvt_f32_f64_e32 v2, v[0:1]
	s_movk_i32 s4, 0xff
	v_mov_b32_e32 v6, 0xff
	v_bfe_u32 v3, v2, 23, 8
	v_cmp_ne_u32_e32 vcc, s4, v3
	s_and_saveexec_b64 s[6:7], vcc
; %bb.318:
	s_mov_b32 s4, 0x3fffff
	v_lshrrev_b32_e32 v6, 23, v2
	v_and_b32_e32 v7, 0x400000, v2
	v_and_or_b32 v2, v2, s4, v3
	v_cmp_ne_u32_e32 vcc, 0, v7
	v_cmp_ne_u32_e64 s[4:5], 0, v2
	s_and_b64 s[4:5], vcc, s[4:5]
	v_cndmask_b32_e64 v2, 0, 1, s[4:5]
	v_add_u32_e32 v6, v6, v2
; %bb.319:
	s_or_b64 exec, exec, s[6:7]
	s_mov_b64 s[6:7], -1
	s_mov_b64 s[4:5], 0
	global_store_byte v[4:5], v6, off
.LBB86_320:
	s_mov_b64 s[8:9], 0
.LBB86_321:
	s_and_b64 vcc, exec, s[8:9]
	s_cbranch_vccz .LBB86_324
; %bb.322:
	s_cmp_eq_u32 s13, 29
	s_mov_b64 s[4:5], -1
	s_cbranch_scc0 .LBB86_324
; %bb.323:
	v_trunc_f64_e32 v[2:3], v[0:1]
	s_movk_i32 s4, 0xffe0
	s_mov_b64 s[6:7], -1
	s_mov_b64 s[8:9], 0
	v_ldexp_f64 v[6:7], v[2:3], s4
	s_mov_b32 s4, 0
	s_mov_b32 s5, 0xc1f00000
	v_floor_f64_e32 v[6:7], v[6:7]
	v_fma_f64 v[2:3], v[6:7], s[4:5], v[2:3]
	v_cvt_u32_f64_e32 v7, v[6:7]
	s_mov_b64 s[4:5], 0
	v_cvt_u32_f64_e32 v6, v[2:3]
	global_store_dwordx2 v[4:5], v[6:7], off
	s_branch .LBB86_325
.LBB86_324:
	s_mov_b64 s[8:9], 0
.LBB86_325:
	s_and_b64 vcc, exec, s[8:9]
	s_cbranch_vccz .LBB86_341
; %bb.326:
	s_cmp_lt_i32 s13, 27
	s_mov_b64 s[6:7], -1
	s_cbranch_scc1 .LBB86_332
; %bb.327:
	v_cvt_u32_f64_e32 v2, v[0:1]
	s_cmp_gt_i32 s13, 27
	s_cbranch_scc0 .LBB86_329
; %bb.328:
	s_mov_b64 s[6:7], 0
	global_store_dword v[4:5], v2, off
.LBB86_329:
	s_andn2_b64 vcc, exec, s[6:7]
	s_cbranch_vccnz .LBB86_331
; %bb.330:
	global_store_short v[4:5], v2, off
.LBB86_331:
	s_mov_b64 s[6:7], 0
.LBB86_332:
	s_andn2_b64 vcc, exec, s[6:7]
	s_cbranch_vccnz .LBB86_340
; %bb.333:
	v_cvt_f32_f64_e32 v2, v[0:1]
	s_mov_b32 s6, 0x43800000
	v_mov_b32_e32 v6, 0x80
	v_and_b32_e32 v3, 0x7fffffff, v2
	v_cmp_gt_u32_e32 vcc, s6, v3
	s_and_saveexec_b64 s[6:7], vcc
	s_cbranch_execz .LBB86_339
; %bb.334:
	s_mov_b32 s8, 0x3bffffff
	v_cmp_lt_u32_e32 vcc, s8, v3
	s_mov_b64 s[8:9], 0
                                        ; implicit-def: $vgpr3
	s_and_saveexec_b64 s[10:11], vcc
	s_xor_b64 s[10:11], exec, s[10:11]
	s_cbranch_execz .LBB86_567
; %bb.335:
	v_bfe_u32 v3, v2, 20, 1
	s_mov_b32 s14, 0x487ffff
	v_add3_u32 v3, v2, v3, s14
	s_mov_b64 s[8:9], exec
	v_lshrrev_b32_e32 v3, 20, v3
	s_andn2_saveexec_b64 s[10:11], s[10:11]
	s_cbranch_execnz .LBB86_568
.LBB86_336:
	s_or_b64 exec, exec, s[10:11]
	v_mov_b32_e32 v6, 0
	s_and_saveexec_b64 s[10:11], s[8:9]
.LBB86_337:
	v_lshrrev_b32_e32 v2, 24, v2
	s_movk_i32 s8, 0x80
	v_and_or_b32 v6, v2, s8, v3
.LBB86_338:
	s_or_b64 exec, exec, s[10:11]
.LBB86_339:
	s_or_b64 exec, exec, s[6:7]
	global_store_byte v[4:5], v6, off
.LBB86_340:
	s_mov_b64 s[6:7], -1
.LBB86_341:
	s_mov_b64 s[8:9], 0
.LBB86_342:
	s_and_b64 vcc, exec, s[8:9]
	s_cbranch_vccz .LBB86_383
; %bb.343:
	s_cmp_gt_i32 s13, 22
	s_mov_b64 s[8:9], -1
	s_cbranch_scc0 .LBB86_375
; %bb.344:
	s_cmp_lt_i32 s13, 24
	s_mov_b64 s[6:7], -1
	s_cbranch_scc1 .LBB86_364
; %bb.345:
	s_cmp_gt_i32 s13, 24
	s_cbranch_scc0 .LBB86_353
; %bb.346:
	v_cvt_f32_f64_e32 v2, v[0:1]
	s_mov_b32 s6, 0x47800000
	v_mov_b32_e32 v6, 0x80
	v_and_b32_e32 v3, 0x7fffffff, v2
	v_cmp_gt_u32_e32 vcc, s6, v3
	s_and_saveexec_b64 s[6:7], vcc
	s_cbranch_execz .LBB86_352
; %bb.347:
	s_mov_b32 s8, 0x37ffffff
	v_cmp_lt_u32_e32 vcc, s8, v3
	s_mov_b64 s[8:9], 0
                                        ; implicit-def: $vgpr3
	s_and_saveexec_b64 s[10:11], vcc
	s_xor_b64 s[10:11], exec, s[10:11]
	s_cbranch_execz .LBB86_570
; %bb.348:
	v_bfe_u32 v3, v2, 21, 1
	s_mov_b32 s14, 0x88fffff
	v_add3_u32 v3, v2, v3, s14
	s_mov_b64 s[8:9], exec
	v_lshrrev_b32_e32 v3, 21, v3
	s_andn2_saveexec_b64 s[10:11], s[10:11]
	s_cbranch_execnz .LBB86_571
.LBB86_349:
	s_or_b64 exec, exec, s[10:11]
	v_mov_b32_e32 v6, 0
	s_and_saveexec_b64 s[10:11], s[8:9]
.LBB86_350:
	v_lshrrev_b32_e32 v2, 24, v2
	s_movk_i32 s8, 0x80
	v_and_or_b32 v6, v2, s8, v3
.LBB86_351:
	s_or_b64 exec, exec, s[10:11]
.LBB86_352:
	s_or_b64 exec, exec, s[6:7]
	s_mov_b64 s[6:7], 0
	global_store_byte v[4:5], v6, off
.LBB86_353:
	s_and_b64 vcc, exec, s[6:7]
	s_cbranch_vccz .LBB86_363
; %bb.354:
	v_cvt_f32_f64_e32 v2, v[0:1]
	s_mov_b32 s6, 0x43f00000
                                        ; implicit-def: $vgpr3
	v_and_b32_e32 v6, 0x7fffffff, v2
	v_cmp_gt_u32_e32 vcc, s6, v6
	s_and_saveexec_b64 s[6:7], vcc
	s_xor_b64 s[6:7], exec, s[6:7]
	s_cbranch_execz .LBB86_360
; %bb.355:
	s_mov_b32 s8, 0x3c7fffff
	v_cmp_lt_u32_e32 vcc, s8, v6
                                        ; implicit-def: $vgpr3
	s_and_saveexec_b64 s[8:9], vcc
	s_xor_b64 s[8:9], exec, s[8:9]
; %bb.356:
	v_bfe_u32 v3, v2, 20, 1
	s_mov_b32 s10, 0x407ffff
	v_add3_u32 v3, v2, v3, s10
	v_lshrrev_b32_e32 v6, 20, v3
	v_and_b32_e32 v3, 0xff00000, v3
	s_mov_b32 s10, 0x7f00000
	v_mov_b32_e32 v7, 0x7e
	v_cmp_ne_u32_e32 vcc, s10, v3
	v_cndmask_b32_e32 v3, v7, v6, vcc
; %bb.357:
	s_andn2_saveexec_b64 s[8:9], s[8:9]
; %bb.358:
	s_mov_b32 s10, 0x46800000
	v_add_f32_e64 v3, |v2|, s10
; %bb.359:
	s_or_b64 exec, exec, s[8:9]
                                        ; implicit-def: $vgpr6
.LBB86_360:
	s_andn2_saveexec_b64 s[6:7], s[6:7]
; %bb.361:
	s_mov_b32 s8, 0x7f800000
	v_mov_b32_e32 v3, 0x7e
	v_mov_b32_e32 v7, 0x7f
	v_cmp_lt_u32_e32 vcc, s8, v6
	v_cndmask_b32_e32 v3, v3, v7, vcc
; %bb.362:
	s_or_b64 exec, exec, s[6:7]
	v_lshrrev_b32_e32 v2, 24, v2
	s_movk_i32 s6, 0x80
	v_and_or_b32 v2, v2, s6, v3
	global_store_byte v[4:5], v2, off
.LBB86_363:
	s_mov_b64 s[6:7], 0
.LBB86_364:
	s_andn2_b64 vcc, exec, s[6:7]
	s_cbranch_vccnz .LBB86_374
; %bb.365:
	v_cvt_f32_f64_e32 v2, v[0:1]
	s_mov_b32 s6, 0x47800000
                                        ; implicit-def: $vgpr3
	v_and_b32_e32 v6, 0x7fffffff, v2
	v_cmp_gt_u32_e32 vcc, s6, v6
	s_and_saveexec_b64 s[6:7], vcc
	s_xor_b64 s[6:7], exec, s[6:7]
	s_cbranch_execz .LBB86_371
; %bb.366:
	s_mov_b32 s8, 0x387fffff
	v_cmp_lt_u32_e32 vcc, s8, v6
                                        ; implicit-def: $vgpr3
	s_and_saveexec_b64 s[8:9], vcc
	s_xor_b64 s[8:9], exec, s[8:9]
; %bb.367:
	v_bfe_u32 v3, v2, 21, 1
	s_mov_b32 s10, 0x80fffff
	v_add3_u32 v3, v2, v3, s10
	v_lshrrev_b32_e32 v3, 21, v3
; %bb.368:
	s_andn2_saveexec_b64 s[8:9], s[8:9]
; %bb.369:
	s_mov_b32 s10, 0x43000000
	v_add_f32_e64 v3, |v2|, s10
; %bb.370:
	s_or_b64 exec, exec, s[8:9]
                                        ; implicit-def: $vgpr6
.LBB86_371:
	s_andn2_saveexec_b64 s[6:7], s[6:7]
; %bb.372:
	s_mov_b32 s8, 0x7f800000
	v_mov_b32_e32 v3, 0x7c
	v_mov_b32_e32 v7, 0x7f
	v_cmp_lt_u32_e32 vcc, s8, v6
	v_cndmask_b32_e32 v3, v3, v7, vcc
; %bb.373:
	s_or_b64 exec, exec, s[6:7]
	v_lshrrev_b32_e32 v2, 24, v2
	s_movk_i32 s6, 0x80
	v_and_or_b32 v2, v2, s6, v3
	global_store_byte v[4:5], v2, off
.LBB86_374:
	s_mov_b64 s[8:9], 0
	s_mov_b64 s[6:7], -1
.LBB86_375:
	s_andn2_b64 vcc, exec, s[8:9]
	s_cbranch_vccnz .LBB86_383
; %bb.376:
	s_cmp_gt_i32 s13, 14
	s_mov_b64 s[8:9], -1
	s_cbranch_scc0 .LBB86_380
; %bb.377:
	s_cmp_eq_u32 s13, 15
	s_mov_b64 s[4:5], -1
	s_cbranch_scc0 .LBB86_379
; %bb.378:
	v_cvt_f32_f64_e32 v2, v[0:1]
	s_movk_i32 s4, 0x7fff
	v_mov_b32_e32 v3, 0x7fc0
	s_mov_b64 s[6:7], -1
	v_bfe_u32 v6, v2, 16, 1
	v_cmp_o_f32_e32 vcc, v2, v2
	v_add3_u32 v2, v2, v6, s4
	v_cndmask_b32_sdwa v2, v3, v2, vcc dst_sel:DWORD dst_unused:UNUSED_PAD src0_sel:DWORD src1_sel:WORD_1
	global_store_short v[4:5], v2, off
	s_mov_b64 s[4:5], 0
.LBB86_379:
	s_mov_b64 s[8:9], 0
.LBB86_380:
	s_and_b64 vcc, exec, s[8:9]
	s_cbranch_vccz .LBB86_383
; %bb.381:
	s_cmp_eq_u32 s13, 11
	s_mov_b64 s[4:5], -1
	s_cbranch_scc0 .LBB86_383
; %bb.382:
	v_cmp_neq_f64_e32 vcc, 0, v[0:1]
	s_mov_b64 s[4:5], 0
	s_mov_b64 s[6:7], -1
	v_cndmask_b32_e64 v2, 0, 1, vcc
	global_store_byte v[4:5], v2, off
.LBB86_383:
	s_mov_b64 s[8:9], 0
.LBB86_384:
	s_and_b64 vcc, exec, s[8:9]
	s_cbranch_vccz .LBB86_423
; %bb.385:
	s_and_b32 s8, 0xffff, s12
	s_cmp_lt_i32 s8, 5
	s_mov_b64 s[6:7], -1
	s_cbranch_scc1 .LBB86_406
; %bb.386:
	s_cmp_lt_i32 s8, 8
	s_cbranch_scc1 .LBB86_396
; %bb.387:
	s_cmp_lt_i32 s8, 9
	s_cbranch_scc1 .LBB86_393
; %bb.388:
	s_cmp_gt_i32 s8, 9
	s_cbranch_scc0 .LBB86_390
; %bb.389:
	v_mov_b32_e32 v2, 0
	v_mov_b32_e32 v3, v2
	s_mov_b64 s[6:7], 0
	global_store_dwordx4 v[4:5], v[0:3], off
.LBB86_390:
	s_andn2_b64 vcc, exec, s[6:7]
	s_cbranch_vccnz .LBB86_392
; %bb.391:
	v_cvt_f32_f64_e32 v2, v[0:1]
	v_mov_b32_e32 v3, 0
	global_store_dwordx2 v[4:5], v[2:3], off
.LBB86_392:
	s_mov_b64 s[6:7], 0
.LBB86_393:
	s_andn2_b64 vcc, exec, s[6:7]
	s_cbranch_vccnz .LBB86_395
; %bb.394:
	s_movk_i32 s6, 0x1ff
	v_and_or_b32 v2, v1, s6, v0
	v_cmp_ne_u32_e32 vcc, 0, v2
	v_cndmask_b32_e64 v2, 0, 1, vcc
	v_lshrrev_b32_e32 v3, 8, v1
	s_movk_i32 s6, 0xffe
	v_bfe_u32 v6, v1, 20, 11
	v_and_or_b32 v2, v3, s6, v2
	v_sub_u32_e32 v7, 0x3f1, v6
	v_or_b32_e32 v3, 0x1000, v2
	v_med3_i32 v7, v7, 0, 13
	v_lshrrev_b32_e32 v8, v7, v3
	v_lshlrev_b32_e32 v7, v7, v8
	v_cmp_ne_u32_e32 vcc, v7, v3
	v_cndmask_b32_e64 v3, 0, 1, vcc
	v_add_u32_e32 v6, 0xfffffc10, v6
	v_or_b32_e32 v3, v8, v3
	v_lshl_or_b32 v7, v6, 12, v2
	v_cmp_gt_i32_e32 vcc, 1, v6
	v_cndmask_b32_e32 v3, v7, v3, vcc
	v_and_b32_e32 v7, 7, v3
	v_cmp_lt_i32_e32 vcc, 5, v7
	v_cndmask_b32_e64 v8, 0, 1, vcc
	v_cmp_eq_u32_e32 vcc, 3, v7
	v_cndmask_b32_e64 v7, 0, 1, vcc
	v_or_b32_e32 v7, v7, v8
	v_lshrrev_b32_e32 v3, 2, v3
	v_add_u32_e32 v3, v3, v7
	v_mov_b32_e32 v7, 0x7c00
	v_cmp_gt_i32_e32 vcc, 31, v6
	v_cndmask_b32_e32 v3, v7, v3, vcc
	v_mov_b32_e32 v8, 0x7e00
	v_cmp_ne_u32_e32 vcc, 0, v2
	s_movk_i32 s6, 0x40f
	v_cndmask_b32_e32 v2, v7, v8, vcc
	v_cmp_eq_u32_e32 vcc, s6, v6
	v_cndmask_b32_e32 v2, v3, v2, vcc
	v_lshrrev_b32_e32 v3, 16, v1
	s_mov_b32 s6, 0x8000
	v_and_or_b32 v2, v3, s6, v2
	v_and_b32_e32 v2, 0xffff, v2
	global_store_dword v[4:5], v2, off
.LBB86_395:
	s_mov_b64 s[6:7], 0
.LBB86_396:
	s_andn2_b64 vcc, exec, s[6:7]
	s_cbranch_vccnz .LBB86_405
; %bb.397:
	s_cmp_lt_i32 s8, 6
	s_mov_b64 s[6:7], -1
	s_cbranch_scc1 .LBB86_403
; %bb.398:
	s_cmp_gt_i32 s8, 6
	s_cbranch_scc0 .LBB86_400
; %bb.399:
	s_mov_b64 s[6:7], 0
	global_store_dwordx2 v[4:5], v[0:1], off
.LBB86_400:
	s_andn2_b64 vcc, exec, s[6:7]
	s_cbranch_vccnz .LBB86_402
; %bb.401:
	v_cvt_f32_f64_e32 v2, v[0:1]
	global_store_dword v[4:5], v2, off
.LBB86_402:
	s_mov_b64 s[6:7], 0
.LBB86_403:
	s_andn2_b64 vcc, exec, s[6:7]
	s_cbranch_vccnz .LBB86_405
; %bb.404:
	s_movk_i32 s6, 0x1ff
	v_and_or_b32 v2, v1, s6, v0
	v_cmp_ne_u32_e32 vcc, 0, v2
	v_cndmask_b32_e64 v2, 0, 1, vcc
	v_lshrrev_b32_e32 v3, 8, v1
	s_movk_i32 s6, 0xffe
	v_bfe_u32 v6, v1, 20, 11
	v_and_or_b32 v2, v3, s6, v2
	v_sub_u32_e32 v7, 0x3f1, v6
	v_or_b32_e32 v3, 0x1000, v2
	v_med3_i32 v7, v7, 0, 13
	v_lshrrev_b32_e32 v8, v7, v3
	v_lshlrev_b32_e32 v7, v7, v8
	v_cmp_ne_u32_e32 vcc, v7, v3
	v_cndmask_b32_e64 v3, 0, 1, vcc
	v_add_u32_e32 v6, 0xfffffc10, v6
	v_or_b32_e32 v3, v8, v3
	v_lshl_or_b32 v7, v6, 12, v2
	v_cmp_gt_i32_e32 vcc, 1, v6
	v_cndmask_b32_e32 v3, v7, v3, vcc
	v_and_b32_e32 v7, 7, v3
	v_cmp_lt_i32_e32 vcc, 5, v7
	v_cndmask_b32_e64 v8, 0, 1, vcc
	v_cmp_eq_u32_e32 vcc, 3, v7
	v_cndmask_b32_e64 v7, 0, 1, vcc
	v_or_b32_e32 v7, v7, v8
	v_lshrrev_b32_e32 v3, 2, v3
	v_add_u32_e32 v3, v3, v7
	v_mov_b32_e32 v7, 0x7c00
	v_cmp_gt_i32_e32 vcc, 31, v6
	v_cndmask_b32_e32 v3, v7, v3, vcc
	v_mov_b32_e32 v8, 0x7e00
	v_cmp_ne_u32_e32 vcc, 0, v2
	s_movk_i32 s6, 0x40f
	v_cndmask_b32_e32 v2, v7, v8, vcc
	v_cmp_eq_u32_e32 vcc, s6, v6
	v_cndmask_b32_e32 v2, v3, v2, vcc
	v_lshrrev_b32_e32 v3, 16, v1
	s_mov_b32 s6, 0x8000
	v_and_or_b32 v2, v3, s6, v2
	global_store_short v[4:5], v2, off
.LBB86_405:
	s_mov_b64 s[6:7], 0
.LBB86_406:
	s_andn2_b64 vcc, exec, s[6:7]
	s_cbranch_vccnz .LBB86_422
; %bb.407:
	s_cmp_lt_i32 s8, 2
	s_mov_b64 s[6:7], -1
	s_cbranch_scc1 .LBB86_417
; %bb.408:
	s_cmp_lt_i32 s8, 3
	s_cbranch_scc1 .LBB86_414
; %bb.409:
	s_cmp_gt_i32 s8, 3
	s_cbranch_scc0 .LBB86_411
; %bb.410:
	v_trunc_f64_e32 v[2:3], v[0:1]
	s_movk_i32 s6, 0xffe0
	v_ldexp_f64 v[6:7], v[2:3], s6
	s_mov_b32 s6, 0
	s_mov_b32 s7, 0xc1f00000
	v_floor_f64_e32 v[6:7], v[6:7]
	v_fma_f64 v[2:3], v[6:7], s[6:7], v[2:3]
	v_cvt_i32_f64_e32 v7, v[6:7]
	s_mov_b64 s[6:7], 0
	v_cvt_u32_f64_e32 v6, v[2:3]
	global_store_dwordx2 v[4:5], v[6:7], off
.LBB86_411:
	s_andn2_b64 vcc, exec, s[6:7]
	s_cbranch_vccnz .LBB86_413
; %bb.412:
	v_cvt_i32_f64_e32 v2, v[0:1]
	global_store_dword v[4:5], v2, off
.LBB86_413:
	s_mov_b64 s[6:7], 0
.LBB86_414:
	s_andn2_b64 vcc, exec, s[6:7]
	s_cbranch_vccnz .LBB86_416
; %bb.415:
	v_cvt_i32_f64_e32 v2, v[0:1]
	global_store_short v[4:5], v2, off
.LBB86_416:
	s_mov_b64 s[6:7], 0
.LBB86_417:
	s_andn2_b64 vcc, exec, s[6:7]
	s_cbranch_vccnz .LBB86_422
; %bb.418:
	s_cmp_gt_i32 s8, 0
	s_mov_b64 s[6:7], -1
	s_cbranch_scc0 .LBB86_420
; %bb.419:
	v_cvt_i32_f64_e32 v2, v[0:1]
	s_mov_b64 s[6:7], 0
	global_store_byte v[4:5], v2, off
.LBB86_420:
	s_andn2_b64 vcc, exec, s[6:7]
	s_cbranch_vccnz .LBB86_422
; %bb.421:
	v_trunc_f64_e32 v[0:1], v[0:1]
	s_movk_i32 s6, 0xffe0
	v_ldexp_f64 v[2:3], v[0:1], s6
	s_mov_b32 s6, 0
	s_mov_b32 s7, 0xc1f00000
	v_floor_f64_e32 v[2:3], v[2:3]
	v_fma_f64 v[0:1], v[2:3], s[6:7], v[0:1]
	v_cvt_u32_f64_e32 v0, v[0:1]
	global_store_byte v[4:5], v0, off
.LBB86_422:
	s_mov_b64 s[6:7], -1
.LBB86_423:
	s_andn2_b64 vcc, exec, s[6:7]
	s_cbranch_vccnz .LBB86_425
; %bb.424:
	v_add_u32_e32 v43, 0x80, v43
	s_mov_b64 s[6:7], -1
	s_branch .LBB86_426
.LBB86_425:
	s_mov_b64 s[6:7], 0
                                        ; implicit-def: $vgpr43
.LBB86_426:
	v_readlane_b32 s8, v47, 24
	v_readlane_b32 s9, v47, 25
	s_branch .LBB86_538
.LBB86_427:
	s_mov_b64 s[6:7], -1
	v_writelane_b32 v47, s6, 28
	v_writelane_b32 v47, s7, 29
                                        ; implicit-def: $vgpr2_vgpr3
.LBB86_428:
	s_mov_b64 s[6:7], 0
.LBB86_429:
	s_and_b64 vcc, exec, s[6:7]
	s_cbranch_vccz .LBB86_433
; %bb.430:
	s_cmp_eq_u32 s10, 29
	s_cbranch_scc0 .LBB86_432
; %bb.431:
	global_load_dwordx2 v[2:3], v[0:1], off
	s_mov_b64 s[6:7], 0
	v_writelane_b32 v47, s6, 28
	s_mov_b64 s[4:5], -1
	v_writelane_b32 v47, s7, 29
	s_mov_b64 s[6:7], 0
	s_waitcnt vmcnt(0)
	v_cvt_f64_u32_e32 v[3:4], v3
	v_cvt_f64_u32_e32 v[5:6], v2
	v_ldexp_f64 v[3:4], v[3:4], 32
	v_add_f64 v[2:3], v[3:4], v[5:6]
	s_branch .LBB86_434
.LBB86_432:
	s_mov_b64 s[6:7], -1
	v_writelane_b32 v47, s6, 28
	v_writelane_b32 v47, s7, 29
                                        ; implicit-def: $vgpr2_vgpr3
.LBB86_433:
	s_mov_b64 s[6:7], 0
.LBB86_434:
	s_and_b64 vcc, exec, s[6:7]
	s_cbranch_vccz .LBB86_454
; %bb.435:
	s_cmp_lt_i32 s10, 27
	s_cbranch_scc1 .LBB86_438
; %bb.436:
	s_cmp_gt_i32 s10, 27
	s_cbranch_scc0 .LBB86_439
; %bb.437:
	global_load_dword v2, v[0:1], off
	s_mov_b64 s[4:5], 0
	s_waitcnt vmcnt(0)
	v_cvt_f64_u32_e32 v[2:3], v2
	s_branch .LBB86_440
.LBB86_438:
	s_mov_b64 s[4:5], -1
                                        ; implicit-def: $vgpr2_vgpr3
	s_branch .LBB86_443
.LBB86_439:
	s_mov_b64 s[4:5], -1
                                        ; implicit-def: $vgpr2_vgpr3
.LBB86_440:
	s_andn2_b64 vcc, exec, s[4:5]
	s_cbranch_vccnz .LBB86_442
; %bb.441:
	global_load_ushort v2, v[0:1], off
	s_waitcnt vmcnt(0)
	v_cvt_f64_u32_e32 v[2:3], v2
.LBB86_442:
	s_mov_b64 s[4:5], 0
.LBB86_443:
	s_andn2_b64 vcc, exec, s[4:5]
	s_cbranch_vccnz .LBB86_453
; %bb.444:
	global_load_ubyte v4, v[0:1], off
	s_movk_i32 s4, 0x7f
	s_waitcnt vmcnt(0)
	v_cmp_lt_i16_e32 vcc, s4, v4
	s_mov_b64 s[4:5], 0
	s_and_saveexec_b64 s[6:7], vcc
	s_xor_b64 s[6:7], exec, s[6:7]
	s_cbranch_execz .LBB86_448
; %bb.445:
	s_movk_i32 s4, 0x80
	v_cmp_eq_u16_e32 vcc, s4, v4
	s_mov_b64 s[4:5], -1
	s_and_saveexec_b64 s[8:9], vcc
; %bb.446:
	s_xor_b64 s[4:5], exec, -1
; %bb.447:
	s_or_b64 exec, exec, s[8:9]
	s_and_b64 s[4:5], s[4:5], exec
.LBB86_448:
	s_or_saveexec_b64 s[6:7], s[6:7]
	v_bfrev_b32_e32 v2, 4
	v_mov_b32_e32 v3, 0x7ff80000
	s_xor_b64 exec, exec, s[6:7]
; %bb.449:
	v_cmp_ne_u16_e32 vcc, 0, v4
	v_mov_b32_e32 v2, 0
	s_andn2_b64 s[4:5], s[4:5], exec
	s_and_b64 s[8:9], vcc, exec
	v_mov_b32_e32 v3, 0
	s_or_b64 s[4:5], s[4:5], s[8:9]
; %bb.450:
	s_or_b64 exec, exec, s[6:7]
	s_and_saveexec_b64 s[6:7], s[4:5]
	s_cbranch_execz .LBB86_452
; %bb.451:
	v_and_b32_e32 v3, 0xffff, v4
	v_lshlrev_b32_e32 v2, 24, v4
	v_and_b32_e32 v4, 7, v3
	v_ffbh_u32_e32 v6, v4
	v_min_u32_e32 v6, 32, v6
	v_subrev_u32_e32 v7, 28, v6
	v_bfe_u32 v5, v3, 3, 4
	v_lshlrev_b32_e32 v3, v7, v3
	v_sub_u32_e32 v6, 29, v6
	v_and_b32_e32 v3, 7, v3
	v_cmp_eq_u32_e32 vcc, 0, v5
	v_cndmask_b32_e32 v5, v5, v6, vcc
	v_cndmask_b32_e32 v3, v4, v3, vcc
	v_mov_b32_e32 v4, 0x3b800000
	v_lshlrev_b32_e32 v3, 20, v3
	v_and_b32_e32 v2, 0x80000000, v2
	v_lshl_add_u32 v4, v5, 23, v4
	v_or3_b32 v2, v2, v4, v3
	v_cvt_f64_f32_e32 v[2:3], v2
.LBB86_452:
	s_or_b64 exec, exec, s[6:7]
.LBB86_453:
	s_mov_b64 s[4:5], -1
.LBB86_454:
	s_mov_b64 s[6:7], 0
.LBB86_455:
	s_and_b64 vcc, exec, s[6:7]
	s_cbranch_vccz .LBB86_488
; %bb.456:
	s_cmp_gt_i32 s10, 22
	s_cbranch_scc0 .LBB86_468
; %bb.457:
	s_cmp_lt_i32 s10, 24
	s_cbranch_scc1 .LBB86_469
; %bb.458:
	s_cmp_gt_i32 s10, 24
	s_cbranch_scc0 .LBB86_470
; %bb.459:
	global_load_ubyte v4, v[0:1], off
	s_movk_i32 s4, 0x7f
	s_waitcnt vmcnt(0)
	v_cmp_lt_i16_e32 vcc, s4, v4
	s_mov_b64 s[4:5], 0
	s_and_saveexec_b64 s[6:7], vcc
	s_xor_b64 s[6:7], exec, s[6:7]
	s_cbranch_execz .LBB86_463
; %bb.460:
	s_movk_i32 s4, 0x80
	v_cmp_eq_u16_e32 vcc, s4, v4
	s_mov_b64 s[4:5], -1
	s_and_saveexec_b64 s[8:9], vcc
; %bb.461:
	s_xor_b64 s[4:5], exec, -1
; %bb.462:
	s_or_b64 exec, exec, s[8:9]
	s_and_b64 s[4:5], s[4:5], exec
.LBB86_463:
	s_or_saveexec_b64 s[6:7], s[6:7]
	v_bfrev_b32_e32 v2, 4
	v_mov_b32_e32 v3, 0x7ff80000
	s_xor_b64 exec, exec, s[6:7]
; %bb.464:
	v_cmp_ne_u16_e32 vcc, 0, v4
	v_mov_b32_e32 v2, 0
	s_andn2_b64 s[4:5], s[4:5], exec
	s_and_b64 s[8:9], vcc, exec
	v_mov_b32_e32 v3, 0
	s_or_b64 s[4:5], s[4:5], s[8:9]
; %bb.465:
	s_or_b64 exec, exec, s[6:7]
	s_and_saveexec_b64 s[6:7], s[4:5]
	s_cbranch_execz .LBB86_467
; %bb.466:
	v_and_b32_e32 v3, 0xffff, v4
	v_lshlrev_b32_e32 v2, 24, v4
	v_and_b32_e32 v4, 3, v3
	v_ffbh_u32_e32 v6, v4
	v_min_u32_e32 v6, 32, v6
	v_subrev_u32_e32 v7, 29, v6
	v_bfe_u32 v5, v3, 2, 5
	v_lshlrev_b32_e32 v3, v7, v3
	v_sub_u32_e32 v6, 30, v6
	v_and_b32_e32 v3, 3, v3
	v_cmp_eq_u32_e32 vcc, 0, v5
	v_cndmask_b32_e32 v5, v5, v6, vcc
	v_cndmask_b32_e32 v3, v4, v3, vcc
	v_mov_b32_e32 v4, 0x37800000
	v_lshlrev_b32_e32 v3, 21, v3
	v_and_b32_e32 v2, 0x80000000, v2
	v_lshl_add_u32 v4, v5, 23, v4
	v_or3_b32 v2, v2, v4, v3
	v_cvt_f64_f32_e32 v[2:3], v2
.LBB86_467:
	s_or_b64 exec, exec, s[6:7]
	s_mov_b64 s[4:5], 0
	s_branch .LBB86_471
.LBB86_468:
	s_mov_b64 s[6:7], -1
                                        ; implicit-def: $vgpr2_vgpr3
	s_branch .LBB86_477
.LBB86_469:
	s_mov_b64 s[4:5], -1
                                        ; implicit-def: $vgpr2_vgpr3
	s_branch .LBB86_474
.LBB86_470:
	s_mov_b64 s[4:5], -1
                                        ; implicit-def: $vgpr2_vgpr3
.LBB86_471:
	s_and_b64 vcc, exec, s[4:5]
	s_cbranch_vccz .LBB86_473
; %bb.472:
	global_load_ubyte v2, v[0:1], off
	s_mov_b32 s4, 0x7f800000
	s_waitcnt vmcnt(0)
	v_lshlrev_b32_e32 v2, 24, v2
	v_and_b32_e32 v3, 0x7f000000, v2
	v_ffbh_u32_e32 v4, v3
	v_min_u32_e32 v4, 32, v4
	v_sub_u32_e64 v4, v4, 4 clamp
	v_lshlrev_b32_e32 v6, v4, v3
	v_lshlrev_b32_e32 v4, 23, v4
	v_lshrrev_b32_e32 v6, 4, v6
	v_add_u32_e32 v5, 0x1000000, v3
	v_sub_u32_e32 v4, v6, v4
	v_ashrrev_i32_e32 v5, 8, v5
	v_add_u32_e32 v4, 0x3c000000, v4
	v_and_or_b32 v4, v5, s4, v4
	v_cmp_ne_u32_e32 vcc, 0, v3
	v_cndmask_b32_e32 v3, 0, v4, vcc
	s_brev_b32 s4, 1
	v_and_or_b32 v2, v2, s4, v3
	v_cvt_f64_f32_e32 v[2:3], v2
.LBB86_473:
	s_mov_b64 s[4:5], 0
.LBB86_474:
	s_andn2_b64 vcc, exec, s[4:5]
	s_cbranch_vccnz .LBB86_476
; %bb.475:
	global_load_ubyte v2, v[0:1], off
	s_movk_i32 s4, 0x7f00
	s_brev_b32 s5, 16
	s_waitcnt vmcnt(0)
	v_lshlrev_b16_e32 v3, 8, v2
	v_lshlrev_b32_e32 v2, 25, v2
	v_lshrrev_b32_e32 v4, 4, v2
	v_and_or_b32 v5, v3, s4, 0.5
	v_or_b32_e32 v4, 0x70000000, v4
	v_add_f32_e32 v5, -0.5, v5
	v_mul_f32_e32 v4, 0x7800000, v4
	v_cmp_gt_u32_e32 vcc, s5, v2
	v_bfe_i32 v3, v3, 0, 16
	v_cndmask_b32_e32 v2, v4, v5, vcc
	s_brev_b32 s4, 1
	v_and_or_b32 v2, v3, s4, v2
	v_cvt_f64_f32_e32 v[2:3], v2
.LBB86_476:
	s_mov_b64 s[6:7], 0
	s_mov_b64 s[4:5], -1
.LBB86_477:
	s_andn2_b64 vcc, exec, s[6:7]
	s_cbranch_vccnz .LBB86_488
; %bb.478:
	s_cmp_gt_i32 s10, 14
	s_cbranch_scc0 .LBB86_481
; %bb.479:
	s_cmp_eq_u32 s10, 15
	s_cbranch_scc0 .LBB86_482
; %bb.480:
	global_load_ushort v2, v[0:1], off
	s_mov_b64 s[6:7], 0
	v_writelane_b32 v47, s6, 28
	s_mov_b64 s[4:5], -1
	v_writelane_b32 v47, s7, 29
	s_waitcnt vmcnt(0)
	v_lshlrev_b32_e32 v2, 16, v2
	v_cvt_f64_f32_e32 v[2:3], v2
	s_branch .LBB86_483
.LBB86_481:
	s_mov_b64 s[6:7], -1
                                        ; implicit-def: $vgpr2_vgpr3
	s_branch .LBB86_484
.LBB86_482:
	s_mov_b64 s[6:7], -1
	v_writelane_b32 v47, s6, 28
	v_writelane_b32 v47, s7, 29
                                        ; implicit-def: $vgpr2_vgpr3
.LBB86_483:
	s_mov_b64 s[6:7], 0
.LBB86_484:
	s_and_b64 vcc, exec, s[6:7]
	s_cbranch_vccz .LBB86_488
; %bb.485:
	s_cmp_eq_u32 s10, 11
	s_cbranch_scc0 .LBB86_487
; %bb.486:
	global_load_ubyte v3, v[0:1], off
	v_mov_b32_e32 v4, 0x3ff00000
	s_mov_b64 s[6:7], 0
	s_waitcnt vmcnt(1)
	v_mov_b32_e32 v2, 0
	s_mov_b64 s[4:5], -1
	v_writelane_b32 v47, s6, 28
	v_writelane_b32 v47, s7, 29
	s_waitcnt vmcnt(0)
	v_cmp_ne_u16_e32 vcc, 0, v3
	v_cndmask_b32_e32 v3, 0, v4, vcc
	s_branch .LBB86_488
.LBB86_487:
	s_mov_b64 s[6:7], -1
	v_writelane_b32 v47, s6, 28
	v_writelane_b32 v47, s7, 29
                                        ; implicit-def: $vgpr2_vgpr3
.LBB86_488:
	s_branch .LBB86_290
.LBB86_489:
	s_cmp_lt_i32 s10, 5
	s_cbranch_scc1 .LBB86_494
; %bb.490:
	s_cmp_lt_i32 s10, 8
	s_cbranch_scc1 .LBB86_495
; %bb.491:
	;; [unrolled: 3-line block ×3, first 2 shown]
	s_cmp_gt_i32 s10, 9
	s_cbranch_scc0 .LBB86_497
; %bb.493:
	global_load_dwordx2 v[2:3], v[0:1], off
	s_mov_b64 s[4:5], 0
	s_branch .LBB86_498
.LBB86_494:
	s_mov_b64 s[4:5], -1
                                        ; implicit-def: $vgpr2_vgpr3
	s_branch .LBB86_516
.LBB86_495:
	s_mov_b64 s[4:5], -1
                                        ; implicit-def: $vgpr2_vgpr3
	s_branch .LBB86_504
.LBB86_496:
	s_mov_b64 s[4:5], -1
                                        ; implicit-def: $vgpr2_vgpr3
	s_branch .LBB86_501
.LBB86_497:
	s_mov_b64 s[4:5], -1
                                        ; implicit-def: $vgpr2_vgpr3
.LBB86_498:
	s_andn2_b64 vcc, exec, s[4:5]
	s_cbranch_vccnz .LBB86_500
; %bb.499:
	global_load_dword v2, v[0:1], off
	s_waitcnt vmcnt(0)
	v_cvt_f64_f32_e32 v[2:3], v2
.LBB86_500:
	s_mov_b64 s[4:5], 0
.LBB86_501:
	s_andn2_b64 vcc, exec, s[4:5]
	s_cbranch_vccnz .LBB86_503
; %bb.502:
	global_load_dword v2, v[0:1], off
	s_waitcnt vmcnt(0)
	v_cvt_f32_f16_e32 v2, v2
	v_cvt_f64_f32_e32 v[2:3], v2
.LBB86_503:
	s_mov_b64 s[4:5], 0
.LBB86_504:
	s_andn2_b64 vcc, exec, s[4:5]
	s_cbranch_vccnz .LBB86_515
; %bb.505:
	s_cmp_lt_i32 s10, 6
	s_cbranch_scc1 .LBB86_508
; %bb.506:
	s_cmp_gt_i32 s10, 6
	s_cbranch_scc0 .LBB86_509
; %bb.507:
	global_load_dwordx2 v[2:3], v[0:1], off
	s_mov_b64 s[4:5], 0
	s_branch .LBB86_510
.LBB86_508:
	s_mov_b64 s[4:5], -1
                                        ; implicit-def: $vgpr2_vgpr3
	s_branch .LBB86_513
.LBB86_509:
	s_mov_b64 s[4:5], -1
                                        ; implicit-def: $vgpr2_vgpr3
.LBB86_510:
	s_andn2_b64 vcc, exec, s[4:5]
	s_cbranch_vccnz .LBB86_512
; %bb.511:
	global_load_dword v2, v[0:1], off
	s_waitcnt vmcnt(0)
	v_cvt_f64_f32_e32 v[2:3], v2
.LBB86_512:
	s_mov_b64 s[4:5], 0
.LBB86_513:
	s_andn2_b64 vcc, exec, s[4:5]
	s_cbranch_vccnz .LBB86_515
; %bb.514:
	global_load_ushort v2, v[0:1], off
	s_waitcnt vmcnt(0)
	v_cvt_f32_f16_e32 v2, v2
	v_cvt_f64_f32_e32 v[2:3], v2
.LBB86_515:
	s_mov_b64 s[4:5], 0
.LBB86_516:
	s_andn2_b64 vcc, exec, s[4:5]
	s_cbranch_vccnz .LBB86_536
; %bb.517:
	s_cmp_lt_i32 s10, 2
	s_cbranch_scc1 .LBB86_521
; %bb.518:
	s_cmp_lt_i32 s10, 3
	s_cbranch_scc1 .LBB86_522
; %bb.519:
	s_cmp_gt_i32 s10, 3
	s_cbranch_scc0 .LBB86_523
; %bb.520:
	global_load_dwordx2 v[2:3], v[0:1], off
	s_mov_b64 s[4:5], 0
	s_waitcnt vmcnt(0)
	v_cvt_f64_i32_e32 v[3:4], v3
	v_cvt_f64_u32_e32 v[5:6], v2
	v_ldexp_f64 v[3:4], v[3:4], 32
	v_add_f64 v[2:3], v[3:4], v[5:6]
	s_branch .LBB86_524
.LBB86_521:
	s_mov_b64 s[4:5], -1
                                        ; implicit-def: $vgpr2_vgpr3
	s_branch .LBB86_530
.LBB86_522:
	s_mov_b64 s[4:5], -1
                                        ; implicit-def: $vgpr2_vgpr3
	s_branch .LBB86_527
.LBB86_523:
	s_mov_b64 s[4:5], -1
                                        ; implicit-def: $vgpr2_vgpr3
.LBB86_524:
	s_andn2_b64 vcc, exec, s[4:5]
	s_cbranch_vccnz .LBB86_526
; %bb.525:
	global_load_dword v2, v[0:1], off
	s_waitcnt vmcnt(0)
	v_cvt_f64_i32_e32 v[2:3], v2
.LBB86_526:
	s_mov_b64 s[4:5], 0
.LBB86_527:
	s_andn2_b64 vcc, exec, s[4:5]
	s_cbranch_vccnz .LBB86_529
; %bb.528:
	global_load_sshort v2, v[0:1], off
	s_waitcnt vmcnt(0)
	v_cvt_f64_i32_e32 v[2:3], v2
.LBB86_529:
	s_mov_b64 s[4:5], 0
.LBB86_530:
	s_andn2_b64 vcc, exec, s[4:5]
	s_cbranch_vccnz .LBB86_536
; %bb.531:
	s_cmp_gt_i32 s10, 0
	s_cbranch_scc0 .LBB86_533
; %bb.532:
	global_load_sbyte v2, v[0:1], off
	s_mov_b64 s[4:5], 0
	s_waitcnt vmcnt(0)
	v_cvt_f64_i32_e32 v[2:3], v2
	s_branch .LBB86_534
.LBB86_533:
	s_mov_b64 s[4:5], -1
                                        ; implicit-def: $vgpr2_vgpr3
.LBB86_534:
	s_andn2_b64 vcc, exec, s[4:5]
	s_cbranch_vccnz .LBB86_536
; %bb.535:
	global_load_ubyte v0, v[0:1], off
	s_waitcnt vmcnt(0)
	v_cvt_f64_u32_e32 v[2:3], v0
.LBB86_536:
	s_branch .LBB86_291
.LBB86_537:
	v_readlane_b32 s8, v47, 24
	v_readlane_b32 s9, v47, 25
	s_mov_b64 s[6:7], 0
	s_mov_b64 s[4:5], s[8:9]
                                        ; implicit-def: $vgpr43
.LBB86_538:
	s_andn2_b64 s[8:9], s[8:9], exec
	s_and_b64 s[4:5], s[4:5], exec
	s_or_b64 s[4:5], s[8:9], s[4:5]
	v_writelane_b32 v47, s4, 40
	v_writelane_b32 v47, s5, 41
	v_readlane_b32 s4, v47, 22
	v_readlane_b32 s8, v47, 28
	;; [unrolled: 1-line block ×4, first 2 shown]
	s_andn2_b64 s[4:5], s[4:5], exec
	s_and_b64 s[8:9], s[8:9], exec
	s_or_b64 s[4:5], s[4:5], s[8:9]
	v_writelane_b32 v47, s4, 28
	v_writelane_b32 v47, s5, 29
	s_orn2_b64 s[4:5], s[6:7], exec
.LBB86_539:
	v_readlane_b32 s6, v47, 42
	v_readlane_b32 s7, v47, 43
	s_or_b64 exec, exec, s[6:7]
	s_mov_b64 s[6:7], 0
	s_mov_b64 s[8:9], 0
	;; [unrolled: 1-line block ×3, first 2 shown]
                                        ; implicit-def: $vgpr0_vgpr1
                                        ; implicit-def: $vgpr41
                                        ; implicit-def: $vgpr2_vgpr3
	s_mov_b64 s[12:13], exec
	v_writelane_b32 v47, s12, 42
	s_and_b64 s[4:5], s[12:13], s[4:5]
	v_writelane_b32 v47, s13, 43
	s_mov_b64 exec, s[4:5]
	s_cbranch_execz .LBB86_914
; %bb.540:
	v_readlane_b32 s24, v47, 28
	v_readlane_b32 s26, v47, 40
	;; [unrolled: 1-line block ×3, first 2 shown]
	s_mov_b64 s[6:7], -1
	v_readlane_b32 s25, v47, 29
	v_readlane_b32 s27, v47, 41
	v_cmp_gt_i32_e32 vcc, s4, v43
	s_mov_b64 s[4:5], exec
	v_writelane_b32 v47, s4, 44
	v_writelane_b32 v47, s5, 45
	s_and_b64 s[4:5], s[4:5], vcc
	s_mov_b64 exec, s[4:5]
	s_cbranch_execz .LBB86_814
; %bb.541:
	s_andn2_b64 vcc, exec, s[44:45]
	s_cbranch_vccnz .LBB86_546
; %bb.542:
	v_readlane_b32 s4, v47, 2
	v_readlane_b32 s5, v47, 3
	s_andn2_b64 vcc, exec, s[4:5]
	s_cbranch_vccnz .LBB86_547
; %bb.543:
	v_readlane_b32 s4, v47, 6
	s_add_i32 s29, s4, 1
	s_cmp_eq_u32 s52, 2
	s_cbranch_scc1 .LBB86_548
; %bb.544:
	v_readlane_b32 s26, v47, 4
	s_and_b32 s28, s29, 28
	v_mov_b32_e32 v0, 0
	s_mov_b32 s30, 0
	s_mov_b64 s[24:25], s[46:47]
	v_readlane_b32 s27, v47, 5
	v_mov_b32_e32 v41, 0
	v_mov_b32_e32 v1, v43
.LBB86_545:                             ; =>This Inner Loop Header: Depth=1
	s_load_dwordx8 s[12:19], s[24:25], 0x4
	s_load_dwordx4 s[20:23], s[24:25], 0x24
	s_load_dwordx8 s[4:11], s[26:27], 0x0
	s_add_u32 s24, s24, 48
	s_addc_u32 s25, s25, 0
	s_waitcnt vmcnt(0) lgkmcnt(0)
	v_mul_hi_u32 v2, s13, v1
	s_add_i32 s30, s30, 4
	s_add_u32 s26, s26, 32
	s_addc_u32 s27, s27, 0
	v_add_u32_e32 v2, v1, v2
	v_lshrrev_b32_e32 v2, s14, v2
	v_mul_lo_u32 v3, v2, s12
	v_mul_hi_u32 v4, s16, v2
	s_cmp_eq_u32 s28, s30
	v_sub_u32_e32 v1, v1, v3
	v_add_u32_e32 v3, v2, v4
	v_mul_lo_u32 v4, v1, s4
	v_mul_lo_u32 v5, v1, s5
	v_lshrrev_b32_e32 v1, s17, v3
	v_mul_lo_u32 v3, v1, s15
	v_mul_hi_u32 v6, s19, v1
	v_sub_u32_e32 v2, v2, v3
	v_add_u32_e32 v3, v1, v6
	v_lshrrev_b32_e32 v3, s20, v3
	v_mul_hi_u32 v7, s22, v3
	v_mul_lo_u32 v8, v3, s18
	v_mul_lo_u32 v6, v2, s6
	;; [unrolled: 1-line block ×3, first 2 shown]
	v_sub_u32_e32 v8, v1, v8
	v_add_u32_e32 v1, v3, v7
	v_lshrrev_b32_e32 v1, s23, v1
	v_mul_lo_u32 v7, v1, s21
	v_mul_lo_u32 v9, v8, s8
	;; [unrolled: 1-line block ×3, first 2 shown]
	v_add3_u32 v4, v4, v41, v6
	v_sub_u32_e32 v3, v3, v7
	v_mul_lo_u32 v7, v3, s10
	v_mul_lo_u32 v3, v3, s11
	v_add3_u32 v0, v5, v0, v2
	v_add3_u32 v41, v9, v4, v7
	;; [unrolled: 1-line block ×3, first 2 shown]
	s_cbranch_scc0 .LBB86_545
	s_branch .LBB86_549
.LBB86_546:
	s_mov_b64 s[4:5], -1
                                        ; implicit-def: $vgpr41
                                        ; implicit-def: $vgpr0
	s_branch .LBB86_553
.LBB86_547:
	v_mov_b32_e32 v41, 0
	v_mov_b32_e32 v0, 0
	s_branch .LBB86_552
.LBB86_548:
	s_mov_b32 s28, 0
	v_mov_b32_e32 v41, 0
	v_mov_b32_e32 v0, 0
	;; [unrolled: 1-line block ×3, first 2 shown]
.LBB86_549:
	s_and_b32 s8, s29, 3
	s_cmp_eq_u32 s8, 0
	s_cbranch_scc1 .LBB86_552
; %bb.550:
	s_lshl_b32 s4, s28, 3
	s_add_u32 s4, s46, s4
	s_addc_u32 s5, s47, 0
	s_add_u32 s4, s4, 0xc4
	s_addc_u32 s5, s5, 0
	s_mul_i32 s6, s28, 12
	s_add_u32 s6, s46, s6
	s_addc_u32 s7, s47, 0
.LBB86_551:                             ; =>This Inner Loop Header: Depth=1
	s_load_dwordx2 s[10:11], s[6:7], 0x4
	s_load_dword s9, s[6:7], 0xc
	s_load_dwordx2 s[12:13], s[4:5], 0x0
	s_add_u32 s6, s6, 12
	s_addc_u32 s7, s7, 0
	s_waitcnt vmcnt(0) lgkmcnt(0)
	v_mul_hi_u32 v2, s11, v1
	s_add_u32 s4, s4, 8
	s_addc_u32 s5, s5, 0
	s_add_i32 s8, s8, -1
	v_add_u32_e32 v2, v1, v2
	v_lshrrev_b32_e32 v2, s9, v2
	v_mul_lo_u32 v3, v2, s10
	s_cmp_lg_u32 s8, 0
	v_sub_u32_e32 v1, v1, v3
	v_mad_u64_u32 v[41:42], s[10:11], v1, s12, v[41:42]
	v_mad_u64_u32 v[0:1], s[10:11], v1, s13, v[0:1]
	v_mov_b32_e32 v1, v2
	s_cbranch_scc1 .LBB86_551
.LBB86_552:
	s_mov_b64 s[4:5], 0
.LBB86_553:
	s_andn2_b64 vcc, exec, s[4:5]
	s_cbranch_vccnz .LBB86_556
; %bb.554:
	v_readlane_b32 s4, v47, 7
	v_readlane_b32 s5, v47, 8
	v_mul_hi_u32 v0, s5, v43
	v_readlane_b32 s6, v47, 9
	v_readlane_b32 s8, v47, 15
	;; [unrolled: 1-line block ×3, first 2 shown]
	v_add_u32_e32 v0, v43, v0
	v_lshrrev_b32_e32 v1, s6, v0
	v_mul_lo_u32 v0, v1, s4
	v_readlane_b32 s4, v47, 13
	v_readlane_b32 s5, v47, 14
	;; [unrolled: 1-line block ×3, first 2 shown]
	v_sub_u32_e32 v0, v43, v0
	v_mul_lo_u32 v41, v0, s8
	v_mul_lo_u32 v0, v0, s9
	v_readlane_b32 s10, v47, 17
	v_readlane_b32 s11, v47, 18
	s_andn2_b64 vcc, exec, s[4:5]
	s_cbranch_vccnz .LBB86_556
; %bb.555:
	v_readlane_b32 s4, v47, 11
	s_waitcnt vmcnt(0)
	v_mul_hi_u32 v2, s4, v1
	v_readlane_b32 s5, v47, 12
	v_add_u32_e32 v2, v1, v2
	v_lshrrev_b32_e32 v2, s5, v2
	v_mul_lo_u32 v2, v2, s7
	v_sub_u32_e32 v1, v1, v2
	v_mad_u64_u32 v[41:42], s[4:5], v1, s10, v[41:42]
	v_mad_u64_u32 v[0:1], s[4:5], v1, s11, v[0:1]
.LBB86_556:
	v_readlane_b32 s4, v47, 19
	v_mov_b32_e32 v1, s99
	s_and_b32 s10, 0xffff, s4
	v_add_co_u32_e32 v0, vcc, s98, v0
	s_cmp_lt_i32 s10, 11
	v_addc_co_u32_e32 v1, vcc, 0, v1, vcc
	s_cbranch_scc1 .LBB86_563
; %bb.557:
	s_cmp_gt_i32 s10, 25
	s_cbranch_scc0 .LBB86_564
; %bb.558:
	s_cmp_gt_i32 s10, 28
	s_cbranch_scc0 .LBB86_565
; %bb.559:
	s_cmp_gt_i32 s10, 43
	s_cbranch_scc0 .LBB86_566
; %bb.560:
	s_cmp_gt_i32 s10, 45
	s_cbranch_scc0 .LBB86_569
; %bb.561:
	s_cmp_eq_u32 s10, 46
	s_mov_b64 s[6:7], 0
	s_cbranch_scc0 .LBB86_572
; %bb.562:
	global_load_dword v2, v[0:1], off
	s_mov_b64 s[8:9], 0
	v_writelane_b32 v47, s8, 46
	s_mov_b64 s[4:5], -1
	v_writelane_b32 v47, s9, 47
	s_waitcnt vmcnt(0)
	v_lshlrev_b32_e32 v2, 16, v2
	v_cvt_f64_f32_e32 v[2:3], v2
	s_branch .LBB86_573
.LBB86_563:
	v_readlane_b32 s8, v47, 28
	v_readlane_b32 s9, v47, 29
	v_writelane_b32 v47, s8, 46
	s_mov_b64 s[6:7], -1
	s_mov_b64 s[4:5], 0
                                        ; implicit-def: $vgpr2_vgpr3
	v_writelane_b32 v47, s9, 47
	s_branch .LBB86_638
.LBB86_564:
	v_readlane_b32 s8, v47, 28
	v_readlane_b32 s9, v47, 29
	s_mov_b64 s[6:7], -1
	s_mov_b64 s[4:5], 0
	v_writelane_b32 v47, s8, 46
                                        ; implicit-def: $vgpr2_vgpr3
	v_writelane_b32 v47, s9, 47
	s_branch .LBB86_604
.LBB86_565:
	v_readlane_b32 s8, v47, 28
	v_readlane_b32 s9, v47, 29
	s_mov_b64 s[6:7], -1
	s_mov_b64 s[4:5], 0
	v_writelane_b32 v47, s8, 46
                                        ; implicit-def: $vgpr2_vgpr3
	v_writelane_b32 v47, s9, 47
	s_branch .LBB86_583
.LBB86_566:
	v_readlane_b32 s8, v47, 28
	v_readlane_b32 s9, v47, 29
	s_mov_b64 s[6:7], -1
	s_mov_b64 s[4:5], 0
	v_writelane_b32 v47, s8, 46
                                        ; implicit-def: $vgpr2_vgpr3
	v_writelane_b32 v47, s9, 47
	s_branch .LBB86_578
.LBB86_567:
	s_andn2_saveexec_b64 s[10:11], s[10:11]
	s_cbranch_execz .LBB86_336
.LBB86_568:
	s_mov_b32 s14, 0x46000000
	v_add_f32_e64 v3, |v2|, s14
	v_and_b32_e32 v3, 0xff, v3
	v_cmp_ne_u32_e32 vcc, 0, v3
	s_andn2_b64 s[8:9], s[8:9], exec
	s_and_b64 s[14:15], vcc, exec
	s_or_b64 s[8:9], s[8:9], s[14:15]
	s_or_b64 exec, exec, s[10:11]
	v_mov_b32_e32 v6, 0
	s_and_saveexec_b64 s[10:11], s[8:9]
	s_cbranch_execnz .LBB86_337
	s_branch .LBB86_338
.LBB86_569:
	v_readlane_b32 s8, v47, 28
	v_readlane_b32 s9, v47, 29
	s_mov_b64 s[6:7], -1
	s_mov_b64 s[4:5], 0
	v_writelane_b32 v47, s8, 46
	v_writelane_b32 v47, s9, 47
                                        ; implicit-def: $vgpr2_vgpr3
	s_branch .LBB86_573
.LBB86_570:
	s_andn2_saveexec_b64 s[10:11], s[10:11]
	s_cbranch_execz .LBB86_349
.LBB86_571:
	s_mov_b32 s14, 0x42800000
	v_add_f32_e64 v3, |v2|, s14
	v_and_b32_e32 v3, 0xff, v3
	v_cmp_ne_u32_e32 vcc, 0, v3
	s_andn2_b64 s[8:9], s[8:9], exec
	s_and_b64 s[14:15], vcc, exec
	s_or_b64 s[8:9], s[8:9], s[14:15]
	s_or_b64 exec, exec, s[10:11]
	v_mov_b32_e32 v6, 0
	s_and_saveexec_b64 s[10:11], s[8:9]
	s_cbranch_execnz .LBB86_350
	s_branch .LBB86_351
.LBB86_572:
	s_mov_b64 s[4:5], -1
	v_writelane_b32 v47, s4, 46
	v_writelane_b32 v47, s5, 47
                                        ; implicit-def: $vgpr2_vgpr3
	s_mov_b64 s[4:5], 0
.LBB86_573:
	s_and_b64 vcc, exec, s[6:7]
	s_cbranch_vccz .LBB86_577
; %bb.574:
	s_cmp_eq_u32 s10, 44
	s_cbranch_scc0 .LBB86_576
; %bb.575:
	global_load_ubyte v4, v[0:1], off
	s_movk_i32 s6, 0xff
	v_bfrev_b32_e32 v5, 4
	v_mov_b32_e32 v6, 0x7ff80000
	v_bfrev_b32_e32 v7, 28
	s_mov_b64 s[4:5], -1
	s_waitcnt vmcnt(0)
	v_lshlrev_b32_e32 v2, 23, v4
	v_cvt_f64_f32_e32 v[2:3], v2
	v_cmp_ne_u32_e32 vcc, s6, v4
	s_mov_b64 s[6:7], 0
	v_writelane_b32 v47, s6, 46
	v_cndmask_b32_e32 v2, v5, v2, vcc
	v_cndmask_b32_e32 v3, v6, v3, vcc
	v_cmp_ne_u32_e32 vcc, 0, v4
	v_cndmask_b32_e32 v3, v7, v3, vcc
	v_cndmask_b32_e32 v2, 0, v2, vcc
	v_writelane_b32 v47, s7, 47
	s_branch .LBB86_577
.LBB86_576:
	s_mov_b64 s[6:7], -1
	v_writelane_b32 v47, s6, 46
	v_writelane_b32 v47, s7, 47
                                        ; implicit-def: $vgpr2_vgpr3
.LBB86_577:
	s_mov_b64 s[6:7], 0
.LBB86_578:
	s_and_b64 vcc, exec, s[6:7]
	s_cbranch_vccz .LBB86_582
; %bb.579:
	s_cmp_eq_u32 s10, 29
	s_cbranch_scc0 .LBB86_581
; %bb.580:
	global_load_dwordx2 v[2:3], v[0:1], off
	s_mov_b64 s[6:7], 0
	v_writelane_b32 v47, s6, 46
	s_mov_b64 s[4:5], -1
	v_writelane_b32 v47, s7, 47
	s_mov_b64 s[6:7], 0
	s_waitcnt vmcnt(0)
	v_cvt_f64_u32_e32 v[3:4], v3
	v_cvt_f64_u32_e32 v[5:6], v2
	v_ldexp_f64 v[3:4], v[3:4], 32
	v_add_f64 v[2:3], v[3:4], v[5:6]
	s_branch .LBB86_583
.LBB86_581:
	s_mov_b64 s[6:7], -1
	v_writelane_b32 v47, s6, 46
	v_writelane_b32 v47, s7, 47
                                        ; implicit-def: $vgpr2_vgpr3
.LBB86_582:
	s_mov_b64 s[6:7], 0
.LBB86_583:
	s_and_b64 vcc, exec, s[6:7]
	s_cbranch_vccz .LBB86_603
; %bb.584:
	s_cmp_lt_i32 s10, 27
	s_cbranch_scc1 .LBB86_587
; %bb.585:
	s_cmp_gt_i32 s10, 27
	s_cbranch_scc0 .LBB86_588
; %bb.586:
	global_load_dword v2, v[0:1], off
	s_mov_b64 s[4:5], 0
	s_waitcnt vmcnt(0)
	v_cvt_f64_u32_e32 v[2:3], v2
	s_branch .LBB86_589
.LBB86_587:
	s_mov_b64 s[4:5], -1
                                        ; implicit-def: $vgpr2_vgpr3
	s_branch .LBB86_592
.LBB86_588:
	s_mov_b64 s[4:5], -1
                                        ; implicit-def: $vgpr2_vgpr3
.LBB86_589:
	s_andn2_b64 vcc, exec, s[4:5]
	s_cbranch_vccnz .LBB86_591
; %bb.590:
	global_load_ushort v2, v[0:1], off
	s_waitcnt vmcnt(0)
	v_cvt_f64_u32_e32 v[2:3], v2
.LBB86_591:
	s_mov_b64 s[4:5], 0
.LBB86_592:
	s_andn2_b64 vcc, exec, s[4:5]
	s_cbranch_vccnz .LBB86_602
; %bb.593:
	global_load_ubyte v4, v[0:1], off
	s_movk_i32 s4, 0x7f
	s_waitcnt vmcnt(0)
	v_cmp_lt_i16_e32 vcc, s4, v4
	s_mov_b64 s[4:5], 0
	s_and_saveexec_b64 s[6:7], vcc
	s_xor_b64 s[6:7], exec, s[6:7]
	s_cbranch_execz .LBB86_597
; %bb.594:
	s_movk_i32 s4, 0x80
	v_cmp_eq_u16_e32 vcc, s4, v4
	s_mov_b64 s[4:5], -1
	s_and_saveexec_b64 s[8:9], vcc
; %bb.595:
	s_xor_b64 s[4:5], exec, -1
; %bb.596:
	s_or_b64 exec, exec, s[8:9]
	s_and_b64 s[4:5], s[4:5], exec
.LBB86_597:
	s_or_saveexec_b64 s[6:7], s[6:7]
	v_bfrev_b32_e32 v2, 4
	v_mov_b32_e32 v3, 0x7ff80000
	s_xor_b64 exec, exec, s[6:7]
; %bb.598:
	v_cmp_ne_u16_e32 vcc, 0, v4
	v_mov_b32_e32 v2, 0
	s_andn2_b64 s[4:5], s[4:5], exec
	s_and_b64 s[8:9], vcc, exec
	v_mov_b32_e32 v3, 0
	s_or_b64 s[4:5], s[4:5], s[8:9]
; %bb.599:
	s_or_b64 exec, exec, s[6:7]
	s_and_saveexec_b64 s[6:7], s[4:5]
	s_cbranch_execz .LBB86_601
; %bb.600:
	v_and_b32_e32 v3, 0xffff, v4
	v_lshlrev_b32_e32 v2, 24, v4
	v_and_b32_e32 v4, 7, v3
	v_ffbh_u32_e32 v6, v4
	v_min_u32_e32 v6, 32, v6
	v_subrev_u32_e32 v7, 28, v6
	v_bfe_u32 v5, v3, 3, 4
	v_lshlrev_b32_e32 v3, v7, v3
	v_sub_u32_e32 v6, 29, v6
	v_and_b32_e32 v3, 7, v3
	v_cmp_eq_u32_e32 vcc, 0, v5
	v_cndmask_b32_e32 v5, v5, v6, vcc
	v_cndmask_b32_e32 v3, v4, v3, vcc
	v_mov_b32_e32 v4, 0x3b800000
	v_lshlrev_b32_e32 v3, 20, v3
	v_and_b32_e32 v2, 0x80000000, v2
	v_lshl_add_u32 v4, v5, 23, v4
	v_or3_b32 v2, v2, v4, v3
	v_cvt_f64_f32_e32 v[2:3], v2
.LBB86_601:
	s_or_b64 exec, exec, s[6:7]
.LBB86_602:
	s_mov_b64 s[4:5], -1
.LBB86_603:
	s_mov_b64 s[6:7], 0
.LBB86_604:
	s_and_b64 vcc, exec, s[6:7]
	s_cbranch_vccz .LBB86_637
; %bb.605:
	s_cmp_gt_i32 s10, 22
	s_cbranch_scc0 .LBB86_617
; %bb.606:
	s_cmp_lt_i32 s10, 24
	s_cbranch_scc1 .LBB86_618
; %bb.607:
	s_cmp_gt_i32 s10, 24
	s_cbranch_scc0 .LBB86_619
; %bb.608:
	global_load_ubyte v4, v[0:1], off
	s_movk_i32 s4, 0x7f
	s_waitcnt vmcnt(0)
	v_cmp_lt_i16_e32 vcc, s4, v4
	s_mov_b64 s[4:5], 0
	s_and_saveexec_b64 s[6:7], vcc
	s_xor_b64 s[6:7], exec, s[6:7]
	s_cbranch_execz .LBB86_612
; %bb.609:
	s_movk_i32 s4, 0x80
	v_cmp_eq_u16_e32 vcc, s4, v4
	s_mov_b64 s[4:5], -1
	s_and_saveexec_b64 s[8:9], vcc
; %bb.610:
	s_xor_b64 s[4:5], exec, -1
; %bb.611:
	s_or_b64 exec, exec, s[8:9]
	s_and_b64 s[4:5], s[4:5], exec
.LBB86_612:
	s_or_saveexec_b64 s[6:7], s[6:7]
	v_bfrev_b32_e32 v2, 4
	v_mov_b32_e32 v3, 0x7ff80000
	s_xor_b64 exec, exec, s[6:7]
; %bb.613:
	v_cmp_ne_u16_e32 vcc, 0, v4
	v_mov_b32_e32 v2, 0
	s_andn2_b64 s[4:5], s[4:5], exec
	s_and_b64 s[8:9], vcc, exec
	v_mov_b32_e32 v3, 0
	s_or_b64 s[4:5], s[4:5], s[8:9]
; %bb.614:
	s_or_b64 exec, exec, s[6:7]
	s_and_saveexec_b64 s[6:7], s[4:5]
	s_cbranch_execz .LBB86_616
; %bb.615:
	v_and_b32_e32 v3, 0xffff, v4
	v_lshlrev_b32_e32 v2, 24, v4
	v_and_b32_e32 v4, 3, v3
	v_ffbh_u32_e32 v6, v4
	v_min_u32_e32 v6, 32, v6
	v_subrev_u32_e32 v7, 29, v6
	v_bfe_u32 v5, v3, 2, 5
	v_lshlrev_b32_e32 v3, v7, v3
	v_sub_u32_e32 v6, 30, v6
	v_and_b32_e32 v3, 3, v3
	v_cmp_eq_u32_e32 vcc, 0, v5
	v_cndmask_b32_e32 v5, v5, v6, vcc
	v_cndmask_b32_e32 v3, v4, v3, vcc
	v_mov_b32_e32 v4, 0x37800000
	v_lshlrev_b32_e32 v3, 21, v3
	v_and_b32_e32 v2, 0x80000000, v2
	v_lshl_add_u32 v4, v5, 23, v4
	v_or3_b32 v2, v2, v4, v3
	v_cvt_f64_f32_e32 v[2:3], v2
.LBB86_616:
	s_or_b64 exec, exec, s[6:7]
	s_mov_b64 s[4:5], 0
	s_branch .LBB86_620
.LBB86_617:
	s_mov_b64 s[6:7], -1
                                        ; implicit-def: $vgpr2_vgpr3
	s_branch .LBB86_626
.LBB86_618:
	s_mov_b64 s[4:5], -1
                                        ; implicit-def: $vgpr2_vgpr3
	s_branch .LBB86_623
.LBB86_619:
	s_mov_b64 s[4:5], -1
                                        ; implicit-def: $vgpr2_vgpr3
.LBB86_620:
	s_and_b64 vcc, exec, s[4:5]
	s_cbranch_vccz .LBB86_622
; %bb.621:
	global_load_ubyte v2, v[0:1], off
	s_mov_b32 s4, 0x7f800000
	s_waitcnt vmcnt(0)
	v_lshlrev_b32_e32 v2, 24, v2
	v_and_b32_e32 v3, 0x7f000000, v2
	v_ffbh_u32_e32 v4, v3
	v_min_u32_e32 v4, 32, v4
	v_sub_u32_e64 v4, v4, 4 clamp
	v_lshlrev_b32_e32 v6, v4, v3
	v_lshlrev_b32_e32 v4, 23, v4
	v_lshrrev_b32_e32 v6, 4, v6
	v_add_u32_e32 v5, 0x1000000, v3
	v_sub_u32_e32 v4, v6, v4
	v_ashrrev_i32_e32 v5, 8, v5
	v_add_u32_e32 v4, 0x3c000000, v4
	v_and_or_b32 v4, v5, s4, v4
	v_cmp_ne_u32_e32 vcc, 0, v3
	v_cndmask_b32_e32 v3, 0, v4, vcc
	s_brev_b32 s4, 1
	v_and_or_b32 v2, v2, s4, v3
	v_cvt_f64_f32_e32 v[2:3], v2
.LBB86_622:
	s_mov_b64 s[4:5], 0
.LBB86_623:
	s_andn2_b64 vcc, exec, s[4:5]
	s_cbranch_vccnz .LBB86_625
; %bb.624:
	global_load_ubyte v2, v[0:1], off
	s_movk_i32 s4, 0x7f00
	s_brev_b32 s5, 16
	s_waitcnt vmcnt(0)
	v_lshlrev_b16_e32 v3, 8, v2
	v_lshlrev_b32_e32 v2, 25, v2
	v_lshrrev_b32_e32 v4, 4, v2
	v_and_or_b32 v5, v3, s4, 0.5
	v_or_b32_e32 v4, 0x70000000, v4
	v_add_f32_e32 v5, -0.5, v5
	v_mul_f32_e32 v4, 0x7800000, v4
	v_cmp_gt_u32_e32 vcc, s5, v2
	v_bfe_i32 v3, v3, 0, 16
	v_cndmask_b32_e32 v2, v4, v5, vcc
	s_brev_b32 s4, 1
	v_and_or_b32 v2, v3, s4, v2
	v_cvt_f64_f32_e32 v[2:3], v2
.LBB86_625:
	s_mov_b64 s[6:7], 0
	s_mov_b64 s[4:5], -1
.LBB86_626:
	s_andn2_b64 vcc, exec, s[6:7]
	s_cbranch_vccnz .LBB86_637
; %bb.627:
	s_cmp_gt_i32 s10, 14
	s_cbranch_scc0 .LBB86_630
; %bb.628:
	s_cmp_eq_u32 s10, 15
	s_cbranch_scc0 .LBB86_631
; %bb.629:
	global_load_ushort v2, v[0:1], off
	s_mov_b64 s[6:7], 0
	v_writelane_b32 v47, s6, 46
	s_mov_b64 s[4:5], -1
	v_writelane_b32 v47, s7, 47
	s_waitcnt vmcnt(0)
	v_lshlrev_b32_e32 v2, 16, v2
	v_cvt_f64_f32_e32 v[2:3], v2
	s_branch .LBB86_632
.LBB86_630:
	s_mov_b64 s[6:7], -1
                                        ; implicit-def: $vgpr2_vgpr3
	s_branch .LBB86_633
.LBB86_631:
	s_mov_b64 s[6:7], -1
	v_writelane_b32 v47, s6, 46
	v_writelane_b32 v47, s7, 47
                                        ; implicit-def: $vgpr2_vgpr3
.LBB86_632:
	s_mov_b64 s[6:7], 0
.LBB86_633:
	s_and_b64 vcc, exec, s[6:7]
	s_cbranch_vccz .LBB86_637
; %bb.634:
	s_cmp_eq_u32 s10, 11
	s_cbranch_scc0 .LBB86_636
; %bb.635:
	global_load_ubyte v3, v[0:1], off
	v_mov_b32_e32 v4, 0x3ff00000
	s_mov_b64 s[6:7], 0
	s_waitcnt vmcnt(1)
	v_mov_b32_e32 v2, 0
	s_mov_b64 s[4:5], -1
	v_writelane_b32 v47, s6, 46
	v_writelane_b32 v47, s7, 47
	s_waitcnt vmcnt(0)
	v_cmp_ne_u16_e32 vcc, 0, v3
	v_cndmask_b32_e32 v3, 0, v4, vcc
	s_branch .LBB86_637
.LBB86_636:
	s_mov_b64 s[6:7], -1
	v_writelane_b32 v47, s6, 46
	v_writelane_b32 v47, s7, 47
                                        ; implicit-def: $vgpr2_vgpr3
.LBB86_637:
	s_mov_b64 s[6:7], 0
.LBB86_638:
	s_and_b64 vcc, exec, s[6:7]
	s_cbranch_vccz .LBB86_687
; %bb.639:
	s_cmp_lt_i32 s10, 5
	s_cbranch_scc1 .LBB86_644
; %bb.640:
	s_cmp_lt_i32 s10, 8
	s_cbranch_scc1 .LBB86_645
	;; [unrolled: 3-line block ×3, first 2 shown]
; %bb.642:
	s_cmp_gt_i32 s10, 9
	s_cbranch_scc0 .LBB86_647
; %bb.643:
	global_load_dwordx2 v[2:3], v[0:1], off
	s_mov_b64 s[4:5], 0
	s_branch .LBB86_648
.LBB86_644:
	s_mov_b64 s[4:5], -1
                                        ; implicit-def: $vgpr2_vgpr3
	s_branch .LBB86_666
.LBB86_645:
	s_mov_b64 s[4:5], -1
                                        ; implicit-def: $vgpr2_vgpr3
	s_branch .LBB86_654
.LBB86_646:
	s_mov_b64 s[4:5], -1
                                        ; implicit-def: $vgpr2_vgpr3
	s_branch .LBB86_651
.LBB86_647:
	s_mov_b64 s[4:5], -1
                                        ; implicit-def: $vgpr2_vgpr3
.LBB86_648:
	s_andn2_b64 vcc, exec, s[4:5]
	s_cbranch_vccnz .LBB86_650
; %bb.649:
	global_load_dword v2, v[0:1], off
	s_waitcnt vmcnt(0)
	v_cvt_f64_f32_e32 v[2:3], v2
.LBB86_650:
	s_mov_b64 s[4:5], 0
.LBB86_651:
	s_andn2_b64 vcc, exec, s[4:5]
	s_cbranch_vccnz .LBB86_653
; %bb.652:
	global_load_dword v2, v[0:1], off
	s_waitcnt vmcnt(0)
	v_cvt_f32_f16_e32 v2, v2
	v_cvt_f64_f32_e32 v[2:3], v2
.LBB86_653:
	s_mov_b64 s[4:5], 0
.LBB86_654:
	s_andn2_b64 vcc, exec, s[4:5]
	s_cbranch_vccnz .LBB86_665
; %bb.655:
	s_cmp_lt_i32 s10, 6
	s_cbranch_scc1 .LBB86_658
; %bb.656:
	s_cmp_gt_i32 s10, 6
	s_cbranch_scc0 .LBB86_659
; %bb.657:
	global_load_dwordx2 v[2:3], v[0:1], off
	s_mov_b64 s[4:5], 0
	s_branch .LBB86_660
.LBB86_658:
	s_mov_b64 s[4:5], -1
                                        ; implicit-def: $vgpr2_vgpr3
	s_branch .LBB86_663
.LBB86_659:
	s_mov_b64 s[4:5], -1
                                        ; implicit-def: $vgpr2_vgpr3
.LBB86_660:
	s_andn2_b64 vcc, exec, s[4:5]
	s_cbranch_vccnz .LBB86_662
; %bb.661:
	global_load_dword v2, v[0:1], off
	s_waitcnt vmcnt(0)
	v_cvt_f64_f32_e32 v[2:3], v2
.LBB86_662:
	s_mov_b64 s[4:5], 0
.LBB86_663:
	s_andn2_b64 vcc, exec, s[4:5]
	s_cbranch_vccnz .LBB86_665
; %bb.664:
	global_load_ushort v2, v[0:1], off
	s_waitcnt vmcnt(0)
	v_cvt_f32_f16_e32 v2, v2
	v_cvt_f64_f32_e32 v[2:3], v2
.LBB86_665:
	s_mov_b64 s[4:5], 0
.LBB86_666:
	s_andn2_b64 vcc, exec, s[4:5]
	s_cbranch_vccnz .LBB86_686
; %bb.667:
	s_cmp_lt_i32 s10, 2
	s_cbranch_scc1 .LBB86_671
; %bb.668:
	s_cmp_lt_i32 s10, 3
	s_cbranch_scc1 .LBB86_672
; %bb.669:
	s_cmp_gt_i32 s10, 3
	s_cbranch_scc0 .LBB86_673
; %bb.670:
	global_load_dwordx2 v[2:3], v[0:1], off
	s_mov_b64 s[4:5], 0
	s_waitcnt vmcnt(0)
	v_cvt_f64_i32_e32 v[3:4], v3
	v_cvt_f64_u32_e32 v[5:6], v2
	v_ldexp_f64 v[3:4], v[3:4], 32
	v_add_f64 v[2:3], v[3:4], v[5:6]
	s_branch .LBB86_674
.LBB86_671:
	s_mov_b64 s[4:5], -1
                                        ; implicit-def: $vgpr2_vgpr3
	s_branch .LBB86_680
.LBB86_672:
	s_mov_b64 s[4:5], -1
                                        ; implicit-def: $vgpr2_vgpr3
	s_branch .LBB86_677
.LBB86_673:
	s_mov_b64 s[4:5], -1
                                        ; implicit-def: $vgpr2_vgpr3
.LBB86_674:
	s_andn2_b64 vcc, exec, s[4:5]
	s_cbranch_vccnz .LBB86_676
; %bb.675:
	global_load_dword v2, v[0:1], off
	s_waitcnt vmcnt(0)
	v_cvt_f64_i32_e32 v[2:3], v2
.LBB86_676:
	s_mov_b64 s[4:5], 0
.LBB86_677:
	s_andn2_b64 vcc, exec, s[4:5]
	s_cbranch_vccnz .LBB86_679
; %bb.678:
	global_load_sshort v2, v[0:1], off
	s_waitcnt vmcnt(0)
	v_cvt_f64_i32_e32 v[2:3], v2
.LBB86_679:
	s_mov_b64 s[4:5], 0
.LBB86_680:
	s_andn2_b64 vcc, exec, s[4:5]
	s_cbranch_vccnz .LBB86_686
; %bb.681:
	s_cmp_gt_i32 s10, 0
	s_cbranch_scc0 .LBB86_683
; %bb.682:
	global_load_sbyte v2, v[0:1], off
	s_mov_b64 s[4:5], 0
	s_waitcnt vmcnt(0)
	v_cvt_f64_i32_e32 v[2:3], v2
	s_branch .LBB86_684
.LBB86_683:
	s_mov_b64 s[4:5], -1
                                        ; implicit-def: $vgpr2_vgpr3
.LBB86_684:
	s_andn2_b64 vcc, exec, s[4:5]
	s_cbranch_vccnz .LBB86_686
; %bb.685:
	global_load_ubyte v0, v[0:1], off
	s_waitcnt vmcnt(0)
	v_cvt_f64_u32_e32 v[2:3], v0
.LBB86_686:
	s_mov_b64 s[4:5], -1
.LBB86_687:
	s_andn2_b64 vcc, exec, s[4:5]
	s_cbranch_vccnz .LBB86_695
; %bb.688:
	v_writelane_b32 v47, s52, 36
	v_writelane_b32 v47, s39, 37
	;; [unrolled: 1-line block ×3, first 2 shown]
	s_getpc_b64 s[4:5]
	s_add_u32 s4, s4, _ZZZZN2at6native21polygamma_kernel_cudaERNS_18TensorIteratorBaseElENKUlvE_clEvENKUlvE_clEvENKUldE_clEd@rel32@lo+4
	s_addc_u32 s5, s5, _ZZZZN2at6native21polygamma_kernel_cudaERNS_18TensorIteratorBaseElENKUlvE_clEvENKUlvE_clEvENKUldE_clEd@rel32@hi+12
	v_mov_b32_e32 v0, s54
	v_mov_b32_e32 v1, s55
	s_mov_b32 s33, s87
	v_writelane_b32 v47, s41, 39
	s_mov_b64 s[86:87], s[54:55]
	s_swappc_b64 s[30:31], s[4:5]
	v_mov_b32_e32 v2, s97
	s_and_b32 s12, s33, 0xff
	v_add_co_u32_e32 v4, vcc, s96, v41
	s_mov_b32 s10, s33
	s_cmp_lt_i32 s12, 11
	v_addc_co_u32_e32 v5, vcc, 0, v2, vcc
	s_cbranch_scc1 .LBB86_696
; %bb.689:
	s_and_b32 s13, 0xffff, s12
	s_cmp_gt_i32 s13, 25
	s_cbranch_scc0 .LBB86_697
; %bb.690:
	v_readlane_b32 s40, v47, 38
	v_readlane_b32 s44, v47, 30
	s_cmp_gt_i32 s13, 28
	v_readlane_b32 s41, v47, 39
	v_readlane_b32 s39, v47, 37
	s_mov_b64 s[42:43], 0
	v_readlane_b32 s45, v47, 31
	s_mov_b64 s[54:55], s[86:87]
	s_cbranch_scc0 .LBB86_698
; %bb.691:
	v_readlane_b32 s46, v47, 32
	s_cmp_gt_i32 s13, 43
	v_readlane_b32 s52, v47, 36
	v_readlane_b32 s47, v47, 33
	s_mov_b32 s87, s10
	s_cbranch_scc0 .LBB86_699
; %bb.692:
	s_cmp_gt_i32 s13, 45
	s_cbranch_scc0 .LBB86_700
; %bb.693:
	s_mov_b64 s[8:9], 0
	s_mov_b64 s[4:5], -1
	s_cmp_eq_u32 s13, 46
	s_mov_b64 s[6:7], 0
	s_cbranch_scc0 .LBB86_701
; %bb.694:
	v_cvt_f32_f64_e32 v2, v[0:1]
	s_movk_i32 s4, 0x7fff
	v_mov_b32_e32 v3, 0x7fc0
	s_mov_b64 s[6:7], -1
	v_bfe_u32 v6, v2, 16, 1
	v_cmp_o_f32_e32 vcc, v2, v2
	v_add3_u32 v2, v2, v6, s4
	v_cndmask_b32_sdwa v2, v3, v2, vcc dst_sel:DWORD dst_unused:UNUSED_PAD src0_sel:DWORD src1_sel:WORD_1
	global_store_dword v[4:5], v2, off
	s_mov_b64 s[4:5], 0
	s_branch .LBB86_701
.LBB86_695:
	v_readlane_b32 s8, v47, 40
	v_readlane_b32 s9, v47, 41
	s_mov_b64 s[6:7], 0
	s_mov_b64 s[4:5], s[8:9]
                                        ; implicit-def: $vgpr43
	s_branch .LBB86_813
.LBB86_696:
	v_readlane_b32 s4, v47, 40
	v_readlane_b32 s40, v47, 38
	;; [unrolled: 1-line block ×4, first 2 shown]
	s_mov_b64 s[8:9], -1
	s_mov_b64 s[6:7], 0
	v_readlane_b32 s5, v47, 41
	v_readlane_b32 s41, v47, 39
	v_readlane_b32 s39, v47, 37
	v_readlane_b32 s52, v47, 36
	s_mov_b64 s[42:43], 0
	v_readlane_b32 s45, v47, 31
	v_readlane_b32 s47, v47, 33
	s_mov_b64 s[54:55], s[86:87]
	s_mov_b32 s87, s10
	s_branch .LBB86_770
.LBB86_697:
	v_readlane_b32 s4, v47, 40
	v_readlane_b32 s40, v47, 38
	;; [unrolled: 1-line block ×4, first 2 shown]
	s_mov_b64 s[8:9], -1
	s_mov_b64 s[6:7], 0
	v_readlane_b32 s5, v47, 41
	v_readlane_b32 s41, v47, 39
	;; [unrolled: 1-line block ×4, first 2 shown]
	s_mov_b64 s[42:43], 0
	v_readlane_b32 s45, v47, 31
	v_readlane_b32 s47, v47, 33
	s_mov_b64 s[54:55], s[86:87]
	s_mov_b32 s87, s10
	s_branch .LBB86_728
.LBB86_698:
	v_readlane_b32 s4, v47, 40
	v_readlane_b32 s46, v47, 32
	s_mov_b64 s[8:9], -1
	s_mov_b64 s[6:7], 0
	v_readlane_b32 s5, v47, 41
	v_readlane_b32 s52, v47, 36
	;; [unrolled: 1-line block ×3, first 2 shown]
	s_mov_b32 s87, s10
	s_branch .LBB86_711
.LBB86_699:
	v_readlane_b32 s4, v47, 40
	s_mov_b64 s[8:9], -1
	s_mov_b64 s[6:7], 0
	v_readlane_b32 s5, v47, 41
	s_branch .LBB86_707
.LBB86_700:
	v_readlane_b32 s4, v47, 40
	s_mov_b64 s[8:9], -1
	s_mov_b64 s[6:7], 0
	v_readlane_b32 s5, v47, 41
.LBB86_701:
	s_and_b64 vcc, exec, s[8:9]
	s_cbranch_vccz .LBB86_706
; %bb.702:
	s_cmp_eq_u32 s13, 44
	s_mov_b64 s[4:5], -1
	s_cbranch_scc0 .LBB86_706
; %bb.703:
	v_cvt_f32_f64_e32 v2, v[0:1]
	s_movk_i32 s4, 0xff
	v_mov_b32_e32 v6, 0xff
	v_bfe_u32 v3, v2, 23, 8
	v_cmp_ne_u32_e32 vcc, s4, v3
	s_and_saveexec_b64 s[6:7], vcc
; %bb.704:
	s_mov_b32 s4, 0x3fffff
	v_lshrrev_b32_e32 v6, 23, v2
	v_and_b32_e32 v7, 0x400000, v2
	v_and_or_b32 v2, v2, s4, v3
	v_cmp_ne_u32_e32 vcc, 0, v7
	v_cmp_ne_u32_e64 s[4:5], 0, v2
	s_and_b64 s[4:5], vcc, s[4:5]
	v_cndmask_b32_e64 v2, 0, 1, s[4:5]
	v_add_u32_e32 v6, v6, v2
; %bb.705:
	s_or_b64 exec, exec, s[6:7]
	s_mov_b64 s[6:7], -1
	s_mov_b64 s[4:5], 0
	global_store_byte v[4:5], v6, off
.LBB86_706:
	s_mov_b64 s[8:9], 0
.LBB86_707:
	s_and_b64 vcc, exec, s[8:9]
	s_cbranch_vccz .LBB86_710
; %bb.708:
	s_cmp_eq_u32 s13, 29
	s_mov_b64 s[4:5], -1
	s_cbranch_scc0 .LBB86_710
; %bb.709:
	v_trunc_f64_e32 v[2:3], v[0:1]
	s_movk_i32 s4, 0xffe0
	s_mov_b64 s[6:7], -1
	s_mov_b64 s[8:9], 0
	v_ldexp_f64 v[6:7], v[2:3], s4
	s_mov_b32 s4, 0
	s_mov_b32 s5, 0xc1f00000
	v_floor_f64_e32 v[6:7], v[6:7]
	v_fma_f64 v[2:3], v[6:7], s[4:5], v[2:3]
	v_cvt_u32_f64_e32 v7, v[6:7]
	s_mov_b64 s[4:5], 0
	v_cvt_u32_f64_e32 v6, v[2:3]
	global_store_dwordx2 v[4:5], v[6:7], off
	s_branch .LBB86_711
.LBB86_710:
	s_mov_b64 s[8:9], 0
.LBB86_711:
	s_and_b64 vcc, exec, s[8:9]
	s_cbranch_vccz .LBB86_727
; %bb.712:
	s_cmp_lt_i32 s13, 27
	s_mov_b64 s[6:7], -1
	s_cbranch_scc1 .LBB86_718
; %bb.713:
	v_cvt_u32_f64_e32 v2, v[0:1]
	s_cmp_gt_i32 s13, 27
	s_cbranch_scc0 .LBB86_715
; %bb.714:
	s_mov_b64 s[6:7], 0
	global_store_dword v[4:5], v2, off
.LBB86_715:
	s_andn2_b64 vcc, exec, s[6:7]
	s_cbranch_vccnz .LBB86_717
; %bb.716:
	global_store_short v[4:5], v2, off
.LBB86_717:
	s_mov_b64 s[6:7], 0
.LBB86_718:
	s_andn2_b64 vcc, exec, s[6:7]
	s_cbranch_vccnz .LBB86_726
; %bb.719:
	v_cvt_f32_f64_e32 v2, v[0:1]
	s_mov_b32 s6, 0x43800000
	v_mov_b32_e32 v6, 0x80
	v_and_b32_e32 v3, 0x7fffffff, v2
	v_cmp_gt_u32_e32 vcc, s6, v3
	s_and_saveexec_b64 s[6:7], vcc
	s_cbranch_execz .LBB86_725
; %bb.720:
	s_mov_b32 s8, 0x3bffffff
	v_cmp_lt_u32_e32 vcc, s8, v3
	s_mov_b64 s[8:9], 0
                                        ; implicit-def: $vgpr3
	s_and_saveexec_b64 s[10:11], vcc
	s_xor_b64 s[10:11], exec, s[10:11]
	s_cbranch_execz .LBB86_842
; %bb.721:
	v_bfe_u32 v3, v2, 20, 1
	s_mov_b32 s14, 0x487ffff
	v_add3_u32 v3, v2, v3, s14
	s_mov_b64 s[8:9], exec
	v_lshrrev_b32_e32 v3, 20, v3
	s_andn2_saveexec_b64 s[10:11], s[10:11]
	s_cbranch_execnz .LBB86_843
.LBB86_722:
	s_or_b64 exec, exec, s[10:11]
	v_mov_b32_e32 v6, 0
	s_and_saveexec_b64 s[10:11], s[8:9]
.LBB86_723:
	v_lshrrev_b32_e32 v2, 24, v2
	s_movk_i32 s8, 0x80
	v_and_or_b32 v6, v2, s8, v3
.LBB86_724:
	s_or_b64 exec, exec, s[10:11]
.LBB86_725:
	s_or_b64 exec, exec, s[6:7]
	global_store_byte v[4:5], v6, off
.LBB86_726:
	s_mov_b64 s[6:7], -1
.LBB86_727:
	s_mov_b64 s[8:9], 0
.LBB86_728:
	s_and_b64 vcc, exec, s[8:9]
	s_cbranch_vccz .LBB86_769
; %bb.729:
	s_cmp_gt_i32 s13, 22
	s_mov_b64 s[8:9], -1
	s_cbranch_scc0 .LBB86_761
; %bb.730:
	s_cmp_lt_i32 s13, 24
	s_mov_b64 s[6:7], -1
	s_cbranch_scc1 .LBB86_750
; %bb.731:
	s_cmp_gt_i32 s13, 24
	s_cbranch_scc0 .LBB86_739
; %bb.732:
	v_cvt_f32_f64_e32 v2, v[0:1]
	s_mov_b32 s6, 0x47800000
	v_mov_b32_e32 v6, 0x80
	v_and_b32_e32 v3, 0x7fffffff, v2
	v_cmp_gt_u32_e32 vcc, s6, v3
	s_and_saveexec_b64 s[6:7], vcc
	s_cbranch_execz .LBB86_738
; %bb.733:
	s_mov_b32 s8, 0x37ffffff
	v_cmp_lt_u32_e32 vcc, s8, v3
	s_mov_b64 s[8:9], 0
                                        ; implicit-def: $vgpr3
	s_and_saveexec_b64 s[10:11], vcc
	s_xor_b64 s[10:11], exec, s[10:11]
	s_cbranch_execz .LBB86_845
; %bb.734:
	v_bfe_u32 v3, v2, 21, 1
	s_mov_b32 s14, 0x88fffff
	v_add3_u32 v3, v2, v3, s14
	s_mov_b64 s[8:9], exec
	v_lshrrev_b32_e32 v3, 21, v3
	s_andn2_saveexec_b64 s[10:11], s[10:11]
	s_cbranch_execnz .LBB86_846
.LBB86_735:
	s_or_b64 exec, exec, s[10:11]
	v_mov_b32_e32 v6, 0
	s_and_saveexec_b64 s[10:11], s[8:9]
.LBB86_736:
	v_lshrrev_b32_e32 v2, 24, v2
	s_movk_i32 s8, 0x80
	v_and_or_b32 v6, v2, s8, v3
.LBB86_737:
	s_or_b64 exec, exec, s[10:11]
.LBB86_738:
	s_or_b64 exec, exec, s[6:7]
	s_mov_b64 s[6:7], 0
	global_store_byte v[4:5], v6, off
.LBB86_739:
	s_and_b64 vcc, exec, s[6:7]
	s_cbranch_vccz .LBB86_749
; %bb.740:
	v_cvt_f32_f64_e32 v2, v[0:1]
	s_mov_b32 s6, 0x43f00000
                                        ; implicit-def: $vgpr3
	v_and_b32_e32 v6, 0x7fffffff, v2
	v_cmp_gt_u32_e32 vcc, s6, v6
	s_and_saveexec_b64 s[6:7], vcc
	s_xor_b64 s[6:7], exec, s[6:7]
	s_cbranch_execz .LBB86_746
; %bb.741:
	s_mov_b32 s8, 0x3c7fffff
	v_cmp_lt_u32_e32 vcc, s8, v6
                                        ; implicit-def: $vgpr3
	s_and_saveexec_b64 s[8:9], vcc
	s_xor_b64 s[8:9], exec, s[8:9]
; %bb.742:
	v_bfe_u32 v3, v2, 20, 1
	s_mov_b32 s10, 0x407ffff
	v_add3_u32 v3, v2, v3, s10
	v_lshrrev_b32_e32 v6, 20, v3
	v_and_b32_e32 v3, 0xff00000, v3
	s_mov_b32 s10, 0x7f00000
	v_mov_b32_e32 v7, 0x7e
	v_cmp_ne_u32_e32 vcc, s10, v3
	v_cndmask_b32_e32 v3, v7, v6, vcc
; %bb.743:
	s_andn2_saveexec_b64 s[8:9], s[8:9]
; %bb.744:
	s_mov_b32 s10, 0x46800000
	v_add_f32_e64 v3, |v2|, s10
; %bb.745:
	s_or_b64 exec, exec, s[8:9]
                                        ; implicit-def: $vgpr6
.LBB86_746:
	s_andn2_saveexec_b64 s[6:7], s[6:7]
; %bb.747:
	s_mov_b32 s8, 0x7f800000
	v_mov_b32_e32 v3, 0x7e
	v_mov_b32_e32 v7, 0x7f
	v_cmp_lt_u32_e32 vcc, s8, v6
	v_cndmask_b32_e32 v3, v3, v7, vcc
; %bb.748:
	s_or_b64 exec, exec, s[6:7]
	v_lshrrev_b32_e32 v2, 24, v2
	s_movk_i32 s6, 0x80
	v_and_or_b32 v2, v2, s6, v3
	global_store_byte v[4:5], v2, off
.LBB86_749:
	s_mov_b64 s[6:7], 0
.LBB86_750:
	s_andn2_b64 vcc, exec, s[6:7]
	s_cbranch_vccnz .LBB86_760
; %bb.751:
	v_cvt_f32_f64_e32 v2, v[0:1]
	s_mov_b32 s6, 0x47800000
                                        ; implicit-def: $vgpr3
	v_and_b32_e32 v6, 0x7fffffff, v2
	v_cmp_gt_u32_e32 vcc, s6, v6
	s_and_saveexec_b64 s[6:7], vcc
	s_xor_b64 s[6:7], exec, s[6:7]
	s_cbranch_execz .LBB86_757
; %bb.752:
	s_mov_b32 s8, 0x387fffff
	v_cmp_lt_u32_e32 vcc, s8, v6
                                        ; implicit-def: $vgpr3
	s_and_saveexec_b64 s[8:9], vcc
	s_xor_b64 s[8:9], exec, s[8:9]
; %bb.753:
	v_bfe_u32 v3, v2, 21, 1
	s_mov_b32 s10, 0x80fffff
	v_add3_u32 v3, v2, v3, s10
	v_lshrrev_b32_e32 v3, 21, v3
; %bb.754:
	s_andn2_saveexec_b64 s[8:9], s[8:9]
; %bb.755:
	s_mov_b32 s10, 0x43000000
	v_add_f32_e64 v3, |v2|, s10
; %bb.756:
	s_or_b64 exec, exec, s[8:9]
                                        ; implicit-def: $vgpr6
.LBB86_757:
	s_andn2_saveexec_b64 s[6:7], s[6:7]
; %bb.758:
	s_mov_b32 s8, 0x7f800000
	v_mov_b32_e32 v3, 0x7c
	v_mov_b32_e32 v7, 0x7f
	v_cmp_lt_u32_e32 vcc, s8, v6
	v_cndmask_b32_e32 v3, v3, v7, vcc
; %bb.759:
	s_or_b64 exec, exec, s[6:7]
	v_lshrrev_b32_e32 v2, 24, v2
	s_movk_i32 s6, 0x80
	v_and_or_b32 v2, v2, s6, v3
	global_store_byte v[4:5], v2, off
.LBB86_760:
	s_mov_b64 s[8:9], 0
	s_mov_b64 s[6:7], -1
.LBB86_761:
	s_andn2_b64 vcc, exec, s[8:9]
	s_cbranch_vccnz .LBB86_769
; %bb.762:
	s_cmp_gt_i32 s13, 14
	s_mov_b64 s[8:9], -1
	s_cbranch_scc0 .LBB86_766
; %bb.763:
	s_cmp_eq_u32 s13, 15
	s_mov_b64 s[4:5], -1
	s_cbranch_scc0 .LBB86_765
; %bb.764:
	v_cvt_f32_f64_e32 v2, v[0:1]
	s_movk_i32 s4, 0x7fff
	v_mov_b32_e32 v3, 0x7fc0
	s_mov_b64 s[6:7], -1
	v_bfe_u32 v6, v2, 16, 1
	v_cmp_o_f32_e32 vcc, v2, v2
	v_add3_u32 v2, v2, v6, s4
	v_cndmask_b32_sdwa v2, v3, v2, vcc dst_sel:DWORD dst_unused:UNUSED_PAD src0_sel:DWORD src1_sel:WORD_1
	global_store_short v[4:5], v2, off
	s_mov_b64 s[4:5], 0
.LBB86_765:
	s_mov_b64 s[8:9], 0
.LBB86_766:
	s_and_b64 vcc, exec, s[8:9]
	s_cbranch_vccz .LBB86_769
; %bb.767:
	s_cmp_eq_u32 s13, 11
	s_mov_b64 s[4:5], -1
	s_cbranch_scc0 .LBB86_769
; %bb.768:
	v_cmp_neq_f64_e32 vcc, 0, v[0:1]
	s_mov_b64 s[4:5], 0
	s_mov_b64 s[6:7], -1
	v_cndmask_b32_e64 v2, 0, 1, vcc
	global_store_byte v[4:5], v2, off
.LBB86_769:
	s_mov_b64 s[8:9], 0
.LBB86_770:
	s_and_b64 vcc, exec, s[8:9]
	s_cbranch_vccz .LBB86_809
; %bb.771:
	s_and_b32 s8, 0xffff, s12
	s_cmp_lt_i32 s8, 5
	s_mov_b64 s[6:7], -1
	s_cbranch_scc1 .LBB86_792
; %bb.772:
	s_cmp_lt_i32 s8, 8
	s_cbranch_scc1 .LBB86_782
; %bb.773:
	s_cmp_lt_i32 s8, 9
	s_cbranch_scc1 .LBB86_779
; %bb.774:
	s_cmp_gt_i32 s8, 9
	s_cbranch_scc0 .LBB86_776
; %bb.775:
	v_mov_b32_e32 v2, 0
	v_mov_b32_e32 v3, v2
	s_mov_b64 s[6:7], 0
	global_store_dwordx4 v[4:5], v[0:3], off
.LBB86_776:
	s_andn2_b64 vcc, exec, s[6:7]
	s_cbranch_vccnz .LBB86_778
; %bb.777:
	v_cvt_f32_f64_e32 v2, v[0:1]
	v_mov_b32_e32 v3, 0
	global_store_dwordx2 v[4:5], v[2:3], off
.LBB86_778:
	s_mov_b64 s[6:7], 0
.LBB86_779:
	s_andn2_b64 vcc, exec, s[6:7]
	s_cbranch_vccnz .LBB86_781
; %bb.780:
	s_movk_i32 s6, 0x1ff
	v_and_or_b32 v2, v1, s6, v0
	v_cmp_ne_u32_e32 vcc, 0, v2
	v_cndmask_b32_e64 v2, 0, 1, vcc
	v_lshrrev_b32_e32 v3, 8, v1
	s_movk_i32 s6, 0xffe
	v_bfe_u32 v6, v1, 20, 11
	v_and_or_b32 v2, v3, s6, v2
	v_sub_u32_e32 v7, 0x3f1, v6
	v_or_b32_e32 v3, 0x1000, v2
	v_med3_i32 v7, v7, 0, 13
	v_lshrrev_b32_e32 v8, v7, v3
	v_lshlrev_b32_e32 v7, v7, v8
	v_cmp_ne_u32_e32 vcc, v7, v3
	v_cndmask_b32_e64 v3, 0, 1, vcc
	v_add_u32_e32 v6, 0xfffffc10, v6
	v_or_b32_e32 v3, v8, v3
	v_lshl_or_b32 v7, v6, 12, v2
	v_cmp_gt_i32_e32 vcc, 1, v6
	v_cndmask_b32_e32 v3, v7, v3, vcc
	v_and_b32_e32 v7, 7, v3
	v_cmp_lt_i32_e32 vcc, 5, v7
	v_cndmask_b32_e64 v8, 0, 1, vcc
	v_cmp_eq_u32_e32 vcc, 3, v7
	v_cndmask_b32_e64 v7, 0, 1, vcc
	v_or_b32_e32 v7, v7, v8
	v_lshrrev_b32_e32 v3, 2, v3
	v_add_u32_e32 v3, v3, v7
	v_mov_b32_e32 v7, 0x7c00
	v_cmp_gt_i32_e32 vcc, 31, v6
	v_cndmask_b32_e32 v3, v7, v3, vcc
	v_mov_b32_e32 v8, 0x7e00
	v_cmp_ne_u32_e32 vcc, 0, v2
	s_movk_i32 s6, 0x40f
	v_cndmask_b32_e32 v2, v7, v8, vcc
	v_cmp_eq_u32_e32 vcc, s6, v6
	v_cndmask_b32_e32 v2, v3, v2, vcc
	v_lshrrev_b32_e32 v3, 16, v1
	s_mov_b32 s6, 0x8000
	v_and_or_b32 v2, v3, s6, v2
	v_and_b32_e32 v2, 0xffff, v2
	global_store_dword v[4:5], v2, off
.LBB86_781:
	s_mov_b64 s[6:7], 0
.LBB86_782:
	s_andn2_b64 vcc, exec, s[6:7]
	s_cbranch_vccnz .LBB86_791
; %bb.783:
	s_cmp_lt_i32 s8, 6
	s_mov_b64 s[6:7], -1
	s_cbranch_scc1 .LBB86_789
; %bb.784:
	s_cmp_gt_i32 s8, 6
	s_cbranch_scc0 .LBB86_786
; %bb.785:
	s_mov_b64 s[6:7], 0
	global_store_dwordx2 v[4:5], v[0:1], off
.LBB86_786:
	s_andn2_b64 vcc, exec, s[6:7]
	s_cbranch_vccnz .LBB86_788
; %bb.787:
	v_cvt_f32_f64_e32 v2, v[0:1]
	global_store_dword v[4:5], v2, off
.LBB86_788:
	s_mov_b64 s[6:7], 0
.LBB86_789:
	s_andn2_b64 vcc, exec, s[6:7]
	s_cbranch_vccnz .LBB86_791
; %bb.790:
	s_movk_i32 s6, 0x1ff
	v_and_or_b32 v2, v1, s6, v0
	v_cmp_ne_u32_e32 vcc, 0, v2
	v_cndmask_b32_e64 v2, 0, 1, vcc
	v_lshrrev_b32_e32 v3, 8, v1
	s_movk_i32 s6, 0xffe
	v_bfe_u32 v6, v1, 20, 11
	v_and_or_b32 v2, v3, s6, v2
	v_sub_u32_e32 v7, 0x3f1, v6
	v_or_b32_e32 v3, 0x1000, v2
	v_med3_i32 v7, v7, 0, 13
	v_lshrrev_b32_e32 v8, v7, v3
	v_lshlrev_b32_e32 v7, v7, v8
	v_cmp_ne_u32_e32 vcc, v7, v3
	v_cndmask_b32_e64 v3, 0, 1, vcc
	v_add_u32_e32 v6, 0xfffffc10, v6
	v_or_b32_e32 v3, v8, v3
	v_lshl_or_b32 v7, v6, 12, v2
	v_cmp_gt_i32_e32 vcc, 1, v6
	v_cndmask_b32_e32 v3, v7, v3, vcc
	v_and_b32_e32 v7, 7, v3
	v_cmp_lt_i32_e32 vcc, 5, v7
	v_cndmask_b32_e64 v8, 0, 1, vcc
	v_cmp_eq_u32_e32 vcc, 3, v7
	v_cndmask_b32_e64 v7, 0, 1, vcc
	v_or_b32_e32 v7, v7, v8
	v_lshrrev_b32_e32 v3, 2, v3
	v_add_u32_e32 v3, v3, v7
	v_mov_b32_e32 v7, 0x7c00
	v_cmp_gt_i32_e32 vcc, 31, v6
	v_cndmask_b32_e32 v3, v7, v3, vcc
	v_mov_b32_e32 v8, 0x7e00
	v_cmp_ne_u32_e32 vcc, 0, v2
	s_movk_i32 s6, 0x40f
	v_cndmask_b32_e32 v2, v7, v8, vcc
	v_cmp_eq_u32_e32 vcc, s6, v6
	v_cndmask_b32_e32 v2, v3, v2, vcc
	v_lshrrev_b32_e32 v3, 16, v1
	s_mov_b32 s6, 0x8000
	v_and_or_b32 v2, v3, s6, v2
	global_store_short v[4:5], v2, off
.LBB86_791:
	s_mov_b64 s[6:7], 0
.LBB86_792:
	s_andn2_b64 vcc, exec, s[6:7]
	s_cbranch_vccnz .LBB86_808
; %bb.793:
	s_cmp_lt_i32 s8, 2
	s_mov_b64 s[6:7], -1
	s_cbranch_scc1 .LBB86_803
; %bb.794:
	s_cmp_lt_i32 s8, 3
	s_cbranch_scc1 .LBB86_800
; %bb.795:
	s_cmp_gt_i32 s8, 3
	s_cbranch_scc0 .LBB86_797
; %bb.796:
	v_trunc_f64_e32 v[2:3], v[0:1]
	s_movk_i32 s6, 0xffe0
	v_ldexp_f64 v[6:7], v[2:3], s6
	s_mov_b32 s6, 0
	s_mov_b32 s7, 0xc1f00000
	v_floor_f64_e32 v[6:7], v[6:7]
	v_fma_f64 v[2:3], v[6:7], s[6:7], v[2:3]
	v_cvt_i32_f64_e32 v7, v[6:7]
	s_mov_b64 s[6:7], 0
	v_cvt_u32_f64_e32 v6, v[2:3]
	global_store_dwordx2 v[4:5], v[6:7], off
.LBB86_797:
	s_andn2_b64 vcc, exec, s[6:7]
	s_cbranch_vccnz .LBB86_799
; %bb.798:
	v_cvt_i32_f64_e32 v2, v[0:1]
	global_store_dword v[4:5], v2, off
.LBB86_799:
	s_mov_b64 s[6:7], 0
.LBB86_800:
	s_andn2_b64 vcc, exec, s[6:7]
	s_cbranch_vccnz .LBB86_802
; %bb.801:
	v_cvt_i32_f64_e32 v2, v[0:1]
	global_store_short v[4:5], v2, off
.LBB86_802:
	s_mov_b64 s[6:7], 0
.LBB86_803:
	s_andn2_b64 vcc, exec, s[6:7]
	s_cbranch_vccnz .LBB86_808
; %bb.804:
	s_cmp_gt_i32 s8, 0
	s_mov_b64 s[6:7], -1
	s_cbranch_scc0 .LBB86_806
; %bb.805:
	v_cvt_i32_f64_e32 v2, v[0:1]
	s_mov_b64 s[6:7], 0
	global_store_byte v[4:5], v2, off
.LBB86_806:
	s_andn2_b64 vcc, exec, s[6:7]
	s_cbranch_vccnz .LBB86_808
; %bb.807:
	v_trunc_f64_e32 v[0:1], v[0:1]
	s_movk_i32 s6, 0xffe0
	v_ldexp_f64 v[2:3], v[0:1], s6
	s_mov_b32 s6, 0
	s_mov_b32 s7, 0xc1f00000
	v_floor_f64_e32 v[2:3], v[2:3]
	v_fma_f64 v[0:1], v[2:3], s[6:7], v[0:1]
	v_cvt_u32_f64_e32 v0, v[0:1]
	global_store_byte v[4:5], v0, off
.LBB86_808:
	s_mov_b64 s[6:7], -1
.LBB86_809:
	s_andn2_b64 vcc, exec, s[6:7]
	s_cbranch_vccnz .LBB86_811
; %bb.810:
	v_add_u32_e32 v43, 0x80, v43
	s_mov_b64 s[6:7], -1
	s_branch .LBB86_812
.LBB86_811:
	s_mov_b64 s[6:7], 0
                                        ; implicit-def: $vgpr43
.LBB86_812:
	v_readlane_b32 s8, v47, 40
	v_readlane_b32 s9, v47, 41
.LBB86_813:
	s_andn2_b64 s[8:9], s[8:9], exec
	s_and_b64 s[4:5], s[4:5], exec
	s_or_b64 s[26:27], s[8:9], s[4:5]
	v_readlane_b32 s4, v47, 28
	v_readlane_b32 s8, v47, 46
	v_readlane_b32 s5, v47, 29
	v_readlane_b32 s9, v47, 47
	s_andn2_b64 s[4:5], s[4:5], exec
	s_and_b64 s[8:9], s[8:9], exec
	s_or_b64 s[24:25], s[4:5], s[8:9]
	s_orn2_b64 s[6:7], s[6:7], exec
.LBB86_814:
	v_readlane_b32 s4, v47, 44
	v_readlane_b32 s5, v47, 45
	s_or_b64 exec, exec, s[4:5]
	s_mov_b64 s[4:5], 0
	s_mov_b64 s[8:9], 0
	;; [unrolled: 1-line block ×3, first 2 shown]
                                        ; implicit-def: $vgpr0_vgpr1
                                        ; implicit-def: $vgpr41
                                        ; implicit-def: $vgpr2_vgpr3
	s_and_saveexec_b64 s[28:29], s[6:7]
	s_cbranch_execz .LBB86_913
; %bb.815:
	v_readlane_b32 s4, v47, 21
	v_cmp_gt_i32_e32 vcc, s4, v43
	s_mov_b64 s[6:7], 0
	s_mov_b64 s[12:13], s[24:25]
                                        ; implicit-def: $vgpr0_vgpr1
                                        ; implicit-def: $vgpr41
                                        ; implicit-def: $vgpr2_vgpr3
	s_and_saveexec_b64 s[30:31], vcc
	s_cbranch_execz .LBB86_912
; %bb.816:
	s_andn2_b64 vcc, exec, s[44:45]
	s_cbranch_vccnz .LBB86_821
; %bb.817:
	v_readlane_b32 s4, v47, 2
	v_readlane_b32 s5, v47, 3
	s_andn2_b64 vcc, exec, s[4:5]
	s_cbranch_vccnz .LBB86_822
; %bb.818:
	v_readlane_b32 s4, v47, 6
	s_add_i32 s37, s4, 1
	s_cmp_eq_u32 s52, 2
	s_cbranch_scc1 .LBB86_823
; %bb.819:
	v_readlane_b32 s56, v47, 4
	s_and_b32 s36, s37, 28
	v_mov_b32_e32 v0, 0
	s_mov_b32 s38, 0
	s_mov_b64 s[34:35], s[46:47]
	v_mov_b32_e32 v41, 0
	v_mov_b32_e32 v1, v43
	v_readlane_b32 s57, v47, 5
.LBB86_820:                             ; =>This Inner Loop Header: Depth=1
	s_load_dwordx8 s[12:19], s[34:35], 0x4
	s_load_dwordx4 s[20:23], s[34:35], 0x24
	s_load_dwordx8 s[4:11], s[56:57], 0x0
	s_add_u32 s34, s34, 48
	s_addc_u32 s35, s35, 0
	s_waitcnt vmcnt(0) lgkmcnt(0)
	v_mul_hi_u32 v2, s13, v1
	s_add_i32 s38, s38, 4
	s_add_u32 s56, s56, 32
	s_addc_u32 s57, s57, 0
	v_add_u32_e32 v2, v1, v2
	v_lshrrev_b32_e32 v2, s14, v2
	v_mul_lo_u32 v3, v2, s12
	v_mul_hi_u32 v4, s16, v2
	s_cmp_eq_u32 s36, s38
	v_sub_u32_e32 v1, v1, v3
	v_add_u32_e32 v3, v2, v4
	v_mul_lo_u32 v4, v1, s4
	v_mul_lo_u32 v5, v1, s5
	v_lshrrev_b32_e32 v1, s17, v3
	v_mul_lo_u32 v3, v1, s15
	v_mul_hi_u32 v6, s19, v1
	v_sub_u32_e32 v2, v2, v3
	v_add_u32_e32 v3, v1, v6
	v_lshrrev_b32_e32 v3, s20, v3
	v_mul_hi_u32 v7, s22, v3
	v_mul_lo_u32 v8, v3, s18
	v_mul_lo_u32 v6, v2, s6
	;; [unrolled: 1-line block ×3, first 2 shown]
	v_sub_u32_e32 v8, v1, v8
	v_add_u32_e32 v1, v3, v7
	v_lshrrev_b32_e32 v1, s23, v1
	v_mul_lo_u32 v7, v1, s21
	v_mul_lo_u32 v9, v8, s8
	;; [unrolled: 1-line block ×3, first 2 shown]
	v_add3_u32 v4, v4, v41, v6
	v_sub_u32_e32 v3, v3, v7
	v_mul_lo_u32 v7, v3, s10
	v_mul_lo_u32 v3, v3, s11
	v_add3_u32 v0, v5, v0, v2
	v_add3_u32 v41, v9, v4, v7
	;; [unrolled: 1-line block ×3, first 2 shown]
	s_cbranch_scc0 .LBB86_820
	s_branch .LBB86_824
.LBB86_821:
	s_mov_b64 s[4:5], -1
                                        ; implicit-def: $vgpr41
                                        ; implicit-def: $vgpr0
	s_branch .LBB86_828
.LBB86_822:
	v_mov_b32_e32 v41, 0
	v_mov_b32_e32 v0, 0
	s_branch .LBB86_827
.LBB86_823:
	s_mov_b32 s36, 0
	v_mov_b32_e32 v41, 0
	v_mov_b32_e32 v0, 0
	;; [unrolled: 1-line block ×3, first 2 shown]
.LBB86_824:
	s_and_b32 s8, s37, 3
	s_cmp_eq_u32 s8, 0
	s_cbranch_scc1 .LBB86_827
; %bb.825:
	s_lshl_b32 s4, s36, 3
	s_add_u32 s4, s46, s4
	s_addc_u32 s5, s47, 0
	s_add_u32 s4, s4, 0xc4
	s_addc_u32 s5, s5, 0
	s_mul_i32 s6, s36, 12
	s_add_u32 s6, s46, s6
	s_addc_u32 s7, s47, 0
.LBB86_826:                             ; =>This Inner Loop Header: Depth=1
	s_load_dwordx2 s[10:11], s[6:7], 0x4
	s_load_dword s9, s[6:7], 0xc
	s_load_dwordx2 s[12:13], s[4:5], 0x0
	s_add_u32 s6, s6, 12
	s_addc_u32 s7, s7, 0
	s_waitcnt vmcnt(0) lgkmcnt(0)
	v_mul_hi_u32 v2, s11, v1
	s_add_u32 s4, s4, 8
	s_addc_u32 s5, s5, 0
	s_add_i32 s8, s8, -1
	v_add_u32_e32 v2, v1, v2
	v_lshrrev_b32_e32 v2, s9, v2
	v_mul_lo_u32 v3, v2, s10
	s_cmp_lg_u32 s8, 0
	v_sub_u32_e32 v1, v1, v3
	v_mad_u64_u32 v[41:42], s[10:11], v1, s12, v[41:42]
	v_mad_u64_u32 v[0:1], s[10:11], v1, s13, v[0:1]
	v_mov_b32_e32 v1, v2
	s_cbranch_scc1 .LBB86_826
.LBB86_827:
	s_mov_b64 s[4:5], 0
.LBB86_828:
	s_andn2_b64 vcc, exec, s[4:5]
	s_cbranch_vccnz .LBB86_831
; %bb.829:
	v_readlane_b32 s4, v47, 7
	v_readlane_b32 s5, v47, 8
	v_mul_hi_u32 v0, s5, v43
	v_readlane_b32 s6, v47, 9
	v_readlane_b32 s8, v47, 15
	;; [unrolled: 1-line block ×3, first 2 shown]
	v_add_u32_e32 v0, v43, v0
	v_lshrrev_b32_e32 v1, s6, v0
	v_mul_lo_u32 v0, v1, s4
	v_readlane_b32 s4, v47, 13
	v_readlane_b32 s5, v47, 14
	;; [unrolled: 1-line block ×3, first 2 shown]
	v_sub_u32_e32 v0, v43, v0
	v_mul_lo_u32 v41, v0, s8
	v_mul_lo_u32 v0, v0, s9
	v_readlane_b32 s10, v47, 17
	v_readlane_b32 s11, v47, 18
	s_andn2_b64 vcc, exec, s[4:5]
	s_cbranch_vccnz .LBB86_831
; %bb.830:
	v_readlane_b32 s4, v47, 11
	s_waitcnt vmcnt(0)
	v_mul_hi_u32 v2, s4, v1
	v_readlane_b32 s5, v47, 12
	v_add_u32_e32 v2, v1, v2
	v_lshrrev_b32_e32 v2, s5, v2
	v_mul_lo_u32 v2, v2, s7
	v_sub_u32_e32 v1, v1, v2
	v_mad_u64_u32 v[41:42], s[4:5], v1, s10, v[41:42]
	v_mad_u64_u32 v[0:1], s[4:5], v1, s11, v[0:1]
.LBB86_831:
	v_readlane_b32 s4, v47, 19
	v_mov_b32_e32 v1, s99
	s_and_b32 s14, 0xffff, s4
	v_add_co_u32_e32 v0, vcc, s98, v0
	s_cmp_lt_i32 s14, 11
	v_addc_co_u32_e32 v1, vcc, 0, v1, vcc
	s_cbranch_scc1 .LBB86_838
; %bb.832:
	s_cmp_gt_i32 s14, 25
	s_mov_b64 s[6:7], 0
	s_cbranch_scc0 .LBB86_839
; %bb.833:
	s_cmp_gt_i32 s14, 28
	s_cbranch_scc0 .LBB86_840
; %bb.834:
	s_cmp_gt_i32 s14, 43
	;; [unrolled: 3-line block ×3, first 2 shown]
	s_cbranch_scc0 .LBB86_844
; %bb.836:
	s_cmp_eq_u32 s14, 46
	s_mov_b64 s[10:11], 0
	s_cbranch_scc0 .LBB86_847
; %bb.837:
	global_load_dword v2, v[0:1], off
	s_mov_b64 s[4:5], 0
	s_mov_b64 s[8:9], -1
	s_waitcnt vmcnt(0)
	v_lshlrev_b32_e32 v2, 16, v2
	v_cvt_f64_f32_e32 v[2:3], v2
	s_branch .LBB86_848
.LBB86_838:
	s_mov_b64 s[12:13], -1
	s_mov_b64 s[8:9], 0
	s_mov_b64 s[6:7], 0
	;; [unrolled: 1-line block ×3, first 2 shown]
                                        ; implicit-def: $vgpr2_vgpr3
	s_branch .LBB86_911
.LBB86_839:
	s_mov_b64 s[10:11], -1
	s_mov_b64 s[8:9], 0
	s_mov_b64 s[4:5], s[24:25]
                                        ; implicit-def: $vgpr2_vgpr3
	s_branch .LBB86_879
.LBB86_840:
	s_mov_b64 s[10:11], -1
	s_mov_b64 s[8:9], 0
	s_mov_b64 s[4:5], s[24:25]
                                        ; implicit-def: $vgpr2_vgpr3
	s_branch .LBB86_858
.LBB86_841:
	s_mov_b64 s[10:11], -1
	s_mov_b64 s[8:9], 0
	s_mov_b64 s[4:5], s[24:25]
                                        ; implicit-def: $vgpr2_vgpr3
	s_branch .LBB86_853
.LBB86_842:
	s_andn2_saveexec_b64 s[10:11], s[10:11]
	s_cbranch_execz .LBB86_722
.LBB86_843:
	s_mov_b32 s14, 0x46000000
	v_add_f32_e64 v3, |v2|, s14
	v_and_b32_e32 v3, 0xff, v3
	v_cmp_ne_u32_e32 vcc, 0, v3
	s_andn2_b64 s[8:9], s[8:9], exec
	s_and_b64 s[14:15], vcc, exec
	s_or_b64 s[8:9], s[8:9], s[14:15]
	s_or_b64 exec, exec, s[10:11]
	v_mov_b32_e32 v6, 0
	s_and_saveexec_b64 s[10:11], s[8:9]
	s_cbranch_execnz .LBB86_723
	s_branch .LBB86_724
.LBB86_844:
	s_mov_b64 s[10:11], -1
	s_mov_b64 s[8:9], 0
	s_mov_b64 s[4:5], s[24:25]
                                        ; implicit-def: $vgpr2_vgpr3
	s_branch .LBB86_848
.LBB86_845:
	s_andn2_saveexec_b64 s[10:11], s[10:11]
	s_cbranch_execz .LBB86_735
.LBB86_846:
	s_mov_b32 s14, 0x42800000
	v_add_f32_e64 v3, |v2|, s14
	v_and_b32_e32 v3, 0xff, v3
	v_cmp_ne_u32_e32 vcc, 0, v3
	s_andn2_b64 s[8:9], s[8:9], exec
	s_and_b64 s[14:15], vcc, exec
	s_or_b64 s[8:9], s[8:9], s[14:15]
	s_or_b64 exec, exec, s[10:11]
	v_mov_b32_e32 v6, 0
	s_and_saveexec_b64 s[10:11], s[8:9]
	s_cbranch_execnz .LBB86_736
	s_branch .LBB86_737
.LBB86_847:
	s_mov_b64 s[4:5], -1
                                        ; implicit-def: $vgpr2_vgpr3
	s_mov_b64 s[8:9], 0
.LBB86_848:
	s_and_b64 vcc, exec, s[10:11]
	s_cbranch_vccz .LBB86_852
; %bb.849:
	s_cmp_eq_u32 s14, 44
	s_cbranch_scc0 .LBB86_851
; %bb.850:
	global_load_ubyte v4, v[0:1], off
	s_movk_i32 s8, 0xff
	v_bfrev_b32_e32 v5, 4
	v_mov_b32_e32 v6, 0x7ff80000
	v_bfrev_b32_e32 v7, 28
	s_mov_b64 s[4:5], 0
	s_waitcnt vmcnt(0)
	v_lshlrev_b32_e32 v2, 23, v4
	v_cvt_f64_f32_e32 v[2:3], v2
	v_cmp_ne_u32_e32 vcc, s8, v4
	s_mov_b64 s[8:9], -1
	v_cndmask_b32_e32 v2, v5, v2, vcc
	v_cndmask_b32_e32 v3, v6, v3, vcc
	v_cmp_ne_u32_e32 vcc, 0, v4
	v_cndmask_b32_e32 v3, v7, v3, vcc
	v_cndmask_b32_e32 v2, 0, v2, vcc
	s_branch .LBB86_852
.LBB86_851:
	s_mov_b64 s[4:5], -1
                                        ; implicit-def: $vgpr2_vgpr3
.LBB86_852:
	s_mov_b64 s[10:11], 0
.LBB86_853:
	s_and_b64 vcc, exec, s[10:11]
	s_cbranch_vccz .LBB86_857
; %bb.854:
	s_cmp_eq_u32 s14, 29
	s_cbranch_scc0 .LBB86_856
; %bb.855:
	global_load_dwordx2 v[2:3], v[0:1], off
	s_mov_b64 s[4:5], 0
	s_mov_b64 s[8:9], -1
	s_mov_b64 s[10:11], 0
	s_waitcnt vmcnt(0)
	v_cvt_f64_u32_e32 v[3:4], v3
	v_cvt_f64_u32_e32 v[5:6], v2
	v_ldexp_f64 v[3:4], v[3:4], 32
	v_add_f64 v[2:3], v[3:4], v[5:6]
	s_branch .LBB86_858
.LBB86_856:
	s_mov_b64 s[4:5], -1
                                        ; implicit-def: $vgpr2_vgpr3
.LBB86_857:
	s_mov_b64 s[10:11], 0
.LBB86_858:
	s_and_b64 vcc, exec, s[10:11]
	s_cbranch_vccz .LBB86_878
; %bb.859:
	s_cmp_lt_i32 s14, 27
	s_cbranch_scc1 .LBB86_862
; %bb.860:
	s_cmp_gt_i32 s14, 27
	s_cbranch_scc0 .LBB86_863
; %bb.861:
	global_load_dword v2, v[0:1], off
	s_mov_b64 s[8:9], 0
	s_waitcnt vmcnt(0)
	v_cvt_f64_u32_e32 v[2:3], v2
	s_branch .LBB86_864
.LBB86_862:
	s_mov_b64 s[8:9], -1
                                        ; implicit-def: $vgpr2_vgpr3
	s_branch .LBB86_867
.LBB86_863:
	s_mov_b64 s[8:9], -1
                                        ; implicit-def: $vgpr2_vgpr3
.LBB86_864:
	s_andn2_b64 vcc, exec, s[8:9]
	s_cbranch_vccnz .LBB86_866
; %bb.865:
	global_load_ushort v2, v[0:1], off
	s_waitcnt vmcnt(0)
	v_cvt_f64_u32_e32 v[2:3], v2
.LBB86_866:
	s_mov_b64 s[8:9], 0
.LBB86_867:
	s_andn2_b64 vcc, exec, s[8:9]
	s_cbranch_vccnz .LBB86_877
; %bb.868:
	global_load_ubyte v4, v[0:1], off
	s_movk_i32 s8, 0x7f
	s_waitcnt vmcnt(0)
	v_cmp_lt_i16_e32 vcc, s8, v4
	s_mov_b64 s[8:9], 0
	s_and_saveexec_b64 s[10:11], vcc
	s_xor_b64 s[10:11], exec, s[10:11]
	s_cbranch_execz .LBB86_872
; %bb.869:
	s_movk_i32 s8, 0x80
	v_cmp_eq_u16_e32 vcc, s8, v4
	s_mov_b64 s[8:9], -1
	s_and_saveexec_b64 s[12:13], vcc
; %bb.870:
	s_xor_b64 s[8:9], exec, -1
; %bb.871:
	s_or_b64 exec, exec, s[12:13]
	s_and_b64 s[8:9], s[8:9], exec
.LBB86_872:
	s_or_saveexec_b64 s[10:11], s[10:11]
	v_bfrev_b32_e32 v2, 4
	v_mov_b32_e32 v3, 0x7ff80000
	s_xor_b64 exec, exec, s[10:11]
; %bb.873:
	v_cmp_ne_u16_e32 vcc, 0, v4
	v_mov_b32_e32 v2, 0
	s_andn2_b64 s[8:9], s[8:9], exec
	s_and_b64 s[12:13], vcc, exec
	v_mov_b32_e32 v3, 0
	s_or_b64 s[8:9], s[8:9], s[12:13]
; %bb.874:
	s_or_b64 exec, exec, s[10:11]
	s_and_saveexec_b64 s[10:11], s[8:9]
	s_cbranch_execz .LBB86_876
; %bb.875:
	v_and_b32_e32 v3, 0xffff, v4
	v_lshlrev_b32_e32 v2, 24, v4
	v_and_b32_e32 v4, 7, v3
	v_ffbh_u32_e32 v6, v4
	v_min_u32_e32 v6, 32, v6
	v_subrev_u32_e32 v7, 28, v6
	v_bfe_u32 v5, v3, 3, 4
	v_lshlrev_b32_e32 v3, v7, v3
	v_sub_u32_e32 v6, 29, v6
	v_and_b32_e32 v3, 7, v3
	v_cmp_eq_u32_e32 vcc, 0, v5
	v_cndmask_b32_e32 v5, v5, v6, vcc
	v_cndmask_b32_e32 v3, v4, v3, vcc
	v_mov_b32_e32 v4, 0x3b800000
	v_lshlrev_b32_e32 v3, 20, v3
	v_and_b32_e32 v2, 0x80000000, v2
	v_lshl_add_u32 v4, v5, 23, v4
	v_or3_b32 v2, v2, v4, v3
	v_cvt_f64_f32_e32 v[2:3], v2
.LBB86_876:
	s_or_b64 exec, exec, s[10:11]
.LBB86_877:
	s_mov_b64 s[8:9], -1
.LBB86_878:
	s_mov_b64 s[10:11], 0
.LBB86_879:
	s_and_b64 vcc, exec, s[10:11]
	s_cbranch_vccz .LBB86_910
; %bb.880:
	s_cmp_gt_i32 s14, 22
	s_cbranch_scc0 .LBB86_892
; %bb.881:
	s_cmp_lt_i32 s14, 24
	s_cbranch_scc1 .LBB86_893
; %bb.882:
	s_cmp_gt_i32 s14, 24
	s_cbranch_scc0 .LBB86_894
; %bb.883:
	global_load_ubyte v4, v[0:1], off
	s_movk_i32 s6, 0x7f
	s_waitcnt vmcnt(0)
	v_cmp_lt_i16_e32 vcc, s6, v4
	s_mov_b64 s[6:7], 0
	s_and_saveexec_b64 s[8:9], vcc
	s_xor_b64 s[8:9], exec, s[8:9]
	s_cbranch_execz .LBB86_887
; %bb.884:
	s_movk_i32 s6, 0x80
	v_cmp_eq_u16_e32 vcc, s6, v4
	s_mov_b64 s[6:7], -1
	s_and_saveexec_b64 s[10:11], vcc
; %bb.885:
	s_xor_b64 s[6:7], exec, -1
; %bb.886:
	s_or_b64 exec, exec, s[10:11]
	s_and_b64 s[6:7], s[6:7], exec
.LBB86_887:
	s_or_saveexec_b64 s[8:9], s[8:9]
	v_bfrev_b32_e32 v2, 4
	v_mov_b32_e32 v3, 0x7ff80000
	s_xor_b64 exec, exec, s[8:9]
; %bb.888:
	v_cmp_ne_u16_e32 vcc, 0, v4
	v_mov_b32_e32 v2, 0
	s_andn2_b64 s[6:7], s[6:7], exec
	s_and_b64 s[10:11], vcc, exec
	v_mov_b32_e32 v3, 0
	s_or_b64 s[6:7], s[6:7], s[10:11]
; %bb.889:
	s_or_b64 exec, exec, s[8:9]
	s_and_saveexec_b64 s[8:9], s[6:7]
	s_cbranch_execz .LBB86_891
; %bb.890:
	v_and_b32_e32 v3, 0xffff, v4
	v_lshlrev_b32_e32 v2, 24, v4
	v_and_b32_e32 v4, 3, v3
	v_ffbh_u32_e32 v6, v4
	v_min_u32_e32 v6, 32, v6
	v_subrev_u32_e32 v7, 29, v6
	v_bfe_u32 v5, v3, 2, 5
	v_lshlrev_b32_e32 v3, v7, v3
	v_sub_u32_e32 v6, 30, v6
	v_and_b32_e32 v3, 3, v3
	v_cmp_eq_u32_e32 vcc, 0, v5
	v_cndmask_b32_e32 v5, v5, v6, vcc
	v_cndmask_b32_e32 v3, v4, v3, vcc
	v_mov_b32_e32 v4, 0x37800000
	v_lshlrev_b32_e32 v3, 21, v3
	v_and_b32_e32 v2, 0x80000000, v2
	v_lshl_add_u32 v4, v5, 23, v4
	v_or3_b32 v2, v2, v4, v3
	v_cvt_f64_f32_e32 v[2:3], v2
.LBB86_891:
	s_or_b64 exec, exec, s[8:9]
	s_mov_b64 s[6:7], 0
	s_branch .LBB86_895
.LBB86_892:
	s_mov_b64 s[6:7], -1
                                        ; implicit-def: $vgpr2_vgpr3
	s_branch .LBB86_901
.LBB86_893:
	s_mov_b64 s[6:7], -1
                                        ; implicit-def: $vgpr2_vgpr3
	s_branch .LBB86_898
.LBB86_894:
	s_mov_b64 s[6:7], -1
                                        ; implicit-def: $vgpr2_vgpr3
.LBB86_895:
	s_and_b64 vcc, exec, s[6:7]
	s_cbranch_vccz .LBB86_897
; %bb.896:
	global_load_ubyte v2, v[0:1], off
	s_mov_b32 s6, 0x7f800000
	s_waitcnt vmcnt(0)
	v_lshlrev_b32_e32 v2, 24, v2
	v_and_b32_e32 v3, 0x7f000000, v2
	v_ffbh_u32_e32 v4, v3
	v_min_u32_e32 v4, 32, v4
	v_sub_u32_e64 v4, v4, 4 clamp
	v_lshlrev_b32_e32 v6, v4, v3
	v_lshlrev_b32_e32 v4, 23, v4
	v_lshrrev_b32_e32 v6, 4, v6
	v_add_u32_e32 v5, 0x1000000, v3
	v_sub_u32_e32 v4, v6, v4
	v_ashrrev_i32_e32 v5, 8, v5
	v_add_u32_e32 v4, 0x3c000000, v4
	v_and_or_b32 v4, v5, s6, v4
	v_cmp_ne_u32_e32 vcc, 0, v3
	v_cndmask_b32_e32 v3, 0, v4, vcc
	s_brev_b32 s6, 1
	v_and_or_b32 v2, v2, s6, v3
	v_cvt_f64_f32_e32 v[2:3], v2
.LBB86_897:
	s_mov_b64 s[6:7], 0
.LBB86_898:
	s_andn2_b64 vcc, exec, s[6:7]
	s_cbranch_vccnz .LBB86_900
; %bb.899:
	global_load_ubyte v2, v[0:1], off
	s_movk_i32 s6, 0x7f00
	s_brev_b32 s7, 16
	s_waitcnt vmcnt(0)
	v_lshlrev_b16_e32 v3, 8, v2
	v_lshlrev_b32_e32 v2, 25, v2
	v_lshrrev_b32_e32 v4, 4, v2
	v_and_or_b32 v5, v3, s6, 0.5
	v_or_b32_e32 v4, 0x70000000, v4
	v_add_f32_e32 v5, -0.5, v5
	v_mul_f32_e32 v4, 0x7800000, v4
	v_cmp_gt_u32_e32 vcc, s7, v2
	v_bfe_i32 v3, v3, 0, 16
	v_cndmask_b32_e32 v2, v4, v5, vcc
	s_brev_b32 s6, 1
	v_and_or_b32 v2, v3, s6, v2
	v_cvt_f64_f32_e32 v[2:3], v2
.LBB86_900:
	s_mov_b64 s[6:7], 0
	s_mov_b64 s[8:9], -1
.LBB86_901:
	s_andn2_b64 vcc, exec, s[6:7]
	s_mov_b64 s[6:7], 0
	s_cbranch_vccnz .LBB86_910
; %bb.902:
	s_cmp_gt_i32 s14, 14
	s_cbranch_scc0 .LBB86_905
; %bb.903:
	s_cmp_eq_u32 s14, 15
	s_cbranch_scc0 .LBB86_906
; %bb.904:
	global_load_ushort v2, v[0:1], off
	s_mov_b64 s[4:5], 0
	s_mov_b64 s[8:9], -1
	s_waitcnt vmcnt(0)
	v_lshlrev_b32_e32 v2, 16, v2
	v_cvt_f64_f32_e32 v[2:3], v2
	s_branch .LBB86_907
.LBB86_905:
	s_mov_b64 s[10:11], -1
                                        ; implicit-def: $vgpr2_vgpr3
	s_branch .LBB86_908
.LBB86_906:
	s_mov_b64 s[4:5], -1
                                        ; implicit-def: $vgpr2_vgpr3
.LBB86_907:
	s_mov_b64 s[10:11], 0
.LBB86_908:
	s_and_b64 vcc, exec, s[10:11]
	s_cbranch_vccz .LBB86_910
; %bb.909:
	s_cmp_lg_u32 s14, 11
	s_cselect_b64 s[10:11], -1, 0
	s_andn2_b64 s[4:5], s[4:5], exec
	s_and_b64 s[10:11], s[10:11], exec
	s_mov_b64 s[6:7], -1
	s_or_b64 s[4:5], s[4:5], s[10:11]
.LBB86_910:
	s_mov_b64 s[12:13], 0
.LBB86_911:
	s_and_b64 s[10:11], s[8:9], exec
	s_and_b64 s[8:9], s[12:13], exec
	s_andn2_b64 s[12:13], s[24:25], exec
	s_and_b64 s[4:5], s[4:5], exec
	s_and_b64 s[6:7], s[6:7], exec
	s_or_b64 s[12:13], s[12:13], s[4:5]
.LBB86_912:
	s_or_b64 exec, exec, s[30:31]
	s_and_b64 s[4:5], s[6:7], exec
	s_andn2_b64 s[6:7], s[24:25], exec
	s_and_b64 s[12:13], s[12:13], exec
	s_and_b64 s[10:11], s[10:11], exec
	;; [unrolled: 1-line block ×3, first 2 shown]
	s_or_b64 s[24:25], s[6:7], s[12:13]
.LBB86_913:
	s_or_b64 exec, exec, s[28:29]
	v_readlane_b32 s6, v47, 40
	v_readlane_b32 s7, v47, 41
	s_andn2_b64 s[6:7], s[6:7], exec
	s_and_b64 s[12:13], s[26:27], exec
	s_or_b64 s[6:7], s[6:7], s[12:13]
	v_writelane_b32 v47, s6, 40
	v_writelane_b32 v47, s7, 41
	s_and_b64 s[6:7], s[4:5], exec
	v_readlane_b32 s4, v47, 28
	v_readlane_b32 s5, v47, 29
	s_andn2_b64 s[4:5], s[4:5], exec
	s_and_b64 s[12:13], s[24:25], exec
	s_or_b64 s[4:5], s[4:5], s[12:13]
	s_and_b64 s[10:11], s[10:11], exec
	s_and_b64 s[8:9], s[8:9], exec
	v_writelane_b32 v47, s4, 28
	v_writelane_b32 v47, s5, 29
.LBB86_914:
	v_readlane_b32 s4, v47, 42
	v_readlane_b32 s5, v47, 43
	s_or_b64 exec, exec, s[4:5]
	v_readlane_b32 s4, v47, 24
	v_readlane_b32 s12, v47, 40
	;; [unrolled: 1-line block ×4, first 2 shown]
	s_andn2_b64 s[4:5], s[4:5], exec
	s_and_b64 s[12:13], s[12:13], exec
	s_or_b64 s[4:5], s[4:5], s[12:13]
	v_writelane_b32 v47, s4, 24
	v_writelane_b32 v47, s5, 25
	s_and_b64 s[4:5], s[10:11], exec
	s_and_b64 s[12:13], s[6:7], exec
	v_readlane_b32 s6, v47, 22
	v_readlane_b32 s10, v47, 28
	;; [unrolled: 1-line block ×4, first 2 shown]
	s_andn2_b64 s[6:7], s[6:7], exec
	s_and_b64 s[10:11], s[10:11], exec
	s_or_b64 s[6:7], s[6:7], s[10:11]
	v_writelane_b32 v47, s6, 22
	s_and_b64 s[8:9], s[8:9], exec
	v_writelane_b32 v47, s7, 23
.LBB86_915:
	v_readlane_b32 s6, v47, 34
	v_readlane_b32 s7, v47, 35
	s_or_b64 exec, exec, s[6:7]
	s_mov_b64 s[18:19], 0
	s_mov_b64 s[6:7], exec
	v_readlane_b32 s10, v47, 22
	v_readlane_b32 s11, v47, 23
	s_and_b64 s[10:11], s[6:7], s[10:11]
	s_mov_b64 exec, s[10:11]
	s_cbranch_execnz .LBB86_918
; %bb.916:
	s_or_b64 exec, exec, s[6:7]
	s_and_saveexec_b64 s[6:7], s[12:13]
	s_xor_b64 s[6:7], exec, s[6:7]
	s_cbranch_execz .LBB86_919
.LBB86_917:
	global_load_ubyte v3, v[0:1], off
	v_mov_b32_e32 v4, 0x3ff00000
	s_waitcnt vmcnt(1)
	v_mov_b32_e32 v2, 0
	s_or_b64 s[4:5], s[4:5], exec
	s_waitcnt vmcnt(0)
	v_cmp_ne_u16_e32 vcc, 0, v3
	v_cndmask_b32_e32 v3, 0, v4, vcc
	s_or_b64 exec, exec, s[6:7]
	s_and_saveexec_b64 s[6:7], s[8:9]
	s_cbranch_execz .LBB86_965
	s_branch .LBB86_920
.LBB86_918:
	s_mov_b64 s[18:19], exec
	s_andn2_b64 s[12:13], s[12:13], exec
	s_trap 2
	s_or_b64 exec, exec, s[6:7]
	s_and_saveexec_b64 s[6:7], s[12:13]
	s_xor_b64 s[6:7], exec, s[6:7]
	s_cbranch_execnz .LBB86_917
.LBB86_919:
	s_or_b64 exec, exec, s[6:7]
	s_and_saveexec_b64 s[6:7], s[8:9]
	s_cbranch_execz .LBB86_965
.LBB86_920:
	v_readlane_b32 s8, v47, 19
	s_sext_i32_i16 s8, s8
	s_cmp_lt_i32 s8, 5
	s_cbranch_scc1 .LBB86_925
; %bb.921:
	s_cmp_lt_i32 s8, 8
	s_cbranch_scc1 .LBB86_926
; %bb.922:
	;; [unrolled: 3-line block ×3, first 2 shown]
	s_cmp_gt_i32 s8, 9
	s_cbranch_scc0 .LBB86_928
; %bb.924:
	global_load_dwordx2 v[2:3], v[0:1], off
	s_mov_b64 s[8:9], 0
	s_branch .LBB86_929
.LBB86_925:
                                        ; implicit-def: $vgpr2_vgpr3
	s_branch .LBB86_946
.LBB86_926:
                                        ; implicit-def: $vgpr2_vgpr3
	s_branch .LBB86_935
.LBB86_927:
	s_mov_b64 s[8:9], -1
                                        ; implicit-def: $vgpr2_vgpr3
	s_branch .LBB86_932
.LBB86_928:
	s_mov_b64 s[8:9], -1
                                        ; implicit-def: $vgpr2_vgpr3
.LBB86_929:
	s_andn2_b64 vcc, exec, s[8:9]
	s_cbranch_vccnz .LBB86_931
; %bb.930:
	global_load_dword v2, v[0:1], off
	s_waitcnt vmcnt(0)
	v_cvt_f64_f32_e32 v[2:3], v2
.LBB86_931:
	s_mov_b64 s[8:9], 0
.LBB86_932:
	s_andn2_b64 vcc, exec, s[8:9]
	s_cbranch_vccnz .LBB86_934
; %bb.933:
	global_load_dword v2, v[0:1], off
	s_waitcnt vmcnt(0)
	v_cvt_f32_f16_e32 v2, v2
	v_cvt_f64_f32_e32 v[2:3], v2
.LBB86_934:
	s_cbranch_execnz .LBB86_945
.LBB86_935:
	v_readlane_b32 s8, v47, 19
	s_sext_i32_i16 s8, s8
	s_cmp_lt_i32 s8, 6
	s_cbranch_scc1 .LBB86_938
; %bb.936:
	s_cmp_gt_i32 s8, 6
	s_cbranch_scc0 .LBB86_939
; %bb.937:
	global_load_dwordx2 v[2:3], v[0:1], off
	s_mov_b64 s[8:9], 0
	s_branch .LBB86_940
.LBB86_938:
	s_mov_b64 s[8:9], -1
                                        ; implicit-def: $vgpr2_vgpr3
	s_branch .LBB86_943
.LBB86_939:
	s_mov_b64 s[8:9], -1
                                        ; implicit-def: $vgpr2_vgpr3
.LBB86_940:
	s_andn2_b64 vcc, exec, s[8:9]
	s_cbranch_vccnz .LBB86_942
; %bb.941:
	global_load_dword v2, v[0:1], off
	s_waitcnt vmcnt(0)
	v_cvt_f64_f32_e32 v[2:3], v2
.LBB86_942:
	s_mov_b64 s[8:9], 0
.LBB86_943:
	s_andn2_b64 vcc, exec, s[8:9]
	s_cbranch_vccnz .LBB86_945
; %bb.944:
	global_load_ushort v2, v[0:1], off
	s_waitcnt vmcnt(0)
	v_cvt_f32_f16_e32 v2, v2
	v_cvt_f64_f32_e32 v[2:3], v2
.LBB86_945:
	s_cbranch_execnz .LBB86_964
.LBB86_946:
	v_readlane_b32 s8, v47, 19
	s_sext_i32_i16 s8, s8
	s_cmp_lt_i32 s8, 2
	s_cbranch_scc1 .LBB86_950
; %bb.947:
	s_cmp_lt_i32 s8, 3
	s_cbranch_scc1 .LBB86_951
; %bb.948:
	s_cmp_gt_i32 s8, 3
	s_cbranch_scc0 .LBB86_952
; %bb.949:
	global_load_dwordx2 v[2:3], v[0:1], off
	s_mov_b64 s[8:9], 0
	s_waitcnt vmcnt(0)
	v_cvt_f64_i32_e32 v[3:4], v3
	v_cvt_f64_u32_e32 v[5:6], v2
	v_ldexp_f64 v[3:4], v[3:4], 32
	v_add_f64 v[2:3], v[3:4], v[5:6]
	s_branch .LBB86_953
.LBB86_950:
                                        ; implicit-def: $vgpr2_vgpr3
	s_branch .LBB86_959
.LBB86_951:
	s_mov_b64 s[8:9], -1
                                        ; implicit-def: $vgpr2_vgpr3
	s_branch .LBB86_956
.LBB86_952:
	s_mov_b64 s[8:9], -1
                                        ; implicit-def: $vgpr2_vgpr3
.LBB86_953:
	s_andn2_b64 vcc, exec, s[8:9]
	s_cbranch_vccnz .LBB86_955
; %bb.954:
	global_load_dword v2, v[0:1], off
	s_waitcnt vmcnt(0)
	v_cvt_f64_i32_e32 v[2:3], v2
.LBB86_955:
	s_mov_b64 s[8:9], 0
.LBB86_956:
	s_andn2_b64 vcc, exec, s[8:9]
	s_cbranch_vccnz .LBB86_958
; %bb.957:
	global_load_sshort v2, v[0:1], off
	s_waitcnt vmcnt(0)
	v_cvt_f64_i32_e32 v[2:3], v2
.LBB86_958:
	s_cbranch_execnz .LBB86_964
.LBB86_959:
	v_readlane_b32 s8, v47, 19
	s_sext_i32_i16 s8, s8
	s_cmp_gt_i32 s8, 0
	s_cbranch_scc0 .LBB86_961
; %bb.960:
	global_load_sbyte v2, v[0:1], off
	s_mov_b64 s[8:9], 0
	s_waitcnt vmcnt(0)
	v_cvt_f64_i32_e32 v[2:3], v2
	s_branch .LBB86_962
.LBB86_961:
	s_mov_b64 s[8:9], -1
                                        ; implicit-def: $vgpr2_vgpr3
.LBB86_962:
	s_andn2_b64 vcc, exec, s[8:9]
	s_cbranch_vccnz .LBB86_964
; %bb.963:
	global_load_ubyte v0, v[0:1], off
	s_waitcnt vmcnt(0)
	v_cvt_f64_u32_e32 v[2:3], v0
.LBB86_964:
	s_or_b64 s[4:5], s[4:5], exec
.LBB86_965:
	s_or_b64 exec, exec, s[6:7]
	s_mov_b64 s[8:9], 0
	s_mov_b64 s[6:7], 0
                                        ; implicit-def: $sgpr14
                                        ; implicit-def: $vgpr4_vgpr5
                                        ; implicit-def: $vgpr0_vgpr1
	s_and_saveexec_b64 s[12:13], s[4:5]
	s_cbranch_execz .LBB86_1044
; %bb.966:
	v_writelane_b32 v47, s12, 19
	v_writelane_b32 v47, s13, 20
	;; [unrolled: 1-line block ×3, first 2 shown]
	s_getpc_b64 s[4:5]
	s_add_u32 s4, s4, _ZZZZN2at6native21polygamma_kernel_cudaERNS_18TensorIteratorBaseElENKUlvE_clEvENKUlvE_clEvENKUldE_clEd@rel32@lo+4
	s_addc_u32 s5, s5, _ZZZZN2at6native21polygamma_kernel_cudaERNS_18TensorIteratorBaseElENKUlvE_clEvENKUlvE_clEvENKUldE_clEd@rel32@hi+12
	v_mov_b32_e32 v0, s54
	v_mov_b32_e32 v1, s55
	v_writelane_b32 v47, s19, 23
	s_mov_b32 s86, s52
	s_mov_b32 s33, s39
	s_mov_b64 s[98:99], s[40:41]
	s_swappc_b64 s[30:31], s[4:5]
	v_mov_b32_e32 v2, s97
	s_and_b32 s14, s87, 0xff
	v_add_co_u32_e32 v4, vcc, s96, v41
	s_cmp_lt_i32 s14, 11
	v_addc_co_u32_e32 v5, vcc, 0, v2, vcc
	s_cbranch_scc1 .LBB86_973
; %bb.967:
	s_and_b32 s15, 0xffff, s14
	v_readlane_b32 s4, v47, 24
	v_readlane_b32 s46, v47, 32
	;; [unrolled: 1-line block ×4, first 2 shown]
	s_mov_b64 s[8:9], -1
	s_cmp_gt_i32 s15, 25
	v_readlane_b32 s5, v47, 25
	s_mov_b64 s[40:41], s[98:99]
	s_mov_b32 s39, s33
	s_mov_b32 s52, s86
	v_readlane_b32 s47, v47, 33
	s_mov_b64 s[42:43], 0
	v_readlane_b32 s45, v47, 31
	v_readlane_b32 s19, v47, 23
	s_cbranch_scc0 .LBB86_1001
; %bb.968:
	v_readlane_b32 s4, v47, 24
	s_mov_b64 s[6:7], -1
	s_cmp_gt_i32 s15, 28
	v_readlane_b32 s5, v47, 25
	s_cbranch_scc0 .LBB86_985
; %bb.969:
	v_readlane_b32 s4, v47, 24
	s_cmp_gt_i32 s15, 43
	v_readlane_b32 s5, v47, 25
	s_cbranch_scc0 .LBB86_981
; %bb.970:
	v_readlane_b32 s4, v47, 24
	s_cmp_gt_i32 s15, 45
	v_readlane_b32 s5, v47, 25
	s_cbranch_scc0 .LBB86_975
; %bb.971:
	s_cmp_eq_u32 s15, 46
	s_mov_b64 s[4:5], -1
	s_cbranch_scc0 .LBB86_974
; %bb.972:
	v_cvt_f32_f64_e32 v2, v[0:1]
	s_movk_i32 s4, 0x7fff
	v_mov_b32_e32 v3, 0x7fc0
	s_mov_b64 s[6:7], 0
	v_bfe_u32 v6, v2, 16, 1
	v_cmp_o_f32_e32 vcc, v2, v2
	v_add3_u32 v2, v2, v6, s4
	v_cndmask_b32_sdwa v2, v3, v2, vcc dst_sel:DWORD dst_unused:UNUSED_PAD src0_sel:DWORD src1_sel:WORD_1
	global_store_dword v[4:5], v2, off
	s_mov_b64 s[4:5], 0
	s_branch .LBB86_975
.LBB86_973:
	v_readlane_b32 s10, v47, 24
	v_readlane_b32 s11, v47, 25
	;; [unrolled: 1-line block ×6, first 2 shown]
	s_mov_b64 s[8:9], 0
	s_mov_b64 s[6:7], -1
	s_mov_b64 s[4:5], s[10:11]
	s_mov_b64 s[40:41], s[98:99]
	s_mov_b32 s39, s33
	s_mov_b32 s52, s86
	v_readlane_b32 s47, v47, 33
	s_mov_b64 s[42:43], 0
	v_readlane_b32 s45, v47, 31
	v_readlane_b32 s19, v47, 23
	;; [unrolled: 1-line block ×3, first 2 shown]
	s_branch .LBB86_1043
.LBB86_974:
	s_mov_b64 s[6:7], 0
.LBB86_975:
	s_and_b64 vcc, exec, s[6:7]
	s_cbranch_vccz .LBB86_980
; %bb.976:
	s_cmp_eq_u32 s15, 44
	s_mov_b64 s[4:5], -1
	s_cbranch_scc0 .LBB86_980
; %bb.977:
	v_cvt_f32_f64_e32 v2, v[0:1]
	s_movk_i32 s4, 0xff
	v_mov_b32_e32 v6, 0xff
	v_bfe_u32 v3, v2, 23, 8
	v_cmp_ne_u32_e32 vcc, s4, v3
	s_and_saveexec_b64 s[6:7], vcc
; %bb.978:
	s_mov_b32 s4, 0x3fffff
	v_lshrrev_b32_e32 v6, 23, v2
	v_and_b32_e32 v7, 0x400000, v2
	v_and_or_b32 v2, v2, s4, v3
	v_cmp_ne_u32_e32 vcc, 0, v7
	v_cmp_ne_u32_e64 s[4:5], 0, v2
	s_and_b64 s[4:5], vcc, s[4:5]
	v_cndmask_b32_e64 v2, 0, 1, s[4:5]
	v_add_u32_e32 v6, v6, v2
; %bb.979:
	s_or_b64 exec, exec, s[6:7]
	s_mov_b64 s[4:5], 0
	global_store_byte v[4:5], v6, off
.LBB86_980:
	s_mov_b64 s[6:7], 0
.LBB86_981:
	s_and_b64 vcc, exec, s[6:7]
	s_cbranch_vccz .LBB86_984
; %bb.982:
	s_cmp_eq_u32 s15, 29
	s_mov_b64 s[4:5], -1
	s_cbranch_scc0 .LBB86_984
; %bb.983:
	v_trunc_f64_e32 v[2:3], v[0:1]
	s_movk_i32 s4, 0xffe0
	s_mov_b64 s[6:7], 0
	v_ldexp_f64 v[6:7], v[2:3], s4
	s_mov_b32 s4, 0
	s_mov_b32 s5, 0xc1f00000
	v_floor_f64_e32 v[6:7], v[6:7]
	v_fma_f64 v[2:3], v[6:7], s[4:5], v[2:3]
	v_cvt_u32_f64_e32 v7, v[6:7]
	s_mov_b64 s[4:5], 0
	v_cvt_u32_f64_e32 v6, v[2:3]
	global_store_dwordx2 v[4:5], v[6:7], off
	s_branch .LBB86_985
.LBB86_984:
	s_mov_b64 s[6:7], 0
.LBB86_985:
	s_and_b64 vcc, exec, s[6:7]
	s_cbranch_vccz .LBB86_1000
; %bb.986:
	s_cmp_lt_i32 s15, 27
	s_mov_b64 s[6:7], -1
	s_cbranch_scc1 .LBB86_992
; %bb.987:
	s_cmp_gt_i32 s15, 27
	s_cbranch_scc0 .LBB86_989
; %bb.988:
	v_cvt_u32_f64_e32 v2, v[0:1]
	s_mov_b64 s[6:7], 0
	global_store_dword v[4:5], v2, off
.LBB86_989:
	s_andn2_b64 vcc, exec, s[6:7]
	s_cbranch_vccnz .LBB86_991
; %bb.990:
	v_cvt_u32_f64_e32 v2, v[0:1]
	global_store_short v[4:5], v2, off
.LBB86_991:
	s_mov_b64 s[6:7], 0
.LBB86_992:
	s_andn2_b64 vcc, exec, s[6:7]
	s_cbranch_vccnz .LBB86_1000
; %bb.993:
	v_cvt_f32_f64_e32 v2, v[0:1]
	s_mov_b32 s6, 0x43800000
	v_mov_b32_e32 v6, 0x80
	v_and_b32_e32 v3, 0x7fffffff, v2
	v_cmp_gt_u32_e32 vcc, s6, v3
	s_and_saveexec_b64 s[6:7], vcc
	s_cbranch_execz .LBB86_999
; %bb.994:
	s_mov_b32 s8, 0x3bffffff
	v_cmp_lt_u32_e32 vcc, s8, v3
	s_mov_b64 s[8:9], 0
                                        ; implicit-def: $vgpr3
	s_and_saveexec_b64 s[10:11], vcc
	s_xor_b64 s[10:11], exec, s[10:11]
	s_cbranch_execz .LBB86_1157
; %bb.995:
	v_bfe_u32 v3, v2, 20, 1
	s_mov_b32 s12, 0x487ffff
	v_add3_u32 v3, v2, v3, s12
	s_mov_b64 s[8:9], exec
	v_lshrrev_b32_e32 v3, 20, v3
	s_andn2_saveexec_b64 s[10:11], s[10:11]
	s_cbranch_execnz .LBB86_1158
.LBB86_996:
	s_or_b64 exec, exec, s[10:11]
	v_mov_b32_e32 v6, 0
	s_and_saveexec_b64 s[10:11], s[8:9]
.LBB86_997:
	v_lshrrev_b32_e32 v2, 24, v2
	s_movk_i32 s8, 0x80
	v_and_or_b32 v6, v2, s8, v3
.LBB86_998:
	s_or_b64 exec, exec, s[10:11]
.LBB86_999:
	s_or_b64 exec, exec, s[6:7]
	global_store_byte v[4:5], v6, off
.LBB86_1000:
	s_mov_b64 s[8:9], 0
.LBB86_1001:
	s_mov_b64 s[6:7], 0
	s_and_b64 vcc, exec, s[8:9]
	s_cbranch_vccz .LBB86_1041
; %bb.1002:
	s_cmp_gt_i32 s15, 22
	s_mov_b64 s[8:9], -1
	s_cbranch_scc0 .LBB86_1034
; %bb.1003:
	s_cmp_lt_i32 s15, 24
	s_cbranch_scc1 .LBB86_1023
; %bb.1004:
	s_cmp_gt_i32 s15, 24
	s_cbranch_scc0 .LBB86_1012
; %bb.1005:
	v_cvt_f32_f64_e32 v2, v[0:1]
	s_mov_b32 s8, 0x47800000
	v_mov_b32_e32 v6, 0x80
	v_and_b32_e32 v3, 0x7fffffff, v2
	v_cmp_gt_u32_e32 vcc, s8, v3
	s_and_saveexec_b64 s[8:9], vcc
	s_cbranch_execz .LBB86_1011
; %bb.1006:
	s_mov_b32 s10, 0x37ffffff
	v_cmp_lt_u32_e32 vcc, s10, v3
	s_mov_b64 s[10:11], 0
                                        ; implicit-def: $vgpr3
	s_and_saveexec_b64 s[12:13], vcc
	s_xor_b64 s[12:13], exec, s[12:13]
	s_cbranch_execz .LBB86_1282
; %bb.1007:
	v_bfe_u32 v3, v2, 21, 1
	s_mov_b32 s16, 0x88fffff
	v_add3_u32 v3, v2, v3, s16
	s_mov_b64 s[10:11], exec
	v_lshrrev_b32_e32 v3, 21, v3
	s_andn2_saveexec_b64 s[12:13], s[12:13]
	s_cbranch_execnz .LBB86_1283
.LBB86_1008:
	s_or_b64 exec, exec, s[12:13]
	v_mov_b32_e32 v6, 0
	s_and_saveexec_b64 s[12:13], s[10:11]
.LBB86_1009:
	v_lshrrev_b32_e32 v2, 24, v2
	s_movk_i32 s10, 0x80
	v_and_or_b32 v6, v2, s10, v3
.LBB86_1010:
	s_or_b64 exec, exec, s[12:13]
.LBB86_1011:
	s_or_b64 exec, exec, s[8:9]
	s_mov_b64 s[8:9], 0
	global_store_byte v[4:5], v6, off
.LBB86_1012:
	s_and_b64 vcc, exec, s[8:9]
	s_cbranch_vccz .LBB86_1022
; %bb.1013:
	v_cvt_f32_f64_e32 v2, v[0:1]
	s_mov_b32 s8, 0x43f00000
                                        ; implicit-def: $vgpr3
	v_and_b32_e32 v6, 0x7fffffff, v2
	v_cmp_gt_u32_e32 vcc, s8, v6
	s_and_saveexec_b64 s[8:9], vcc
	s_xor_b64 s[8:9], exec, s[8:9]
	s_cbranch_execz .LBB86_1019
; %bb.1014:
	s_mov_b32 s10, 0x3c7fffff
	v_cmp_lt_u32_e32 vcc, s10, v6
                                        ; implicit-def: $vgpr3
	s_and_saveexec_b64 s[10:11], vcc
	s_xor_b64 s[10:11], exec, s[10:11]
; %bb.1015:
	v_bfe_u32 v3, v2, 20, 1
	s_mov_b32 s12, 0x407ffff
	v_add3_u32 v3, v2, v3, s12
	v_lshrrev_b32_e32 v6, 20, v3
	v_and_b32_e32 v3, 0xff00000, v3
	s_mov_b32 s12, 0x7f00000
	v_mov_b32_e32 v7, 0x7e
	v_cmp_ne_u32_e32 vcc, s12, v3
	v_cndmask_b32_e32 v3, v7, v6, vcc
; %bb.1016:
	s_andn2_saveexec_b64 s[10:11], s[10:11]
; %bb.1017:
	s_mov_b32 s12, 0x46800000
	v_add_f32_e64 v3, |v2|, s12
; %bb.1018:
	s_or_b64 exec, exec, s[10:11]
                                        ; implicit-def: $vgpr6
.LBB86_1019:
	s_andn2_saveexec_b64 s[8:9], s[8:9]
; %bb.1020:
	s_mov_b32 s10, 0x7f800000
	v_mov_b32_e32 v3, 0x7e
	v_mov_b32_e32 v7, 0x7f
	v_cmp_lt_u32_e32 vcc, s10, v6
	v_cndmask_b32_e32 v3, v3, v7, vcc
; %bb.1021:
	s_or_b64 exec, exec, s[8:9]
	v_lshrrev_b32_e32 v2, 24, v2
	s_movk_i32 s8, 0x80
	v_and_or_b32 v2, v2, s8, v3
	global_store_byte v[4:5], v2, off
.LBB86_1022:
	s_mov_b64 s[8:9], 0
.LBB86_1023:
	s_andn2_b64 vcc, exec, s[8:9]
	s_cbranch_vccnz .LBB86_1033
; %bb.1024:
	v_cvt_f32_f64_e32 v2, v[0:1]
	s_mov_b32 s8, 0x47800000
                                        ; implicit-def: $vgpr3
	v_and_b32_e32 v6, 0x7fffffff, v2
	v_cmp_gt_u32_e32 vcc, s8, v6
	s_and_saveexec_b64 s[8:9], vcc
	s_xor_b64 s[8:9], exec, s[8:9]
	s_cbranch_execz .LBB86_1030
; %bb.1025:
	s_mov_b32 s10, 0x387fffff
	v_cmp_lt_u32_e32 vcc, s10, v6
                                        ; implicit-def: $vgpr3
	s_and_saveexec_b64 s[10:11], vcc
	s_xor_b64 s[10:11], exec, s[10:11]
; %bb.1026:
	v_bfe_u32 v3, v2, 21, 1
	s_mov_b32 s12, 0x80fffff
	v_add3_u32 v3, v2, v3, s12
	v_lshrrev_b32_e32 v3, 21, v3
; %bb.1027:
	s_andn2_saveexec_b64 s[10:11], s[10:11]
; %bb.1028:
	s_mov_b32 s12, 0x43000000
	v_add_f32_e64 v3, |v2|, s12
; %bb.1029:
	s_or_b64 exec, exec, s[10:11]
                                        ; implicit-def: $vgpr6
.LBB86_1030:
	s_andn2_saveexec_b64 s[8:9], s[8:9]
; %bb.1031:
	s_mov_b32 s10, 0x7f800000
	v_mov_b32_e32 v3, 0x7c
	v_mov_b32_e32 v7, 0x7f
	v_cmp_lt_u32_e32 vcc, s10, v6
	v_cndmask_b32_e32 v3, v3, v7, vcc
; %bb.1032:
	s_or_b64 exec, exec, s[8:9]
	v_lshrrev_b32_e32 v2, 24, v2
	s_movk_i32 s8, 0x80
	v_and_or_b32 v2, v2, s8, v3
	global_store_byte v[4:5], v2, off
.LBB86_1033:
	s_mov_b64 s[8:9], 0
.LBB86_1034:
	s_andn2_b64 vcc, exec, s[8:9]
	s_mov_b64 s[8:9], 0
	s_cbranch_vccnz .LBB86_1042
; %bb.1035:
	s_cmp_gt_i32 s15, 14
	s_mov_b64 s[10:11], -1
	s_cbranch_scc0 .LBB86_1039
; %bb.1036:
	s_cmp_eq_u32 s15, 15
	s_mov_b64 s[4:5], -1
	s_cbranch_scc0 .LBB86_1038
; %bb.1037:
	v_cvt_f32_f64_e32 v2, v[0:1]
	s_movk_i32 s4, 0x7fff
	v_mov_b32_e32 v3, 0x7fc0
	v_bfe_u32 v6, v2, 16, 1
	v_cmp_o_f32_e32 vcc, v2, v2
	v_add3_u32 v2, v2, v6, s4
	v_cndmask_b32_sdwa v2, v3, v2, vcc dst_sel:DWORD dst_unused:UNUSED_PAD src0_sel:DWORD src1_sel:WORD_1
	global_store_short v[4:5], v2, off
	s_mov_b64 s[4:5], 0
.LBB86_1038:
	s_mov_b64 s[10:11], 0
.LBB86_1039:
	s_and_b64 vcc, exec, s[10:11]
	s_cbranch_vccz .LBB86_1042
; %bb.1040:
	s_cmp_lg_u32 s15, 11
	s_cselect_b64 s[10:11], -1, 0
	s_andn2_b64 s[4:5], s[4:5], exec
	s_and_b64 s[10:11], s[10:11], exec
	s_mov_b64 s[8:9], -1
	s_or_b64 s[4:5], s[4:5], s[10:11]
	s_branch .LBB86_1042
.LBB86_1041:
	s_mov_b64 s[8:9], 0
.LBB86_1042:
	v_readlane_b32 s12, v47, 19
	v_readlane_b32 s10, v47, 24
	;; [unrolled: 1-line block ×4, first 2 shown]
.LBB86_1043:
	s_andn2_b64 s[10:11], s[10:11], exec
	s_and_b64 s[4:5], s[4:5], exec
	s_or_b64 s[4:5], s[10:11], s[4:5]
	v_writelane_b32 v47, s4, 24
	s_and_b64 s[6:7], s[6:7], exec
	s_and_b64 s[8:9], s[8:9], exec
	v_writelane_b32 v47, s5, 25
.LBB86_1044:
	s_or_b64 exec, exec, s[12:13]
	s_mov_b64 s[4:5], exec
	v_readlane_b32 s10, v47, 24
	v_readlane_b32 s11, v47, 25
	s_and_b64 s[10:11], s[4:5], s[10:11]
	s_mov_b64 exec, s[10:11]
	s_cbranch_execnz .LBB86_1047
; %bb.1045:
	s_or_b64 exec, exec, s[4:5]
	s_and_saveexec_b64 s[4:5], s[8:9]
	s_xor_b64 s[4:5], exec, s[4:5]
	s_cbranch_execz .LBB86_1048
.LBB86_1046:
	v_cmp_neq_f64_e32 vcc, 0, v[0:1]
	s_waitcnt vmcnt(0)
	v_cndmask_b32_e64 v2, 0, 1, vcc
	global_store_byte v[4:5], v2, off
	s_or_b64 exec, exec, s[4:5]
	s_and_saveexec_b64 s[4:5], s[6:7]
	s_xor_b64 s[4:5], exec, s[4:5]
	s_cbranch_execz .LBB86_1086
	s_branch .LBB86_1049
.LBB86_1047:
	s_or_b64 s[18:19], s[18:19], exec
	s_andn2_b64 s[8:9], s[8:9], exec
	s_trap 2
	s_or_b64 exec, exec, s[4:5]
	s_and_saveexec_b64 s[4:5], s[8:9]
	s_xor_b64 s[4:5], exec, s[4:5]
	s_cbranch_execnz .LBB86_1046
.LBB86_1048:
	s_or_b64 exec, exec, s[4:5]
	s_and_saveexec_b64 s[4:5], s[6:7]
	s_xor_b64 s[4:5], exec, s[4:5]
	s_cbranch_execz .LBB86_1086
.LBB86_1049:
	s_sext_i32_i16 s8, s14
	s_cmp_lt_i32 s8, 5
	s_mov_b64 s[6:7], -1
	s_cbranch_scc1 .LBB86_1070
; %bb.1050:
	s_cmp_lt_i32 s8, 8
	s_cbranch_scc1 .LBB86_1060
; %bb.1051:
	s_cmp_lt_i32 s8, 9
	s_cbranch_scc1 .LBB86_1057
; %bb.1052:
	s_cmp_gt_i32 s8, 9
	s_cbranch_scc0 .LBB86_1054
; %bb.1053:
	s_waitcnt vmcnt(0)
	v_mov_b32_e32 v2, 0
	v_mov_b32_e32 v3, v2
	s_mov_b64 s[6:7], 0
	global_store_dwordx4 v[4:5], v[0:3], off
.LBB86_1054:
	s_andn2_b64 vcc, exec, s[6:7]
	s_cbranch_vccnz .LBB86_1056
; %bb.1055:
	s_waitcnt vmcnt(0)
	v_cvt_f32_f64_e32 v2, v[0:1]
	v_mov_b32_e32 v3, 0
	global_store_dwordx2 v[4:5], v[2:3], off
.LBB86_1056:
	s_mov_b64 s[6:7], 0
.LBB86_1057:
	s_andn2_b64 vcc, exec, s[6:7]
	s_cbranch_vccnz .LBB86_1059
; %bb.1058:
	s_movk_i32 s6, 0x1ff
	s_waitcnt vmcnt(0)
	v_and_or_b32 v2, v1, s6, v0
	v_cmp_ne_u32_e32 vcc, 0, v2
	v_cndmask_b32_e64 v2, 0, 1, vcc
	v_lshrrev_b32_e32 v3, 8, v1
	s_movk_i32 s6, 0xffe
	v_bfe_u32 v6, v1, 20, 11
	v_and_or_b32 v2, v3, s6, v2
	v_sub_u32_e32 v7, 0x3f1, v6
	v_or_b32_e32 v3, 0x1000, v2
	v_med3_i32 v7, v7, 0, 13
	v_lshrrev_b32_e32 v8, v7, v3
	v_lshlrev_b32_e32 v7, v7, v8
	v_cmp_ne_u32_e32 vcc, v7, v3
	v_cndmask_b32_e64 v3, 0, 1, vcc
	v_add_u32_e32 v6, 0xfffffc10, v6
	v_or_b32_e32 v3, v8, v3
	v_lshl_or_b32 v7, v6, 12, v2
	v_cmp_gt_i32_e32 vcc, 1, v6
	v_cndmask_b32_e32 v3, v7, v3, vcc
	v_and_b32_e32 v7, 7, v3
	v_cmp_lt_i32_e32 vcc, 5, v7
	v_cndmask_b32_e64 v8, 0, 1, vcc
	v_cmp_eq_u32_e32 vcc, 3, v7
	v_cndmask_b32_e64 v7, 0, 1, vcc
	v_or_b32_e32 v7, v7, v8
	v_lshrrev_b32_e32 v3, 2, v3
	v_add_u32_e32 v3, v3, v7
	v_mov_b32_e32 v7, 0x7c00
	v_cmp_gt_i32_e32 vcc, 31, v6
	v_cndmask_b32_e32 v3, v7, v3, vcc
	v_mov_b32_e32 v8, 0x7e00
	v_cmp_ne_u32_e32 vcc, 0, v2
	s_movk_i32 s6, 0x40f
	v_cndmask_b32_e32 v2, v7, v8, vcc
	v_cmp_eq_u32_e32 vcc, s6, v6
	v_cndmask_b32_e32 v2, v3, v2, vcc
	v_lshrrev_b32_e32 v3, 16, v1
	s_mov_b32 s6, 0x8000
	v_and_or_b32 v2, v3, s6, v2
	v_and_b32_e32 v2, 0xffff, v2
	global_store_dword v[4:5], v2, off
.LBB86_1059:
	s_mov_b64 s[6:7], 0
.LBB86_1060:
	s_andn2_b64 vcc, exec, s[6:7]
	s_cbranch_vccnz .LBB86_1069
; %bb.1061:
	s_sext_i32_i16 s8, s14
	s_cmp_lt_i32 s8, 6
	s_mov_b64 s[6:7], -1
	s_cbranch_scc1 .LBB86_1067
; %bb.1062:
	s_cmp_gt_i32 s8, 6
	s_cbranch_scc0 .LBB86_1064
; %bb.1063:
	s_mov_b64 s[6:7], 0
	global_store_dwordx2 v[4:5], v[0:1], off
.LBB86_1064:
	s_andn2_b64 vcc, exec, s[6:7]
	s_cbranch_vccnz .LBB86_1066
; %bb.1065:
	s_waitcnt vmcnt(0)
	v_cvt_f32_f64_e32 v2, v[0:1]
	global_store_dword v[4:5], v2, off
.LBB86_1066:
	s_mov_b64 s[6:7], 0
.LBB86_1067:
	s_andn2_b64 vcc, exec, s[6:7]
	s_cbranch_vccnz .LBB86_1069
; %bb.1068:
	s_movk_i32 s6, 0x1ff
	s_waitcnt vmcnt(0)
	v_and_or_b32 v2, v1, s6, v0
	v_cmp_ne_u32_e32 vcc, 0, v2
	v_cndmask_b32_e64 v2, 0, 1, vcc
	v_lshrrev_b32_e32 v3, 8, v1
	s_movk_i32 s6, 0xffe
	v_bfe_u32 v6, v1, 20, 11
	v_and_or_b32 v2, v3, s6, v2
	v_sub_u32_e32 v7, 0x3f1, v6
	v_or_b32_e32 v3, 0x1000, v2
	v_med3_i32 v7, v7, 0, 13
	v_lshrrev_b32_e32 v8, v7, v3
	v_lshlrev_b32_e32 v7, v7, v8
	v_cmp_ne_u32_e32 vcc, v7, v3
	v_cndmask_b32_e64 v3, 0, 1, vcc
	v_add_u32_e32 v6, 0xfffffc10, v6
	v_or_b32_e32 v3, v8, v3
	v_lshl_or_b32 v7, v6, 12, v2
	v_cmp_gt_i32_e32 vcc, 1, v6
	v_cndmask_b32_e32 v3, v7, v3, vcc
	v_and_b32_e32 v7, 7, v3
	v_cmp_lt_i32_e32 vcc, 5, v7
	v_cndmask_b32_e64 v8, 0, 1, vcc
	v_cmp_eq_u32_e32 vcc, 3, v7
	v_cndmask_b32_e64 v7, 0, 1, vcc
	v_or_b32_e32 v7, v7, v8
	v_lshrrev_b32_e32 v3, 2, v3
	v_add_u32_e32 v3, v3, v7
	v_mov_b32_e32 v7, 0x7c00
	v_cmp_gt_i32_e32 vcc, 31, v6
	v_cndmask_b32_e32 v3, v7, v3, vcc
	v_mov_b32_e32 v8, 0x7e00
	v_cmp_ne_u32_e32 vcc, 0, v2
	s_movk_i32 s6, 0x40f
	v_cndmask_b32_e32 v2, v7, v8, vcc
	v_cmp_eq_u32_e32 vcc, s6, v6
	v_cndmask_b32_e32 v2, v3, v2, vcc
	v_lshrrev_b32_e32 v3, 16, v1
	s_mov_b32 s6, 0x8000
	v_and_or_b32 v2, v3, s6, v2
	global_store_short v[4:5], v2, off
.LBB86_1069:
	s_mov_b64 s[6:7], 0
.LBB86_1070:
	s_andn2_b64 vcc, exec, s[6:7]
	s_cbranch_vccnz .LBB86_1086
; %bb.1071:
	s_sext_i32_i16 s8, s14
	s_cmp_lt_i32 s8, 2
	s_mov_b64 s[6:7], -1
	s_cbranch_scc1 .LBB86_1081
; %bb.1072:
	s_cmp_lt_i32 s8, 3
	s_cbranch_scc1 .LBB86_1078
; %bb.1073:
	s_cmp_gt_i32 s8, 3
	s_cbranch_scc0 .LBB86_1075
; %bb.1074:
	s_waitcnt vmcnt(0)
	v_trunc_f64_e32 v[2:3], v[0:1]
	s_movk_i32 s6, 0xffe0
	v_ldexp_f64 v[6:7], v[2:3], s6
	s_mov_b32 s6, 0
	s_mov_b32 s7, 0xc1f00000
	v_floor_f64_e32 v[6:7], v[6:7]
	v_fma_f64 v[2:3], v[6:7], s[6:7], v[2:3]
	v_cvt_i32_f64_e32 v7, v[6:7]
	s_mov_b64 s[6:7], 0
	v_cvt_u32_f64_e32 v6, v[2:3]
	global_store_dwordx2 v[4:5], v[6:7], off
.LBB86_1075:
	s_andn2_b64 vcc, exec, s[6:7]
	s_cbranch_vccnz .LBB86_1077
; %bb.1076:
	s_waitcnt vmcnt(0)
	v_cvt_i32_f64_e32 v2, v[0:1]
	global_store_dword v[4:5], v2, off
.LBB86_1077:
	s_mov_b64 s[6:7], 0
.LBB86_1078:
	s_andn2_b64 vcc, exec, s[6:7]
	s_cbranch_vccnz .LBB86_1080
; %bb.1079:
	s_waitcnt vmcnt(0)
	v_cvt_i32_f64_e32 v2, v[0:1]
	global_store_short v[4:5], v2, off
.LBB86_1080:
	s_mov_b64 s[6:7], 0
.LBB86_1081:
	s_andn2_b64 vcc, exec, s[6:7]
	s_cbranch_vccnz .LBB86_1086
; %bb.1082:
	s_sext_i32_i16 s6, s14
	s_cmp_gt_i32 s6, 0
	s_mov_b64 s[6:7], -1
	s_cbranch_scc0 .LBB86_1084
; %bb.1083:
	s_waitcnt vmcnt(0)
	v_cvt_i32_f64_e32 v2, v[0:1]
	s_mov_b64 s[6:7], 0
	global_store_byte v[4:5], v2, off
.LBB86_1084:
	s_andn2_b64 vcc, exec, s[6:7]
	s_cbranch_vccnz .LBB86_1086
; %bb.1085:
	v_trunc_f64_e32 v[0:1], v[0:1]
	s_movk_i32 s6, 0xffe0
	s_waitcnt vmcnt(0)
	v_ldexp_f64 v[2:3], v[0:1], s6
	s_mov_b32 s6, 0
	s_mov_b32 s7, 0xc1f00000
	v_floor_f64_e32 v[2:3], v[2:3]
	v_fma_f64 v[0:1], v[2:3], s[6:7], v[0:1]
	v_cvt_u32_f64_e32 v0, v[0:1]
	global_store_byte v[4:5], v0, off
.LBB86_1086:
	s_or_b64 exec, exec, s[4:5]
	v_readlane_b32 s4, v47, 0
	s_and_b64 s[98:99], s[18:19], exec
	v_readlane_b32 s5, v47, 1
                                        ; implicit-def: $vgpr8
                                        ; implicit-def: $vgpr43
.LBB86_1087:
	s_or_saveexec_b64 s[96:97], s[4:5]
	s_mov_b64 s[4:5], 0
                                        ; implicit-def: $vgpr4_vgpr5
                                        ; implicit-def: $sgpr33
                                        ; implicit-def: $vgpr0_vgpr1
	s_xor_b64 exec, exec, s[96:97]
	s_cbranch_execz .LBB86_2091
; %bb.1088:
	v_cndmask_b32_e64 v0, 0, 1, s[44:45]
	v_cmp_ne_u32_e64 s[4:5], 1, v0
	s_andn2_b64 vcc, exec, s[44:45]
	s_cbranch_vccnz .LBB86_1094
; %bb.1089:
	s_cmp_lg_u32 s39, 0
	s_mov_b32 s30, 0
	s_cbranch_scc0 .LBB86_1095
; %bb.1090:
	s_min_u32 s31, s52, 15
	s_add_i32 s31, s31, 1
	s_cmp_eq_u32 s52, 2
	s_cbranch_scc1 .LBB86_1096
; %bb.1091:
	s_and_b32 s30, s31, 28
	s_add_u32 s6, s46, 0xc4
	s_addc_u32 s7, s47, 0
	s_waitcnt vmcnt(0)
	v_mov_b32_e32 v2, 0
	s_mov_b32 s34, 0
	s_mov_b64 s[28:29], s[46:47]
	v_mov_b32_e32 v56, 0
	v_mov_b32_e32 v0, v43
.LBB86_1092:                            ; =>This Inner Loop Header: Depth=1
	s_load_dwordx8 s[16:23], s[28:29], 0x4
	s_load_dwordx4 s[24:27], s[28:29], 0x24
	s_load_dwordx8 s[8:15], s[6:7], 0x0
	s_add_u32 s28, s28, 48
	s_addc_u32 s29, s29, 0
	s_waitcnt lgkmcnt(0)
	v_mul_hi_u32 v1, s17, v0
	s_add_i32 s34, s34, 4
	s_add_u32 s6, s6, 32
	s_addc_u32 s7, s7, 0
	v_add_u32_e32 v1, v0, v1
	v_lshrrev_b32_e32 v1, s18, v1
	v_mul_lo_u32 v3, v1, s16
	v_mul_hi_u32 v4, s20, v1
	s_cmp_lg_u32 s30, s34
	v_sub_u32_e32 v0, v0, v3
	v_add_u32_e32 v3, v1, v4
	v_mul_lo_u32 v4, v0, s8
	v_mul_lo_u32 v5, v0, s9
	v_lshrrev_b32_e32 v0, s21, v3
	v_mul_lo_u32 v3, v0, s19
	v_mul_hi_u32 v6, s23, v0
	v_sub_u32_e32 v1, v1, v3
	v_add_u32_e32 v3, v0, v6
	v_lshrrev_b32_e32 v3, s24, v3
	v_mul_hi_u32 v7, s26, v3
	v_mul_lo_u32 v9, v3, s22
	v_mul_lo_u32 v6, v1, s10
	;; [unrolled: 1-line block ×3, first 2 shown]
	v_sub_u32_e32 v9, v0, v9
	v_add_u32_e32 v0, v3, v7
	v_lshrrev_b32_e32 v0, s27, v0
	v_mul_lo_u32 v7, v0, s25
	v_mul_lo_u32 v10, v9, s12
	;; [unrolled: 1-line block ×3, first 2 shown]
	v_add3_u32 v4, v4, v56, v6
	v_sub_u32_e32 v3, v3, v7
	v_mul_lo_u32 v7, v3, s14
	v_mul_lo_u32 v3, v3, s15
	v_add3_u32 v1, v5, v2, v1
	v_add3_u32 v56, v10, v4, v7
	;; [unrolled: 1-line block ×3, first 2 shown]
	s_cbranch_scc1 .LBB86_1092
; %bb.1093:
	s_and_b32 s10, s31, 3
	s_cmp_eq_u32 s10, 0
	s_cbranch_scc0 .LBB86_1097
	s_branch .LBB86_1099
.LBB86_1094:
                                        ; implicit-def: $vgpr56
                                        ; implicit-def: $vgpr2
	s_branch .LBB86_1100
.LBB86_1095:
	v_mov_b32_e32 v56, 0
	s_waitcnt vmcnt(0)
	v_mov_b32_e32 v2, 0
	s_branch .LBB86_1099
.LBB86_1096:
	v_mov_b32_e32 v56, 0
	s_waitcnt vmcnt(0)
	v_mov_b32_e32 v2, 0
	v_mov_b32_e32 v0, v43
	s_and_b32 s10, s31, 3
	s_cmp_eq_u32 s10, 0
	s_cbranch_scc1 .LBB86_1099
.LBB86_1097:
	s_lshl_b32 s6, s30, 3
	s_add_u32 s6, s46, s6
	s_addc_u32 s7, s47, 0
	s_add_u32 s6, s6, 0xc4
	s_addc_u32 s7, s7, 0
	s_mul_i32 s8, s30, 12
	s_add_u32 s8, s46, s8
	s_addc_u32 s9, s47, 0
.LBB86_1098:                            ; =>This Inner Loop Header: Depth=1
	s_load_dwordx2 s[12:13], s[8:9], 0x4
	s_load_dword s11, s[8:9], 0xc
	s_load_dwordx2 s[14:15], s[6:7], 0x0
	s_add_u32 s8, s8, 12
	s_addc_u32 s9, s9, 0
	s_waitcnt lgkmcnt(0)
	v_mul_hi_u32 v1, s13, v0
	s_add_u32 s6, s6, 8
	s_addc_u32 s7, s7, 0
	s_add_i32 s10, s10, -1
	v_add_u32_e32 v1, v0, v1
	v_lshrrev_b32_e32 v1, s11, v1
	v_mul_lo_u32 v3, v1, s12
	s_cmp_lg_u32 s10, 0
	v_sub_u32_e32 v0, v0, v3
	v_mad_u64_u32 v[56:57], s[12:13], v0, s14, v[56:57]
	v_mad_u64_u32 v[2:3], s[12:13], v0, s15, v[2:3]
	v_mov_b32_e32 v0, v1
	s_cbranch_scc1 .LBB86_1098
.LBB86_1099:
	s_cbranch_execnz .LBB86_1102
.LBB86_1100:
	s_load_dwordx4 s[8:11], s[46:47], 0x4
	s_load_dwordx2 s[6:7], s[46:47], 0xc4
	s_cmp_lt_u32 s39, 2
	s_waitcnt lgkmcnt(0)
	v_mul_hi_u32 v0, s9, v43
	v_add_u32_e32 v0, v43, v0
	v_lshrrev_b32_e32 v0, s10, v0
	v_mul_lo_u32 v1, v0, s8
	v_sub_u32_e32 v1, v43, v1
	v_mul_lo_u32 v56, v1, s6
	s_waitcnt vmcnt(0)
	v_mul_lo_u32 v2, v1, s7
	s_cbranch_scc1 .LBB86_1102
; %bb.1101:
	s_load_dwordx4 s[8:11], s[46:47], 0x10
	s_load_dwordx2 s[6:7], s[46:47], 0xcc
	s_waitcnt lgkmcnt(0)
	v_mul_hi_u32 v1, s9, v0
	v_add_u32_e32 v1, v0, v1
	v_lshrrev_b32_e32 v1, s10, v1
	v_mul_lo_u32 v1, v1, s8
	v_sub_u32_e32 v0, v0, v1
	v_mad_u64_u32 v[56:57], s[8:9], v0, s6, v[56:57]
	v_mad_u64_u32 v[2:3], s[6:7], v0, s7, v[2:3]
.LBB86_1102:
	s_and_b64 vcc, exec, s[4:5]
	v_add_u32_e32 v0, 0x80, v43
	s_cbranch_vccnz .LBB86_1108
; %bb.1103:
	s_cmp_lg_u32 s39, 0
	s_mov_b32 s30, 0
	s_cbranch_scc0 .LBB86_1109
; %bb.1104:
	s_min_u32 s31, s52, 15
	s_add_i32 s31, s31, 1
	s_cmp_eq_u32 s52, 2
	s_cbranch_scc1 .LBB86_1110
; %bb.1105:
	s_and_b32 s30, s31, 28
	s_add_u32 s6, s46, 0xc4
	s_addc_u32 s7, s47, 0
	v_mov_b32_e32 v6, 0
	s_mov_b32 s34, 0
	s_mov_b64 s[28:29], s[46:47]
	v_mov_b32_e32 v54, 0
	v_mov_b32_e32 v1, v0
.LBB86_1106:                            ; =>This Inner Loop Header: Depth=1
	s_load_dwordx8 s[16:23], s[28:29], 0x4
	s_load_dwordx4 s[24:27], s[28:29], 0x24
	s_load_dwordx8 s[8:15], s[6:7], 0x0
	s_add_u32 s28, s28, 48
	s_addc_u32 s29, s29, 0
	s_waitcnt vmcnt(0) lgkmcnt(0)
	v_mul_hi_u32 v3, s17, v1
	s_add_i32 s34, s34, 4
	s_add_u32 s6, s6, 32
	s_addc_u32 s7, s7, 0
	v_add_u32_e32 v3, v1, v3
	v_lshrrev_b32_e32 v3, s18, v3
	v_mul_lo_u32 v4, v3, s16
	v_mul_hi_u32 v5, s20, v3
	s_cmp_lg_u32 s30, s34
	v_sub_u32_e32 v1, v1, v4
	v_add_u32_e32 v4, v3, v5
	v_mul_lo_u32 v5, v1, s8
	v_mul_lo_u32 v7, v1, s9
	v_lshrrev_b32_e32 v1, s21, v4
	v_mul_lo_u32 v4, v1, s19
	v_mul_hi_u32 v9, s23, v1
	v_sub_u32_e32 v3, v3, v4
	v_add_u32_e32 v4, v1, v9
	v_lshrrev_b32_e32 v4, s24, v4
	v_mul_hi_u32 v10, s26, v4
	v_mul_lo_u32 v11, v4, s22
	v_mul_lo_u32 v9, v3, s10
	;; [unrolled: 1-line block ×3, first 2 shown]
	v_sub_u32_e32 v11, v1, v11
	v_add_u32_e32 v1, v4, v10
	v_lshrrev_b32_e32 v1, s27, v1
	v_mul_lo_u32 v10, v1, s25
	v_mul_lo_u32 v12, v11, s12
	;; [unrolled: 1-line block ×3, first 2 shown]
	v_add3_u32 v5, v5, v54, v9
	v_sub_u32_e32 v4, v4, v10
	v_mul_lo_u32 v10, v4, s14
	v_mul_lo_u32 v4, v4, s15
	v_add3_u32 v3, v7, v6, v3
	v_add3_u32 v54, v12, v5, v10
	;; [unrolled: 1-line block ×3, first 2 shown]
	s_cbranch_scc1 .LBB86_1106
; %bb.1107:
	s_and_b32 s10, s31, 3
	s_cmp_eq_u32 s10, 0
	s_cbranch_scc0 .LBB86_1111
	s_branch .LBB86_1113
.LBB86_1108:
                                        ; implicit-def: $vgpr54
                                        ; implicit-def: $vgpr6
	s_branch .LBB86_1114
.LBB86_1109:
	v_mov_b32_e32 v54, 0
	v_mov_b32_e32 v6, 0
	s_branch .LBB86_1113
.LBB86_1110:
	v_mov_b32_e32 v54, 0
	v_mov_b32_e32 v6, 0
	;; [unrolled: 1-line block ×3, first 2 shown]
	s_and_b32 s10, s31, 3
	s_cmp_eq_u32 s10, 0
	s_cbranch_scc1 .LBB86_1113
.LBB86_1111:
	s_lshl_b32 s6, s30, 3
	s_add_u32 s6, s46, s6
	s_addc_u32 s7, s47, 0
	s_add_u32 s6, s6, 0xc4
	s_addc_u32 s7, s7, 0
	s_mul_i32 s8, s30, 12
	s_add_u32 s8, s46, s8
	s_addc_u32 s9, s47, 0
.LBB86_1112:                            ; =>This Inner Loop Header: Depth=1
	s_load_dwordx2 s[12:13], s[8:9], 0x4
	s_load_dword s11, s[8:9], 0xc
	s_load_dwordx2 s[14:15], s[6:7], 0x0
	s_add_u32 s8, s8, 12
	s_addc_u32 s9, s9, 0
	s_waitcnt vmcnt(0) lgkmcnt(0)
	v_mul_hi_u32 v3, s13, v1
	s_add_u32 s6, s6, 8
	s_addc_u32 s7, s7, 0
	s_add_i32 s10, s10, -1
	v_add_u32_e32 v3, v1, v3
	v_lshrrev_b32_e32 v3, s11, v3
	v_mul_lo_u32 v4, v3, s12
	s_cmp_lg_u32 s10, 0
	v_sub_u32_e32 v1, v1, v4
	v_mad_u64_u32 v[54:55], s[12:13], v1, s14, v[54:55]
	v_mad_u64_u32 v[6:7], s[12:13], v1, s15, v[6:7]
	v_mov_b32_e32 v1, v3
	s_cbranch_scc1 .LBB86_1112
.LBB86_1113:
	s_cbranch_execnz .LBB86_1116
.LBB86_1114:
	s_load_dwordx4 s[8:11], s[46:47], 0x4
	s_load_dwordx2 s[6:7], s[46:47], 0xc4
	s_cmp_lt_u32 s39, 2
	s_waitcnt lgkmcnt(0)
	v_mul_hi_u32 v1, s9, v0
	v_add_u32_e32 v1, v0, v1
	v_lshrrev_b32_e32 v1, s10, v1
	s_waitcnt vmcnt(0)
	v_mul_lo_u32 v3, v1, s8
	v_sub_u32_e32 v0, v0, v3
	v_mul_lo_u32 v54, v0, s6
	v_mul_lo_u32 v6, v0, s7
	s_cbranch_scc1 .LBB86_1116
; %bb.1115:
	s_load_dwordx4 s[8:11], s[46:47], 0x10
	s_load_dwordx2 s[6:7], s[46:47], 0xcc
	s_waitcnt lgkmcnt(0)
	v_mul_hi_u32 v0, s9, v1
	v_add_u32_e32 v0, v1, v0
	v_lshrrev_b32_e32 v0, s10, v0
	v_mul_lo_u32 v0, v0, s8
	v_sub_u32_e32 v0, v1, v0
	v_mad_u64_u32 v[54:55], s[8:9], v0, s6, v[54:55]
	v_mad_u64_u32 v[6:7], s[6:7], v0, s7, v[6:7]
.LBB86_1116:
	s_and_b64 vcc, exec, s[4:5]
	v_add_u32_e32 v0, 0x100, v43
	s_cbranch_vccnz .LBB86_1122
; %bb.1117:
	s_cmp_lg_u32 s39, 0
	s_mov_b32 s30, 0
	s_cbranch_scc0 .LBB86_1123
; %bb.1118:
	s_min_u32 s31, s52, 15
	s_add_i32 s31, s31, 1
	s_cmp_eq_u32 s52, 2
	s_cbranch_scc1 .LBB86_1124
; %bb.1119:
	s_and_b32 s30, s31, 28
	s_add_u32 s6, s46, 0xc4
	s_addc_u32 s7, s47, 0
	v_mov_b32_e32 v4, 0
	s_mov_b32 s34, 0
	s_mov_b64 s[28:29], s[46:47]
	v_mov_b32_e32 v52, 0
	v_mov_b32_e32 v1, v0
.LBB86_1120:                            ; =>This Inner Loop Header: Depth=1
	s_load_dwordx8 s[16:23], s[28:29], 0x4
	s_load_dwordx4 s[24:27], s[28:29], 0x24
	s_load_dwordx8 s[8:15], s[6:7], 0x0
	s_add_u32 s28, s28, 48
	s_addc_u32 s29, s29, 0
	s_waitcnt vmcnt(0) lgkmcnt(0)
	v_mul_hi_u32 v3, s17, v1
	s_add_i32 s34, s34, 4
	s_add_u32 s6, s6, 32
	s_addc_u32 s7, s7, 0
	v_add_u32_e32 v3, v1, v3
	v_lshrrev_b32_e32 v3, s18, v3
	v_mul_lo_u32 v5, v3, s16
	v_mul_hi_u32 v7, s20, v3
	s_cmp_lg_u32 s30, s34
	v_sub_u32_e32 v1, v1, v5
	v_add_u32_e32 v5, v3, v7
	v_mul_lo_u32 v7, v1, s8
	v_mul_lo_u32 v9, v1, s9
	v_lshrrev_b32_e32 v1, s21, v5
	v_mul_lo_u32 v5, v1, s19
	v_mul_hi_u32 v10, s23, v1
	v_sub_u32_e32 v3, v3, v5
	v_add_u32_e32 v5, v1, v10
	v_lshrrev_b32_e32 v5, s24, v5
	v_mul_hi_u32 v11, s26, v5
	v_mul_lo_u32 v12, v5, s22
	v_mul_lo_u32 v10, v3, s10
	v_mul_lo_u32 v3, v3, s11
	v_sub_u32_e32 v12, v1, v12
	v_add_u32_e32 v1, v5, v11
	v_lshrrev_b32_e32 v1, s27, v1
	v_mul_lo_u32 v11, v1, s25
	v_mul_lo_u32 v13, v12, s12
	;; [unrolled: 1-line block ×3, first 2 shown]
	v_add3_u32 v7, v7, v52, v10
	v_sub_u32_e32 v5, v5, v11
	v_mul_lo_u32 v11, v5, s14
	v_mul_lo_u32 v5, v5, s15
	v_add3_u32 v3, v9, v4, v3
	v_add3_u32 v52, v13, v7, v11
	;; [unrolled: 1-line block ×3, first 2 shown]
	s_cbranch_scc1 .LBB86_1120
; %bb.1121:
	s_and_b32 s10, s31, 3
	s_cmp_eq_u32 s10, 0
	s_cbranch_scc0 .LBB86_1125
	s_branch .LBB86_1127
.LBB86_1122:
                                        ; implicit-def: $vgpr52
                                        ; implicit-def: $vgpr4
	s_branch .LBB86_1128
.LBB86_1123:
	v_mov_b32_e32 v52, 0
	v_mov_b32_e32 v4, 0
	s_branch .LBB86_1127
.LBB86_1124:
	v_mov_b32_e32 v52, 0
	v_mov_b32_e32 v4, 0
	;; [unrolled: 1-line block ×3, first 2 shown]
	s_and_b32 s10, s31, 3
	s_cmp_eq_u32 s10, 0
	s_cbranch_scc1 .LBB86_1127
.LBB86_1125:
	s_lshl_b32 s6, s30, 3
	s_add_u32 s6, s46, s6
	s_addc_u32 s7, s47, 0
	s_add_u32 s6, s6, 0xc4
	s_addc_u32 s7, s7, 0
	s_mul_i32 s8, s30, 12
	s_add_u32 s8, s46, s8
	s_addc_u32 s9, s47, 0
.LBB86_1126:                            ; =>This Inner Loop Header: Depth=1
	s_load_dwordx2 s[12:13], s[8:9], 0x4
	s_load_dword s11, s[8:9], 0xc
	s_load_dwordx2 s[14:15], s[6:7], 0x0
	s_add_u32 s8, s8, 12
	s_addc_u32 s9, s9, 0
	s_waitcnt vmcnt(0) lgkmcnt(0)
	v_mul_hi_u32 v3, s13, v1
	s_add_u32 s6, s6, 8
	s_addc_u32 s7, s7, 0
	s_add_i32 s10, s10, -1
	v_add_u32_e32 v3, v1, v3
	v_lshrrev_b32_e32 v3, s11, v3
	v_mul_lo_u32 v5, v3, s12
	s_cmp_lg_u32 s10, 0
	v_sub_u32_e32 v1, v1, v5
	v_mad_u64_u32 v[52:53], s[12:13], v1, s14, v[52:53]
	v_mad_u64_u32 v[4:5], s[12:13], v1, s15, v[4:5]
	v_mov_b32_e32 v1, v3
	s_cbranch_scc1 .LBB86_1126
.LBB86_1127:
	s_cbranch_execnz .LBB86_1130
.LBB86_1128:
	s_load_dwordx4 s[8:11], s[46:47], 0x4
	s_load_dwordx2 s[6:7], s[46:47], 0xc4
	s_cmp_lt_u32 s39, 2
	s_waitcnt lgkmcnt(0)
	v_mul_hi_u32 v1, s9, v0
	v_add_u32_e32 v1, v0, v1
	v_lshrrev_b32_e32 v1, s10, v1
	s_waitcnt vmcnt(0)
	v_mul_lo_u32 v3, v1, s8
	v_sub_u32_e32 v0, v0, v3
	v_mul_lo_u32 v52, v0, s6
	v_mul_lo_u32 v4, v0, s7
	s_cbranch_scc1 .LBB86_1130
; %bb.1129:
	s_load_dwordx4 s[8:11], s[46:47], 0x10
	s_load_dwordx2 s[6:7], s[46:47], 0xcc
	s_waitcnt lgkmcnt(0)
	v_mul_hi_u32 v0, s9, v1
	v_add_u32_e32 v0, v1, v0
	v_lshrrev_b32_e32 v0, s10, v0
	v_mul_lo_u32 v0, v0, s8
	v_sub_u32_e32 v0, v1, v0
	v_mad_u64_u32 v[52:53], s[8:9], v0, s6, v[52:53]
	v_mad_u64_u32 v[4:5], s[6:7], v0, s7, v[4:5]
.LBB86_1130:
	s_and_b64 vcc, exec, s[4:5]
	s_cbranch_vccnz .LBB86_1136
; %bb.1131:
	s_cmp_lg_u32 s39, 0
	s_mov_b32 s28, 0
	s_cbranch_scc0 .LBB86_1137
; %bb.1132:
	s_min_u32 s29, s52, 15
	s_add_i32 s29, s29, 1
	s_cmp_eq_u32 s52, 2
	s_cbranch_scc1 .LBB86_1138
; %bb.1133:
	s_and_b32 s28, s29, 28
	s_add_u32 s24, s46, 0xc4
	s_addc_u32 s25, s47, 0
	v_mov_b32_e32 v0, 0
	s_mov_b32 s30, 0
	s_mov_b64 s[26:27], s[46:47]
	v_mov_b32_e32 v50, 0
	v_mov_b32_e32 v1, v8
.LBB86_1134:                            ; =>This Inner Loop Header: Depth=1
	s_load_dwordx8 s[12:19], s[26:27], 0x4
	s_load_dwordx4 s[20:23], s[26:27], 0x24
	s_load_dwordx8 s[4:11], s[24:25], 0x0
	s_add_u32 s26, s26, 48
	s_addc_u32 s27, s27, 0
	s_waitcnt vmcnt(0) lgkmcnt(0)
	v_mul_hi_u32 v3, s13, v1
	s_add_i32 s30, s30, 4
	s_add_u32 s24, s24, 32
	s_addc_u32 s25, s25, 0
	v_add_u32_e32 v3, v1, v3
	v_lshrrev_b32_e32 v3, s14, v3
	v_mul_lo_u32 v5, v3, s12
	v_mul_hi_u32 v7, s16, v3
	s_cmp_lg_u32 s28, s30
	v_sub_u32_e32 v1, v1, v5
	v_add_u32_e32 v5, v3, v7
	v_mul_lo_u32 v7, v1, s4
	v_mul_lo_u32 v9, v1, s5
	v_lshrrev_b32_e32 v1, s17, v5
	v_mul_lo_u32 v5, v1, s15
	v_mul_hi_u32 v10, s19, v1
	v_sub_u32_e32 v3, v3, v5
	v_add_u32_e32 v5, v1, v10
	v_lshrrev_b32_e32 v5, s20, v5
	v_mul_hi_u32 v11, s22, v5
	v_mul_lo_u32 v12, v5, s18
	v_mul_lo_u32 v10, v3, s6
	;; [unrolled: 1-line block ×3, first 2 shown]
	v_sub_u32_e32 v12, v1, v12
	v_add_u32_e32 v1, v5, v11
	v_lshrrev_b32_e32 v1, s23, v1
	v_mul_lo_u32 v11, v1, s21
	v_mul_lo_u32 v13, v12, s8
	;; [unrolled: 1-line block ×3, first 2 shown]
	v_add3_u32 v7, v7, v50, v10
	v_sub_u32_e32 v5, v5, v11
	v_mul_lo_u32 v11, v5, s10
	v_mul_lo_u32 v5, v5, s11
	v_add3_u32 v0, v9, v0, v3
	v_add3_u32 v50, v13, v7, v11
	v_add3_u32 v0, v12, v0, v5
	s_cbranch_scc1 .LBB86_1134
; %bb.1135:
	s_and_b32 s8, s29, 3
	s_cmp_eq_u32 s8, 0
	s_cbranch_scc0 .LBB86_1139
	s_branch .LBB86_1141
.LBB86_1136:
                                        ; implicit-def: $vgpr50
                                        ; implicit-def: $vgpr0
	s_branch .LBB86_1142
.LBB86_1137:
	v_mov_b32_e32 v50, 0
	v_mov_b32_e32 v0, 0
	s_branch .LBB86_1141
.LBB86_1138:
	v_mov_b32_e32 v50, 0
	v_mov_b32_e32 v0, 0
	;; [unrolled: 1-line block ×3, first 2 shown]
	s_and_b32 s8, s29, 3
	s_cmp_eq_u32 s8, 0
	s_cbranch_scc1 .LBB86_1141
.LBB86_1139:
	s_lshl_b32 s4, s28, 3
	s_add_u32 s4, s46, s4
	s_addc_u32 s5, s47, 0
	s_add_u32 s4, s4, 0xc4
	s_addc_u32 s5, s5, 0
	s_mul_i32 s6, s28, 12
	s_add_u32 s6, s46, s6
	s_addc_u32 s7, s47, 0
.LBB86_1140:                            ; =>This Inner Loop Header: Depth=1
	s_load_dwordx2 s[10:11], s[6:7], 0x4
	s_load_dword s9, s[6:7], 0xc
	s_load_dwordx2 s[12:13], s[4:5], 0x0
	s_add_u32 s6, s6, 12
	s_addc_u32 s7, s7, 0
	s_waitcnt vmcnt(0) lgkmcnt(0)
	v_mul_hi_u32 v3, s11, v1
	s_add_u32 s4, s4, 8
	s_addc_u32 s5, s5, 0
	s_add_i32 s8, s8, -1
	v_add_u32_e32 v3, v1, v3
	v_lshrrev_b32_e32 v3, s9, v3
	v_mul_lo_u32 v5, v3, s10
	s_cmp_lg_u32 s8, 0
	v_sub_u32_e32 v1, v1, v5
	v_mad_u64_u32 v[50:51], s[10:11], v1, s12, v[50:51]
	v_mad_u64_u32 v[0:1], s[10:11], v1, s13, v[0:1]
	v_mov_b32_e32 v1, v3
	s_cbranch_scc1 .LBB86_1140
.LBB86_1141:
	s_cbranch_execnz .LBB86_1144
.LBB86_1142:
	s_load_dwordx4 s[4:7], s[46:47], 0x4
	s_load_dwordx2 s[8:9], s[46:47], 0xc4
	s_cmp_lt_u32 s39, 2
	s_waitcnt lgkmcnt(0)
	v_mul_hi_u32 v0, s5, v8
	v_add_u32_e32 v0, v8, v0
	v_lshrrev_b32_e32 v1, s6, v0
	v_mul_lo_u32 v0, v1, s4
	v_sub_u32_e32 v0, v8, v0
	v_mul_lo_u32 v50, v0, s8
	v_mul_lo_u32 v0, v0, s9
	s_cbranch_scc1 .LBB86_1144
; %bb.1143:
	s_load_dwordx4 s[4:7], s[46:47], 0x10
	s_load_dwordx2 s[8:9], s[46:47], 0xcc
	s_waitcnt vmcnt(0) lgkmcnt(0)
	v_mul_hi_u32 v3, s5, v1
	v_add_u32_e32 v3, v1, v3
	v_lshrrev_b32_e32 v3, s6, v3
	v_mul_lo_u32 v3, v3, s4
	v_sub_u32_e32 v1, v1, v3
	v_mad_u64_u32 v[50:51], s[4:5], v1, s8, v[50:51]
	v_mad_u64_u32 v[0:1], s[4:5], v1, s9, v[0:1]
.LBB86_1144:
	s_load_dwordx4 s[20:23], s[46:47], 0x148
	s_load_dword s14, s[40:41], 0x168
	s_waitcnt lgkmcnt(0)
	v_mov_b32_e32 v1, s23
	s_bfe_u32 s15, s14, 0x80008
	s_waitcnt vmcnt(0)
	v_add_co_u32_e32 v7, vcc, s22, v2
	s_cmp_lt_i32 s15, 11
	v_addc_co_u32_e32 v8, vcc, 0, v1, vcc
	s_cbranch_scc1 .LBB86_1151
; %bb.1145:
	s_and_b32 s16, 0xffff, s15
	s_cmp_gt_i32 s16, 25
	s_mov_b64 s[6:7], 0
	s_cbranch_scc0 .LBB86_1153
; %bb.1146:
	s_cmp_gt_i32 s16, 28
	s_cbranch_scc0 .LBB86_1154
; %bb.1147:
	s_cmp_gt_i32 s16, 43
	;; [unrolled: 3-line block ×3, first 2 shown]
	s_cbranch_scc0 .LBB86_1156
; %bb.1149:
	s_cmp_eq_u32 s16, 46
	s_mov_b64 s[10:11], 0
	s_cbranch_scc0 .LBB86_1159
; %bb.1150:
	global_load_dword v1, v[7:8], off
	s_mov_b64 s[4:5], 0
	s_mov_b64 s[8:9], -1
	s_waitcnt vmcnt(0)
	v_lshlrev_b32_e32 v1, 16, v1
	v_cvt_f64_f32_e32 v[2:3], v1
	s_branch .LBB86_1160
.LBB86_1151:
	s_mov_b64 s[8:9], 0
                                        ; implicit-def: $vgpr2_vgpr3
	s_mov_b64 s[18:19], s[98:99]
	s_cbranch_execnz .LBB86_1223
.LBB86_1152:
	s_andn2_b64 vcc, exec, s[8:9]
	s_cbranch_vccz .LBB86_1268
	s_branch .LBB86_2089
.LBB86_1153:
	s_mov_b64 s[8:9], 0
	s_mov_b64 s[4:5], 0
                                        ; implicit-def: $vgpr2_vgpr3
	s_cbranch_execnz .LBB86_1190
	s_branch .LBB86_1219
.LBB86_1154:
	s_mov_b64 s[10:11], -1
	s_mov_b64 s[8:9], 0
	s_mov_b64 s[4:5], 0
                                        ; implicit-def: $vgpr2_vgpr3
	s_branch .LBB86_1169
.LBB86_1155:
	s_mov_b64 s[8:9], 0
	s_mov_b64 s[4:5], 0
                                        ; implicit-def: $vgpr2_vgpr3
	s_cbranch_execnz .LBB86_1165
	s_branch .LBB86_1168
.LBB86_1156:
	s_mov_b64 s[10:11], -1
	s_mov_b64 s[8:9], 0
	s_mov_b64 s[4:5], 0
                                        ; implicit-def: $vgpr2_vgpr3
	s_branch .LBB86_1160
.LBB86_1157:
	s_andn2_saveexec_b64 s[10:11], s[10:11]
	s_cbranch_execz .LBB86_996
.LBB86_1158:
	s_mov_b32 s12, 0x46000000
	v_add_f32_e64 v3, |v2|, s12
	v_and_b32_e32 v3, 0xff, v3
	v_cmp_ne_u32_e32 vcc, 0, v3
	s_andn2_b64 s[8:9], s[8:9], exec
	s_and_b64 s[12:13], vcc, exec
	s_or_b64 s[8:9], s[8:9], s[12:13]
	s_or_b64 exec, exec, s[10:11]
	v_mov_b32_e32 v6, 0
	s_and_saveexec_b64 s[10:11], s[8:9]
	s_cbranch_execnz .LBB86_997
	s_branch .LBB86_998
.LBB86_1159:
	s_mov_b64 s[4:5], -1
                                        ; implicit-def: $vgpr2_vgpr3
	s_mov_b64 s[8:9], 0
.LBB86_1160:
	s_and_b64 vcc, exec, s[10:11]
	s_cbranch_vccz .LBB86_1163
; %bb.1161:
	s_cmp_eq_u32 s16, 44
	s_cbranch_scc0 .LBB86_1164
; %bb.1162:
	global_load_ubyte v3, v[7:8], off
	s_movk_i32 s8, 0xff
	v_bfrev_b32_e32 v5, 4
	v_mov_b32_e32 v9, 0x7ff80000
	v_bfrev_b32_e32 v10, 28
	s_mov_b64 s[4:5], 0
	s_waitcnt vmcnt(0)
	v_lshlrev_b32_e32 v1, 23, v3
	v_cvt_f64_f32_e32 v[1:2], v1
	v_cmp_ne_u32_e32 vcc, s8, v3
	s_mov_b64 s[8:9], -1
	v_cndmask_b32_e32 v1, v5, v1, vcc
	v_cndmask_b32_e32 v2, v9, v2, vcc
	v_cmp_ne_u32_e32 vcc, 0, v3
	v_cndmask_b32_e32 v3, v10, v2, vcc
	v_cndmask_b32_e32 v2, 0, v1, vcc
.LBB86_1163:
	s_branch .LBB86_1168
.LBB86_1164:
	s_mov_b64 s[4:5], -1
                                        ; implicit-def: $vgpr2_vgpr3
	s_branch .LBB86_1168
.LBB86_1165:
	s_cmp_eq_u32 s16, 29
	s_cbranch_scc0 .LBB86_1167
; %bb.1166:
	global_load_dwordx2 v[1:2], v[7:8], off
	s_mov_b64 s[4:5], 0
	s_mov_b64 s[8:9], -1
	s_mov_b64 s[10:11], 0
	s_waitcnt vmcnt(0)
	v_cvt_f64_u32_e32 v[2:3], v2
	v_cvt_f64_u32_e32 v[9:10], v1
	v_ldexp_f64 v[2:3], v[2:3], 32
	v_add_f64 v[2:3], v[2:3], v[9:10]
	s_branch .LBB86_1169
.LBB86_1167:
	s_mov_b64 s[4:5], -1
                                        ; implicit-def: $vgpr2_vgpr3
.LBB86_1168:
	s_mov_b64 s[10:11], 0
.LBB86_1169:
	s_and_b64 vcc, exec, s[10:11]
	s_cbranch_vccz .LBB86_1189
; %bb.1170:
	s_cmp_lt_i32 s16, 27
	s_cbranch_scc1 .LBB86_1173
; %bb.1171:
	s_cmp_gt_i32 s16, 27
	s_cbranch_scc0 .LBB86_1174
; %bb.1172:
	global_load_dword v1, v[7:8], off
	s_mov_b64 s[8:9], 0
	s_waitcnt vmcnt(0)
	v_cvt_f64_u32_e32 v[2:3], v1
	s_branch .LBB86_1175
.LBB86_1173:
	s_mov_b64 s[8:9], -1
                                        ; implicit-def: $vgpr2_vgpr3
	s_branch .LBB86_1178
.LBB86_1174:
	s_mov_b64 s[8:9], -1
                                        ; implicit-def: $vgpr2_vgpr3
.LBB86_1175:
	s_andn2_b64 vcc, exec, s[8:9]
	s_cbranch_vccnz .LBB86_1177
; %bb.1176:
	global_load_ushort v1, v[7:8], off
	s_waitcnt vmcnt(0)
	v_cvt_f64_u32_e32 v[2:3], v1
.LBB86_1177:
	s_mov_b64 s[8:9], 0
.LBB86_1178:
	s_andn2_b64 vcc, exec, s[8:9]
	s_cbranch_vccnz .LBB86_1188
; %bb.1179:
	global_load_ubyte v1, v[7:8], off
	s_movk_i32 s8, 0x7f
	s_waitcnt vmcnt(0)
	v_cmp_lt_i16_e32 vcc, s8, v1
	s_mov_b64 s[8:9], 0
	s_and_saveexec_b64 s[10:11], vcc
	s_xor_b64 s[10:11], exec, s[10:11]
	s_cbranch_execz .LBB86_1183
; %bb.1180:
	s_movk_i32 s8, 0x80
	v_cmp_eq_u16_e32 vcc, s8, v1
	s_mov_b64 s[8:9], -1
	s_and_saveexec_b64 s[12:13], vcc
; %bb.1181:
	s_xor_b64 s[8:9], exec, -1
; %bb.1182:
	s_or_b64 exec, exec, s[12:13]
	s_and_b64 s[8:9], s[8:9], exec
.LBB86_1183:
	s_or_saveexec_b64 s[10:11], s[10:11]
	v_bfrev_b32_e32 v2, 4
	v_mov_b32_e32 v3, 0x7ff80000
	s_xor_b64 exec, exec, s[10:11]
; %bb.1184:
	v_cmp_ne_u16_e32 vcc, 0, v1
	v_mov_b32_e32 v2, 0
	s_andn2_b64 s[8:9], s[8:9], exec
	s_and_b64 s[12:13], vcc, exec
	v_mov_b32_e32 v3, 0
	s_or_b64 s[8:9], s[8:9], s[12:13]
; %bb.1185:
	s_or_b64 exec, exec, s[10:11]
	s_and_saveexec_b64 s[10:11], s[8:9]
	s_cbranch_execz .LBB86_1187
; %bb.1186:
	v_lshlrev_b32_e32 v2, 24, v1
	v_and_b32_e32 v1, 0xffff, v1
	v_and_b32_e32 v3, 7, v1
	v_ffbh_u32_e32 v9, v3
	v_min_u32_e32 v9, 32, v9
	v_subrev_u32_e32 v10, 28, v9
	v_bfe_u32 v5, v1, 3, 4
	v_lshlrev_b32_e32 v1, v10, v1
	v_sub_u32_e32 v9, 29, v9
	v_and_b32_e32 v1, 7, v1
	v_cmp_eq_u32_e32 vcc, 0, v5
	v_cndmask_b32_e32 v5, v5, v9, vcc
	v_cndmask_b32_e32 v1, v3, v1, vcc
	v_mov_b32_e32 v3, 0x3b800000
	v_lshlrev_b32_e32 v1, 20, v1
	v_and_b32_e32 v2, 0x80000000, v2
	v_lshl_add_u32 v3, v5, 23, v3
	v_or3_b32 v1, v2, v3, v1
	v_cvt_f64_f32_e32 v[2:3], v1
.LBB86_1187:
	s_or_b64 exec, exec, s[10:11]
.LBB86_1188:
	s_mov_b64 s[8:9], -1
.LBB86_1189:
	s_branch .LBB86_1219
.LBB86_1190:
	s_cmp_gt_i32 s16, 22
	s_cbranch_scc0 .LBB86_1202
; %bb.1191:
	s_cmp_lt_i32 s16, 24
	s_cbranch_scc1 .LBB86_1203
; %bb.1192:
	s_cmp_gt_i32 s16, 24
	s_cbranch_scc0 .LBB86_1204
; %bb.1193:
	global_load_ubyte v1, v[7:8], off
	s_movk_i32 s6, 0x7f
	s_waitcnt vmcnt(0)
	v_cmp_lt_i16_e32 vcc, s6, v1
	s_mov_b64 s[6:7], 0
	s_and_saveexec_b64 s[8:9], vcc
	s_xor_b64 s[8:9], exec, s[8:9]
	s_cbranch_execz .LBB86_1197
; %bb.1194:
	s_movk_i32 s6, 0x80
	v_cmp_eq_u16_e32 vcc, s6, v1
	s_mov_b64 s[6:7], -1
	s_and_saveexec_b64 s[10:11], vcc
; %bb.1195:
	s_xor_b64 s[6:7], exec, -1
; %bb.1196:
	s_or_b64 exec, exec, s[10:11]
	s_and_b64 s[6:7], s[6:7], exec
.LBB86_1197:
	s_or_saveexec_b64 s[8:9], s[8:9]
	v_bfrev_b32_e32 v2, 4
	v_mov_b32_e32 v3, 0x7ff80000
	s_xor_b64 exec, exec, s[8:9]
; %bb.1198:
	v_cmp_ne_u16_e32 vcc, 0, v1
	v_mov_b32_e32 v2, 0
	s_andn2_b64 s[6:7], s[6:7], exec
	s_and_b64 s[10:11], vcc, exec
	v_mov_b32_e32 v3, 0
	s_or_b64 s[6:7], s[6:7], s[10:11]
; %bb.1199:
	s_or_b64 exec, exec, s[8:9]
	s_and_saveexec_b64 s[8:9], s[6:7]
	s_cbranch_execz .LBB86_1201
; %bb.1200:
	v_lshlrev_b32_e32 v2, 24, v1
	v_and_b32_e32 v1, 0xffff, v1
	v_and_b32_e32 v3, 3, v1
	v_ffbh_u32_e32 v9, v3
	v_min_u32_e32 v9, 32, v9
	v_subrev_u32_e32 v10, 29, v9
	v_bfe_u32 v5, v1, 2, 5
	v_lshlrev_b32_e32 v1, v10, v1
	v_sub_u32_e32 v9, 30, v9
	v_and_b32_e32 v1, 3, v1
	v_cmp_eq_u32_e32 vcc, 0, v5
	v_cndmask_b32_e32 v5, v5, v9, vcc
	v_cndmask_b32_e32 v1, v3, v1, vcc
	v_mov_b32_e32 v3, 0x37800000
	v_lshlrev_b32_e32 v1, 21, v1
	v_and_b32_e32 v2, 0x80000000, v2
	v_lshl_add_u32 v3, v5, 23, v3
	v_or3_b32 v1, v2, v3, v1
	v_cvt_f64_f32_e32 v[2:3], v1
.LBB86_1201:
	s_or_b64 exec, exec, s[8:9]
	s_mov_b64 s[6:7], 0
	s_branch .LBB86_1205
.LBB86_1202:
                                        ; implicit-def: $vgpr2_vgpr3
	s_mov_b64 s[6:7], 0
	s_branch .LBB86_1211
.LBB86_1203:
	s_mov_b64 s[6:7], -1
                                        ; implicit-def: $vgpr2_vgpr3
	s_branch .LBB86_1208
.LBB86_1204:
	s_mov_b64 s[6:7], -1
                                        ; implicit-def: $vgpr2_vgpr3
.LBB86_1205:
	s_and_b64 vcc, exec, s[6:7]
	s_cbranch_vccz .LBB86_1207
; %bb.1206:
	global_load_ubyte v1, v[7:8], off
	s_mov_b32 s6, 0x7f800000
	s_waitcnt vmcnt(0)
	v_lshlrev_b32_e32 v1, 24, v1
	v_and_b32_e32 v2, 0x7f000000, v1
	v_ffbh_u32_e32 v3, v2
	v_min_u32_e32 v3, 32, v3
	v_sub_u32_e64 v3, v3, 4 clamp
	v_lshlrev_b32_e32 v9, v3, v2
	v_lshlrev_b32_e32 v3, 23, v3
	v_lshrrev_b32_e32 v9, 4, v9
	v_add_u32_e32 v5, 0x1000000, v2
	v_sub_u32_e32 v3, v9, v3
	v_ashrrev_i32_e32 v5, 8, v5
	v_add_u32_e32 v3, 0x3c000000, v3
	v_and_or_b32 v3, v5, s6, v3
	v_cmp_ne_u32_e32 vcc, 0, v2
	v_cndmask_b32_e32 v2, 0, v3, vcc
	s_brev_b32 s6, 1
	v_and_or_b32 v1, v1, s6, v2
	v_cvt_f64_f32_e32 v[2:3], v1
.LBB86_1207:
	s_mov_b64 s[6:7], 0
.LBB86_1208:
	s_andn2_b64 vcc, exec, s[6:7]
	s_cbranch_vccnz .LBB86_1210
; %bb.1209:
	global_load_ubyte v1, v[7:8], off
	s_movk_i32 s6, 0x7f00
	s_brev_b32 s7, 16
	s_waitcnt vmcnt(0)
	v_lshlrev_b16_e32 v2, 8, v1
	v_lshlrev_b32_e32 v1, 25, v1
	v_lshrrev_b32_e32 v3, 4, v1
	v_and_or_b32 v5, v2, s6, 0.5
	v_or_b32_e32 v3, 0x70000000, v3
	v_add_f32_e32 v5, -0.5, v5
	v_mul_f32_e32 v3, 0x7800000, v3
	v_cmp_gt_u32_e32 vcc, s7, v1
	v_bfe_i32 v2, v2, 0, 16
	v_cndmask_b32_e32 v1, v3, v5, vcc
	s_brev_b32 s6, 1
	v_and_or_b32 v1, v2, s6, v1
	v_cvt_f64_f32_e32 v[2:3], v1
.LBB86_1210:
	s_mov_b64 s[8:9], -1
	s_mov_b64 s[6:7], 0
	s_cbranch_execnz .LBB86_1219
.LBB86_1211:
	s_cmp_gt_i32 s16, 14
	s_cbranch_scc0 .LBB86_1214
; %bb.1212:
	s_cmp_eq_u32 s16, 15
	s_cbranch_scc0 .LBB86_1215
; %bb.1213:
	global_load_ushort v1, v[7:8], off
	s_mov_b64 s[4:5], 0
	s_mov_b64 s[8:9], -1
	s_waitcnt vmcnt(0)
	v_lshlrev_b32_e32 v1, 16, v1
	v_cvt_f64_f32_e32 v[2:3], v1
	s_branch .LBB86_1216
.LBB86_1214:
	s_mov_b64 s[10:11], -1
                                        ; implicit-def: $vgpr2_vgpr3
	s_branch .LBB86_1217
.LBB86_1215:
	s_mov_b64 s[4:5], -1
                                        ; implicit-def: $vgpr2_vgpr3
.LBB86_1216:
	s_mov_b64 s[10:11], 0
.LBB86_1217:
	s_and_b64 vcc, exec, s[10:11]
	s_cbranch_vccz .LBB86_1219
; %bb.1218:
	s_cmp_lg_u32 s16, 11
	s_mov_b64 s[6:7], -1
	s_cselect_b64 s[4:5], -1, 0
.LBB86_1219:
	s_and_b64 vcc, exec, s[4:5]
	s_mov_b64 s[18:19], s[98:99]
	s_cbranch_vccnz .LBB86_1280
; %bb.1220:
	s_andn2_b64 vcc, exec, s[6:7]
	s_cbranch_vccnz .LBB86_1222
.LBB86_1221:
	global_load_ubyte v1, v[7:8], off
	v_mov_b32_e32 v3, 0x3ff00000
	v_mov_b32_e32 v2, 0
	s_mov_b64 s[8:9], -1
	s_waitcnt vmcnt(0)
	v_cmp_ne_u16_e32 vcc, 0, v1
	v_cndmask_b32_e32 v3, 0, v3, vcc
.LBB86_1222:
	s_branch .LBB86_1152
.LBB86_1223:
	s_and_b32 s6, 0xffff, s15
	s_cmp_lt_i32 s6, 5
	s_cbranch_scc1 .LBB86_1228
; %bb.1224:
	s_cmp_lt_i32 s6, 8
	s_cbranch_scc1 .LBB86_1229
; %bb.1225:
	;; [unrolled: 3-line block ×3, first 2 shown]
	s_cmp_gt_i32 s6, 9
	s_cbranch_scc0 .LBB86_1231
; %bb.1227:
	global_load_dwordx2 v[2:3], v[7:8], off
	s_mov_b64 s[4:5], 0
	s_branch .LBB86_1232
.LBB86_1228:
                                        ; implicit-def: $vgpr2_vgpr3
	s_branch .LBB86_1249
.LBB86_1229:
                                        ; implicit-def: $vgpr2_vgpr3
	s_branch .LBB86_1238
.LBB86_1230:
	s_mov_b64 s[4:5], -1
                                        ; implicit-def: $vgpr2_vgpr3
	s_branch .LBB86_1235
.LBB86_1231:
	s_mov_b64 s[4:5], -1
                                        ; implicit-def: $vgpr2_vgpr3
.LBB86_1232:
	s_andn2_b64 vcc, exec, s[4:5]
	s_cbranch_vccnz .LBB86_1234
; %bb.1233:
	global_load_dword v1, v[7:8], off
	s_waitcnt vmcnt(0)
	v_cvt_f64_f32_e32 v[2:3], v1
.LBB86_1234:
	s_mov_b64 s[4:5], 0
.LBB86_1235:
	s_andn2_b64 vcc, exec, s[4:5]
	s_cbranch_vccnz .LBB86_1237
; %bb.1236:
	global_load_dword v1, v[7:8], off
	s_waitcnt vmcnt(0)
	v_cvt_f32_f16_e32 v1, v1
	v_cvt_f64_f32_e32 v[2:3], v1
.LBB86_1237:
	s_cbranch_execnz .LBB86_1248
.LBB86_1238:
	s_cmp_lt_i32 s6, 6
	s_cbranch_scc1 .LBB86_1241
; %bb.1239:
	s_cmp_gt_i32 s6, 6
	s_cbranch_scc0 .LBB86_1242
; %bb.1240:
	global_load_dwordx2 v[2:3], v[7:8], off
	s_mov_b64 s[4:5], 0
	s_branch .LBB86_1243
.LBB86_1241:
	s_mov_b64 s[4:5], -1
                                        ; implicit-def: $vgpr2_vgpr3
	s_branch .LBB86_1246
.LBB86_1242:
	s_mov_b64 s[4:5], -1
                                        ; implicit-def: $vgpr2_vgpr3
.LBB86_1243:
	s_andn2_b64 vcc, exec, s[4:5]
	s_cbranch_vccnz .LBB86_1245
; %bb.1244:
	global_load_dword v1, v[7:8], off
	s_waitcnt vmcnt(0)
	v_cvt_f64_f32_e32 v[2:3], v1
.LBB86_1245:
	s_mov_b64 s[4:5], 0
.LBB86_1246:
	s_andn2_b64 vcc, exec, s[4:5]
	s_cbranch_vccnz .LBB86_1248
; %bb.1247:
	global_load_ushort v1, v[7:8], off
	s_waitcnt vmcnt(0)
	v_cvt_f32_f16_e32 v1, v1
	v_cvt_f64_f32_e32 v[2:3], v1
.LBB86_1248:
	s_cbranch_execnz .LBB86_1267
.LBB86_1249:
	s_cmp_lt_i32 s6, 2
	s_cbranch_scc1 .LBB86_1253
; %bb.1250:
	s_cmp_lt_i32 s6, 3
	s_cbranch_scc1 .LBB86_1254
; %bb.1251:
	s_cmp_gt_i32 s6, 3
	s_cbranch_scc0 .LBB86_1255
; %bb.1252:
	global_load_dwordx2 v[1:2], v[7:8], off
	s_mov_b64 s[4:5], 0
	s_waitcnt vmcnt(0)
	v_cvt_f64_i32_e32 v[2:3], v2
	v_cvt_f64_u32_e32 v[9:10], v1
	v_ldexp_f64 v[2:3], v[2:3], 32
	v_add_f64 v[2:3], v[2:3], v[9:10]
	s_branch .LBB86_1256
.LBB86_1253:
                                        ; implicit-def: $vgpr2_vgpr3
	s_branch .LBB86_1262
.LBB86_1254:
	s_mov_b64 s[4:5], -1
                                        ; implicit-def: $vgpr2_vgpr3
	s_branch .LBB86_1259
.LBB86_1255:
	s_mov_b64 s[4:5], -1
                                        ; implicit-def: $vgpr2_vgpr3
.LBB86_1256:
	s_andn2_b64 vcc, exec, s[4:5]
	s_cbranch_vccnz .LBB86_1258
; %bb.1257:
	global_load_dword v1, v[7:8], off
	s_waitcnt vmcnt(0)
	v_cvt_f64_i32_e32 v[2:3], v1
.LBB86_1258:
	s_mov_b64 s[4:5], 0
.LBB86_1259:
	s_andn2_b64 vcc, exec, s[4:5]
	s_cbranch_vccnz .LBB86_1261
; %bb.1260:
	global_load_sshort v1, v[7:8], off
	s_waitcnt vmcnt(0)
	v_cvt_f64_i32_e32 v[2:3], v1
.LBB86_1261:
	s_cbranch_execnz .LBB86_1267
.LBB86_1262:
	s_cmp_gt_i32 s6, 0
	s_cbranch_scc0 .LBB86_1264
; %bb.1263:
	global_load_sbyte v1, v[7:8], off
	s_mov_b64 s[4:5], 0
	s_waitcnt vmcnt(0)
	v_cvt_f64_i32_e32 v[2:3], v1
	s_branch .LBB86_1265
.LBB86_1264:
	s_mov_b64 s[4:5], -1
                                        ; implicit-def: $vgpr2_vgpr3
.LBB86_1265:
	s_andn2_b64 vcc, exec, s[4:5]
	s_cbranch_vccnz .LBB86_1267
; %bb.1266:
	global_load_ubyte v1, v[7:8], off
	s_waitcnt vmcnt(0)
	v_cvt_f64_u32_e32 v[2:3], v1
.LBB86_1267:
.LBB86_1268:
	s_lshr_b32 s4, s14, 8
	v_mov_b32_e32 v1, s23
	s_and_b32 s14, s4, 0xff
	v_add_co_u32_e32 v5, vcc, s22, v6
	s_cmp_lt_i32 s14, 11
	v_addc_co_u32_e32 v6, vcc, 0, v1, vcc
	s_cbranch_scc1 .LBB86_1275
; %bb.1269:
	s_and_b32 s15, 0xffff, s14
	s_cmp_gt_i32 s15, 25
	s_mov_b64 s[6:7], 0
	s_cbranch_scc0 .LBB86_1277
; %bb.1270:
	s_cmp_gt_i32 s15, 28
	s_cbranch_scc0 .LBB86_1278
; %bb.1271:
	s_cmp_gt_i32 s15, 43
	;; [unrolled: 3-line block ×3, first 2 shown]
	s_cbranch_scc0 .LBB86_1281
; %bb.1273:
	s_cmp_eq_u32 s15, 46
	s_mov_b64 s[10:11], 0
	s_cbranch_scc0 .LBB86_1284
; %bb.1274:
	global_load_dword v1, v[5:6], off
	s_mov_b64 s[4:5], 0
	s_mov_b64 s[8:9], -1
	s_waitcnt vmcnt(0)
	v_lshlrev_b32_e32 v1, 16, v1
	v_cvt_f64_f32_e32 v[45:46], v1
	s_branch .LBB86_1285
.LBB86_1275:
	s_mov_b64 s[8:9], 0
                                        ; implicit-def: $vgpr45_vgpr46
	s_cbranch_execnz .LBB86_1350
.LBB86_1276:
	s_andn2_b64 vcc, exec, s[8:9]
	s_cbranch_vccnz .LBB86_2089
	s_branch .LBB86_1397
.LBB86_1277:
	s_mov_b64 s[8:9], 0
	s_mov_b64 s[4:5], 0
                                        ; implicit-def: $vgpr45_vgpr46
	s_cbranch_execnz .LBB86_1316
	s_branch .LBB86_1346
.LBB86_1278:
	s_mov_b64 s[10:11], -1
	s_mov_b64 s[8:9], 0
	s_mov_b64 s[4:5], 0
                                        ; implicit-def: $vgpr45_vgpr46
	s_branch .LBB86_1295
.LBB86_1279:
	s_mov_b64 s[10:11], -1
	s_mov_b64 s[8:9], 0
	s_mov_b64 s[4:5], 0
                                        ; implicit-def: $vgpr45_vgpr46
	s_branch .LBB86_1290
.LBB86_1280:
	s_or_b64 s[18:19], s[98:99], exec
	s_trap 2
	s_cbranch_execz .LBB86_1221
	s_branch .LBB86_1222
.LBB86_1281:
	s_mov_b64 s[10:11], -1
	s_mov_b64 s[8:9], 0
	s_mov_b64 s[4:5], 0
                                        ; implicit-def: $vgpr45_vgpr46
	s_branch .LBB86_1285
.LBB86_1282:
	s_andn2_saveexec_b64 s[12:13], s[12:13]
	s_cbranch_execz .LBB86_1008
.LBB86_1283:
	s_mov_b32 s16, 0x42800000
	v_add_f32_e64 v3, |v2|, s16
	v_and_b32_e32 v3, 0xff, v3
	v_cmp_ne_u32_e32 vcc, 0, v3
	s_andn2_b64 s[10:11], s[10:11], exec
	s_and_b64 s[16:17], vcc, exec
	s_or_b64 s[10:11], s[10:11], s[16:17]
	s_or_b64 exec, exec, s[12:13]
	v_mov_b32_e32 v6, 0
	s_and_saveexec_b64 s[12:13], s[10:11]
	s_cbranch_execnz .LBB86_1009
	s_branch .LBB86_1010
.LBB86_1284:
	s_mov_b64 s[4:5], -1
                                        ; implicit-def: $vgpr45_vgpr46
	s_mov_b64 s[8:9], 0
.LBB86_1285:
	s_and_b64 vcc, exec, s[10:11]
	s_cbranch_vccz .LBB86_1289
; %bb.1286:
	s_cmp_eq_u32 s15, 44
	s_cbranch_scc0 .LBB86_1288
; %bb.1287:
	global_load_ubyte v1, v[5:6], off
	s_movk_i32 s8, 0xff
	v_bfrev_b32_e32 v9, 4
	v_mov_b32_e32 v10, 0x7ff80000
	v_bfrev_b32_e32 v11, 28
	s_mov_b64 s[4:5], 0
	s_waitcnt vmcnt(0)
	v_lshlrev_b32_e32 v7, 23, v1
	v_cvt_f64_f32_e32 v[7:8], v7
	v_cmp_ne_u32_e32 vcc, s8, v1
	s_mov_b64 s[8:9], -1
	v_cndmask_b32_e32 v7, v9, v7, vcc
	v_cndmask_b32_e32 v8, v10, v8, vcc
	v_cmp_ne_u32_e32 vcc, 0, v1
	v_cndmask_b32_e32 v46, v11, v8, vcc
	v_cndmask_b32_e32 v45, 0, v7, vcc
	s_branch .LBB86_1289
.LBB86_1288:
	s_mov_b64 s[4:5], -1
                                        ; implicit-def: $vgpr45_vgpr46
.LBB86_1289:
	s_mov_b64 s[10:11], 0
.LBB86_1290:
	s_and_b64 vcc, exec, s[10:11]
	s_cbranch_vccz .LBB86_1294
; %bb.1291:
	s_cmp_eq_u32 s15, 29
	s_cbranch_scc0 .LBB86_1293
; %bb.1292:
	global_load_dwordx2 v[7:8], v[5:6], off
	s_mov_b64 s[4:5], 0
	s_mov_b64 s[8:9], -1
	s_mov_b64 s[10:11], 0
	s_waitcnt vmcnt(0)
	v_cvt_f64_u32_e32 v[8:9], v8
	v_cvt_f64_u32_e32 v[10:11], v7
	v_ldexp_f64 v[8:9], v[8:9], 32
	v_add_f64 v[45:46], v[8:9], v[10:11]
	s_branch .LBB86_1295
.LBB86_1293:
	s_mov_b64 s[4:5], -1
                                        ; implicit-def: $vgpr45_vgpr46
.LBB86_1294:
	s_mov_b64 s[10:11], 0
.LBB86_1295:
	s_and_b64 vcc, exec, s[10:11]
	s_cbranch_vccz .LBB86_1315
; %bb.1296:
	s_cmp_lt_i32 s15, 27
	s_cbranch_scc1 .LBB86_1299
; %bb.1297:
	s_cmp_gt_i32 s15, 27
	s_cbranch_scc0 .LBB86_1300
; %bb.1298:
	global_load_dword v1, v[5:6], off
	s_mov_b64 s[8:9], 0
	s_waitcnt vmcnt(0)
	v_cvt_f64_u32_e32 v[45:46], v1
	s_branch .LBB86_1301
.LBB86_1299:
	s_mov_b64 s[8:9], -1
                                        ; implicit-def: $vgpr45_vgpr46
	s_branch .LBB86_1304
.LBB86_1300:
	s_mov_b64 s[8:9], -1
                                        ; implicit-def: $vgpr45_vgpr46
.LBB86_1301:
	s_andn2_b64 vcc, exec, s[8:9]
	s_cbranch_vccnz .LBB86_1303
; %bb.1302:
	global_load_ushort v1, v[5:6], off
	s_waitcnt vmcnt(0)
	v_cvt_f64_u32_e32 v[45:46], v1
.LBB86_1303:
	s_mov_b64 s[8:9], 0
.LBB86_1304:
	s_andn2_b64 vcc, exec, s[8:9]
	s_cbranch_vccnz .LBB86_1314
; %bb.1305:
	global_load_ubyte v1, v[5:6], off
	s_movk_i32 s8, 0x7f
	s_waitcnt vmcnt(0)
	v_cmp_lt_i16_e32 vcc, s8, v1
	s_mov_b64 s[8:9], 0
	s_and_saveexec_b64 s[10:11], vcc
	s_xor_b64 s[10:11], exec, s[10:11]
	s_cbranch_execz .LBB86_1309
; %bb.1306:
	s_movk_i32 s8, 0x80
	v_cmp_eq_u16_e32 vcc, s8, v1
	s_mov_b64 s[8:9], -1
	s_and_saveexec_b64 s[12:13], vcc
; %bb.1307:
	s_xor_b64 s[8:9], exec, -1
; %bb.1308:
	s_or_b64 exec, exec, s[12:13]
	s_and_b64 s[8:9], s[8:9], exec
.LBB86_1309:
	s_or_saveexec_b64 s[10:11], s[10:11]
	v_bfrev_b32_e32 v45, 4
	v_mov_b32_e32 v46, 0x7ff80000
	s_xor_b64 exec, exec, s[10:11]
; %bb.1310:
	v_cmp_ne_u16_e32 vcc, 0, v1
	v_mov_b32_e32 v45, 0
	s_andn2_b64 s[8:9], s[8:9], exec
	s_and_b64 s[12:13], vcc, exec
	v_mov_b32_e32 v46, 0
	s_or_b64 s[8:9], s[8:9], s[12:13]
; %bb.1311:
	s_or_b64 exec, exec, s[10:11]
	s_and_saveexec_b64 s[10:11], s[8:9]
	s_cbranch_execz .LBB86_1313
; %bb.1312:
	v_lshlrev_b32_e32 v7, 24, v1
	v_and_b32_e32 v1, 0xffff, v1
	v_and_b32_e32 v8, 7, v1
	v_ffbh_u32_e32 v10, v8
	v_min_u32_e32 v10, 32, v10
	v_subrev_u32_e32 v11, 28, v10
	v_bfe_u32 v9, v1, 3, 4
	v_lshlrev_b32_e32 v1, v11, v1
	v_sub_u32_e32 v10, 29, v10
	v_and_b32_e32 v1, 7, v1
	v_cmp_eq_u32_e32 vcc, 0, v9
	v_cndmask_b32_e32 v9, v9, v10, vcc
	v_cndmask_b32_e32 v1, v8, v1, vcc
	v_mov_b32_e32 v8, 0x3b800000
	v_lshlrev_b32_e32 v1, 20, v1
	v_and_b32_e32 v7, 0x80000000, v7
	v_lshl_add_u32 v8, v9, 23, v8
	v_or3_b32 v1, v7, v8, v1
	v_cvt_f64_f32_e32 v[45:46], v1
.LBB86_1313:
	s_or_b64 exec, exec, s[10:11]
.LBB86_1314:
	s_mov_b64 s[8:9], -1
.LBB86_1315:
	s_branch .LBB86_1346
.LBB86_1316:
	s_cmp_gt_i32 s15, 22
	s_cbranch_scc0 .LBB86_1328
; %bb.1317:
	s_cmp_lt_i32 s15, 24
	s_cbranch_scc1 .LBB86_1329
; %bb.1318:
	s_cmp_gt_i32 s15, 24
	s_cbranch_scc0 .LBB86_1330
; %bb.1319:
	global_load_ubyte v1, v[5:6], off
	s_movk_i32 s6, 0x7f
	s_waitcnt vmcnt(0)
	v_cmp_lt_i16_e32 vcc, s6, v1
	s_mov_b64 s[6:7], 0
	s_and_saveexec_b64 s[8:9], vcc
	s_xor_b64 s[8:9], exec, s[8:9]
	s_cbranch_execz .LBB86_1323
; %bb.1320:
	s_movk_i32 s6, 0x80
	v_cmp_eq_u16_e32 vcc, s6, v1
	s_mov_b64 s[6:7], -1
	s_and_saveexec_b64 s[10:11], vcc
; %bb.1321:
	s_xor_b64 s[6:7], exec, -1
; %bb.1322:
	s_or_b64 exec, exec, s[10:11]
	s_and_b64 s[6:7], s[6:7], exec
.LBB86_1323:
	s_or_saveexec_b64 s[8:9], s[8:9]
	v_bfrev_b32_e32 v45, 4
	v_mov_b32_e32 v46, 0x7ff80000
	s_xor_b64 exec, exec, s[8:9]
; %bb.1324:
	v_cmp_ne_u16_e32 vcc, 0, v1
	v_mov_b32_e32 v45, 0
	s_andn2_b64 s[6:7], s[6:7], exec
	s_and_b64 s[10:11], vcc, exec
	v_mov_b32_e32 v46, 0
	s_or_b64 s[6:7], s[6:7], s[10:11]
; %bb.1325:
	s_or_b64 exec, exec, s[8:9]
	s_and_saveexec_b64 s[8:9], s[6:7]
	s_cbranch_execz .LBB86_1327
; %bb.1326:
	v_lshlrev_b32_e32 v7, 24, v1
	v_and_b32_e32 v1, 0xffff, v1
	v_and_b32_e32 v8, 3, v1
	v_ffbh_u32_e32 v10, v8
	v_min_u32_e32 v10, 32, v10
	v_subrev_u32_e32 v11, 29, v10
	v_bfe_u32 v9, v1, 2, 5
	v_lshlrev_b32_e32 v1, v11, v1
	v_sub_u32_e32 v10, 30, v10
	v_and_b32_e32 v1, 3, v1
	v_cmp_eq_u32_e32 vcc, 0, v9
	v_cndmask_b32_e32 v9, v9, v10, vcc
	v_cndmask_b32_e32 v1, v8, v1, vcc
	v_mov_b32_e32 v8, 0x37800000
	v_lshlrev_b32_e32 v1, 21, v1
	v_and_b32_e32 v7, 0x80000000, v7
	v_lshl_add_u32 v8, v9, 23, v8
	v_or3_b32 v1, v7, v8, v1
	v_cvt_f64_f32_e32 v[45:46], v1
.LBB86_1327:
	s_or_b64 exec, exec, s[8:9]
	s_mov_b64 s[6:7], 0
	s_branch .LBB86_1331
.LBB86_1328:
	s_mov_b64 s[6:7], -1
                                        ; implicit-def: $vgpr45_vgpr46
	s_branch .LBB86_1337
.LBB86_1329:
	s_mov_b64 s[6:7], -1
                                        ; implicit-def: $vgpr45_vgpr46
	s_branch .LBB86_1334
.LBB86_1330:
	s_mov_b64 s[6:7], -1
                                        ; implicit-def: $vgpr45_vgpr46
.LBB86_1331:
	s_and_b64 vcc, exec, s[6:7]
	s_cbranch_vccz .LBB86_1333
; %bb.1332:
	global_load_ubyte v1, v[5:6], off
	s_mov_b32 s6, 0x7f800000
	s_waitcnt vmcnt(0)
	v_lshlrev_b32_e32 v1, 24, v1
	v_and_b32_e32 v7, 0x7f000000, v1
	v_ffbh_u32_e32 v8, v7
	v_min_u32_e32 v8, 32, v8
	v_sub_u32_e64 v8, v8, 4 clamp
	v_lshlrev_b32_e32 v10, v8, v7
	v_lshlrev_b32_e32 v8, 23, v8
	v_lshrrev_b32_e32 v10, 4, v10
	v_add_u32_e32 v9, 0x1000000, v7
	v_sub_u32_e32 v8, v10, v8
	v_ashrrev_i32_e32 v9, 8, v9
	v_add_u32_e32 v8, 0x3c000000, v8
	v_and_or_b32 v8, v9, s6, v8
	v_cmp_ne_u32_e32 vcc, 0, v7
	v_cndmask_b32_e32 v7, 0, v8, vcc
	s_brev_b32 s6, 1
	v_and_or_b32 v1, v1, s6, v7
	v_cvt_f64_f32_e32 v[45:46], v1
.LBB86_1333:
	s_mov_b64 s[6:7], 0
.LBB86_1334:
	s_andn2_b64 vcc, exec, s[6:7]
	s_cbranch_vccnz .LBB86_1336
; %bb.1335:
	global_load_ubyte v1, v[5:6], off
	s_movk_i32 s6, 0x7f00
	s_brev_b32 s7, 16
	s_waitcnt vmcnt(0)
	v_lshlrev_b16_e32 v7, 8, v1
	v_lshlrev_b32_e32 v1, 25, v1
	v_lshrrev_b32_e32 v8, 4, v1
	v_and_or_b32 v9, v7, s6, 0.5
	v_or_b32_e32 v8, 0x70000000, v8
	v_add_f32_e32 v9, -0.5, v9
	v_mul_f32_e32 v8, 0x7800000, v8
	v_cmp_gt_u32_e32 vcc, s7, v1
	v_bfe_i32 v7, v7, 0, 16
	v_cndmask_b32_e32 v1, v8, v9, vcc
	s_brev_b32 s6, 1
	v_and_or_b32 v1, v7, s6, v1
	v_cvt_f64_f32_e32 v[45:46], v1
.LBB86_1336:
	s_mov_b64 s[6:7], 0
	s_mov_b64 s[8:9], -1
.LBB86_1337:
	s_andn2_b64 vcc, exec, s[6:7]
	s_mov_b64 s[6:7], 0
	s_cbranch_vccnz .LBB86_1346
; %bb.1338:
	s_cmp_gt_i32 s15, 14
	s_cbranch_scc0 .LBB86_1341
; %bb.1339:
	s_cmp_eq_u32 s15, 15
	s_cbranch_scc0 .LBB86_1342
; %bb.1340:
	global_load_ushort v1, v[5:6], off
	s_mov_b64 s[4:5], 0
	s_mov_b64 s[8:9], -1
	s_waitcnt vmcnt(0)
	v_lshlrev_b32_e32 v1, 16, v1
	v_cvt_f64_f32_e32 v[45:46], v1
	s_branch .LBB86_1343
.LBB86_1341:
	s_mov_b64 s[10:11], -1
                                        ; implicit-def: $vgpr45_vgpr46
	s_branch .LBB86_1344
.LBB86_1342:
	s_mov_b64 s[4:5], -1
                                        ; implicit-def: $vgpr45_vgpr46
.LBB86_1343:
	s_mov_b64 s[10:11], 0
.LBB86_1344:
	s_and_b64 vcc, exec, s[10:11]
	s_cbranch_vccz .LBB86_1346
; %bb.1345:
	s_cmp_lg_u32 s15, 11
	s_mov_b64 s[6:7], -1
	s_cselect_b64 s[4:5], -1, 0
.LBB86_1346:
	s_and_b64 vcc, exec, s[4:5]
	s_cbranch_vccnz .LBB86_1409
; %bb.1347:
	s_andn2_b64 vcc, exec, s[6:7]
	s_cbranch_vccnz .LBB86_1349
.LBB86_1348:
	global_load_ubyte v1, v[5:6], off
	v_mov_b32_e32 v7, 0x3ff00000
	v_mov_b32_e32 v45, 0
	s_mov_b64 s[8:9], -1
	s_waitcnt vmcnt(0)
	v_cmp_ne_u16_e32 vcc, 0, v1
	v_cndmask_b32_e32 v46, 0, v7, vcc
.LBB86_1349:
	s_branch .LBB86_1276
.LBB86_1350:
	s_and_b32 s6, 0xffff, s14
	s_cmp_lt_i32 s6, 5
	s_cbranch_scc1 .LBB86_1355
; %bb.1351:
	s_cmp_lt_i32 s6, 8
	s_cbranch_scc1 .LBB86_1356
; %bb.1352:
	;; [unrolled: 3-line block ×3, first 2 shown]
	s_cmp_gt_i32 s6, 9
	s_cbranch_scc0 .LBB86_1358
; %bb.1354:
	global_load_dwordx2 v[45:46], v[5:6], off
	s_mov_b64 s[4:5], 0
	s_branch .LBB86_1359
.LBB86_1355:
                                        ; implicit-def: $vgpr45_vgpr46
	s_branch .LBB86_1377
.LBB86_1356:
	s_mov_b64 s[4:5], -1
                                        ; implicit-def: $vgpr45_vgpr46
	s_branch .LBB86_1365
.LBB86_1357:
	s_mov_b64 s[4:5], -1
                                        ; implicit-def: $vgpr45_vgpr46
	s_branch .LBB86_1362
.LBB86_1358:
	s_mov_b64 s[4:5], -1
                                        ; implicit-def: $vgpr45_vgpr46
.LBB86_1359:
	s_andn2_b64 vcc, exec, s[4:5]
	s_cbranch_vccnz .LBB86_1361
; %bb.1360:
	global_load_dword v1, v[5:6], off
	s_waitcnt vmcnt(0)
	v_cvt_f64_f32_e32 v[45:46], v1
.LBB86_1361:
	s_mov_b64 s[4:5], 0
.LBB86_1362:
	s_andn2_b64 vcc, exec, s[4:5]
	s_cbranch_vccnz .LBB86_1364
; %bb.1363:
	global_load_dword v1, v[5:6], off
	s_waitcnt vmcnt(0)
	v_cvt_f32_f16_e32 v1, v1
	v_cvt_f64_f32_e32 v[45:46], v1
.LBB86_1364:
	s_mov_b64 s[4:5], 0
.LBB86_1365:
	s_andn2_b64 vcc, exec, s[4:5]
	s_cbranch_vccnz .LBB86_1376
; %bb.1366:
	s_cmp_lt_i32 s6, 6
	s_cbranch_scc1 .LBB86_1369
; %bb.1367:
	s_cmp_gt_i32 s6, 6
	s_cbranch_scc0 .LBB86_1370
; %bb.1368:
	global_load_dwordx2 v[45:46], v[5:6], off
	s_mov_b64 s[4:5], 0
	s_branch .LBB86_1371
.LBB86_1369:
	s_mov_b64 s[4:5], -1
                                        ; implicit-def: $vgpr45_vgpr46
	s_branch .LBB86_1374
.LBB86_1370:
	s_mov_b64 s[4:5], -1
                                        ; implicit-def: $vgpr45_vgpr46
.LBB86_1371:
	s_andn2_b64 vcc, exec, s[4:5]
	s_cbranch_vccnz .LBB86_1373
; %bb.1372:
	global_load_dword v1, v[5:6], off
	s_waitcnt vmcnt(0)
	v_cvt_f64_f32_e32 v[45:46], v1
.LBB86_1373:
	s_mov_b64 s[4:5], 0
.LBB86_1374:
	s_andn2_b64 vcc, exec, s[4:5]
	s_cbranch_vccnz .LBB86_1376
; %bb.1375:
	global_load_ushort v1, v[5:6], off
	s_waitcnt vmcnt(0)
	v_cvt_f32_f16_e32 v1, v1
	v_cvt_f64_f32_e32 v[45:46], v1
.LBB86_1376:
	s_cbranch_execnz .LBB86_1396
.LBB86_1377:
	s_cmp_lt_i32 s6, 2
	s_cbranch_scc1 .LBB86_1381
; %bb.1378:
	s_cmp_lt_i32 s6, 3
	s_cbranch_scc1 .LBB86_1382
; %bb.1379:
	s_cmp_gt_i32 s6, 3
	s_cbranch_scc0 .LBB86_1383
; %bb.1380:
	global_load_dwordx2 v[7:8], v[5:6], off
	s_mov_b64 s[4:5], 0
	s_waitcnt vmcnt(0)
	v_cvt_f64_i32_e32 v[8:9], v8
	v_cvt_f64_u32_e32 v[10:11], v7
	v_ldexp_f64 v[8:9], v[8:9], 32
	v_add_f64 v[45:46], v[8:9], v[10:11]
	s_branch .LBB86_1384
.LBB86_1381:
	s_mov_b64 s[4:5], -1
                                        ; implicit-def: $vgpr45_vgpr46
	s_branch .LBB86_1390
.LBB86_1382:
	s_mov_b64 s[4:5], -1
                                        ; implicit-def: $vgpr45_vgpr46
	s_branch .LBB86_1387
.LBB86_1383:
	s_mov_b64 s[4:5], -1
                                        ; implicit-def: $vgpr45_vgpr46
.LBB86_1384:
	s_andn2_b64 vcc, exec, s[4:5]
	s_cbranch_vccnz .LBB86_1386
; %bb.1385:
	global_load_dword v1, v[5:6], off
	s_waitcnt vmcnt(0)
	v_cvt_f64_i32_e32 v[45:46], v1
.LBB86_1386:
	s_mov_b64 s[4:5], 0
.LBB86_1387:
	s_andn2_b64 vcc, exec, s[4:5]
	s_cbranch_vccnz .LBB86_1389
; %bb.1388:
	global_load_sshort v1, v[5:6], off
	s_waitcnt vmcnt(0)
	v_cvt_f64_i32_e32 v[45:46], v1
.LBB86_1389:
	s_mov_b64 s[4:5], 0
.LBB86_1390:
	s_andn2_b64 vcc, exec, s[4:5]
	s_cbranch_vccnz .LBB86_1396
; %bb.1391:
	s_cmp_gt_i32 s6, 0
	s_cbranch_scc0 .LBB86_1393
; %bb.1392:
	global_load_sbyte v1, v[5:6], off
	s_mov_b64 s[4:5], 0
	s_waitcnt vmcnt(0)
	v_cvt_f64_i32_e32 v[45:46], v1
	s_branch .LBB86_1394
.LBB86_1393:
	s_mov_b64 s[4:5], -1
                                        ; implicit-def: $vgpr45_vgpr46
.LBB86_1394:
	s_andn2_b64 vcc, exec, s[4:5]
	s_cbranch_vccnz .LBB86_1396
; %bb.1395:
	global_load_ubyte v1, v[5:6], off
	s_waitcnt vmcnt(0)
	v_cvt_f64_u32_e32 v[45:46], v1
.LBB86_1396:
.LBB86_1397:
	v_mov_b32_e32 v1, s23
	v_add_co_u32_e32 v4, vcc, s22, v4
	s_cmp_lt_i32 s14, 11
	v_addc_co_u32_e32 v5, vcc, 0, v1, vcc
	s_cbranch_scc1 .LBB86_1404
; %bb.1398:
	s_and_b32 s15, 0xffff, s14
	s_cmp_gt_i32 s15, 25
	s_mov_b64 s[6:7], 0
	s_cbranch_scc0 .LBB86_1406
; %bb.1399:
	s_cmp_gt_i32 s15, 28
	s_cbranch_scc0 .LBB86_1407
; %bb.1400:
	s_cmp_gt_i32 s15, 43
	;; [unrolled: 3-line block ×3, first 2 shown]
	s_cbranch_scc0 .LBB86_1410
; %bb.1402:
	s_cmp_eq_u32 s15, 46
	s_mov_b64 s[10:11], 0
	s_cbranch_scc0 .LBB86_1411
; %bb.1403:
	global_load_dword v1, v[4:5], off
	s_mov_b64 s[4:5], 0
	s_mov_b64 s[8:9], -1
	s_waitcnt vmcnt(0)
	v_lshlrev_b32_e32 v1, 16, v1
	v_cvt_f64_f32_e32 v[43:44], v1
	s_branch .LBB86_1412
.LBB86_1404:
	s_mov_b64 s[8:9], 0
                                        ; implicit-def: $vgpr43_vgpr44
	s_cbranch_execnz .LBB86_1478
.LBB86_1405:
	s_andn2_b64 vcc, exec, s[8:9]
	s_cbranch_vccnz .LBB86_2089
	s_branch .LBB86_1526
.LBB86_1406:
	s_mov_b64 s[10:11], -1
	s_mov_b64 s[8:9], 0
	s_mov_b64 s[4:5], 0
                                        ; implicit-def: $vgpr43_vgpr44
	s_branch .LBB86_1443
.LBB86_1407:
	s_mov_b64 s[10:11], -1
	s_mov_b64 s[8:9], 0
	s_mov_b64 s[4:5], 0
                                        ; implicit-def: $vgpr43_vgpr44
	s_branch .LBB86_1422
.LBB86_1408:
	s_mov_b64 s[10:11], -1
	s_mov_b64 s[8:9], 0
	s_mov_b64 s[4:5], 0
                                        ; implicit-def: $vgpr43_vgpr44
	s_branch .LBB86_1417
.LBB86_1409:
	s_trap 2
	s_or_b64 s[18:19], s[18:19], exec
	s_cbranch_execz .LBB86_1348
	s_branch .LBB86_1349
.LBB86_1410:
	s_mov_b64 s[10:11], -1
	s_mov_b64 s[8:9], 0
	s_mov_b64 s[4:5], 0
                                        ; implicit-def: $vgpr43_vgpr44
	s_branch .LBB86_1412
.LBB86_1411:
	s_mov_b64 s[4:5], -1
                                        ; implicit-def: $vgpr43_vgpr44
	s_mov_b64 s[8:9], 0
.LBB86_1412:
	s_and_b64 vcc, exec, s[10:11]
	s_cbranch_vccz .LBB86_1416
; %bb.1413:
	s_cmp_eq_u32 s15, 44
	s_cbranch_scc0 .LBB86_1415
; %bb.1414:
	global_load_ubyte v1, v[4:5], off
	s_movk_i32 s8, 0xff
	v_bfrev_b32_e32 v8, 4
	v_mov_b32_e32 v9, 0x7ff80000
	v_bfrev_b32_e32 v10, 28
	s_mov_b64 s[4:5], 0
	s_waitcnt vmcnt(0)
	v_lshlrev_b32_e32 v6, 23, v1
	v_cvt_f64_f32_e32 v[6:7], v6
	v_cmp_ne_u32_e32 vcc, s8, v1
	s_mov_b64 s[8:9], -1
	v_cndmask_b32_e32 v6, v8, v6, vcc
	v_cndmask_b32_e32 v7, v9, v7, vcc
	v_cmp_ne_u32_e32 vcc, 0, v1
	v_cndmask_b32_e32 v44, v10, v7, vcc
	v_cndmask_b32_e32 v43, 0, v6, vcc
	s_branch .LBB86_1416
.LBB86_1415:
	s_mov_b64 s[4:5], -1
                                        ; implicit-def: $vgpr43_vgpr44
.LBB86_1416:
	s_mov_b64 s[10:11], 0
.LBB86_1417:
	s_and_b64 vcc, exec, s[10:11]
	s_cbranch_vccz .LBB86_1421
; %bb.1418:
	s_cmp_eq_u32 s15, 29
	s_cbranch_scc0 .LBB86_1420
; %bb.1419:
	global_load_dwordx2 v[6:7], v[4:5], off
	s_mov_b64 s[4:5], 0
	s_mov_b64 s[8:9], -1
	s_mov_b64 s[10:11], 0
	s_waitcnt vmcnt(0)
	v_cvt_f64_u32_e32 v[7:8], v7
	v_cvt_f64_u32_e32 v[9:10], v6
	v_ldexp_f64 v[7:8], v[7:8], 32
	v_add_f64 v[43:44], v[7:8], v[9:10]
	s_branch .LBB86_1422
.LBB86_1420:
	s_mov_b64 s[4:5], -1
                                        ; implicit-def: $vgpr43_vgpr44
.LBB86_1421:
	s_mov_b64 s[10:11], 0
.LBB86_1422:
	s_and_b64 vcc, exec, s[10:11]
	s_cbranch_vccz .LBB86_1442
; %bb.1423:
	s_cmp_lt_i32 s15, 27
	s_cbranch_scc1 .LBB86_1426
; %bb.1424:
	s_cmp_gt_i32 s15, 27
	s_cbranch_scc0 .LBB86_1427
; %bb.1425:
	global_load_dword v1, v[4:5], off
	s_mov_b64 s[8:9], 0
	s_waitcnt vmcnt(0)
	v_cvt_f64_u32_e32 v[43:44], v1
	s_branch .LBB86_1428
.LBB86_1426:
	s_mov_b64 s[8:9], -1
                                        ; implicit-def: $vgpr43_vgpr44
	s_branch .LBB86_1431
.LBB86_1427:
	s_mov_b64 s[8:9], -1
                                        ; implicit-def: $vgpr43_vgpr44
.LBB86_1428:
	s_andn2_b64 vcc, exec, s[8:9]
	s_cbranch_vccnz .LBB86_1430
; %bb.1429:
	global_load_ushort v1, v[4:5], off
	s_waitcnt vmcnt(0)
	v_cvt_f64_u32_e32 v[43:44], v1
.LBB86_1430:
	s_mov_b64 s[8:9], 0
.LBB86_1431:
	s_andn2_b64 vcc, exec, s[8:9]
	s_cbranch_vccnz .LBB86_1441
; %bb.1432:
	global_load_ubyte v1, v[4:5], off
	s_movk_i32 s8, 0x7f
	s_waitcnt vmcnt(0)
	v_cmp_lt_i16_e32 vcc, s8, v1
	s_mov_b64 s[8:9], 0
	s_and_saveexec_b64 s[10:11], vcc
	s_xor_b64 s[10:11], exec, s[10:11]
	s_cbranch_execz .LBB86_1436
; %bb.1433:
	s_movk_i32 s8, 0x80
	v_cmp_eq_u16_e32 vcc, s8, v1
	s_mov_b64 s[8:9], -1
	s_and_saveexec_b64 s[12:13], vcc
; %bb.1434:
	s_xor_b64 s[8:9], exec, -1
; %bb.1435:
	s_or_b64 exec, exec, s[12:13]
	s_and_b64 s[8:9], s[8:9], exec
.LBB86_1436:
	s_or_saveexec_b64 s[10:11], s[10:11]
	v_bfrev_b32_e32 v43, 4
	v_mov_b32_e32 v44, 0x7ff80000
	s_xor_b64 exec, exec, s[10:11]
; %bb.1437:
	v_cmp_ne_u16_e32 vcc, 0, v1
	v_mov_b32_e32 v43, 0
	s_andn2_b64 s[8:9], s[8:9], exec
	s_and_b64 s[12:13], vcc, exec
	v_mov_b32_e32 v44, 0
	s_or_b64 s[8:9], s[8:9], s[12:13]
; %bb.1438:
	s_or_b64 exec, exec, s[10:11]
	s_and_saveexec_b64 s[10:11], s[8:9]
	s_cbranch_execz .LBB86_1440
; %bb.1439:
	v_lshlrev_b32_e32 v6, 24, v1
	v_and_b32_e32 v1, 0xffff, v1
	v_and_b32_e32 v7, 7, v1
	v_ffbh_u32_e32 v9, v7
	v_min_u32_e32 v9, 32, v9
	v_subrev_u32_e32 v10, 28, v9
	v_bfe_u32 v8, v1, 3, 4
	v_lshlrev_b32_e32 v1, v10, v1
	v_sub_u32_e32 v9, 29, v9
	v_and_b32_e32 v1, 7, v1
	v_cmp_eq_u32_e32 vcc, 0, v8
	v_cndmask_b32_e32 v8, v8, v9, vcc
	v_cndmask_b32_e32 v1, v7, v1, vcc
	v_mov_b32_e32 v7, 0x3b800000
	v_lshlrev_b32_e32 v1, 20, v1
	v_and_b32_e32 v6, 0x80000000, v6
	v_lshl_add_u32 v7, v8, 23, v7
	v_or3_b32 v1, v6, v7, v1
	v_cvt_f64_f32_e32 v[43:44], v1
.LBB86_1440:
	s_or_b64 exec, exec, s[10:11]
.LBB86_1441:
	s_mov_b64 s[8:9], -1
.LBB86_1442:
	s_mov_b64 s[10:11], 0
.LBB86_1443:
	s_and_b64 vcc, exec, s[10:11]
	s_cbranch_vccz .LBB86_1474
; %bb.1444:
	s_cmp_gt_i32 s15, 22
	s_cbranch_scc0 .LBB86_1456
; %bb.1445:
	s_cmp_lt_i32 s15, 24
	s_cbranch_scc1 .LBB86_1457
; %bb.1446:
	s_cmp_gt_i32 s15, 24
	s_cbranch_scc0 .LBB86_1458
; %bb.1447:
	global_load_ubyte v1, v[4:5], off
	s_movk_i32 s6, 0x7f
	s_waitcnt vmcnt(0)
	v_cmp_lt_i16_e32 vcc, s6, v1
	s_mov_b64 s[6:7], 0
	s_and_saveexec_b64 s[8:9], vcc
	s_xor_b64 s[8:9], exec, s[8:9]
	s_cbranch_execz .LBB86_1451
; %bb.1448:
	s_movk_i32 s6, 0x80
	v_cmp_eq_u16_e32 vcc, s6, v1
	s_mov_b64 s[6:7], -1
	s_and_saveexec_b64 s[10:11], vcc
; %bb.1449:
	s_xor_b64 s[6:7], exec, -1
; %bb.1450:
	s_or_b64 exec, exec, s[10:11]
	s_and_b64 s[6:7], s[6:7], exec
.LBB86_1451:
	s_or_saveexec_b64 s[8:9], s[8:9]
	v_bfrev_b32_e32 v43, 4
	v_mov_b32_e32 v44, 0x7ff80000
	s_xor_b64 exec, exec, s[8:9]
; %bb.1452:
	v_cmp_ne_u16_e32 vcc, 0, v1
	v_mov_b32_e32 v43, 0
	s_andn2_b64 s[6:7], s[6:7], exec
	s_and_b64 s[10:11], vcc, exec
	v_mov_b32_e32 v44, 0
	s_or_b64 s[6:7], s[6:7], s[10:11]
; %bb.1453:
	s_or_b64 exec, exec, s[8:9]
	s_and_saveexec_b64 s[8:9], s[6:7]
	s_cbranch_execz .LBB86_1455
; %bb.1454:
	v_lshlrev_b32_e32 v6, 24, v1
	v_and_b32_e32 v1, 0xffff, v1
	v_and_b32_e32 v7, 3, v1
	v_ffbh_u32_e32 v9, v7
	v_min_u32_e32 v9, 32, v9
	v_subrev_u32_e32 v10, 29, v9
	v_bfe_u32 v8, v1, 2, 5
	v_lshlrev_b32_e32 v1, v10, v1
	v_sub_u32_e32 v9, 30, v9
	v_and_b32_e32 v1, 3, v1
	v_cmp_eq_u32_e32 vcc, 0, v8
	v_cndmask_b32_e32 v8, v8, v9, vcc
	v_cndmask_b32_e32 v1, v7, v1, vcc
	v_mov_b32_e32 v7, 0x37800000
	v_lshlrev_b32_e32 v1, 21, v1
	v_and_b32_e32 v6, 0x80000000, v6
	v_lshl_add_u32 v7, v8, 23, v7
	v_or3_b32 v1, v6, v7, v1
	v_cvt_f64_f32_e32 v[43:44], v1
.LBB86_1455:
	s_or_b64 exec, exec, s[8:9]
	s_mov_b64 s[6:7], 0
	s_branch .LBB86_1459
.LBB86_1456:
	s_mov_b64 s[6:7], -1
                                        ; implicit-def: $vgpr43_vgpr44
	s_branch .LBB86_1465
.LBB86_1457:
	s_mov_b64 s[6:7], -1
                                        ; implicit-def: $vgpr43_vgpr44
	s_branch .LBB86_1462
.LBB86_1458:
	s_mov_b64 s[6:7], -1
                                        ; implicit-def: $vgpr43_vgpr44
.LBB86_1459:
	s_and_b64 vcc, exec, s[6:7]
	s_cbranch_vccz .LBB86_1461
; %bb.1460:
	global_load_ubyte v1, v[4:5], off
	s_mov_b32 s6, 0x7f800000
	s_waitcnt vmcnt(0)
	v_lshlrev_b32_e32 v1, 24, v1
	v_and_b32_e32 v6, 0x7f000000, v1
	v_ffbh_u32_e32 v7, v6
	v_min_u32_e32 v7, 32, v7
	v_sub_u32_e64 v7, v7, 4 clamp
	v_lshlrev_b32_e32 v9, v7, v6
	v_lshlrev_b32_e32 v7, 23, v7
	v_lshrrev_b32_e32 v9, 4, v9
	v_add_u32_e32 v8, 0x1000000, v6
	v_sub_u32_e32 v7, v9, v7
	v_ashrrev_i32_e32 v8, 8, v8
	v_add_u32_e32 v7, 0x3c000000, v7
	v_and_or_b32 v7, v8, s6, v7
	v_cmp_ne_u32_e32 vcc, 0, v6
	v_cndmask_b32_e32 v6, 0, v7, vcc
	s_brev_b32 s6, 1
	v_and_or_b32 v1, v1, s6, v6
	v_cvt_f64_f32_e32 v[43:44], v1
.LBB86_1461:
	s_mov_b64 s[6:7], 0
.LBB86_1462:
	s_andn2_b64 vcc, exec, s[6:7]
	s_cbranch_vccnz .LBB86_1464
; %bb.1463:
	global_load_ubyte v1, v[4:5], off
	s_movk_i32 s6, 0x7f00
	s_brev_b32 s7, 16
	s_waitcnt vmcnt(0)
	v_lshlrev_b16_e32 v6, 8, v1
	v_lshlrev_b32_e32 v1, 25, v1
	v_lshrrev_b32_e32 v7, 4, v1
	v_and_or_b32 v8, v6, s6, 0.5
	v_or_b32_e32 v7, 0x70000000, v7
	v_add_f32_e32 v8, -0.5, v8
	v_mul_f32_e32 v7, 0x7800000, v7
	v_cmp_gt_u32_e32 vcc, s7, v1
	v_bfe_i32 v6, v6, 0, 16
	v_cndmask_b32_e32 v1, v7, v8, vcc
	s_brev_b32 s6, 1
	v_and_or_b32 v1, v6, s6, v1
	v_cvt_f64_f32_e32 v[43:44], v1
.LBB86_1464:
	s_mov_b64 s[6:7], 0
	s_mov_b64 s[8:9], -1
.LBB86_1465:
	s_andn2_b64 vcc, exec, s[6:7]
	s_mov_b64 s[6:7], 0
	s_cbranch_vccnz .LBB86_1474
; %bb.1466:
	s_cmp_gt_i32 s15, 14
	s_cbranch_scc0 .LBB86_1469
; %bb.1467:
	s_cmp_eq_u32 s15, 15
	s_cbranch_scc0 .LBB86_1470
; %bb.1468:
	global_load_ushort v1, v[4:5], off
	s_mov_b64 s[4:5], 0
	s_mov_b64 s[8:9], -1
	s_waitcnt vmcnt(0)
	v_lshlrev_b32_e32 v1, 16, v1
	v_cvt_f64_f32_e32 v[43:44], v1
	s_branch .LBB86_1471
.LBB86_1469:
	s_mov_b64 s[10:11], -1
                                        ; implicit-def: $vgpr43_vgpr44
	s_branch .LBB86_1472
.LBB86_1470:
	s_mov_b64 s[4:5], -1
                                        ; implicit-def: $vgpr43_vgpr44
.LBB86_1471:
	s_mov_b64 s[10:11], 0
.LBB86_1472:
	s_and_b64 vcc, exec, s[10:11]
	s_cbranch_vccz .LBB86_1474
; %bb.1473:
	s_cmp_lg_u32 s15, 11
	s_mov_b64 s[6:7], -1
	s_cselect_b64 s[4:5], -1, 0
.LBB86_1474:
	s_and_b64 vcc, exec, s[4:5]
	s_cbranch_vccnz .LBB86_1537
; %bb.1475:
	s_andn2_b64 vcc, exec, s[6:7]
	s_cbranch_vccnz .LBB86_1477
.LBB86_1476:
	global_load_ubyte v1, v[4:5], off
	v_mov_b32_e32 v6, 0x3ff00000
	v_mov_b32_e32 v43, 0
	s_mov_b64 s[8:9], -1
	s_waitcnt vmcnt(0)
	v_cmp_ne_u16_e32 vcc, 0, v1
	v_cndmask_b32_e32 v44, 0, v6, vcc
.LBB86_1477:
	s_branch .LBB86_1405
.LBB86_1478:
	s_and_b32 s6, 0xffff, s14
	s_cmp_lt_i32 s6, 5
	s_cbranch_scc1 .LBB86_1483
; %bb.1479:
	s_cmp_lt_i32 s6, 8
	s_cbranch_scc1 .LBB86_1484
; %bb.1480:
	;; [unrolled: 3-line block ×3, first 2 shown]
	s_cmp_gt_i32 s6, 9
	s_cbranch_scc0 .LBB86_1486
; %bb.1482:
	global_load_dwordx2 v[43:44], v[4:5], off
	s_mov_b64 s[4:5], 0
	s_branch .LBB86_1487
.LBB86_1483:
	s_mov_b64 s[4:5], -1
                                        ; implicit-def: $vgpr43_vgpr44
	s_branch .LBB86_1505
.LBB86_1484:
	s_mov_b64 s[4:5], -1
                                        ; implicit-def: $vgpr43_vgpr44
	s_branch .LBB86_1493
.LBB86_1485:
	s_mov_b64 s[4:5], -1
                                        ; implicit-def: $vgpr43_vgpr44
	s_branch .LBB86_1490
.LBB86_1486:
	s_mov_b64 s[4:5], -1
                                        ; implicit-def: $vgpr43_vgpr44
.LBB86_1487:
	s_andn2_b64 vcc, exec, s[4:5]
	s_cbranch_vccnz .LBB86_1489
; %bb.1488:
	global_load_dword v1, v[4:5], off
	s_waitcnt vmcnt(0)
	v_cvt_f64_f32_e32 v[43:44], v1
.LBB86_1489:
	s_mov_b64 s[4:5], 0
.LBB86_1490:
	s_andn2_b64 vcc, exec, s[4:5]
	s_cbranch_vccnz .LBB86_1492
; %bb.1491:
	global_load_dword v1, v[4:5], off
	s_waitcnt vmcnt(0)
	v_cvt_f32_f16_e32 v1, v1
	v_cvt_f64_f32_e32 v[43:44], v1
.LBB86_1492:
	s_mov_b64 s[4:5], 0
.LBB86_1493:
	s_andn2_b64 vcc, exec, s[4:5]
	s_cbranch_vccnz .LBB86_1504
; %bb.1494:
	s_cmp_lt_i32 s6, 6
	s_cbranch_scc1 .LBB86_1497
; %bb.1495:
	s_cmp_gt_i32 s6, 6
	s_cbranch_scc0 .LBB86_1498
; %bb.1496:
	global_load_dwordx2 v[43:44], v[4:5], off
	s_mov_b64 s[4:5], 0
	s_branch .LBB86_1499
.LBB86_1497:
	s_mov_b64 s[4:5], -1
                                        ; implicit-def: $vgpr43_vgpr44
	s_branch .LBB86_1502
.LBB86_1498:
	s_mov_b64 s[4:5], -1
                                        ; implicit-def: $vgpr43_vgpr44
.LBB86_1499:
	s_andn2_b64 vcc, exec, s[4:5]
	s_cbranch_vccnz .LBB86_1501
; %bb.1500:
	global_load_dword v1, v[4:5], off
	s_waitcnt vmcnt(0)
	v_cvt_f64_f32_e32 v[43:44], v1
.LBB86_1501:
	s_mov_b64 s[4:5], 0
.LBB86_1502:
	s_andn2_b64 vcc, exec, s[4:5]
	s_cbranch_vccnz .LBB86_1504
; %bb.1503:
	global_load_ushort v1, v[4:5], off
	s_waitcnt vmcnt(0)
	v_cvt_f32_f16_e32 v1, v1
	v_cvt_f64_f32_e32 v[43:44], v1
.LBB86_1504:
	s_mov_b64 s[4:5], 0
.LBB86_1505:
	s_andn2_b64 vcc, exec, s[4:5]
	s_cbranch_vccnz .LBB86_1525
; %bb.1506:
	s_cmp_lt_i32 s6, 2
	s_cbranch_scc1 .LBB86_1510
; %bb.1507:
	s_cmp_lt_i32 s6, 3
	s_cbranch_scc1 .LBB86_1511
; %bb.1508:
	s_cmp_gt_i32 s6, 3
	s_cbranch_scc0 .LBB86_1512
; %bb.1509:
	global_load_dwordx2 v[6:7], v[4:5], off
	s_mov_b64 s[4:5], 0
	s_waitcnt vmcnt(0)
	v_cvt_f64_i32_e32 v[7:8], v7
	v_cvt_f64_u32_e32 v[9:10], v6
	v_ldexp_f64 v[7:8], v[7:8], 32
	v_add_f64 v[43:44], v[7:8], v[9:10]
	s_branch .LBB86_1513
.LBB86_1510:
	s_mov_b64 s[4:5], -1
                                        ; implicit-def: $vgpr43_vgpr44
	s_branch .LBB86_1519
.LBB86_1511:
	s_mov_b64 s[4:5], -1
                                        ; implicit-def: $vgpr43_vgpr44
	s_branch .LBB86_1516
.LBB86_1512:
	s_mov_b64 s[4:5], -1
                                        ; implicit-def: $vgpr43_vgpr44
.LBB86_1513:
	s_andn2_b64 vcc, exec, s[4:5]
	s_cbranch_vccnz .LBB86_1515
; %bb.1514:
	global_load_dword v1, v[4:5], off
	s_waitcnt vmcnt(0)
	v_cvt_f64_i32_e32 v[43:44], v1
.LBB86_1515:
	s_mov_b64 s[4:5], 0
.LBB86_1516:
	s_andn2_b64 vcc, exec, s[4:5]
	s_cbranch_vccnz .LBB86_1518
; %bb.1517:
	global_load_sshort v1, v[4:5], off
	s_waitcnt vmcnt(0)
	v_cvt_f64_i32_e32 v[43:44], v1
.LBB86_1518:
	s_mov_b64 s[4:5], 0
.LBB86_1519:
	s_andn2_b64 vcc, exec, s[4:5]
	s_cbranch_vccnz .LBB86_1525
; %bb.1520:
	s_cmp_gt_i32 s6, 0
	s_cbranch_scc0 .LBB86_1522
; %bb.1521:
	global_load_sbyte v1, v[4:5], off
	s_mov_b64 s[4:5], 0
	s_waitcnt vmcnt(0)
	v_cvt_f64_i32_e32 v[43:44], v1
	s_branch .LBB86_1523
.LBB86_1522:
	s_mov_b64 s[4:5], -1
                                        ; implicit-def: $vgpr43_vgpr44
.LBB86_1523:
	s_andn2_b64 vcc, exec, s[4:5]
	s_cbranch_vccnz .LBB86_1525
; %bb.1524:
	global_load_ubyte v1, v[4:5], off
	s_waitcnt vmcnt(0)
	v_cvt_f64_u32_e32 v[43:44], v1
.LBB86_1525:
.LBB86_1526:
	v_mov_b32_e32 v1, s23
	v_add_co_u32_e32 v0, vcc, s22, v0
	s_cmp_lt_i32 s14, 11
	v_addc_co_u32_e32 v1, vcc, 0, v1, vcc
	s_cbranch_scc1 .LBB86_1533
; %bb.1527:
	s_and_b32 s15, 0xffff, s14
	s_cmp_gt_i32 s15, 25
	s_mov_b64 s[6:7], 0
	s_cbranch_scc0 .LBB86_1534
; %bb.1528:
	s_cmp_gt_i32 s15, 28
	s_cbranch_scc0 .LBB86_1535
; %bb.1529:
	s_cmp_gt_i32 s15, 43
	;; [unrolled: 3-line block ×3, first 2 shown]
	s_cbranch_scc0 .LBB86_1538
; %bb.1531:
	s_cmp_eq_u32 s15, 46
	s_mov_b64 s[10:11], 0
	s_cbranch_scc0 .LBB86_1539
; %bb.1532:
	global_load_dword v4, v[0:1], off
	s_mov_b64 s[4:5], 0
	s_mov_b64 s[8:9], -1
	s_waitcnt vmcnt(0)
	v_lshlrev_b32_e32 v4, 16, v4
	v_cvt_f64_f32_e32 v[41:42], v4
	s_branch .LBB86_1540
.LBB86_1533:
	s_mov_b64 s[4:5], -1
	s_mov_b64 s[8:9], 0
                                        ; implicit-def: $vgpr41_vgpr42
	s_branch .LBB86_1606
.LBB86_1534:
	s_mov_b64 s[10:11], -1
	s_mov_b64 s[8:9], 0
	s_mov_b64 s[4:5], 0
                                        ; implicit-def: $vgpr41_vgpr42
	s_branch .LBB86_1571
.LBB86_1535:
	s_mov_b64 s[10:11], -1
	s_mov_b64 s[8:9], 0
	s_mov_b64 s[4:5], 0
                                        ; implicit-def: $vgpr41_vgpr42
	s_branch .LBB86_1550
.LBB86_1536:
	s_mov_b64 s[10:11], -1
	s_mov_b64 s[8:9], 0
	s_mov_b64 s[4:5], 0
                                        ; implicit-def: $vgpr41_vgpr42
	s_branch .LBB86_1545
.LBB86_1537:
	s_trap 2
	s_or_b64 s[18:19], s[18:19], exec
	s_cbranch_execz .LBB86_1476
	s_branch .LBB86_1477
.LBB86_1538:
	s_mov_b64 s[10:11], -1
	s_mov_b64 s[8:9], 0
	s_mov_b64 s[4:5], 0
                                        ; implicit-def: $vgpr41_vgpr42
	s_branch .LBB86_1540
.LBB86_1539:
	s_mov_b64 s[4:5], -1
                                        ; implicit-def: $vgpr41_vgpr42
	s_mov_b64 s[8:9], 0
.LBB86_1540:
	s_and_b64 vcc, exec, s[10:11]
	s_cbranch_vccz .LBB86_1544
; %bb.1541:
	s_cmp_eq_u32 s15, 44
	s_cbranch_scc0 .LBB86_1543
; %bb.1542:
	global_load_ubyte v6, v[0:1], off
	s_movk_i32 s8, 0xff
	v_bfrev_b32_e32 v7, 4
	v_mov_b32_e32 v8, 0x7ff80000
	v_bfrev_b32_e32 v9, 28
	s_mov_b64 s[4:5], 0
	s_waitcnt vmcnt(0)
	v_lshlrev_b32_e32 v4, 23, v6
	v_cvt_f64_f32_e32 v[4:5], v4
	v_cmp_ne_u32_e32 vcc, s8, v6
	s_mov_b64 s[8:9], -1
	v_cndmask_b32_e32 v4, v7, v4, vcc
	v_cndmask_b32_e32 v5, v8, v5, vcc
	v_cmp_ne_u32_e32 vcc, 0, v6
	v_cndmask_b32_e32 v42, v9, v5, vcc
	v_cndmask_b32_e32 v41, 0, v4, vcc
	s_branch .LBB86_1544
.LBB86_1543:
	s_mov_b64 s[4:5], -1
                                        ; implicit-def: $vgpr41_vgpr42
.LBB86_1544:
	s_mov_b64 s[10:11], 0
.LBB86_1545:
	s_and_b64 vcc, exec, s[10:11]
	s_cbranch_vccz .LBB86_1549
; %bb.1546:
	s_cmp_eq_u32 s15, 29
	s_cbranch_scc0 .LBB86_1548
; %bb.1547:
	global_load_dwordx2 v[4:5], v[0:1], off
	s_mov_b64 s[4:5], 0
	s_mov_b64 s[8:9], -1
	s_mov_b64 s[10:11], 0
	s_waitcnt vmcnt(0)
	v_cvt_f64_u32_e32 v[5:6], v5
	v_cvt_f64_u32_e32 v[7:8], v4
	v_ldexp_f64 v[5:6], v[5:6], 32
	v_add_f64 v[41:42], v[5:6], v[7:8]
	s_branch .LBB86_1550
.LBB86_1548:
	s_mov_b64 s[4:5], -1
                                        ; implicit-def: $vgpr41_vgpr42
.LBB86_1549:
	s_mov_b64 s[10:11], 0
.LBB86_1550:
	s_and_b64 vcc, exec, s[10:11]
	s_cbranch_vccz .LBB86_1570
; %bb.1551:
	s_cmp_lt_i32 s15, 27
	s_cbranch_scc1 .LBB86_1554
; %bb.1552:
	s_cmp_gt_i32 s15, 27
	s_cbranch_scc0 .LBB86_1555
; %bb.1553:
	global_load_dword v4, v[0:1], off
	s_mov_b64 s[8:9], 0
	s_waitcnt vmcnt(0)
	v_cvt_f64_u32_e32 v[41:42], v4
	s_branch .LBB86_1556
.LBB86_1554:
	s_mov_b64 s[8:9], -1
                                        ; implicit-def: $vgpr41_vgpr42
	s_branch .LBB86_1559
.LBB86_1555:
	s_mov_b64 s[8:9], -1
                                        ; implicit-def: $vgpr41_vgpr42
.LBB86_1556:
	s_andn2_b64 vcc, exec, s[8:9]
	s_cbranch_vccnz .LBB86_1558
; %bb.1557:
	global_load_ushort v4, v[0:1], off
	s_waitcnt vmcnt(0)
	v_cvt_f64_u32_e32 v[41:42], v4
.LBB86_1558:
	s_mov_b64 s[8:9], 0
.LBB86_1559:
	s_andn2_b64 vcc, exec, s[8:9]
	s_cbranch_vccnz .LBB86_1569
; %bb.1560:
	global_load_ubyte v4, v[0:1], off
	s_movk_i32 s8, 0x7f
	s_waitcnt vmcnt(0)
	v_cmp_lt_i16_e32 vcc, s8, v4
	s_mov_b64 s[8:9], 0
	s_and_saveexec_b64 s[10:11], vcc
	s_xor_b64 s[10:11], exec, s[10:11]
	s_cbranch_execz .LBB86_1564
; %bb.1561:
	s_movk_i32 s8, 0x80
	v_cmp_eq_u16_e32 vcc, s8, v4
	s_mov_b64 s[8:9], -1
	s_and_saveexec_b64 s[12:13], vcc
; %bb.1562:
	s_xor_b64 s[8:9], exec, -1
; %bb.1563:
	s_or_b64 exec, exec, s[12:13]
	s_and_b64 s[8:9], s[8:9], exec
.LBB86_1564:
	s_or_saveexec_b64 s[10:11], s[10:11]
	v_bfrev_b32_e32 v41, 4
	v_mov_b32_e32 v42, 0x7ff80000
	s_xor_b64 exec, exec, s[10:11]
; %bb.1565:
	v_cmp_ne_u16_e32 vcc, 0, v4
	v_mov_b32_e32 v41, 0
	s_andn2_b64 s[8:9], s[8:9], exec
	s_and_b64 s[12:13], vcc, exec
	v_mov_b32_e32 v42, 0
	s_or_b64 s[8:9], s[8:9], s[12:13]
; %bb.1566:
	s_or_b64 exec, exec, s[10:11]
	s_and_saveexec_b64 s[10:11], s[8:9]
	s_cbranch_execz .LBB86_1568
; %bb.1567:
	v_lshlrev_b32_e32 v5, 24, v4
	v_and_b32_e32 v4, 0xffff, v4
	v_and_b32_e32 v6, 7, v4
	v_ffbh_u32_e32 v8, v6
	v_min_u32_e32 v8, 32, v8
	v_subrev_u32_e32 v9, 28, v8
	v_bfe_u32 v7, v4, 3, 4
	v_lshlrev_b32_e32 v4, v9, v4
	v_sub_u32_e32 v8, 29, v8
	v_and_b32_e32 v4, 7, v4
	v_cmp_eq_u32_e32 vcc, 0, v7
	v_cndmask_b32_e32 v7, v7, v8, vcc
	v_cndmask_b32_e32 v4, v6, v4, vcc
	v_mov_b32_e32 v6, 0x3b800000
	v_lshlrev_b32_e32 v4, 20, v4
	v_and_b32_e32 v5, 0x80000000, v5
	v_lshl_add_u32 v6, v7, 23, v6
	v_or3_b32 v4, v5, v6, v4
	v_cvt_f64_f32_e32 v[41:42], v4
.LBB86_1568:
	s_or_b64 exec, exec, s[10:11]
.LBB86_1569:
	s_mov_b64 s[8:9], -1
.LBB86_1570:
	s_mov_b64 s[10:11], 0
.LBB86_1571:
	s_and_b64 vcc, exec, s[10:11]
	s_cbranch_vccz .LBB86_1602
; %bb.1572:
	s_cmp_gt_i32 s15, 22
	s_cbranch_scc0 .LBB86_1584
; %bb.1573:
	s_cmp_lt_i32 s15, 24
	s_cbranch_scc1 .LBB86_1585
; %bb.1574:
	s_cmp_gt_i32 s15, 24
	s_cbranch_scc0 .LBB86_1586
; %bb.1575:
	global_load_ubyte v4, v[0:1], off
	s_movk_i32 s6, 0x7f
	s_waitcnt vmcnt(0)
	v_cmp_lt_i16_e32 vcc, s6, v4
	s_mov_b64 s[6:7], 0
	s_and_saveexec_b64 s[8:9], vcc
	s_xor_b64 s[8:9], exec, s[8:9]
	s_cbranch_execz .LBB86_1579
; %bb.1576:
	s_movk_i32 s6, 0x80
	v_cmp_eq_u16_e32 vcc, s6, v4
	s_mov_b64 s[6:7], -1
	s_and_saveexec_b64 s[10:11], vcc
; %bb.1577:
	s_xor_b64 s[6:7], exec, -1
; %bb.1578:
	s_or_b64 exec, exec, s[10:11]
	s_and_b64 s[6:7], s[6:7], exec
.LBB86_1579:
	s_or_saveexec_b64 s[8:9], s[8:9]
	v_bfrev_b32_e32 v41, 4
	v_mov_b32_e32 v42, 0x7ff80000
	s_xor_b64 exec, exec, s[8:9]
; %bb.1580:
	v_cmp_ne_u16_e32 vcc, 0, v4
	v_mov_b32_e32 v41, 0
	s_andn2_b64 s[6:7], s[6:7], exec
	s_and_b64 s[10:11], vcc, exec
	v_mov_b32_e32 v42, 0
	s_or_b64 s[6:7], s[6:7], s[10:11]
; %bb.1581:
	s_or_b64 exec, exec, s[8:9]
	s_and_saveexec_b64 s[8:9], s[6:7]
	s_cbranch_execz .LBB86_1583
; %bb.1582:
	v_lshlrev_b32_e32 v5, 24, v4
	v_and_b32_e32 v4, 0xffff, v4
	v_and_b32_e32 v6, 3, v4
	v_ffbh_u32_e32 v8, v6
	v_min_u32_e32 v8, 32, v8
	v_subrev_u32_e32 v9, 29, v8
	v_bfe_u32 v7, v4, 2, 5
	v_lshlrev_b32_e32 v4, v9, v4
	v_sub_u32_e32 v8, 30, v8
	v_and_b32_e32 v4, 3, v4
	v_cmp_eq_u32_e32 vcc, 0, v7
	v_cndmask_b32_e32 v7, v7, v8, vcc
	v_cndmask_b32_e32 v4, v6, v4, vcc
	v_mov_b32_e32 v6, 0x37800000
	v_lshlrev_b32_e32 v4, 21, v4
	v_and_b32_e32 v5, 0x80000000, v5
	v_lshl_add_u32 v6, v7, 23, v6
	v_or3_b32 v4, v5, v6, v4
	v_cvt_f64_f32_e32 v[41:42], v4
.LBB86_1583:
	s_or_b64 exec, exec, s[8:9]
	s_mov_b64 s[6:7], 0
	s_branch .LBB86_1587
.LBB86_1584:
	s_mov_b64 s[6:7], -1
                                        ; implicit-def: $vgpr41_vgpr42
	s_branch .LBB86_1593
.LBB86_1585:
	s_mov_b64 s[6:7], -1
                                        ; implicit-def: $vgpr41_vgpr42
	s_branch .LBB86_1590
.LBB86_1586:
	s_mov_b64 s[6:7], -1
                                        ; implicit-def: $vgpr41_vgpr42
.LBB86_1587:
	s_and_b64 vcc, exec, s[6:7]
	s_cbranch_vccz .LBB86_1589
; %bb.1588:
	global_load_ubyte v4, v[0:1], off
	s_mov_b32 s6, 0x7f800000
	s_waitcnt vmcnt(0)
	v_lshlrev_b32_e32 v4, 24, v4
	v_and_b32_e32 v5, 0x7f000000, v4
	v_ffbh_u32_e32 v6, v5
	v_min_u32_e32 v6, 32, v6
	v_sub_u32_e64 v6, v6, 4 clamp
	v_lshlrev_b32_e32 v8, v6, v5
	v_lshlrev_b32_e32 v6, 23, v6
	v_lshrrev_b32_e32 v8, 4, v8
	v_add_u32_e32 v7, 0x1000000, v5
	v_sub_u32_e32 v6, v8, v6
	v_ashrrev_i32_e32 v7, 8, v7
	v_add_u32_e32 v6, 0x3c000000, v6
	v_and_or_b32 v6, v7, s6, v6
	v_cmp_ne_u32_e32 vcc, 0, v5
	v_cndmask_b32_e32 v5, 0, v6, vcc
	s_brev_b32 s6, 1
	v_and_or_b32 v4, v4, s6, v5
	v_cvt_f64_f32_e32 v[41:42], v4
.LBB86_1589:
	s_mov_b64 s[6:7], 0
.LBB86_1590:
	s_andn2_b64 vcc, exec, s[6:7]
	s_cbranch_vccnz .LBB86_1592
; %bb.1591:
	global_load_ubyte v4, v[0:1], off
	s_movk_i32 s6, 0x7f00
	s_brev_b32 s7, 16
	s_waitcnt vmcnt(0)
	v_lshlrev_b16_e32 v5, 8, v4
	v_lshlrev_b32_e32 v4, 25, v4
	v_lshrrev_b32_e32 v6, 4, v4
	v_and_or_b32 v7, v5, s6, 0.5
	v_or_b32_e32 v6, 0x70000000, v6
	v_add_f32_e32 v7, -0.5, v7
	v_mul_f32_e32 v6, 0x7800000, v6
	v_cmp_gt_u32_e32 vcc, s7, v4
	v_bfe_i32 v5, v5, 0, 16
	v_cndmask_b32_e32 v4, v6, v7, vcc
	s_brev_b32 s6, 1
	v_and_or_b32 v4, v5, s6, v4
	v_cvt_f64_f32_e32 v[41:42], v4
.LBB86_1592:
	s_mov_b64 s[6:7], 0
	s_mov_b64 s[8:9], -1
.LBB86_1593:
	s_andn2_b64 vcc, exec, s[6:7]
	s_mov_b64 s[6:7], 0
	s_cbranch_vccnz .LBB86_1602
; %bb.1594:
	s_cmp_gt_i32 s15, 14
	s_cbranch_scc0 .LBB86_1597
; %bb.1595:
	s_cmp_eq_u32 s15, 15
	s_cbranch_scc0 .LBB86_1598
; %bb.1596:
	global_load_ushort v4, v[0:1], off
	s_mov_b64 s[4:5], 0
	s_mov_b64 s[8:9], -1
	s_waitcnt vmcnt(0)
	v_lshlrev_b32_e32 v4, 16, v4
	v_cvt_f64_f32_e32 v[41:42], v4
	s_branch .LBB86_1599
.LBB86_1597:
	s_mov_b64 s[10:11], -1
                                        ; implicit-def: $vgpr41_vgpr42
	s_branch .LBB86_1600
.LBB86_1598:
	s_mov_b64 s[4:5], -1
                                        ; implicit-def: $vgpr41_vgpr42
.LBB86_1599:
	s_mov_b64 s[10:11], 0
.LBB86_1600:
	s_and_b64 vcc, exec, s[10:11]
	s_cbranch_vccz .LBB86_1602
; %bb.1601:
	s_cmp_lg_u32 s15, 11
	s_mov_b64 s[6:7], -1
	s_cselect_b64 s[4:5], -1, 0
.LBB86_1602:
	s_and_b64 vcc, exec, s[4:5]
	s_cbranch_vccnz .LBB86_2135
; %bb.1603:
	s_andn2_b64 vcc, exec, s[6:7]
	s_cbranch_vccnz .LBB86_1605
.LBB86_1604:
	global_load_ubyte v4, v[0:1], off
	v_mov_b32_e32 v5, 0x3ff00000
	v_mov_b32_e32 v41, 0
	s_mov_b64 s[8:9], -1
	s_waitcnt vmcnt(0)
	v_cmp_ne_u16_e32 vcc, 0, v4
	v_cndmask_b32_e32 v42, 0, v5, vcc
.LBB86_1605:
	s_mov_b64 s[4:5], 0
.LBB86_1606:
	s_and_b64 vcc, exec, s[4:5]
	s_cbranch_vccz .LBB86_1655
; %bb.1607:
	s_and_b32 s6, 0xffff, s14
	s_cmp_lt_i32 s6, 5
	s_cbranch_scc1 .LBB86_1612
; %bb.1608:
	s_cmp_lt_i32 s6, 8
	s_cbranch_scc1 .LBB86_1613
; %bb.1609:
	;; [unrolled: 3-line block ×3, first 2 shown]
	s_cmp_gt_i32 s6, 9
	s_cbranch_scc0 .LBB86_1615
; %bb.1611:
	global_load_dwordx2 v[41:42], v[0:1], off
	s_mov_b64 s[4:5], 0
	s_branch .LBB86_1616
.LBB86_1612:
	s_mov_b64 s[4:5], -1
                                        ; implicit-def: $vgpr41_vgpr42
	s_branch .LBB86_1634
.LBB86_1613:
	s_mov_b64 s[4:5], -1
                                        ; implicit-def: $vgpr41_vgpr42
	s_branch .LBB86_1622
.LBB86_1614:
	s_mov_b64 s[4:5], -1
                                        ; implicit-def: $vgpr41_vgpr42
	s_branch .LBB86_1619
.LBB86_1615:
	s_mov_b64 s[4:5], -1
                                        ; implicit-def: $vgpr41_vgpr42
.LBB86_1616:
	s_andn2_b64 vcc, exec, s[4:5]
	s_cbranch_vccnz .LBB86_1618
; %bb.1617:
	global_load_dword v4, v[0:1], off
	s_waitcnt vmcnt(0)
	v_cvt_f64_f32_e32 v[41:42], v4
.LBB86_1618:
	s_mov_b64 s[4:5], 0
.LBB86_1619:
	s_andn2_b64 vcc, exec, s[4:5]
	s_cbranch_vccnz .LBB86_1621
; %bb.1620:
	global_load_dword v4, v[0:1], off
	s_waitcnt vmcnt(0)
	v_cvt_f32_f16_e32 v4, v4
	v_cvt_f64_f32_e32 v[41:42], v4
.LBB86_1621:
	s_mov_b64 s[4:5], 0
.LBB86_1622:
	s_andn2_b64 vcc, exec, s[4:5]
	s_cbranch_vccnz .LBB86_1633
; %bb.1623:
	s_cmp_lt_i32 s6, 6
	s_cbranch_scc1 .LBB86_1626
; %bb.1624:
	s_cmp_gt_i32 s6, 6
	s_cbranch_scc0 .LBB86_1627
; %bb.1625:
	global_load_dwordx2 v[41:42], v[0:1], off
	s_mov_b64 s[4:5], 0
	s_branch .LBB86_1628
.LBB86_1626:
	s_mov_b64 s[4:5], -1
                                        ; implicit-def: $vgpr41_vgpr42
	s_branch .LBB86_1631
.LBB86_1627:
	s_mov_b64 s[4:5], -1
                                        ; implicit-def: $vgpr41_vgpr42
.LBB86_1628:
	s_andn2_b64 vcc, exec, s[4:5]
	s_cbranch_vccnz .LBB86_1630
; %bb.1629:
	global_load_dword v4, v[0:1], off
	s_waitcnt vmcnt(0)
	v_cvt_f64_f32_e32 v[41:42], v4
.LBB86_1630:
	s_mov_b64 s[4:5], 0
.LBB86_1631:
	s_andn2_b64 vcc, exec, s[4:5]
	s_cbranch_vccnz .LBB86_1633
; %bb.1632:
	global_load_ushort v4, v[0:1], off
	s_waitcnt vmcnt(0)
	v_cvt_f32_f16_e32 v4, v4
	v_cvt_f64_f32_e32 v[41:42], v4
.LBB86_1633:
	s_mov_b64 s[4:5], 0
.LBB86_1634:
	s_andn2_b64 vcc, exec, s[4:5]
	s_cbranch_vccnz .LBB86_1654
; %bb.1635:
	s_cmp_lt_i32 s6, 2
	s_cbranch_scc1 .LBB86_1639
; %bb.1636:
	s_cmp_lt_i32 s6, 3
	s_cbranch_scc1 .LBB86_1640
; %bb.1637:
	s_cmp_gt_i32 s6, 3
	s_cbranch_scc0 .LBB86_1641
; %bb.1638:
	global_load_dwordx2 v[4:5], v[0:1], off
	s_mov_b64 s[4:5], 0
	s_waitcnt vmcnt(0)
	v_cvt_f64_i32_e32 v[5:6], v5
	v_cvt_f64_u32_e32 v[7:8], v4
	v_ldexp_f64 v[5:6], v[5:6], 32
	v_add_f64 v[41:42], v[5:6], v[7:8]
	s_branch .LBB86_1642
.LBB86_1639:
	s_mov_b64 s[4:5], -1
                                        ; implicit-def: $vgpr41_vgpr42
	s_branch .LBB86_1648
.LBB86_1640:
	s_mov_b64 s[4:5], -1
                                        ; implicit-def: $vgpr41_vgpr42
	s_branch .LBB86_1645
.LBB86_1641:
	s_mov_b64 s[4:5], -1
                                        ; implicit-def: $vgpr41_vgpr42
.LBB86_1642:
	s_andn2_b64 vcc, exec, s[4:5]
	s_cbranch_vccnz .LBB86_1644
; %bb.1643:
	global_load_dword v4, v[0:1], off
	s_waitcnt vmcnt(0)
	v_cvt_f64_i32_e32 v[41:42], v4
.LBB86_1644:
	s_mov_b64 s[4:5], 0
.LBB86_1645:
	s_andn2_b64 vcc, exec, s[4:5]
	s_cbranch_vccnz .LBB86_1647
; %bb.1646:
	global_load_sshort v4, v[0:1], off
	s_waitcnt vmcnt(0)
	v_cvt_f64_i32_e32 v[41:42], v4
.LBB86_1647:
	s_mov_b64 s[4:5], 0
.LBB86_1648:
	s_andn2_b64 vcc, exec, s[4:5]
	s_cbranch_vccnz .LBB86_1654
; %bb.1649:
	s_cmp_gt_i32 s6, 0
	s_cbranch_scc0 .LBB86_1651
; %bb.1650:
	global_load_sbyte v4, v[0:1], off
	s_mov_b64 s[4:5], 0
	s_waitcnt vmcnt(0)
	v_cvt_f64_i32_e32 v[41:42], v4
	s_branch .LBB86_1652
.LBB86_1651:
	s_mov_b64 s[4:5], -1
                                        ; implicit-def: $vgpr41_vgpr42
.LBB86_1652:
	s_andn2_b64 vcc, exec, s[4:5]
	s_cbranch_vccnz .LBB86_1654
; %bb.1653:
	global_load_ubyte v0, v[0:1], off
	s_waitcnt vmcnt(0)
	v_cvt_f64_u32_e32 v[41:42], v0
.LBB86_1654:
	s_mov_b64 s[8:9], -1
.LBB86_1655:
	s_andn2_b64 vcc, exec, s[8:9]
	s_cbranch_vccnz .LBB86_2089
; %bb.1656:
	s_load_dword s6, s[46:47], 0x160
	s_load_dwordx2 s[8:9], s[46:47], 0x158
	s_getpc_b64 s[4:5]
	s_add_u32 s4, s4, _ZZZZN2at6native21polygamma_kernel_cudaERNS_18TensorIteratorBaseElENKUlvE_clEvENKUlvE_clEvENKUldE_clEd@rel32@lo+4
	s_addc_u32 s5, s5, _ZZZZN2at6native21polygamma_kernel_cudaERNS_18TensorIteratorBaseElENKUlvE_clEvENKUlvE_clEvENKUldE_clEd@rel32@hi+12
	s_mov_b64 s[86:87], s[18:19]
	s_waitcnt lgkmcnt(0)
	s_and_b32 s33, s6, 0xff
	v_mov_b32_e32 v0, s8
	v_writelane_b32 v47, s8, 22
	v_writelane_b32 v47, s9, 23
	;; [unrolled: 1-line block ×4, first 2 shown]
	v_mov_b32_e32 v1, s9
	v_writelane_b32 v47, s22, 26
	v_writelane_b32 v47, s23, 27
	s_swappc_b64 s[30:31], s[4:5]
	v_readlane_b32 s4, v47, 24
	v_readlane_b32 s5, v47, 25
	v_mov_b32_e32 v2, s5
	v_add_co_u32_e32 v4, vcc, s4, v56
	s_cmp_lt_i32 s33, 11
	v_addc_co_u32_e32 v5, vcc, 0, v2, vcc
	v_readlane_b32 s6, v47, 26
	v_readlane_b32 s7, v47, 27
	s_cbranch_scc1 .LBB86_1734
; %bb.1657:
	s_and_b32 s14, 0xffff, s33
	s_mov_b64 s[10:11], -1
	s_mov_b64 s[6:7], 0
	s_cmp_gt_i32 s14, 25
	s_mov_b64 s[8:9], 0
	s_mov_b64 s[4:5], 0
	;; [unrolled: 1-line block ×3, first 2 shown]
	s_cbranch_scc0 .LBB86_1690
; %bb.1658:
	s_cmp_gt_i32 s14, 28
	s_cbranch_scc0 .LBB86_1673
; %bb.1659:
	s_cmp_gt_i32 s14, 43
	;; [unrolled: 3-line block ×3, first 2 shown]
	s_cbranch_scc0 .LBB86_1663
; %bb.1661:
	s_mov_b64 s[4:5], -1
	s_mov_b64 s[10:11], 0
	s_cmp_eq_u32 s14, 46
	s_cbranch_scc0 .LBB86_1663
; %bb.1662:
	v_cvt_f32_f64_e32 v2, v[0:1]
	s_movk_i32 s4, 0x7fff
	v_mov_b32_e32 v3, 0x7fc0
	s_mov_b64 s[8:9], -1
	v_bfe_u32 v6, v2, 16, 1
	v_cmp_o_f32_e32 vcc, v2, v2
	v_add3_u32 v2, v2, v6, s4
	v_cndmask_b32_sdwa v2, v3, v2, vcc dst_sel:DWORD dst_unused:UNUSED_PAD src0_sel:DWORD src1_sel:WORD_1
	global_store_dword v[4:5], v2, off
	s_mov_b64 s[4:5], 0
.LBB86_1663:
	s_and_b64 vcc, exec, s[10:11]
	s_cbranch_vccz .LBB86_1668
; %bb.1664:
	s_cmp_eq_u32 s14, 44
	s_mov_b64 s[4:5], -1
	s_cbranch_scc0 .LBB86_1668
; %bb.1665:
	v_cvt_f32_f64_e32 v2, v[0:1]
	s_movk_i32 s4, 0xff
	v_mov_b32_e32 v6, 0xff
	v_bfe_u32 v3, v2, 23, 8
	v_cmp_ne_u32_e32 vcc, s4, v3
	s_and_saveexec_b64 s[8:9], vcc
; %bb.1666:
	s_mov_b32 s4, 0x3fffff
	v_lshrrev_b32_e32 v6, 23, v2
	v_and_b32_e32 v7, 0x400000, v2
	v_and_or_b32 v2, v2, s4, v3
	v_cmp_ne_u32_e32 vcc, 0, v7
	v_cmp_ne_u32_e64 s[4:5], 0, v2
	s_and_b64 s[4:5], vcc, s[4:5]
	v_cndmask_b32_e64 v2, 0, 1, s[4:5]
	v_add_u32_e32 v6, v6, v2
; %bb.1667:
	s_or_b64 exec, exec, s[8:9]
	s_mov_b64 s[4:5], 0
	s_mov_b64 s[8:9], -1
	global_store_byte v[4:5], v6, off
.LBB86_1668:
	s_mov_b64 s[10:11], 0
.LBB86_1669:
	s_and_b64 vcc, exec, s[10:11]
	s_cbranch_vccz .LBB86_1672
; %bb.1670:
	s_cmp_eq_u32 s14, 29
	s_mov_b64 s[4:5], -1
	s_cbranch_scc0 .LBB86_1672
; %bb.1671:
	v_trunc_f64_e32 v[2:3], v[0:1]
	s_movk_i32 s4, 0xffe0
	s_mov_b64 s[8:9], -1
	v_ldexp_f64 v[6:7], v[2:3], s4
	s_mov_b32 s4, 0
	s_mov_b32 s5, 0xc1f00000
	v_floor_f64_e32 v[6:7], v[6:7]
	v_fma_f64 v[2:3], v[6:7], s[4:5], v[2:3]
	v_cvt_u32_f64_e32 v7, v[6:7]
	s_mov_b64 s[4:5], 0
	v_cvt_u32_f64_e32 v6, v[2:3]
	global_store_dwordx2 v[4:5], v[6:7], off
.LBB86_1672:
	s_mov_b64 s[10:11], 0
.LBB86_1673:
	s_and_b64 vcc, exec, s[10:11]
	s_cbranch_vccz .LBB86_1689
; %bb.1674:
	s_cmp_lt_i32 s14, 27
	s_mov_b64 s[8:9], -1
	s_cbranch_scc1 .LBB86_1680
; %bb.1675:
	v_cvt_u32_f64_e32 v2, v[0:1]
	s_cmp_gt_i32 s14, 27
	s_cbranch_scc0 .LBB86_1677
; %bb.1676:
	s_mov_b64 s[8:9], 0
	global_store_dword v[4:5], v2, off
.LBB86_1677:
	s_andn2_b64 vcc, exec, s[8:9]
	s_cbranch_vccnz .LBB86_1679
; %bb.1678:
	global_store_short v[4:5], v2, off
.LBB86_1679:
	s_mov_b64 s[8:9], 0
.LBB86_1680:
	s_andn2_b64 vcc, exec, s[8:9]
	s_cbranch_vccnz .LBB86_1688
; %bb.1681:
	v_cvt_f32_f64_e32 v2, v[0:1]
	s_mov_b32 s8, 0x43800000
	v_mov_b32_e32 v6, 0x80
	v_and_b32_e32 v3, 0x7fffffff, v2
	v_cmp_gt_u32_e32 vcc, s8, v3
	s_and_saveexec_b64 s[8:9], vcc
	s_cbranch_execz .LBB86_1687
; %bb.1682:
	s_mov_b32 s10, 0x3bffffff
	v_cmp_lt_u32_e32 vcc, s10, v3
	s_mov_b64 s[10:11], 0
                                        ; implicit-def: $vgpr3
	s_and_saveexec_b64 s[12:13], vcc
	s_xor_b64 s[12:13], exec, s[12:13]
	s_cbranch_execz .LBB86_2136
; %bb.1683:
	v_bfe_u32 v3, v2, 20, 1
	s_mov_b32 s15, 0x487ffff
	v_add3_u32 v3, v2, v3, s15
	s_mov_b64 s[10:11], exec
	v_lshrrev_b32_e32 v3, 20, v3
	s_andn2_saveexec_b64 s[12:13], s[12:13]
	s_cbranch_execnz .LBB86_2137
.LBB86_1684:
	s_or_b64 exec, exec, s[12:13]
	v_mov_b32_e32 v6, 0
	s_and_saveexec_b64 s[12:13], s[10:11]
.LBB86_1685:
	v_lshrrev_b32_e32 v2, 24, v2
	s_movk_i32 s10, 0x80
	v_and_or_b32 v6, v2, s10, v3
.LBB86_1686:
	s_or_b64 exec, exec, s[12:13]
.LBB86_1687:
	s_or_b64 exec, exec, s[8:9]
	global_store_byte v[4:5], v6, off
.LBB86_1688:
	s_mov_b64 s[8:9], -1
.LBB86_1689:
	s_mov_b64 s[10:11], 0
.LBB86_1690:
	s_and_b64 vcc, exec, s[10:11]
	s_cbranch_vccz .LBB86_1730
; %bb.1691:
	s_cmp_gt_i32 s14, 22
	s_mov_b64 s[6:7], -1
	s_cbranch_scc0 .LBB86_1723
; %bb.1692:
	s_cmp_lt_i32 s14, 24
	s_cbranch_scc1 .LBB86_1712
; %bb.1693:
	s_cmp_gt_i32 s14, 24
	s_cbranch_scc0 .LBB86_1701
; %bb.1694:
	v_cvt_f32_f64_e32 v2, v[0:1]
	s_mov_b32 s6, 0x47800000
	v_mov_b32_e32 v6, 0x80
	v_and_b32_e32 v3, 0x7fffffff, v2
	v_cmp_gt_u32_e32 vcc, s6, v3
	s_and_saveexec_b64 s[6:7], vcc
	s_cbranch_execz .LBB86_1700
; %bb.1695:
	s_mov_b32 s8, 0x37ffffff
	v_cmp_lt_u32_e32 vcc, s8, v3
	s_mov_b64 s[8:9], 0
                                        ; implicit-def: $vgpr3
	s_and_saveexec_b64 s[10:11], vcc
	s_xor_b64 s[10:11], exec, s[10:11]
	s_cbranch_execz .LBB86_2139
; %bb.1696:
	v_bfe_u32 v3, v2, 21, 1
	s_mov_b32 s12, 0x88fffff
	v_add3_u32 v3, v2, v3, s12
	s_mov_b64 s[8:9], exec
	v_lshrrev_b32_e32 v3, 21, v3
	s_andn2_saveexec_b64 s[10:11], s[10:11]
	s_cbranch_execnz .LBB86_2140
.LBB86_1697:
	s_or_b64 exec, exec, s[10:11]
	v_mov_b32_e32 v6, 0
	s_and_saveexec_b64 s[10:11], s[8:9]
.LBB86_1698:
	v_lshrrev_b32_e32 v2, 24, v2
	s_movk_i32 s8, 0x80
	v_and_or_b32 v6, v2, s8, v3
.LBB86_1699:
	s_or_b64 exec, exec, s[10:11]
.LBB86_1700:
	s_or_b64 exec, exec, s[6:7]
	s_mov_b64 s[6:7], 0
	global_store_byte v[4:5], v6, off
.LBB86_1701:
	s_and_b64 vcc, exec, s[6:7]
	s_cbranch_vccz .LBB86_1711
; %bb.1702:
	v_cvt_f32_f64_e32 v2, v[0:1]
	s_mov_b32 s6, 0x43f00000
                                        ; implicit-def: $vgpr3
	v_and_b32_e32 v6, 0x7fffffff, v2
	v_cmp_gt_u32_e32 vcc, s6, v6
	s_and_saveexec_b64 s[6:7], vcc
	s_xor_b64 s[6:7], exec, s[6:7]
	s_cbranch_execz .LBB86_1708
; %bb.1703:
	s_mov_b32 s8, 0x3c7fffff
	v_cmp_lt_u32_e32 vcc, s8, v6
                                        ; implicit-def: $vgpr3
	s_and_saveexec_b64 s[8:9], vcc
	s_xor_b64 s[8:9], exec, s[8:9]
; %bb.1704:
	v_bfe_u32 v3, v2, 20, 1
	s_mov_b32 s10, 0x407ffff
	v_add3_u32 v3, v2, v3, s10
	v_lshrrev_b32_e32 v6, 20, v3
	v_and_b32_e32 v3, 0xff00000, v3
	s_mov_b32 s10, 0x7f00000
	v_mov_b32_e32 v7, 0x7e
	v_cmp_ne_u32_e32 vcc, s10, v3
	v_cndmask_b32_e32 v3, v7, v6, vcc
; %bb.1705:
	s_andn2_saveexec_b64 s[8:9], s[8:9]
; %bb.1706:
	s_mov_b32 s10, 0x46800000
	v_add_f32_e64 v3, |v2|, s10
; %bb.1707:
	s_or_b64 exec, exec, s[8:9]
                                        ; implicit-def: $vgpr6
.LBB86_1708:
	s_andn2_saveexec_b64 s[6:7], s[6:7]
; %bb.1709:
	s_mov_b32 s8, 0x7f800000
	v_mov_b32_e32 v3, 0x7e
	v_mov_b32_e32 v7, 0x7f
	v_cmp_lt_u32_e32 vcc, s8, v6
	v_cndmask_b32_e32 v3, v3, v7, vcc
; %bb.1710:
	s_or_b64 exec, exec, s[6:7]
	v_lshrrev_b32_e32 v2, 24, v2
	s_movk_i32 s6, 0x80
	v_and_or_b32 v2, v2, s6, v3
	global_store_byte v[4:5], v2, off
.LBB86_1711:
	s_mov_b64 s[6:7], 0
.LBB86_1712:
	s_andn2_b64 vcc, exec, s[6:7]
	s_cbranch_vccnz .LBB86_1722
; %bb.1713:
	v_cvt_f32_f64_e32 v2, v[0:1]
	s_mov_b32 s6, 0x47800000
                                        ; implicit-def: $vgpr3
	v_and_b32_e32 v6, 0x7fffffff, v2
	v_cmp_gt_u32_e32 vcc, s6, v6
	s_and_saveexec_b64 s[6:7], vcc
	s_xor_b64 s[6:7], exec, s[6:7]
	s_cbranch_execz .LBB86_1719
; %bb.1714:
	s_mov_b32 s8, 0x387fffff
	v_cmp_lt_u32_e32 vcc, s8, v6
                                        ; implicit-def: $vgpr3
	s_and_saveexec_b64 s[8:9], vcc
	s_xor_b64 s[8:9], exec, s[8:9]
; %bb.1715:
	v_bfe_u32 v3, v2, 21, 1
	s_mov_b32 s10, 0x80fffff
	v_add3_u32 v3, v2, v3, s10
	v_lshrrev_b32_e32 v3, 21, v3
; %bb.1716:
	s_andn2_saveexec_b64 s[8:9], s[8:9]
; %bb.1717:
	s_mov_b32 s10, 0x43000000
	v_add_f32_e64 v3, |v2|, s10
; %bb.1718:
	s_or_b64 exec, exec, s[8:9]
                                        ; implicit-def: $vgpr6
.LBB86_1719:
	s_andn2_saveexec_b64 s[6:7], s[6:7]
; %bb.1720:
	s_mov_b32 s8, 0x7f800000
	v_mov_b32_e32 v3, 0x7c
	v_mov_b32_e32 v7, 0x7f
	v_cmp_lt_u32_e32 vcc, s8, v6
	v_cndmask_b32_e32 v3, v3, v7, vcc
; %bb.1721:
	s_or_b64 exec, exec, s[6:7]
	v_lshrrev_b32_e32 v2, 24, v2
	s_movk_i32 s6, 0x80
	v_and_or_b32 v2, v2, s6, v3
	global_store_byte v[4:5], v2, off
.LBB86_1722:
	s_mov_b64 s[6:7], 0
	s_mov_b64 s[8:9], -1
.LBB86_1723:
	s_andn2_b64 vcc, exec, s[6:7]
	s_mov_b64 s[6:7], 0
	s_cbranch_vccnz .LBB86_1730
; %bb.1724:
	s_cmp_gt_i32 s14, 14
	s_mov_b64 s[10:11], -1
	s_cbranch_scc0 .LBB86_1728
; %bb.1725:
	s_cmp_eq_u32 s14, 15
	s_mov_b64 s[4:5], -1
	s_cbranch_scc0 .LBB86_1727
; %bb.1726:
	v_cvt_f32_f64_e32 v2, v[0:1]
	s_movk_i32 s4, 0x7fff
	v_mov_b32_e32 v3, 0x7fc0
	s_mov_b64 s[8:9], -1
	v_bfe_u32 v6, v2, 16, 1
	v_cmp_o_f32_e32 vcc, v2, v2
	v_add3_u32 v2, v2, v6, s4
	v_cndmask_b32_sdwa v2, v3, v2, vcc dst_sel:DWORD dst_unused:UNUSED_PAD src0_sel:DWORD src1_sel:WORD_1
	global_store_short v[4:5], v2, off
	s_mov_b64 s[4:5], 0
.LBB86_1727:
	s_mov_b64 s[10:11], 0
.LBB86_1728:
	s_and_b64 vcc, exec, s[10:11]
	s_cbranch_vccz .LBB86_1730
; %bb.1729:
	s_cmp_lg_u32 s14, 11
	s_mov_b64 s[6:7], -1
	s_cselect_b64 s[4:5], -1, 0
.LBB86_1730:
	s_and_b64 vcc, exec, s[4:5]
	s_cbranch_vccnz .LBB86_2138
; %bb.1731:
	s_andn2_b64 vcc, exec, s[6:7]
	s_cbranch_vccnz .LBB86_1733
.LBB86_1732:
	v_cmp_neq_f64_e32 vcc, 0, v[0:1]
	s_mov_b64 s[8:9], -1
	v_cndmask_b32_e64 v2, 0, 1, vcc
	global_store_byte v[4:5], v2, off
.LBB86_1733:
	s_mov_b64 s[4:5], 0
	s_branch .LBB86_1735
.LBB86_1734:
	s_mov_b64 s[4:5], -1
	s_mov_b64 s[8:9], 0
	s_mov_b64 s[18:19], s[86:87]
.LBB86_1735:
	s_and_b64 vcc, exec, s[4:5]
	s_cbranch_vccz .LBB86_1774
; %bb.1736:
	s_and_b32 s6, 0xffff, s33
	s_cmp_lt_i32 s6, 5
	s_mov_b64 s[4:5], -1
	s_cbranch_scc1 .LBB86_1757
; %bb.1737:
	s_cmp_lt_i32 s6, 8
	s_cbranch_scc1 .LBB86_1747
; %bb.1738:
	s_cmp_lt_i32 s6, 9
	s_cbranch_scc1 .LBB86_1744
; %bb.1739:
	s_cmp_gt_i32 s6, 9
	s_cbranch_scc0 .LBB86_1741
; %bb.1740:
	v_mov_b32_e32 v2, 0
	v_mov_b32_e32 v3, v2
	global_store_dwordx4 v[4:5], v[0:3], off
	s_mov_b64 s[4:5], 0
.LBB86_1741:
	s_andn2_b64 vcc, exec, s[4:5]
	s_cbranch_vccnz .LBB86_1743
; %bb.1742:
	v_cvt_f32_f64_e32 v2, v[0:1]
	v_mov_b32_e32 v3, 0
	global_store_dwordx2 v[4:5], v[2:3], off
.LBB86_1743:
	s_mov_b64 s[4:5], 0
.LBB86_1744:
	s_andn2_b64 vcc, exec, s[4:5]
	s_cbranch_vccnz .LBB86_1746
; %bb.1745:
	s_movk_i32 s4, 0x1ff
	v_and_or_b32 v2, v1, s4, v0
	v_cmp_ne_u32_e32 vcc, 0, v2
	v_cndmask_b32_e64 v2, 0, 1, vcc
	v_lshrrev_b32_e32 v3, 8, v1
	s_movk_i32 s4, 0xffe
	v_bfe_u32 v6, v1, 20, 11
	v_and_or_b32 v2, v3, s4, v2
	v_sub_u32_e32 v7, 0x3f1, v6
	v_or_b32_e32 v3, 0x1000, v2
	v_med3_i32 v7, v7, 0, 13
	v_lshrrev_b32_e32 v8, v7, v3
	v_lshlrev_b32_e32 v7, v7, v8
	v_cmp_ne_u32_e32 vcc, v7, v3
	v_cndmask_b32_e64 v3, 0, 1, vcc
	v_add_u32_e32 v6, 0xfffffc10, v6
	v_or_b32_e32 v3, v8, v3
	v_lshl_or_b32 v7, v6, 12, v2
	v_cmp_gt_i32_e32 vcc, 1, v6
	v_cndmask_b32_e32 v3, v7, v3, vcc
	v_and_b32_e32 v7, 7, v3
	v_cmp_lt_i32_e32 vcc, 5, v7
	v_cndmask_b32_e64 v8, 0, 1, vcc
	v_cmp_eq_u32_e32 vcc, 3, v7
	v_cndmask_b32_e64 v7, 0, 1, vcc
	v_or_b32_e32 v7, v7, v8
	v_lshrrev_b32_e32 v3, 2, v3
	v_add_u32_e32 v3, v3, v7
	v_mov_b32_e32 v7, 0x7c00
	v_cmp_gt_i32_e32 vcc, 31, v6
	v_cndmask_b32_e32 v3, v7, v3, vcc
	v_mov_b32_e32 v8, 0x7e00
	v_cmp_ne_u32_e32 vcc, 0, v2
	s_movk_i32 s4, 0x40f
	v_cndmask_b32_e32 v2, v7, v8, vcc
	v_cmp_eq_u32_e32 vcc, s4, v6
	v_cndmask_b32_e32 v2, v3, v2, vcc
	v_lshrrev_b32_e32 v3, 16, v1
	s_mov_b32 s4, 0x8000
	v_and_or_b32 v2, v3, s4, v2
	v_and_b32_e32 v2, 0xffff, v2
	global_store_dword v[4:5], v2, off
.LBB86_1746:
	s_mov_b64 s[4:5], 0
.LBB86_1747:
	s_andn2_b64 vcc, exec, s[4:5]
	s_cbranch_vccnz .LBB86_1756
; %bb.1748:
	s_cmp_lt_i32 s6, 6
	s_mov_b64 s[4:5], -1
	s_cbranch_scc1 .LBB86_1754
; %bb.1749:
	s_cmp_gt_i32 s6, 6
	s_cbranch_scc0 .LBB86_1751
; %bb.1750:
	global_store_dwordx2 v[4:5], v[0:1], off
	s_mov_b64 s[4:5], 0
.LBB86_1751:
	s_andn2_b64 vcc, exec, s[4:5]
	s_cbranch_vccnz .LBB86_1753
; %bb.1752:
	v_cvt_f32_f64_e32 v2, v[0:1]
	global_store_dword v[4:5], v2, off
.LBB86_1753:
	s_mov_b64 s[4:5], 0
.LBB86_1754:
	s_andn2_b64 vcc, exec, s[4:5]
	s_cbranch_vccnz .LBB86_1756
; %bb.1755:
	s_movk_i32 s4, 0x1ff
	v_and_or_b32 v2, v1, s4, v0
	v_cmp_ne_u32_e32 vcc, 0, v2
	v_cndmask_b32_e64 v2, 0, 1, vcc
	v_lshrrev_b32_e32 v3, 8, v1
	s_movk_i32 s4, 0xffe
	v_bfe_u32 v6, v1, 20, 11
	v_and_or_b32 v2, v3, s4, v2
	v_sub_u32_e32 v7, 0x3f1, v6
	v_or_b32_e32 v3, 0x1000, v2
	v_med3_i32 v7, v7, 0, 13
	v_lshrrev_b32_e32 v8, v7, v3
	v_lshlrev_b32_e32 v7, v7, v8
	v_cmp_ne_u32_e32 vcc, v7, v3
	v_cndmask_b32_e64 v3, 0, 1, vcc
	v_add_u32_e32 v6, 0xfffffc10, v6
	v_or_b32_e32 v3, v8, v3
	v_lshl_or_b32 v7, v6, 12, v2
	v_cmp_gt_i32_e32 vcc, 1, v6
	v_cndmask_b32_e32 v3, v7, v3, vcc
	v_and_b32_e32 v7, 7, v3
	v_cmp_lt_i32_e32 vcc, 5, v7
	v_cndmask_b32_e64 v8, 0, 1, vcc
	v_cmp_eq_u32_e32 vcc, 3, v7
	v_cndmask_b32_e64 v7, 0, 1, vcc
	v_or_b32_e32 v7, v7, v8
	v_lshrrev_b32_e32 v3, 2, v3
	v_add_u32_e32 v3, v3, v7
	v_mov_b32_e32 v7, 0x7c00
	v_cmp_gt_i32_e32 vcc, 31, v6
	v_cndmask_b32_e32 v3, v7, v3, vcc
	v_mov_b32_e32 v8, 0x7e00
	v_cmp_ne_u32_e32 vcc, 0, v2
	s_movk_i32 s4, 0x40f
	v_cndmask_b32_e32 v2, v7, v8, vcc
	v_cmp_eq_u32_e32 vcc, s4, v6
	v_cndmask_b32_e32 v2, v3, v2, vcc
	v_lshrrev_b32_e32 v3, 16, v1
	s_mov_b32 s4, 0x8000
	v_and_or_b32 v2, v3, s4, v2
	global_store_short v[4:5], v2, off
.LBB86_1756:
	s_mov_b64 s[4:5], 0
.LBB86_1757:
	s_andn2_b64 vcc, exec, s[4:5]
	s_cbranch_vccnz .LBB86_1773
; %bb.1758:
	s_cmp_lt_i32 s6, 2
	s_mov_b64 s[4:5], -1
	s_cbranch_scc1 .LBB86_1768
; %bb.1759:
	s_cmp_lt_i32 s6, 3
	s_cbranch_scc1 .LBB86_1765
; %bb.1760:
	s_cmp_gt_i32 s6, 3
	s_cbranch_scc0 .LBB86_1762
; %bb.1761:
	v_trunc_f64_e32 v[2:3], v[0:1]
	s_movk_i32 s4, 0xffe0
	v_ldexp_f64 v[6:7], v[2:3], s4
	s_mov_b32 s4, 0
	s_mov_b32 s5, 0xc1f00000
	v_floor_f64_e32 v[6:7], v[6:7]
	v_fma_f64 v[2:3], v[6:7], s[4:5], v[2:3]
	v_cvt_i32_f64_e32 v7, v[6:7]
	s_mov_b64 s[4:5], 0
	v_cvt_u32_f64_e32 v6, v[2:3]
	global_store_dwordx2 v[4:5], v[6:7], off
.LBB86_1762:
	s_andn2_b64 vcc, exec, s[4:5]
	s_cbranch_vccnz .LBB86_1764
; %bb.1763:
	v_cvt_i32_f64_e32 v2, v[0:1]
	global_store_dword v[4:5], v2, off
.LBB86_1764:
	s_mov_b64 s[4:5], 0
.LBB86_1765:
	s_andn2_b64 vcc, exec, s[4:5]
	s_cbranch_vccnz .LBB86_1767
; %bb.1766:
	v_cvt_i32_f64_e32 v2, v[0:1]
	global_store_short v[4:5], v2, off
.LBB86_1767:
	s_mov_b64 s[4:5], 0
.LBB86_1768:
	s_andn2_b64 vcc, exec, s[4:5]
	s_cbranch_vccnz .LBB86_1773
; %bb.1769:
	s_cmp_gt_i32 s6, 0
	s_mov_b64 s[4:5], -1
	s_cbranch_scc0 .LBB86_1771
; %bb.1770:
	v_cvt_i32_f64_e32 v2, v[0:1]
	s_mov_b64 s[4:5], 0
	global_store_byte v[4:5], v2, off
.LBB86_1771:
	s_andn2_b64 vcc, exec, s[4:5]
	s_cbranch_vccnz .LBB86_1773
; %bb.1772:
	v_trunc_f64_e32 v[0:1], v[0:1]
	s_movk_i32 s4, 0xffe0
	v_ldexp_f64 v[2:3], v[0:1], s4
	s_mov_b32 s4, 0
	s_mov_b32 s5, 0xc1f00000
	v_floor_f64_e32 v[2:3], v[2:3]
	v_fma_f64 v[0:1], v[2:3], s[4:5], v[0:1]
	v_cvt_u32_f64_e32 v0, v[0:1]
	global_store_byte v[4:5], v0, off
.LBB86_1773:
	s_mov_b64 s[8:9], -1
.LBB86_1774:
	s_andn2_b64 vcc, exec, s[8:9]
	s_cbranch_vccnz .LBB86_2089
; %bb.1775:
	v_readlane_b32 s6, v47, 22
	v_readlane_b32 s7, v47, 23
	s_getpc_b64 s[4:5]
	s_add_u32 s4, s4, _ZZZZN2at6native21polygamma_kernel_cudaERNS_18TensorIteratorBaseElENKUlvE_clEvENKUlvE_clEvENKUldE_clEd@rel32@lo+4
	s_addc_u32 s5, s5, _ZZZZN2at6native21polygamma_kernel_cudaERNS_18TensorIteratorBaseElENKUlvE_clEvENKUlvE_clEvENKUldE_clEd@rel32@hi+12
	v_mov_b32_e32 v0, s6
	v_mov_b32_e32 v1, s7
	;; [unrolled: 1-line block ×4, first 2 shown]
	s_mov_b64 s[86:87], s[18:19]
	s_swappc_b64 s[30:31], s[4:5]
	v_readlane_b32 s4, v47, 24
	v_readlane_b32 s5, v47, 25
	v_mov_b32_e32 v2, s5
	s_and_b32 s16, 0xffff, s33
	v_add_co_u32_e32 v4, vcc, s4, v54
	s_cmp_lt_i32 s16, 11
	v_addc_co_u32_e32 v5, vcc, 0, v2, vcc
	v_readlane_b32 s6, v47, 26
	v_readlane_b32 s7, v47, 27
	s_cbranch_scc1 .LBB86_1853
; %bb.1776:
	s_mov_b64 s[10:11], -1
	s_mov_b64 s[6:7], 0
	s_cmp_gt_i32 s16, 25
	s_mov_b64 s[8:9], 0
	s_mov_b64 s[4:5], 0
	;; [unrolled: 1-line block ×3, first 2 shown]
	s_cbranch_scc0 .LBB86_1809
; %bb.1777:
	s_cmp_gt_i32 s16, 28
	s_cbranch_scc0 .LBB86_1792
; %bb.1778:
	s_cmp_gt_i32 s16, 43
	;; [unrolled: 3-line block ×3, first 2 shown]
	s_cbranch_scc0 .LBB86_1782
; %bb.1780:
	s_mov_b64 s[4:5], -1
	s_mov_b64 s[10:11], 0
	s_cmp_eq_u32 s16, 46
	s_cbranch_scc0 .LBB86_1782
; %bb.1781:
	v_cvt_f32_f64_e32 v2, v[0:1]
	s_movk_i32 s4, 0x7fff
	v_mov_b32_e32 v3, 0x7fc0
	s_mov_b64 s[8:9], -1
	v_bfe_u32 v6, v2, 16, 1
	v_cmp_o_f32_e32 vcc, v2, v2
	v_add3_u32 v2, v2, v6, s4
	v_cndmask_b32_sdwa v2, v3, v2, vcc dst_sel:DWORD dst_unused:UNUSED_PAD src0_sel:DWORD src1_sel:WORD_1
	global_store_dword v[4:5], v2, off
	s_mov_b64 s[4:5], 0
.LBB86_1782:
	s_and_b64 vcc, exec, s[10:11]
	s_cbranch_vccz .LBB86_1787
; %bb.1783:
	s_cmp_eq_u32 s16, 44
	s_mov_b64 s[4:5], -1
	s_cbranch_scc0 .LBB86_1787
; %bb.1784:
	v_cvt_f32_f64_e32 v2, v[0:1]
	s_movk_i32 s4, 0xff
	v_mov_b32_e32 v6, 0xff
	v_bfe_u32 v3, v2, 23, 8
	v_cmp_ne_u32_e32 vcc, s4, v3
	s_and_saveexec_b64 s[8:9], vcc
; %bb.1785:
	s_mov_b32 s4, 0x3fffff
	v_lshrrev_b32_e32 v6, 23, v2
	v_and_b32_e32 v7, 0x400000, v2
	v_and_or_b32 v2, v2, s4, v3
	v_cmp_ne_u32_e32 vcc, 0, v7
	v_cmp_ne_u32_e64 s[4:5], 0, v2
	s_and_b64 s[4:5], vcc, s[4:5]
	v_cndmask_b32_e64 v2, 0, 1, s[4:5]
	v_add_u32_e32 v6, v6, v2
; %bb.1786:
	s_or_b64 exec, exec, s[8:9]
	s_mov_b64 s[4:5], 0
	s_mov_b64 s[8:9], -1
	global_store_byte v[4:5], v6, off
.LBB86_1787:
	s_mov_b64 s[10:11], 0
.LBB86_1788:
	s_and_b64 vcc, exec, s[10:11]
	s_cbranch_vccz .LBB86_1791
; %bb.1789:
	s_cmp_eq_u32 s16, 29
	s_mov_b64 s[4:5], -1
	s_cbranch_scc0 .LBB86_1791
; %bb.1790:
	v_trunc_f64_e32 v[2:3], v[0:1]
	s_movk_i32 s4, 0xffe0
	s_mov_b64 s[8:9], -1
	v_ldexp_f64 v[6:7], v[2:3], s4
	s_mov_b32 s4, 0
	s_mov_b32 s5, 0xc1f00000
	v_floor_f64_e32 v[6:7], v[6:7]
	v_fma_f64 v[2:3], v[6:7], s[4:5], v[2:3]
	v_cvt_u32_f64_e32 v7, v[6:7]
	s_mov_b64 s[4:5], 0
	v_cvt_u32_f64_e32 v6, v[2:3]
	global_store_dwordx2 v[4:5], v[6:7], off
.LBB86_1791:
	s_mov_b64 s[10:11], 0
.LBB86_1792:
	s_and_b64 vcc, exec, s[10:11]
	s_cbranch_vccz .LBB86_1808
; %bb.1793:
	s_cmp_lt_i32 s16, 27
	s_mov_b64 s[8:9], -1
	s_cbranch_scc1 .LBB86_1799
; %bb.1794:
	s_cmp_gt_i32 s16, 27
	s_cbranch_scc0 .LBB86_1796
; %bb.1795:
	v_cvt_u32_f64_e32 v2, v[0:1]
	s_mov_b64 s[8:9], 0
	global_store_dword v[4:5], v2, off
.LBB86_1796:
	s_andn2_b64 vcc, exec, s[8:9]
	s_cbranch_vccnz .LBB86_1798
; %bb.1797:
	v_cvt_u32_f64_e32 v2, v[0:1]
	global_store_short v[4:5], v2, off
.LBB86_1798:
	s_mov_b64 s[8:9], 0
.LBB86_1799:
	s_andn2_b64 vcc, exec, s[8:9]
	s_cbranch_vccnz .LBB86_1807
; %bb.1800:
	v_cvt_f32_f64_e32 v2, v[0:1]
	s_mov_b32 s8, 0x43800000
	v_mov_b32_e32 v6, 0x80
	v_and_b32_e32 v3, 0x7fffffff, v2
	v_cmp_gt_u32_e32 vcc, s8, v3
	s_and_saveexec_b64 s[8:9], vcc
	s_cbranch_execz .LBB86_1806
; %bb.1801:
	s_mov_b32 s10, 0x3bffffff
	v_cmp_lt_u32_e32 vcc, s10, v3
	s_mov_b64 s[10:11], 0
                                        ; implicit-def: $vgpr3
	s_and_saveexec_b64 s[12:13], vcc
	s_xor_b64 s[12:13], exec, s[12:13]
	s_cbranch_execz .LBB86_2141
; %bb.1802:
	v_bfe_u32 v3, v2, 20, 1
	s_mov_b32 s14, 0x487ffff
	v_add3_u32 v3, v2, v3, s14
	s_mov_b64 s[10:11], exec
	v_lshrrev_b32_e32 v3, 20, v3
	s_andn2_saveexec_b64 s[12:13], s[12:13]
	s_cbranch_execnz .LBB86_2142
.LBB86_1803:
	s_or_b64 exec, exec, s[12:13]
	v_mov_b32_e32 v6, 0
	s_and_saveexec_b64 s[12:13], s[10:11]
.LBB86_1804:
	v_lshrrev_b32_e32 v2, 24, v2
	s_movk_i32 s10, 0x80
	v_and_or_b32 v6, v2, s10, v3
.LBB86_1805:
	s_or_b64 exec, exec, s[12:13]
.LBB86_1806:
	s_or_b64 exec, exec, s[8:9]
	global_store_byte v[4:5], v6, off
.LBB86_1807:
	s_mov_b64 s[8:9], -1
.LBB86_1808:
	s_mov_b64 s[10:11], 0
.LBB86_1809:
	s_and_b64 vcc, exec, s[10:11]
	s_cbranch_vccz .LBB86_1849
; %bb.1810:
	s_cmp_gt_i32 s16, 22
	s_mov_b64 s[6:7], -1
	s_cbranch_scc0 .LBB86_1842
; %bb.1811:
	s_cmp_lt_i32 s16, 24
	s_cbranch_scc1 .LBB86_1831
; %bb.1812:
	s_cmp_gt_i32 s16, 24
	s_cbranch_scc0 .LBB86_1820
; %bb.1813:
	v_cvt_f32_f64_e32 v2, v[0:1]
	s_mov_b32 s6, 0x47800000
	v_mov_b32_e32 v6, 0x80
	v_and_b32_e32 v3, 0x7fffffff, v2
	v_cmp_gt_u32_e32 vcc, s6, v3
	s_and_saveexec_b64 s[6:7], vcc
	s_cbranch_execz .LBB86_1819
; %bb.1814:
	s_mov_b32 s8, 0x37ffffff
	v_cmp_lt_u32_e32 vcc, s8, v3
	s_mov_b64 s[8:9], 0
                                        ; implicit-def: $vgpr3
	s_and_saveexec_b64 s[10:11], vcc
	s_xor_b64 s[10:11], exec, s[10:11]
	s_cbranch_execz .LBB86_2144
; %bb.1815:
	v_bfe_u32 v3, v2, 21, 1
	s_mov_b32 s12, 0x88fffff
	v_add3_u32 v3, v2, v3, s12
	s_mov_b64 s[8:9], exec
	v_lshrrev_b32_e32 v3, 21, v3
	s_andn2_saveexec_b64 s[10:11], s[10:11]
	s_cbranch_execnz .LBB86_2145
.LBB86_1816:
	s_or_b64 exec, exec, s[10:11]
	v_mov_b32_e32 v6, 0
	s_and_saveexec_b64 s[10:11], s[8:9]
.LBB86_1817:
	v_lshrrev_b32_e32 v2, 24, v2
	s_movk_i32 s8, 0x80
	v_and_or_b32 v6, v2, s8, v3
.LBB86_1818:
	s_or_b64 exec, exec, s[10:11]
.LBB86_1819:
	s_or_b64 exec, exec, s[6:7]
	s_mov_b64 s[6:7], 0
	global_store_byte v[4:5], v6, off
.LBB86_1820:
	s_and_b64 vcc, exec, s[6:7]
	s_cbranch_vccz .LBB86_1830
; %bb.1821:
	v_cvt_f32_f64_e32 v2, v[0:1]
	s_mov_b32 s6, 0x43f00000
                                        ; implicit-def: $vgpr3
	v_and_b32_e32 v6, 0x7fffffff, v2
	v_cmp_gt_u32_e32 vcc, s6, v6
	s_and_saveexec_b64 s[6:7], vcc
	s_xor_b64 s[6:7], exec, s[6:7]
	s_cbranch_execz .LBB86_1827
; %bb.1822:
	s_mov_b32 s8, 0x3c7fffff
	v_cmp_lt_u32_e32 vcc, s8, v6
                                        ; implicit-def: $vgpr3
	s_and_saveexec_b64 s[8:9], vcc
	s_xor_b64 s[8:9], exec, s[8:9]
; %bb.1823:
	v_bfe_u32 v3, v2, 20, 1
	s_mov_b32 s10, 0x407ffff
	v_add3_u32 v3, v2, v3, s10
	v_lshrrev_b32_e32 v6, 20, v3
	v_and_b32_e32 v3, 0xff00000, v3
	s_mov_b32 s10, 0x7f00000
	v_mov_b32_e32 v7, 0x7e
	v_cmp_ne_u32_e32 vcc, s10, v3
	v_cndmask_b32_e32 v3, v7, v6, vcc
; %bb.1824:
	s_andn2_saveexec_b64 s[8:9], s[8:9]
; %bb.1825:
	s_mov_b32 s10, 0x46800000
	v_add_f32_e64 v3, |v2|, s10
; %bb.1826:
	s_or_b64 exec, exec, s[8:9]
                                        ; implicit-def: $vgpr6
.LBB86_1827:
	s_andn2_saveexec_b64 s[6:7], s[6:7]
; %bb.1828:
	s_mov_b32 s8, 0x7f800000
	v_mov_b32_e32 v3, 0x7e
	v_mov_b32_e32 v7, 0x7f
	v_cmp_lt_u32_e32 vcc, s8, v6
	v_cndmask_b32_e32 v3, v3, v7, vcc
; %bb.1829:
	s_or_b64 exec, exec, s[6:7]
	v_lshrrev_b32_e32 v2, 24, v2
	s_movk_i32 s6, 0x80
	v_and_or_b32 v2, v2, s6, v3
	global_store_byte v[4:5], v2, off
.LBB86_1830:
	s_mov_b64 s[6:7], 0
.LBB86_1831:
	s_andn2_b64 vcc, exec, s[6:7]
	s_cbranch_vccnz .LBB86_1841
; %bb.1832:
	v_cvt_f32_f64_e32 v2, v[0:1]
	s_mov_b32 s6, 0x47800000
                                        ; implicit-def: $vgpr3
	v_and_b32_e32 v6, 0x7fffffff, v2
	v_cmp_gt_u32_e32 vcc, s6, v6
	s_and_saveexec_b64 s[6:7], vcc
	s_xor_b64 s[6:7], exec, s[6:7]
	s_cbranch_execz .LBB86_1838
; %bb.1833:
	s_mov_b32 s8, 0x387fffff
	v_cmp_lt_u32_e32 vcc, s8, v6
                                        ; implicit-def: $vgpr3
	s_and_saveexec_b64 s[8:9], vcc
	s_xor_b64 s[8:9], exec, s[8:9]
; %bb.1834:
	v_bfe_u32 v3, v2, 21, 1
	s_mov_b32 s10, 0x80fffff
	v_add3_u32 v3, v2, v3, s10
	v_lshrrev_b32_e32 v3, 21, v3
; %bb.1835:
	s_andn2_saveexec_b64 s[8:9], s[8:9]
; %bb.1836:
	s_mov_b32 s10, 0x43000000
	v_add_f32_e64 v3, |v2|, s10
; %bb.1837:
	s_or_b64 exec, exec, s[8:9]
                                        ; implicit-def: $vgpr6
.LBB86_1838:
	s_andn2_saveexec_b64 s[6:7], s[6:7]
; %bb.1839:
	s_mov_b32 s8, 0x7f800000
	v_mov_b32_e32 v3, 0x7c
	v_mov_b32_e32 v7, 0x7f
	v_cmp_lt_u32_e32 vcc, s8, v6
	v_cndmask_b32_e32 v3, v3, v7, vcc
; %bb.1840:
	s_or_b64 exec, exec, s[6:7]
	v_lshrrev_b32_e32 v2, 24, v2
	s_movk_i32 s6, 0x80
	v_and_or_b32 v2, v2, s6, v3
	global_store_byte v[4:5], v2, off
.LBB86_1841:
	s_mov_b64 s[6:7], 0
	s_mov_b64 s[8:9], -1
.LBB86_1842:
	s_andn2_b64 vcc, exec, s[6:7]
	s_mov_b64 s[6:7], 0
	s_cbranch_vccnz .LBB86_1849
; %bb.1843:
	s_cmp_gt_i32 s16, 14
	s_mov_b64 s[10:11], -1
	s_cbranch_scc0 .LBB86_1847
; %bb.1844:
	s_cmp_eq_u32 s16, 15
	s_mov_b64 s[4:5], -1
	s_cbranch_scc0 .LBB86_1846
; %bb.1845:
	v_cvt_f32_f64_e32 v2, v[0:1]
	s_movk_i32 s4, 0x7fff
	v_mov_b32_e32 v3, 0x7fc0
	s_mov_b64 s[8:9], -1
	v_bfe_u32 v6, v2, 16, 1
	v_cmp_o_f32_e32 vcc, v2, v2
	v_add3_u32 v2, v2, v6, s4
	v_cndmask_b32_sdwa v2, v3, v2, vcc dst_sel:DWORD dst_unused:UNUSED_PAD src0_sel:DWORD src1_sel:WORD_1
	global_store_short v[4:5], v2, off
	s_mov_b64 s[4:5], 0
.LBB86_1846:
	s_mov_b64 s[10:11], 0
.LBB86_1847:
	s_and_b64 vcc, exec, s[10:11]
	s_cbranch_vccz .LBB86_1849
; %bb.1848:
	s_cmp_lg_u32 s16, 11
	s_mov_b64 s[6:7], -1
	s_cselect_b64 s[4:5], -1, 0
.LBB86_1849:
	s_and_b64 vcc, exec, s[4:5]
	s_cbranch_vccnz .LBB86_2143
; %bb.1850:
	s_andn2_b64 vcc, exec, s[6:7]
	s_cbranch_vccnz .LBB86_1852
.LBB86_1851:
	v_cmp_neq_f64_e32 vcc, 0, v[0:1]
	s_mov_b64 s[8:9], -1
	v_cndmask_b32_e64 v2, 0, 1, vcc
	global_store_byte v[4:5], v2, off
.LBB86_1852:
	s_mov_b64 s[4:5], 0
	s_branch .LBB86_1854
.LBB86_1853:
	s_mov_b64 s[4:5], -1
	s_mov_b64 s[8:9], 0
	s_mov_b64 s[18:19], s[86:87]
.LBB86_1854:
	s_and_b64 vcc, exec, s[4:5]
	s_cbranch_vccz .LBB86_1893
; %bb.1855:
	s_cmp_lt_i32 s16, 5
	s_mov_b64 s[4:5], -1
	s_cbranch_scc1 .LBB86_1876
; %bb.1856:
	s_cmp_lt_i32 s16, 8
	s_cbranch_scc1 .LBB86_1866
; %bb.1857:
	s_cmp_lt_i32 s16, 9
	s_cbranch_scc1 .LBB86_1863
; %bb.1858:
	s_cmp_gt_i32 s16, 9
	s_cbranch_scc0 .LBB86_1860
; %bb.1859:
	v_mov_b32_e32 v2, 0
	v_mov_b32_e32 v3, v2
	global_store_dwordx4 v[4:5], v[0:3], off
	s_mov_b64 s[4:5], 0
.LBB86_1860:
	s_andn2_b64 vcc, exec, s[4:5]
	s_cbranch_vccnz .LBB86_1862
; %bb.1861:
	v_cvt_f32_f64_e32 v2, v[0:1]
	v_mov_b32_e32 v3, 0
	global_store_dwordx2 v[4:5], v[2:3], off
.LBB86_1862:
	s_mov_b64 s[4:5], 0
.LBB86_1863:
	s_andn2_b64 vcc, exec, s[4:5]
	s_cbranch_vccnz .LBB86_1865
; %bb.1864:
	s_movk_i32 s4, 0x1ff
	v_and_or_b32 v2, v1, s4, v0
	v_cmp_ne_u32_e32 vcc, 0, v2
	v_cndmask_b32_e64 v2, 0, 1, vcc
	v_lshrrev_b32_e32 v3, 8, v1
	s_movk_i32 s4, 0xffe
	v_bfe_u32 v6, v1, 20, 11
	v_and_or_b32 v2, v3, s4, v2
	v_sub_u32_e32 v7, 0x3f1, v6
	v_or_b32_e32 v3, 0x1000, v2
	v_med3_i32 v7, v7, 0, 13
	v_lshrrev_b32_e32 v8, v7, v3
	v_lshlrev_b32_e32 v7, v7, v8
	v_cmp_ne_u32_e32 vcc, v7, v3
	v_cndmask_b32_e64 v3, 0, 1, vcc
	v_add_u32_e32 v6, 0xfffffc10, v6
	v_or_b32_e32 v3, v8, v3
	v_lshl_or_b32 v7, v6, 12, v2
	v_cmp_gt_i32_e32 vcc, 1, v6
	v_cndmask_b32_e32 v3, v7, v3, vcc
	v_and_b32_e32 v7, 7, v3
	v_cmp_lt_i32_e32 vcc, 5, v7
	v_cndmask_b32_e64 v8, 0, 1, vcc
	v_cmp_eq_u32_e32 vcc, 3, v7
	v_cndmask_b32_e64 v7, 0, 1, vcc
	v_or_b32_e32 v7, v7, v8
	v_lshrrev_b32_e32 v3, 2, v3
	v_add_u32_e32 v3, v3, v7
	v_mov_b32_e32 v7, 0x7c00
	v_cmp_gt_i32_e32 vcc, 31, v6
	v_cndmask_b32_e32 v3, v7, v3, vcc
	v_mov_b32_e32 v8, 0x7e00
	v_cmp_ne_u32_e32 vcc, 0, v2
	s_movk_i32 s4, 0x40f
	v_cndmask_b32_e32 v2, v7, v8, vcc
	v_cmp_eq_u32_e32 vcc, s4, v6
	v_cndmask_b32_e32 v2, v3, v2, vcc
	v_lshrrev_b32_e32 v3, 16, v1
	s_mov_b32 s4, 0x8000
	v_and_or_b32 v2, v3, s4, v2
	v_and_b32_e32 v2, 0xffff, v2
	global_store_dword v[4:5], v2, off
.LBB86_1865:
	s_mov_b64 s[4:5], 0
.LBB86_1866:
	s_andn2_b64 vcc, exec, s[4:5]
	s_cbranch_vccnz .LBB86_1875
; %bb.1867:
	s_cmp_lt_i32 s16, 6
	s_mov_b64 s[4:5], -1
	s_cbranch_scc1 .LBB86_1873
; %bb.1868:
	s_cmp_gt_i32 s16, 6
	s_cbranch_scc0 .LBB86_1870
; %bb.1869:
	global_store_dwordx2 v[4:5], v[0:1], off
	s_mov_b64 s[4:5], 0
.LBB86_1870:
	s_andn2_b64 vcc, exec, s[4:5]
	s_cbranch_vccnz .LBB86_1872
; %bb.1871:
	v_cvt_f32_f64_e32 v2, v[0:1]
	global_store_dword v[4:5], v2, off
.LBB86_1872:
	s_mov_b64 s[4:5], 0
.LBB86_1873:
	s_andn2_b64 vcc, exec, s[4:5]
	s_cbranch_vccnz .LBB86_1875
; %bb.1874:
	s_movk_i32 s4, 0x1ff
	v_and_or_b32 v2, v1, s4, v0
	v_cmp_ne_u32_e32 vcc, 0, v2
	v_cndmask_b32_e64 v2, 0, 1, vcc
	v_lshrrev_b32_e32 v3, 8, v1
	s_movk_i32 s4, 0xffe
	v_bfe_u32 v6, v1, 20, 11
	v_and_or_b32 v2, v3, s4, v2
	v_sub_u32_e32 v7, 0x3f1, v6
	v_or_b32_e32 v3, 0x1000, v2
	v_med3_i32 v7, v7, 0, 13
	v_lshrrev_b32_e32 v8, v7, v3
	v_lshlrev_b32_e32 v7, v7, v8
	v_cmp_ne_u32_e32 vcc, v7, v3
	v_cndmask_b32_e64 v3, 0, 1, vcc
	v_add_u32_e32 v6, 0xfffffc10, v6
	v_or_b32_e32 v3, v8, v3
	v_lshl_or_b32 v7, v6, 12, v2
	v_cmp_gt_i32_e32 vcc, 1, v6
	v_cndmask_b32_e32 v3, v7, v3, vcc
	v_and_b32_e32 v7, 7, v3
	v_cmp_lt_i32_e32 vcc, 5, v7
	v_cndmask_b32_e64 v8, 0, 1, vcc
	v_cmp_eq_u32_e32 vcc, 3, v7
	v_cndmask_b32_e64 v7, 0, 1, vcc
	v_or_b32_e32 v7, v7, v8
	v_lshrrev_b32_e32 v3, 2, v3
	v_add_u32_e32 v3, v3, v7
	v_mov_b32_e32 v7, 0x7c00
	v_cmp_gt_i32_e32 vcc, 31, v6
	v_cndmask_b32_e32 v3, v7, v3, vcc
	v_mov_b32_e32 v8, 0x7e00
	v_cmp_ne_u32_e32 vcc, 0, v2
	s_movk_i32 s4, 0x40f
	v_cndmask_b32_e32 v2, v7, v8, vcc
	v_cmp_eq_u32_e32 vcc, s4, v6
	v_cndmask_b32_e32 v2, v3, v2, vcc
	v_lshrrev_b32_e32 v3, 16, v1
	s_mov_b32 s4, 0x8000
	v_and_or_b32 v2, v3, s4, v2
	global_store_short v[4:5], v2, off
.LBB86_1875:
	s_mov_b64 s[4:5], 0
.LBB86_1876:
	s_andn2_b64 vcc, exec, s[4:5]
	s_cbranch_vccnz .LBB86_1892
; %bb.1877:
	s_cmp_lt_i32 s16, 2
	s_mov_b64 s[4:5], -1
	s_cbranch_scc1 .LBB86_1887
; %bb.1878:
	s_cmp_lt_i32 s16, 3
	s_cbranch_scc1 .LBB86_1884
; %bb.1879:
	s_cmp_gt_i32 s16, 3
	s_cbranch_scc0 .LBB86_1881
; %bb.1880:
	v_trunc_f64_e32 v[2:3], v[0:1]
	s_movk_i32 s4, 0xffe0
	v_ldexp_f64 v[6:7], v[2:3], s4
	s_mov_b32 s4, 0
	s_mov_b32 s5, 0xc1f00000
	v_floor_f64_e32 v[6:7], v[6:7]
	v_fma_f64 v[2:3], v[6:7], s[4:5], v[2:3]
	v_cvt_i32_f64_e32 v7, v[6:7]
	s_mov_b64 s[4:5], 0
	v_cvt_u32_f64_e32 v6, v[2:3]
	global_store_dwordx2 v[4:5], v[6:7], off
.LBB86_1881:
	s_andn2_b64 vcc, exec, s[4:5]
	s_cbranch_vccnz .LBB86_1883
; %bb.1882:
	v_cvt_i32_f64_e32 v2, v[0:1]
	global_store_dword v[4:5], v2, off
.LBB86_1883:
	s_mov_b64 s[4:5], 0
.LBB86_1884:
	s_andn2_b64 vcc, exec, s[4:5]
	s_cbranch_vccnz .LBB86_1886
; %bb.1885:
	v_cvt_i32_f64_e32 v2, v[0:1]
	global_store_short v[4:5], v2, off
.LBB86_1886:
	s_mov_b64 s[4:5], 0
.LBB86_1887:
	s_andn2_b64 vcc, exec, s[4:5]
	s_cbranch_vccnz .LBB86_1892
; %bb.1888:
	s_cmp_gt_i32 s16, 0
	s_mov_b64 s[4:5], -1
	s_cbranch_scc0 .LBB86_1890
; %bb.1889:
	v_cvt_i32_f64_e32 v2, v[0:1]
	s_mov_b64 s[4:5], 0
	global_store_byte v[4:5], v2, off
.LBB86_1890:
	s_andn2_b64 vcc, exec, s[4:5]
	s_cbranch_vccnz .LBB86_1892
; %bb.1891:
	v_trunc_f64_e32 v[0:1], v[0:1]
	s_movk_i32 s4, 0xffe0
	v_ldexp_f64 v[2:3], v[0:1], s4
	s_mov_b32 s4, 0
	s_mov_b32 s5, 0xc1f00000
	v_floor_f64_e32 v[2:3], v[2:3]
	v_fma_f64 v[0:1], v[2:3], s[4:5], v[0:1]
	v_cvt_u32_f64_e32 v0, v[0:1]
	global_store_byte v[4:5], v0, off
.LBB86_1892:
	s_mov_b64 s[8:9], -1
.LBB86_1893:
	s_andn2_b64 vcc, exec, s[8:9]
	s_cbranch_vccnz .LBB86_2089
; %bb.1894:
	v_writelane_b32 v47, s18, 19
	v_writelane_b32 v47, s19, 20
	v_readlane_b32 s6, v47, 22
	v_readlane_b32 s7, v47, 23
	s_getpc_b64 s[4:5]
	s_add_u32 s4, s4, _ZZZZN2at6native21polygamma_kernel_cudaERNS_18TensorIteratorBaseElENKUlvE_clEvENKUlvE_clEvENKUldE_clEd@rel32@lo+4
	s_addc_u32 s5, s5, _ZZZZN2at6native21polygamma_kernel_cudaERNS_18TensorIteratorBaseElENKUlvE_clEvENKUlvE_clEvENKUldE_clEd@rel32@hi+12
	v_mov_b32_e32 v0, s6
	v_mov_b32_e32 v1, s7
	;; [unrolled: 1-line block ×4, first 2 shown]
	s_mov_b32 s86, s16
	s_swappc_b64 s[30:31], s[4:5]
	v_readlane_b32 s16, v47, 24
	v_readlane_b32 s17, v47, 25
	v_mov_b32_e32 v2, s17
	v_add_co_u32_e32 v4, vcc, s16, v52
	s_mov_b32 s20, s86
	s_cmp_lt_i32 s86, 11
	v_addc_co_u32_e32 v5, vcc, 0, v2, vcc
	v_readlane_b32 s18, v47, 26
	v_readlane_b32 s19, v47, 27
	s_cbranch_scc1 .LBB86_1972
; %bb.1895:
	v_readlane_b32 s18, v47, 19
	s_mov_b64 s[10:11], -1
	s_mov_b64 s[6:7], 0
	s_cmp_gt_i32 s20, 25
	s_mov_b64 s[8:9], 0
	s_mov_b64 s[4:5], 0
	v_readlane_b32 s19, v47, 20
	s_cbranch_scc0 .LBB86_1928
; %bb.1896:
	s_cmp_gt_i32 s20, 28
	s_cbranch_scc0 .LBB86_1911
; %bb.1897:
	s_cmp_gt_i32 s20, 43
	;; [unrolled: 3-line block ×3, first 2 shown]
	s_cbranch_scc0 .LBB86_1901
; %bb.1899:
	s_mov_b64 s[4:5], -1
	s_mov_b64 s[10:11], 0
	s_cmp_eq_u32 s20, 46
	s_cbranch_scc0 .LBB86_1901
; %bb.1900:
	v_cvt_f32_f64_e32 v2, v[0:1]
	s_movk_i32 s4, 0x7fff
	v_mov_b32_e32 v3, 0x7fc0
	s_mov_b64 s[8:9], -1
	v_bfe_u32 v6, v2, 16, 1
	v_cmp_o_f32_e32 vcc, v2, v2
	v_add3_u32 v2, v2, v6, s4
	v_cndmask_b32_sdwa v2, v3, v2, vcc dst_sel:DWORD dst_unused:UNUSED_PAD src0_sel:DWORD src1_sel:WORD_1
	global_store_dword v[4:5], v2, off
	s_mov_b64 s[4:5], 0
.LBB86_1901:
	s_and_b64 vcc, exec, s[10:11]
	s_cbranch_vccz .LBB86_1906
; %bb.1902:
	s_cmp_eq_u32 s20, 44
	s_mov_b64 s[4:5], -1
	s_cbranch_scc0 .LBB86_1906
; %bb.1903:
	v_cvt_f32_f64_e32 v2, v[0:1]
	s_movk_i32 s4, 0xff
	v_mov_b32_e32 v6, 0xff
	v_bfe_u32 v3, v2, 23, 8
	v_cmp_ne_u32_e32 vcc, s4, v3
	s_and_saveexec_b64 s[8:9], vcc
; %bb.1904:
	s_mov_b32 s4, 0x3fffff
	v_lshrrev_b32_e32 v6, 23, v2
	v_and_b32_e32 v7, 0x400000, v2
	v_and_or_b32 v2, v2, s4, v3
	v_cmp_ne_u32_e32 vcc, 0, v7
	v_cmp_ne_u32_e64 s[4:5], 0, v2
	s_and_b64 s[4:5], vcc, s[4:5]
	v_cndmask_b32_e64 v2, 0, 1, s[4:5]
	v_add_u32_e32 v6, v6, v2
; %bb.1905:
	s_or_b64 exec, exec, s[8:9]
	s_mov_b64 s[4:5], 0
	s_mov_b64 s[8:9], -1
	global_store_byte v[4:5], v6, off
.LBB86_1906:
	s_mov_b64 s[10:11], 0
.LBB86_1907:
	s_and_b64 vcc, exec, s[10:11]
	s_cbranch_vccz .LBB86_1910
; %bb.1908:
	s_cmp_eq_u32 s20, 29
	s_mov_b64 s[4:5], -1
	s_cbranch_scc0 .LBB86_1910
; %bb.1909:
	v_trunc_f64_e32 v[2:3], v[0:1]
	s_movk_i32 s4, 0xffe0
	s_mov_b64 s[8:9], -1
	v_ldexp_f64 v[6:7], v[2:3], s4
	s_mov_b32 s4, 0
	s_mov_b32 s5, 0xc1f00000
	v_floor_f64_e32 v[6:7], v[6:7]
	v_fma_f64 v[2:3], v[6:7], s[4:5], v[2:3]
	v_cvt_u32_f64_e32 v7, v[6:7]
	s_mov_b64 s[4:5], 0
	v_cvt_u32_f64_e32 v6, v[2:3]
	global_store_dwordx2 v[4:5], v[6:7], off
.LBB86_1910:
	s_mov_b64 s[10:11], 0
.LBB86_1911:
	s_and_b64 vcc, exec, s[10:11]
	s_cbranch_vccz .LBB86_1927
; %bb.1912:
	s_cmp_lt_i32 s20, 27
	s_mov_b64 s[8:9], -1
	s_cbranch_scc1 .LBB86_1918
; %bb.1913:
	v_cvt_u32_f64_e32 v2, v[0:1]
	s_cmp_gt_i32 s20, 27
	s_cbranch_scc0 .LBB86_1915
; %bb.1914:
	s_mov_b64 s[8:9], 0
	global_store_dword v[4:5], v2, off
.LBB86_1915:
	s_andn2_b64 vcc, exec, s[8:9]
	s_cbranch_vccnz .LBB86_1917
; %bb.1916:
	global_store_short v[4:5], v2, off
.LBB86_1917:
	s_mov_b64 s[8:9], 0
.LBB86_1918:
	s_andn2_b64 vcc, exec, s[8:9]
	s_cbranch_vccnz .LBB86_1926
; %bb.1919:
	v_cvt_f32_f64_e32 v2, v[0:1]
	s_mov_b32 s8, 0x43800000
	v_mov_b32_e32 v6, 0x80
	v_and_b32_e32 v3, 0x7fffffff, v2
	v_cmp_gt_u32_e32 vcc, s8, v3
	s_and_saveexec_b64 s[8:9], vcc
	s_cbranch_execz .LBB86_1925
; %bb.1920:
	s_mov_b32 s10, 0x3bffffff
	v_cmp_lt_u32_e32 vcc, s10, v3
	s_mov_b64 s[10:11], 0
                                        ; implicit-def: $vgpr3
	s_and_saveexec_b64 s[12:13], vcc
	s_xor_b64 s[12:13], exec, s[12:13]
	s_cbranch_execz .LBB86_2146
; %bb.1921:
	v_bfe_u32 v3, v2, 20, 1
	s_mov_b32 s14, 0x487ffff
	v_add3_u32 v3, v2, v3, s14
	s_mov_b64 s[10:11], exec
	v_lshrrev_b32_e32 v3, 20, v3
	s_andn2_saveexec_b64 s[12:13], s[12:13]
	s_cbranch_execnz .LBB86_2147
.LBB86_1922:
	s_or_b64 exec, exec, s[12:13]
	v_mov_b32_e32 v6, 0
	s_and_saveexec_b64 s[12:13], s[10:11]
.LBB86_1923:
	v_lshrrev_b32_e32 v2, 24, v2
	s_movk_i32 s10, 0x80
	v_and_or_b32 v6, v2, s10, v3
.LBB86_1924:
	s_or_b64 exec, exec, s[12:13]
.LBB86_1925:
	s_or_b64 exec, exec, s[8:9]
	global_store_byte v[4:5], v6, off
.LBB86_1926:
	s_mov_b64 s[8:9], -1
.LBB86_1927:
	s_mov_b64 s[10:11], 0
.LBB86_1928:
	s_and_b64 vcc, exec, s[10:11]
	s_cbranch_vccz .LBB86_1968
; %bb.1929:
	s_cmp_gt_i32 s20, 22
	s_mov_b64 s[6:7], -1
	s_cbranch_scc0 .LBB86_1961
; %bb.1930:
	s_cmp_lt_i32 s20, 24
	s_cbranch_scc1 .LBB86_1950
; %bb.1931:
	s_cmp_gt_i32 s20, 24
	s_cbranch_scc0 .LBB86_1939
; %bb.1932:
	v_cvt_f32_f64_e32 v2, v[0:1]
	s_mov_b32 s6, 0x47800000
	v_mov_b32_e32 v6, 0x80
	v_and_b32_e32 v3, 0x7fffffff, v2
	v_cmp_gt_u32_e32 vcc, s6, v3
	s_and_saveexec_b64 s[6:7], vcc
	s_cbranch_execz .LBB86_1938
; %bb.1933:
	s_mov_b32 s8, 0x37ffffff
	v_cmp_lt_u32_e32 vcc, s8, v3
	s_mov_b64 s[8:9], 0
                                        ; implicit-def: $vgpr3
	s_and_saveexec_b64 s[10:11], vcc
	s_xor_b64 s[10:11], exec, s[10:11]
	s_cbranch_execz .LBB86_2149
; %bb.1934:
	v_bfe_u32 v3, v2, 21, 1
	s_mov_b32 s12, 0x88fffff
	v_add3_u32 v3, v2, v3, s12
	s_mov_b64 s[8:9], exec
	v_lshrrev_b32_e32 v3, 21, v3
	s_andn2_saveexec_b64 s[10:11], s[10:11]
	s_cbranch_execnz .LBB86_2150
.LBB86_1935:
	s_or_b64 exec, exec, s[10:11]
	v_mov_b32_e32 v6, 0
	s_and_saveexec_b64 s[10:11], s[8:9]
.LBB86_1936:
	v_lshrrev_b32_e32 v2, 24, v2
	s_movk_i32 s8, 0x80
	v_and_or_b32 v6, v2, s8, v3
.LBB86_1937:
	s_or_b64 exec, exec, s[10:11]
	v_readlane_b32 s18, v47, 19
	v_readlane_b32 s19, v47, 20
	;; [unrolled: 1-line block ×3, first 2 shown]
	s_mov_b32 s20, s86
	v_readlane_b32 s9, v47, 25
	v_readlane_b32 s10, v47, 26
	;; [unrolled: 1-line block ×3, first 2 shown]
.LBB86_1938:
	s_or_b64 exec, exec, s[6:7]
	s_mov_b64 s[6:7], 0
	global_store_byte v[4:5], v6, off
.LBB86_1939:
	s_and_b64 vcc, exec, s[6:7]
	s_cbranch_vccz .LBB86_1949
; %bb.1940:
	v_cvt_f32_f64_e32 v2, v[0:1]
	s_mov_b32 s6, 0x43f00000
                                        ; implicit-def: $vgpr3
	v_and_b32_e32 v6, 0x7fffffff, v2
	v_cmp_gt_u32_e32 vcc, s6, v6
	s_and_saveexec_b64 s[6:7], vcc
	s_xor_b64 s[6:7], exec, s[6:7]
	s_cbranch_execz .LBB86_1946
; %bb.1941:
	s_mov_b32 s8, 0x3c7fffff
	v_cmp_lt_u32_e32 vcc, s8, v6
                                        ; implicit-def: $vgpr3
	s_and_saveexec_b64 s[8:9], vcc
	s_xor_b64 s[8:9], exec, s[8:9]
; %bb.1942:
	v_bfe_u32 v3, v2, 20, 1
	s_mov_b32 s10, 0x407ffff
	v_add3_u32 v3, v2, v3, s10
	v_lshrrev_b32_e32 v6, 20, v3
	v_and_b32_e32 v3, 0xff00000, v3
	s_mov_b32 s10, 0x7f00000
	v_mov_b32_e32 v7, 0x7e
	v_cmp_ne_u32_e32 vcc, s10, v3
	v_cndmask_b32_e32 v3, v7, v6, vcc
; %bb.1943:
	s_andn2_saveexec_b64 s[8:9], s[8:9]
; %bb.1944:
	s_mov_b32 s10, 0x46800000
	v_add_f32_e64 v3, |v2|, s10
; %bb.1945:
	s_or_b64 exec, exec, s[8:9]
	v_readlane_b32 s18, v47, 19
	v_readlane_b32 s8, v47, 24
                                        ; implicit-def: $vgpr6
	v_readlane_b32 s19, v47, 20
	v_readlane_b32 s9, v47, 25
	;; [unrolled: 1-line block ×4, first 2 shown]
	s_mov_b32 s20, s86
.LBB86_1946:
	s_andn2_saveexec_b64 s[6:7], s[6:7]
; %bb.1947:
	s_mov_b32 s8, 0x7f800000
	v_mov_b32_e32 v3, 0x7e
	v_mov_b32_e32 v7, 0x7f
	v_cmp_lt_u32_e32 vcc, s8, v6
	v_cndmask_b32_e32 v3, v3, v7, vcc
; %bb.1948:
	s_or_b64 exec, exec, s[6:7]
	v_lshrrev_b32_e32 v2, 24, v2
	s_movk_i32 s6, 0x80
	v_and_or_b32 v2, v2, s6, v3
	global_store_byte v[4:5], v2, off
.LBB86_1949:
	s_mov_b64 s[6:7], 0
.LBB86_1950:
	s_andn2_b64 vcc, exec, s[6:7]
	s_cbranch_vccnz .LBB86_1960
; %bb.1951:
	v_cvt_f32_f64_e32 v2, v[0:1]
	s_mov_b32 s6, 0x47800000
                                        ; implicit-def: $vgpr3
	v_and_b32_e32 v6, 0x7fffffff, v2
	v_cmp_gt_u32_e32 vcc, s6, v6
	s_and_saveexec_b64 s[6:7], vcc
	s_xor_b64 s[6:7], exec, s[6:7]
	s_cbranch_execz .LBB86_1957
; %bb.1952:
	s_mov_b32 s8, 0x387fffff
	v_cmp_lt_u32_e32 vcc, s8, v6
                                        ; implicit-def: $vgpr3
	s_and_saveexec_b64 s[8:9], vcc
	s_xor_b64 s[8:9], exec, s[8:9]
; %bb.1953:
	v_bfe_u32 v3, v2, 21, 1
	s_mov_b32 s10, 0x80fffff
	v_add3_u32 v3, v2, v3, s10
	v_lshrrev_b32_e32 v3, 21, v3
; %bb.1954:
	s_andn2_saveexec_b64 s[8:9], s[8:9]
; %bb.1955:
	s_mov_b32 s10, 0x43000000
	v_add_f32_e64 v3, |v2|, s10
; %bb.1956:
	s_or_b64 exec, exec, s[8:9]
                                        ; implicit-def: $vgpr6
.LBB86_1957:
	s_andn2_saveexec_b64 s[6:7], s[6:7]
; %bb.1958:
	s_mov_b32 s8, 0x7f800000
	v_mov_b32_e32 v3, 0x7c
	v_mov_b32_e32 v7, 0x7f
	v_cmp_lt_u32_e32 vcc, s8, v6
	v_cndmask_b32_e32 v3, v3, v7, vcc
; %bb.1959:
	s_or_b64 exec, exec, s[6:7]
	v_lshrrev_b32_e32 v2, 24, v2
	s_movk_i32 s6, 0x80
	v_and_or_b32 v2, v2, s6, v3
	global_store_byte v[4:5], v2, off
.LBB86_1960:
	s_mov_b64 s[6:7], 0
	s_mov_b64 s[8:9], -1
.LBB86_1961:
	s_andn2_b64 vcc, exec, s[6:7]
	s_mov_b64 s[6:7], 0
	s_cbranch_vccnz .LBB86_1968
; %bb.1962:
	s_cmp_gt_i32 s20, 14
	s_mov_b64 s[10:11], -1
	s_cbranch_scc0 .LBB86_1966
; %bb.1963:
	s_cmp_eq_u32 s20, 15
	s_mov_b64 s[4:5], -1
	s_cbranch_scc0 .LBB86_1965
; %bb.1964:
	v_cvt_f32_f64_e32 v2, v[0:1]
	s_movk_i32 s4, 0x7fff
	v_mov_b32_e32 v3, 0x7fc0
	s_mov_b64 s[8:9], -1
	v_bfe_u32 v6, v2, 16, 1
	v_cmp_o_f32_e32 vcc, v2, v2
	v_add3_u32 v2, v2, v6, s4
	v_cndmask_b32_sdwa v2, v3, v2, vcc dst_sel:DWORD dst_unused:UNUSED_PAD src0_sel:DWORD src1_sel:WORD_1
	global_store_short v[4:5], v2, off
	s_mov_b64 s[4:5], 0
.LBB86_1965:
	s_mov_b64 s[10:11], 0
.LBB86_1966:
	s_and_b64 vcc, exec, s[10:11]
	s_cbranch_vccz .LBB86_1968
; %bb.1967:
	s_cmp_lg_u32 s20, 11
	s_mov_b64 s[6:7], -1
	s_cselect_b64 s[4:5], -1, 0
.LBB86_1968:
	s_and_b64 vcc, exec, s[4:5]
	s_cbranch_vccnz .LBB86_2148
; %bb.1969:
	s_andn2_b64 vcc, exec, s[6:7]
	s_cbranch_vccnz .LBB86_1971
.LBB86_1970:
	v_cmp_neq_f64_e32 vcc, 0, v[0:1]
	s_mov_b64 s[8:9], -1
	v_cndmask_b32_e64 v2, 0, 1, vcc
	global_store_byte v[4:5], v2, off
.LBB86_1971:
	s_mov_b64 s[4:5], 0
	s_branch .LBB86_1973
.LBB86_1972:
	v_readlane_b32 s18, v47, 19
	s_mov_b64 s[4:5], -1
	s_mov_b64 s[8:9], 0
	v_readlane_b32 s19, v47, 20
.LBB86_1973:
	s_and_b64 vcc, exec, s[4:5]
	s_cbranch_vccz .LBB86_2012
; %bb.1974:
	s_cmp_lt_i32 s20, 5
	s_mov_b64 s[4:5], -1
	s_cbranch_scc1 .LBB86_1995
; %bb.1975:
	s_cmp_lt_i32 s20, 8
	s_cbranch_scc1 .LBB86_1985
; %bb.1976:
	s_cmp_lt_i32 s20, 9
	s_cbranch_scc1 .LBB86_1982
; %bb.1977:
	s_cmp_gt_i32 s20, 9
	s_cbranch_scc0 .LBB86_1979
; %bb.1978:
	v_mov_b32_e32 v2, 0
	v_mov_b32_e32 v3, v2
	global_store_dwordx4 v[4:5], v[0:3], off
	s_mov_b64 s[4:5], 0
.LBB86_1979:
	s_andn2_b64 vcc, exec, s[4:5]
	s_cbranch_vccnz .LBB86_1981
; %bb.1980:
	v_cvt_f32_f64_e32 v2, v[0:1]
	v_mov_b32_e32 v3, 0
	global_store_dwordx2 v[4:5], v[2:3], off
.LBB86_1981:
	s_mov_b64 s[4:5], 0
.LBB86_1982:
	s_andn2_b64 vcc, exec, s[4:5]
	s_cbranch_vccnz .LBB86_1984
; %bb.1983:
	s_movk_i32 s4, 0x1ff
	v_and_or_b32 v2, v1, s4, v0
	v_cmp_ne_u32_e32 vcc, 0, v2
	v_cndmask_b32_e64 v2, 0, 1, vcc
	v_lshrrev_b32_e32 v3, 8, v1
	s_movk_i32 s4, 0xffe
	v_bfe_u32 v6, v1, 20, 11
	v_and_or_b32 v2, v3, s4, v2
	v_sub_u32_e32 v7, 0x3f1, v6
	v_or_b32_e32 v3, 0x1000, v2
	v_med3_i32 v7, v7, 0, 13
	v_lshrrev_b32_e32 v8, v7, v3
	v_lshlrev_b32_e32 v7, v7, v8
	v_cmp_ne_u32_e32 vcc, v7, v3
	v_cndmask_b32_e64 v3, 0, 1, vcc
	v_add_u32_e32 v6, 0xfffffc10, v6
	v_or_b32_e32 v3, v8, v3
	v_lshl_or_b32 v7, v6, 12, v2
	v_cmp_gt_i32_e32 vcc, 1, v6
	v_cndmask_b32_e32 v3, v7, v3, vcc
	v_and_b32_e32 v7, 7, v3
	v_cmp_lt_i32_e32 vcc, 5, v7
	v_cndmask_b32_e64 v8, 0, 1, vcc
	v_cmp_eq_u32_e32 vcc, 3, v7
	v_cndmask_b32_e64 v7, 0, 1, vcc
	v_or_b32_e32 v7, v7, v8
	v_lshrrev_b32_e32 v3, 2, v3
	v_add_u32_e32 v3, v3, v7
	v_mov_b32_e32 v7, 0x7c00
	v_cmp_gt_i32_e32 vcc, 31, v6
	v_cndmask_b32_e32 v3, v7, v3, vcc
	v_mov_b32_e32 v8, 0x7e00
	v_cmp_ne_u32_e32 vcc, 0, v2
	s_movk_i32 s4, 0x40f
	v_cndmask_b32_e32 v2, v7, v8, vcc
	v_cmp_eq_u32_e32 vcc, s4, v6
	v_cndmask_b32_e32 v2, v3, v2, vcc
	v_lshrrev_b32_e32 v3, 16, v1
	s_mov_b32 s4, 0x8000
	v_and_or_b32 v2, v3, s4, v2
	v_and_b32_e32 v2, 0xffff, v2
	global_store_dword v[4:5], v2, off
.LBB86_1984:
	s_mov_b64 s[4:5], 0
.LBB86_1985:
	s_andn2_b64 vcc, exec, s[4:5]
	s_cbranch_vccnz .LBB86_1994
; %bb.1986:
	s_cmp_lt_i32 s20, 6
	s_mov_b64 s[4:5], -1
	s_cbranch_scc1 .LBB86_1992
; %bb.1987:
	s_cmp_gt_i32 s20, 6
	s_cbranch_scc0 .LBB86_1989
; %bb.1988:
	global_store_dwordx2 v[4:5], v[0:1], off
	s_mov_b64 s[4:5], 0
.LBB86_1989:
	s_andn2_b64 vcc, exec, s[4:5]
	s_cbranch_vccnz .LBB86_1991
; %bb.1990:
	v_cvt_f32_f64_e32 v2, v[0:1]
	global_store_dword v[4:5], v2, off
.LBB86_1991:
	s_mov_b64 s[4:5], 0
.LBB86_1992:
	s_andn2_b64 vcc, exec, s[4:5]
	s_cbranch_vccnz .LBB86_1994
; %bb.1993:
	s_movk_i32 s4, 0x1ff
	v_and_or_b32 v2, v1, s4, v0
	v_cmp_ne_u32_e32 vcc, 0, v2
	v_cndmask_b32_e64 v2, 0, 1, vcc
	v_lshrrev_b32_e32 v3, 8, v1
	s_movk_i32 s4, 0xffe
	v_bfe_u32 v6, v1, 20, 11
	v_and_or_b32 v2, v3, s4, v2
	v_sub_u32_e32 v7, 0x3f1, v6
	v_or_b32_e32 v3, 0x1000, v2
	v_med3_i32 v7, v7, 0, 13
	v_lshrrev_b32_e32 v8, v7, v3
	v_lshlrev_b32_e32 v7, v7, v8
	v_cmp_ne_u32_e32 vcc, v7, v3
	v_cndmask_b32_e64 v3, 0, 1, vcc
	v_add_u32_e32 v6, 0xfffffc10, v6
	v_or_b32_e32 v3, v8, v3
	v_lshl_or_b32 v7, v6, 12, v2
	v_cmp_gt_i32_e32 vcc, 1, v6
	v_cndmask_b32_e32 v3, v7, v3, vcc
	v_and_b32_e32 v7, 7, v3
	v_cmp_lt_i32_e32 vcc, 5, v7
	v_cndmask_b32_e64 v8, 0, 1, vcc
	v_cmp_eq_u32_e32 vcc, 3, v7
	v_cndmask_b32_e64 v7, 0, 1, vcc
	v_or_b32_e32 v7, v7, v8
	v_lshrrev_b32_e32 v3, 2, v3
	v_add_u32_e32 v3, v3, v7
	v_mov_b32_e32 v7, 0x7c00
	v_cmp_gt_i32_e32 vcc, 31, v6
	v_cndmask_b32_e32 v3, v7, v3, vcc
	v_mov_b32_e32 v8, 0x7e00
	v_cmp_ne_u32_e32 vcc, 0, v2
	s_movk_i32 s4, 0x40f
	v_cndmask_b32_e32 v2, v7, v8, vcc
	v_cmp_eq_u32_e32 vcc, s4, v6
	v_cndmask_b32_e32 v2, v3, v2, vcc
	v_lshrrev_b32_e32 v3, 16, v1
	s_mov_b32 s4, 0x8000
	v_and_or_b32 v2, v3, s4, v2
	global_store_short v[4:5], v2, off
.LBB86_1994:
	s_mov_b64 s[4:5], 0
.LBB86_1995:
	s_andn2_b64 vcc, exec, s[4:5]
	s_cbranch_vccnz .LBB86_2011
; %bb.1996:
	s_cmp_lt_i32 s20, 2
	s_mov_b64 s[4:5], -1
	s_cbranch_scc1 .LBB86_2006
; %bb.1997:
	s_cmp_lt_i32 s20, 3
	s_cbranch_scc1 .LBB86_2003
; %bb.1998:
	s_cmp_gt_i32 s20, 3
	s_cbranch_scc0 .LBB86_2000
; %bb.1999:
	v_trunc_f64_e32 v[2:3], v[0:1]
	s_movk_i32 s4, 0xffe0
	v_ldexp_f64 v[6:7], v[2:3], s4
	s_mov_b32 s4, 0
	s_mov_b32 s5, 0xc1f00000
	v_floor_f64_e32 v[6:7], v[6:7]
	v_fma_f64 v[2:3], v[6:7], s[4:5], v[2:3]
	v_cvt_i32_f64_e32 v7, v[6:7]
	s_mov_b64 s[4:5], 0
	v_cvt_u32_f64_e32 v6, v[2:3]
	global_store_dwordx2 v[4:5], v[6:7], off
.LBB86_2000:
	s_andn2_b64 vcc, exec, s[4:5]
	s_cbranch_vccnz .LBB86_2002
; %bb.2001:
	v_cvt_i32_f64_e32 v2, v[0:1]
	global_store_dword v[4:5], v2, off
.LBB86_2002:
	s_mov_b64 s[4:5], 0
.LBB86_2003:
	s_andn2_b64 vcc, exec, s[4:5]
	s_cbranch_vccnz .LBB86_2005
; %bb.2004:
	v_cvt_i32_f64_e32 v2, v[0:1]
	global_store_short v[4:5], v2, off
.LBB86_2005:
	s_mov_b64 s[4:5], 0
.LBB86_2006:
	s_andn2_b64 vcc, exec, s[4:5]
	s_cbranch_vccnz .LBB86_2011
; %bb.2007:
	s_cmp_gt_i32 s20, 0
	s_mov_b64 s[4:5], -1
	s_cbranch_scc0 .LBB86_2009
; %bb.2008:
	v_cvt_i32_f64_e32 v2, v[0:1]
	s_mov_b64 s[4:5], 0
	global_store_byte v[4:5], v2, off
.LBB86_2009:
	s_andn2_b64 vcc, exec, s[4:5]
	s_cbranch_vccnz .LBB86_2011
; %bb.2010:
	v_trunc_f64_e32 v[0:1], v[0:1]
	s_movk_i32 s4, 0xffe0
	v_ldexp_f64 v[2:3], v[0:1], s4
	s_mov_b32 s4, 0
	s_mov_b32 s5, 0xc1f00000
	v_floor_f64_e32 v[2:3], v[2:3]
	v_fma_f64 v[0:1], v[2:3], s[4:5], v[0:1]
	v_cvt_u32_f64_e32 v0, v[0:1]
	global_store_byte v[4:5], v0, off
.LBB86_2011:
	s_mov_b64 s[8:9], -1
.LBB86_2012:
	s_andn2_b64 vcc, exec, s[8:9]
	s_cbranch_vccnz .LBB86_2089
; %bb.2013:
	v_writelane_b32 v47, s18, 19
	v_writelane_b32 v47, s19, 20
	v_readlane_b32 s6, v47, 22
	v_readlane_b32 s7, v47, 23
	s_getpc_b64 s[4:5]
	s_add_u32 s4, s4, _ZZZZN2at6native21polygamma_kernel_cudaERNS_18TensorIteratorBaseElENKUlvE_clEvENKUlvE_clEvENKUldE_clEd@rel32@lo+4
	s_addc_u32 s5, s5, _ZZZZN2at6native21polygamma_kernel_cudaERNS_18TensorIteratorBaseElENKUlvE_clEvENKUlvE_clEvENKUldE_clEd@rel32@hi+12
	v_mov_b32_e32 v0, s6
	v_mov_b32_e32 v1, s7
	;; [unrolled: 1-line block ×4, first 2 shown]
	s_swappc_b64 s[30:31], s[4:5]
	v_readlane_b32 s4, v47, 24
	v_readlane_b32 s5, v47, 25
	v_mov_b32_e32 v2, s5
	v_add_co_u32_e32 v4, vcc, s4, v50
	s_cmp_lt_i32 s86, 11
	v_addc_co_u32_e32 v5, vcc, 0, v2, vcc
	v_readlane_b32 s6, v47, 26
	v_readlane_b32 s7, v47, 27
	s_cbranch_scc1 .LBB86_2134
; %bb.2014:
	v_readlane_b32 s18, v47, 19
	s_mov_b32 s12, s86
	s_mov_b64 s[8:9], -1
	s_mov_b64 s[6:7], 0
	s_cmp_gt_i32 s86, 25
	s_mov_b64 s[4:5], 0
	v_readlane_b32 s19, v47, 20
	s_cbranch_scc0 .LBB86_2047
; %bb.2015:
	s_cmp_gt_i32 s12, 28
	s_cbranch_scc0 .LBB86_2031
; %bb.2016:
	s_cmp_gt_i32 s12, 43
	;; [unrolled: 3-line block ×3, first 2 shown]
	s_cbranch_scc0 .LBB86_2021
; %bb.2018:
	s_cmp_eq_u32 s12, 46
	s_mov_b64 s[4:5], -1
	s_cbranch_scc0 .LBB86_2020
; %bb.2019:
	v_cvt_f32_f64_e32 v2, v[0:1]
	s_movk_i32 s4, 0x7fff
	v_mov_b32_e32 v3, 0x7fc0
	v_bfe_u32 v6, v2, 16, 1
	v_cmp_o_f32_e32 vcc, v2, v2
	v_add3_u32 v2, v2, v6, s4
	v_cndmask_b32_sdwa v2, v3, v2, vcc dst_sel:DWORD dst_unused:UNUSED_PAD src0_sel:DWORD src1_sel:WORD_1
	global_store_dword v[4:5], v2, off
	s_mov_b64 s[4:5], 0
.LBB86_2020:
	s_mov_b64 s[8:9], 0
.LBB86_2021:
	s_and_b64 vcc, exec, s[8:9]
	s_cbranch_vccz .LBB86_2026
; %bb.2022:
	s_cmp_eq_u32 s12, 44
	s_mov_b64 s[4:5], -1
	s_cbranch_scc0 .LBB86_2026
; %bb.2023:
	v_cvt_f32_f64_e32 v2, v[0:1]
	s_movk_i32 s4, 0xff
	v_mov_b32_e32 v6, 0xff
	v_bfe_u32 v3, v2, 23, 8
	v_cmp_ne_u32_e32 vcc, s4, v3
	s_and_saveexec_b64 s[8:9], vcc
; %bb.2024:
	s_mov_b32 s4, 0x3fffff
	v_lshrrev_b32_e32 v6, 23, v2
	v_and_b32_e32 v7, 0x400000, v2
	v_and_or_b32 v2, v2, s4, v3
	v_cmp_ne_u32_e32 vcc, 0, v7
	v_cmp_ne_u32_e64 s[4:5], 0, v2
	s_and_b64 s[4:5], vcc, s[4:5]
	v_cndmask_b32_e64 v2, 0, 1, s[4:5]
	v_add_u32_e32 v6, v6, v2
; %bb.2025:
	s_or_b64 exec, exec, s[8:9]
	v_readlane_b32 s18, v47, 19
	s_mov_b64 s[4:5], 0
	v_readlane_b32 s19, v47, 20
	s_mov_b32 s12, s86
	global_store_byte v[4:5], v6, off
.LBB86_2026:
	s_mov_b64 s[8:9], 0
.LBB86_2027:
	s_and_b64 vcc, exec, s[8:9]
	s_cbranch_vccz .LBB86_2030
; %bb.2028:
	s_cmp_eq_u32 s12, 29
	s_mov_b64 s[4:5], -1
	s_cbranch_scc0 .LBB86_2030
; %bb.2029:
	v_trunc_f64_e32 v[2:3], v[0:1]
	s_movk_i32 s4, 0xffe0
	v_ldexp_f64 v[6:7], v[2:3], s4
	s_mov_b32 s4, 0
	s_mov_b32 s5, 0xc1f00000
	v_floor_f64_e32 v[6:7], v[6:7]
	v_fma_f64 v[2:3], v[6:7], s[4:5], v[2:3]
	v_cvt_u32_f64_e32 v7, v[6:7]
	s_mov_b64 s[4:5], 0
	v_cvt_u32_f64_e32 v6, v[2:3]
	global_store_dwordx2 v[4:5], v[6:7], off
.LBB86_2030:
	s_mov_b64 s[8:9], 0
.LBB86_2031:
	s_and_b64 vcc, exec, s[8:9]
	s_cbranch_vccz .LBB86_2046
; %bb.2032:
	s_cmp_lt_i32 s12, 27
	s_mov_b64 s[8:9], -1
	s_cbranch_scc1 .LBB86_2038
; %bb.2033:
	s_cmp_gt_i32 s12, 27
	s_cbranch_scc0 .LBB86_2035
; %bb.2034:
	v_cvt_u32_f64_e32 v2, v[0:1]
	s_mov_b64 s[8:9], 0
	global_store_dword v[4:5], v2, off
.LBB86_2035:
	s_andn2_b64 vcc, exec, s[8:9]
	s_cbranch_vccnz .LBB86_2037
; %bb.2036:
	v_cvt_u32_f64_e32 v2, v[0:1]
	global_store_short v[4:5], v2, off
.LBB86_2037:
	s_mov_b64 s[8:9], 0
.LBB86_2038:
	s_andn2_b64 vcc, exec, s[8:9]
	s_cbranch_vccnz .LBB86_2046
; %bb.2039:
	v_cvt_f32_f64_e32 v2, v[0:1]
	s_mov_b32 s8, 0x43800000
	v_mov_b32_e32 v6, 0x80
	v_and_b32_e32 v3, 0x7fffffff, v2
	v_cmp_gt_u32_e32 vcc, s8, v3
	s_and_saveexec_b64 s[8:9], vcc
	s_cbranch_execz .LBB86_2045
; %bb.2040:
	s_mov_b32 s10, 0x3bffffff
	v_cmp_lt_u32_e32 vcc, s10, v3
	s_mov_b64 s[10:11], 0
                                        ; implicit-def: $vgpr3
	s_and_saveexec_b64 s[12:13], vcc
	s_xor_b64 s[12:13], exec, s[12:13]
	s_cbranch_execz .LBB86_2151
; %bb.2041:
	v_bfe_u32 v3, v2, 20, 1
	s_mov_b32 s14, 0x487ffff
	v_add3_u32 v3, v2, v3, s14
	s_mov_b64 s[10:11], exec
	v_lshrrev_b32_e32 v3, 20, v3
	s_andn2_saveexec_b64 s[12:13], s[12:13]
	s_cbranch_execnz .LBB86_2152
.LBB86_2042:
	s_or_b64 exec, exec, s[12:13]
	v_mov_b32_e32 v6, 0
	s_and_saveexec_b64 s[12:13], s[10:11]
.LBB86_2043:
	v_lshrrev_b32_e32 v2, 24, v2
	s_movk_i32 s10, 0x80
	v_and_or_b32 v6, v2, s10, v3
.LBB86_2044:
	s_or_b64 exec, exec, s[12:13]
	v_readlane_b32 s18, v47, 19
	v_readlane_b32 s19, v47, 20
	s_mov_b32 s12, s86
.LBB86_2045:
	s_or_b64 exec, exec, s[8:9]
	global_store_byte v[4:5], v6, off
.LBB86_2046:
	s_mov_b64 s[8:9], 0
.LBB86_2047:
	s_and_b64 vcc, exec, s[8:9]
	s_cbranch_vccz .LBB86_2087
; %bb.2048:
	s_cmp_gt_i32 s12, 22
	s_mov_b64 s[6:7], -1
	s_cbranch_scc0 .LBB86_2080
; %bb.2049:
	s_cmp_lt_i32 s12, 24
	s_cbranch_scc1 .LBB86_2069
; %bb.2050:
	s_cmp_gt_i32 s12, 24
	s_cbranch_scc0 .LBB86_2058
; %bb.2051:
	v_cvt_f32_f64_e32 v2, v[0:1]
	s_mov_b32 s6, 0x47800000
	v_mov_b32_e32 v6, 0x80
	v_and_b32_e32 v3, 0x7fffffff, v2
	v_cmp_gt_u32_e32 vcc, s6, v3
	s_and_saveexec_b64 s[6:7], vcc
	s_cbranch_execz .LBB86_2057
; %bb.2052:
	s_mov_b32 s8, 0x37ffffff
	v_cmp_lt_u32_e32 vcc, s8, v3
	s_mov_b64 s[8:9], 0
                                        ; implicit-def: $vgpr3
	s_and_saveexec_b64 s[10:11], vcc
	s_xor_b64 s[10:11], exec, s[10:11]
	s_cbranch_execz .LBB86_2154
; %bb.2053:
	v_bfe_u32 v3, v2, 21, 1
	s_mov_b32 s12, 0x88fffff
	v_add3_u32 v3, v2, v3, s12
	s_mov_b64 s[8:9], exec
	v_lshrrev_b32_e32 v3, 21, v3
	s_andn2_saveexec_b64 s[10:11], s[10:11]
	s_cbranch_execnz .LBB86_2155
.LBB86_2054:
	s_or_b64 exec, exec, s[10:11]
	v_mov_b32_e32 v6, 0
	s_and_saveexec_b64 s[10:11], s[8:9]
.LBB86_2055:
	v_lshrrev_b32_e32 v2, 24, v2
	s_movk_i32 s8, 0x80
	v_and_or_b32 v6, v2, s8, v3
.LBB86_2056:
	s_or_b64 exec, exec, s[10:11]
	v_readlane_b32 s18, v47, 19
	v_readlane_b32 s19, v47, 20
	s_mov_b32 s12, s86
.LBB86_2057:
	s_or_b64 exec, exec, s[6:7]
	s_mov_b64 s[6:7], 0
	global_store_byte v[4:5], v6, off
.LBB86_2058:
	s_and_b64 vcc, exec, s[6:7]
	s_cbranch_vccz .LBB86_2068
; %bb.2059:
	v_cvt_f32_f64_e32 v2, v[0:1]
	s_mov_b32 s6, 0x43f00000
                                        ; implicit-def: $vgpr3
	v_and_b32_e32 v6, 0x7fffffff, v2
	v_cmp_gt_u32_e32 vcc, s6, v6
	s_and_saveexec_b64 s[6:7], vcc
	s_xor_b64 s[6:7], exec, s[6:7]
	s_cbranch_execz .LBB86_2065
; %bb.2060:
	s_mov_b32 s8, 0x3c7fffff
	v_cmp_lt_u32_e32 vcc, s8, v6
                                        ; implicit-def: $vgpr3
	s_and_saveexec_b64 s[8:9], vcc
	s_xor_b64 s[8:9], exec, s[8:9]
; %bb.2061:
	v_bfe_u32 v3, v2, 20, 1
	s_mov_b32 s10, 0x407ffff
	v_add3_u32 v3, v2, v3, s10
	v_lshrrev_b32_e32 v6, 20, v3
	v_and_b32_e32 v3, 0xff00000, v3
	s_mov_b32 s10, 0x7f00000
	v_mov_b32_e32 v7, 0x7e
	v_cmp_ne_u32_e32 vcc, s10, v3
	v_cndmask_b32_e32 v3, v7, v6, vcc
; %bb.2062:
	s_andn2_saveexec_b64 s[8:9], s[8:9]
; %bb.2063:
	s_mov_b32 s10, 0x46800000
	v_add_f32_e64 v3, |v2|, s10
; %bb.2064:
	s_or_b64 exec, exec, s[8:9]
                                        ; implicit-def: $vgpr6
.LBB86_2065:
	s_andn2_saveexec_b64 s[6:7], s[6:7]
; %bb.2066:
	s_mov_b32 s8, 0x7f800000
	v_mov_b32_e32 v3, 0x7e
	v_mov_b32_e32 v7, 0x7f
	v_cmp_lt_u32_e32 vcc, s8, v6
	v_cndmask_b32_e32 v3, v3, v7, vcc
; %bb.2067:
	s_or_b64 exec, exec, s[6:7]
	v_lshrrev_b32_e32 v2, 24, v2
	s_movk_i32 s6, 0x80
	v_and_or_b32 v2, v2, s6, v3
	v_readlane_b32 s18, v47, 19
	global_store_byte v[4:5], v2, off
	v_readlane_b32 s19, v47, 20
	s_mov_b32 s12, s86
.LBB86_2068:
	s_mov_b64 s[6:7], 0
.LBB86_2069:
	s_andn2_b64 vcc, exec, s[6:7]
	s_cbranch_vccnz .LBB86_2079
; %bb.2070:
	v_cvt_f32_f64_e32 v2, v[0:1]
	s_mov_b32 s6, 0x47800000
                                        ; implicit-def: $vgpr3
	v_and_b32_e32 v6, 0x7fffffff, v2
	v_cmp_gt_u32_e32 vcc, s6, v6
	s_and_saveexec_b64 s[6:7], vcc
	s_xor_b64 s[6:7], exec, s[6:7]
	s_cbranch_execz .LBB86_2076
; %bb.2071:
	s_mov_b32 s8, 0x387fffff
	v_cmp_lt_u32_e32 vcc, s8, v6
                                        ; implicit-def: $vgpr3
	s_and_saveexec_b64 s[8:9], vcc
	s_xor_b64 s[8:9], exec, s[8:9]
; %bb.2072:
	v_bfe_u32 v3, v2, 21, 1
	s_mov_b32 s10, 0x80fffff
	v_add3_u32 v3, v2, v3, s10
	v_lshrrev_b32_e32 v3, 21, v3
; %bb.2073:
	s_andn2_saveexec_b64 s[8:9], s[8:9]
; %bb.2074:
	s_mov_b32 s10, 0x43000000
	v_add_f32_e64 v3, |v2|, s10
; %bb.2075:
	s_or_b64 exec, exec, s[8:9]
	v_readlane_b32 s18, v47, 19
                                        ; implicit-def: $vgpr6
	v_readlane_b32 s19, v47, 20
	s_mov_b32 s12, s86
.LBB86_2076:
	s_andn2_saveexec_b64 s[6:7], s[6:7]
; %bb.2077:
	s_mov_b32 s8, 0x7f800000
	v_mov_b32_e32 v3, 0x7c
	v_mov_b32_e32 v7, 0x7f
	v_cmp_lt_u32_e32 vcc, s8, v6
	v_cndmask_b32_e32 v3, v3, v7, vcc
; %bb.2078:
	s_or_b64 exec, exec, s[6:7]
	v_lshrrev_b32_e32 v2, 24, v2
	s_movk_i32 s6, 0x80
	v_and_or_b32 v2, v2, s6, v3
	global_store_byte v[4:5], v2, off
.LBB86_2079:
	s_mov_b64 s[6:7], 0
.LBB86_2080:
	s_andn2_b64 vcc, exec, s[6:7]
	s_mov_b64 s[6:7], 0
	s_cbranch_vccnz .LBB86_2087
; %bb.2081:
	s_cmp_gt_i32 s12, 14
	s_mov_b64 s[8:9], -1
	s_cbranch_scc0 .LBB86_2085
; %bb.2082:
	s_cmp_eq_u32 s12, 15
	s_mov_b64 s[4:5], -1
	s_cbranch_scc0 .LBB86_2084
; %bb.2083:
	v_cvt_f32_f64_e32 v2, v[0:1]
	s_movk_i32 s4, 0x7fff
	v_mov_b32_e32 v3, 0x7fc0
	v_bfe_u32 v6, v2, 16, 1
	v_cmp_o_f32_e32 vcc, v2, v2
	v_add3_u32 v2, v2, v6, s4
	v_cndmask_b32_sdwa v2, v3, v2, vcc dst_sel:DWORD dst_unused:UNUSED_PAD src0_sel:DWORD src1_sel:WORD_1
	global_store_short v[4:5], v2, off
	s_mov_b64 s[4:5], 0
.LBB86_2084:
	s_mov_b64 s[8:9], 0
.LBB86_2085:
	s_and_b64 vcc, exec, s[8:9]
	s_cbranch_vccz .LBB86_2087
; %bb.2086:
	s_cmp_lg_u32 s12, 11
	s_mov_b64 s[6:7], -1
	s_cselect_b64 s[4:5], -1, 0
.LBB86_2087:
	s_and_b64 vcc, exec, s[4:5]
	s_cbranch_vccnz .LBB86_2153
.LBB86_2088:
	s_mov_b64 s[4:5], 0
	s_branch .LBB86_2090
.LBB86_2089:
	s_mov_b64 s[4:5], 0
	s_mov_b64 s[6:7], 0
                                        ; implicit-def: $vgpr4_vgpr5
                                        ; implicit-def: $sgpr33
                                        ; implicit-def: $vgpr0_vgpr1
.LBB86_2090:
	s_and_b64 s[42:43], s[6:7], exec
	s_andn2_b64 s[6:7], s[98:99], exec
	s_and_b64 s[8:9], s[18:19], exec
	s_and_b64 s[4:5], s[4:5], exec
	s_or_b64 s[98:99], s[6:7], s[8:9]
.LBB86_2091:
	s_or_b64 exec, exec, s[96:97]
	s_and_saveexec_b64 s[6:7], s[98:99]
	s_cbranch_execz .LBB86_2094
; %bb.2092:
	; divergent unreachable
	s_or_b64 exec, exec, s[6:7]
	s_and_saveexec_b64 s[6:7], s[42:43]
	s_xor_b64 s[6:7], exec, s[6:7]
	s_cbranch_execnz .LBB86_2095
.LBB86_2093:
	s_or_b64 exec, exec, s[6:7]
	s_and_saveexec_b64 s[6:7], s[4:5]
	s_cbranch_execnz .LBB86_2096
	s_branch .LBB86_2133
.LBB86_2094:
	s_or_b64 exec, exec, s[6:7]
	s_and_saveexec_b64 s[6:7], s[42:43]
	s_xor_b64 s[6:7], exec, s[6:7]
	s_cbranch_execz .LBB86_2093
.LBB86_2095:
	v_cmp_neq_f64_e32 vcc, 0, v[0:1]
	s_waitcnt vmcnt(0)
	v_cndmask_b32_e64 v2, 0, 1, vcc
	global_store_byte v[4:5], v2, off
	s_or_b64 exec, exec, s[6:7]
	s_and_saveexec_b64 s[6:7], s[4:5]
	s_cbranch_execz .LBB86_2133
.LBB86_2096:
	s_sext_i32_i16 s6, s33
	s_cmp_lt_i32 s6, 5
	s_mov_b64 s[4:5], -1
	s_cbranch_scc1 .LBB86_2117
; %bb.2097:
	s_cmp_lt_i32 s6, 8
	s_cbranch_scc1 .LBB86_2107
; %bb.2098:
	s_cmp_lt_i32 s6, 9
	s_cbranch_scc1 .LBB86_2104
; %bb.2099:
	s_cmp_gt_i32 s6, 9
	s_cbranch_scc0 .LBB86_2101
; %bb.2100:
	s_waitcnt vmcnt(0)
	v_mov_b32_e32 v2, 0
	v_mov_b32_e32 v3, v2
	global_store_dwordx4 v[4:5], v[0:3], off
	s_mov_b64 s[4:5], 0
.LBB86_2101:
	s_andn2_b64 vcc, exec, s[4:5]
	s_cbranch_vccnz .LBB86_2103
; %bb.2102:
	s_waitcnt vmcnt(0)
	v_cvt_f32_f64_e32 v2, v[0:1]
	v_mov_b32_e32 v3, 0
	global_store_dwordx2 v[4:5], v[2:3], off
.LBB86_2103:
	s_mov_b64 s[4:5], 0
.LBB86_2104:
	s_andn2_b64 vcc, exec, s[4:5]
	s_cbranch_vccnz .LBB86_2106
; %bb.2105:
	s_movk_i32 s4, 0x1ff
	s_waitcnt vmcnt(0)
	v_and_or_b32 v2, v1, s4, v0
	v_cmp_ne_u32_e32 vcc, 0, v2
	v_cndmask_b32_e64 v2, 0, 1, vcc
	v_lshrrev_b32_e32 v3, 8, v1
	s_movk_i32 s4, 0xffe
	v_bfe_u32 v6, v1, 20, 11
	v_and_or_b32 v2, v3, s4, v2
	v_sub_u32_e32 v7, 0x3f1, v6
	v_or_b32_e32 v3, 0x1000, v2
	v_med3_i32 v7, v7, 0, 13
	v_lshrrev_b32_e32 v8, v7, v3
	v_lshlrev_b32_e32 v7, v7, v8
	v_cmp_ne_u32_e32 vcc, v7, v3
	v_cndmask_b32_e64 v3, 0, 1, vcc
	v_add_u32_e32 v6, 0xfffffc10, v6
	v_or_b32_e32 v3, v8, v3
	v_lshl_or_b32 v7, v6, 12, v2
	v_cmp_gt_i32_e32 vcc, 1, v6
	v_cndmask_b32_e32 v3, v7, v3, vcc
	v_and_b32_e32 v7, 7, v3
	v_cmp_lt_i32_e32 vcc, 5, v7
	v_cndmask_b32_e64 v8, 0, 1, vcc
	v_cmp_eq_u32_e32 vcc, 3, v7
	v_cndmask_b32_e64 v7, 0, 1, vcc
	v_or_b32_e32 v7, v7, v8
	v_lshrrev_b32_e32 v3, 2, v3
	v_add_u32_e32 v3, v3, v7
	v_mov_b32_e32 v7, 0x7c00
	v_cmp_gt_i32_e32 vcc, 31, v6
	v_cndmask_b32_e32 v3, v7, v3, vcc
	v_mov_b32_e32 v8, 0x7e00
	v_cmp_ne_u32_e32 vcc, 0, v2
	s_movk_i32 s4, 0x40f
	v_cndmask_b32_e32 v2, v7, v8, vcc
	v_cmp_eq_u32_e32 vcc, s4, v6
	v_cndmask_b32_e32 v2, v3, v2, vcc
	v_lshrrev_b32_e32 v3, 16, v1
	s_mov_b32 s4, 0x8000
	v_and_or_b32 v2, v3, s4, v2
	v_and_b32_e32 v2, 0xffff, v2
	global_store_dword v[4:5], v2, off
.LBB86_2106:
	s_mov_b64 s[4:5], 0
.LBB86_2107:
	s_andn2_b64 vcc, exec, s[4:5]
	s_cbranch_vccnz .LBB86_2116
; %bb.2108:
	s_sext_i32_i16 s6, s33
	s_cmp_lt_i32 s6, 6
	s_mov_b64 s[4:5], -1
	s_cbranch_scc1 .LBB86_2114
; %bb.2109:
	s_cmp_gt_i32 s6, 6
	s_cbranch_scc0 .LBB86_2111
; %bb.2110:
	global_store_dwordx2 v[4:5], v[0:1], off
	s_mov_b64 s[4:5], 0
.LBB86_2111:
	s_andn2_b64 vcc, exec, s[4:5]
	s_cbranch_vccnz .LBB86_2113
; %bb.2112:
	s_waitcnt vmcnt(0)
	v_cvt_f32_f64_e32 v2, v[0:1]
	global_store_dword v[4:5], v2, off
.LBB86_2113:
	s_mov_b64 s[4:5], 0
.LBB86_2114:
	s_andn2_b64 vcc, exec, s[4:5]
	s_cbranch_vccnz .LBB86_2116
; %bb.2115:
	s_movk_i32 s4, 0x1ff
	s_waitcnt vmcnt(0)
	v_and_or_b32 v2, v1, s4, v0
	v_cmp_ne_u32_e32 vcc, 0, v2
	v_cndmask_b32_e64 v2, 0, 1, vcc
	v_lshrrev_b32_e32 v3, 8, v1
	s_movk_i32 s4, 0xffe
	v_bfe_u32 v6, v1, 20, 11
	v_and_or_b32 v2, v3, s4, v2
	v_sub_u32_e32 v7, 0x3f1, v6
	v_or_b32_e32 v3, 0x1000, v2
	v_med3_i32 v7, v7, 0, 13
	v_lshrrev_b32_e32 v8, v7, v3
	v_lshlrev_b32_e32 v7, v7, v8
	v_cmp_ne_u32_e32 vcc, v7, v3
	v_cndmask_b32_e64 v3, 0, 1, vcc
	v_add_u32_e32 v6, 0xfffffc10, v6
	v_or_b32_e32 v3, v8, v3
	v_lshl_or_b32 v7, v6, 12, v2
	v_cmp_gt_i32_e32 vcc, 1, v6
	v_cndmask_b32_e32 v3, v7, v3, vcc
	v_and_b32_e32 v7, 7, v3
	v_cmp_lt_i32_e32 vcc, 5, v7
	v_cndmask_b32_e64 v8, 0, 1, vcc
	v_cmp_eq_u32_e32 vcc, 3, v7
	v_cndmask_b32_e64 v7, 0, 1, vcc
	v_or_b32_e32 v7, v7, v8
	v_lshrrev_b32_e32 v3, 2, v3
	v_add_u32_e32 v3, v3, v7
	v_mov_b32_e32 v7, 0x7c00
	v_cmp_gt_i32_e32 vcc, 31, v6
	v_cndmask_b32_e32 v3, v7, v3, vcc
	v_mov_b32_e32 v8, 0x7e00
	v_cmp_ne_u32_e32 vcc, 0, v2
	s_movk_i32 s4, 0x40f
	v_cndmask_b32_e32 v2, v7, v8, vcc
	v_cmp_eq_u32_e32 vcc, s4, v6
	v_cndmask_b32_e32 v2, v3, v2, vcc
	v_lshrrev_b32_e32 v3, 16, v1
	s_mov_b32 s4, 0x8000
	v_and_or_b32 v2, v3, s4, v2
	global_store_short v[4:5], v2, off
.LBB86_2116:
	s_mov_b64 s[4:5], 0
.LBB86_2117:
	s_andn2_b64 vcc, exec, s[4:5]
	s_cbranch_vccnz .LBB86_2133
; %bb.2118:
	s_sext_i32_i16 s6, s33
	s_cmp_lt_i32 s6, 2
	s_mov_b64 s[4:5], -1
	s_cbranch_scc1 .LBB86_2128
; %bb.2119:
	s_cmp_lt_i32 s6, 3
	s_cbranch_scc1 .LBB86_2125
; %bb.2120:
	s_cmp_gt_i32 s6, 3
	s_cbranch_scc0 .LBB86_2122
; %bb.2121:
	s_waitcnt vmcnt(0)
	v_trunc_f64_e32 v[2:3], v[0:1]
	s_movk_i32 s4, 0xffe0
	v_ldexp_f64 v[6:7], v[2:3], s4
	s_mov_b32 s4, 0
	s_mov_b32 s5, 0xc1f00000
	v_floor_f64_e32 v[6:7], v[6:7]
	v_fma_f64 v[2:3], v[6:7], s[4:5], v[2:3]
	v_cvt_i32_f64_e32 v7, v[6:7]
	s_mov_b64 s[4:5], 0
	v_cvt_u32_f64_e32 v6, v[2:3]
	global_store_dwordx2 v[4:5], v[6:7], off
.LBB86_2122:
	s_andn2_b64 vcc, exec, s[4:5]
	s_cbranch_vccnz .LBB86_2124
; %bb.2123:
	s_waitcnt vmcnt(0)
	v_cvt_i32_f64_e32 v2, v[0:1]
	global_store_dword v[4:5], v2, off
.LBB86_2124:
	s_mov_b64 s[4:5], 0
.LBB86_2125:
	s_andn2_b64 vcc, exec, s[4:5]
	s_cbranch_vccnz .LBB86_2127
; %bb.2126:
	s_waitcnt vmcnt(0)
	v_cvt_i32_f64_e32 v2, v[0:1]
	global_store_short v[4:5], v2, off
.LBB86_2127:
	s_mov_b64 s[4:5], 0
.LBB86_2128:
	s_andn2_b64 vcc, exec, s[4:5]
	s_cbranch_vccnz .LBB86_2133
; %bb.2129:
	s_sext_i32_i16 s4, s33
	s_cmp_gt_i32 s4, 0
	s_mov_b64 s[4:5], -1
	s_cbranch_scc0 .LBB86_2131
; %bb.2130:
	s_waitcnt vmcnt(0)
	v_cvt_i32_f64_e32 v2, v[0:1]
	s_mov_b64 s[4:5], 0
	global_store_byte v[4:5], v2, off
.LBB86_2131:
	s_andn2_b64 vcc, exec, s[4:5]
	s_cbranch_vccnz .LBB86_2133
; %bb.2132:
	v_trunc_f64_e32 v[0:1], v[0:1]
	s_movk_i32 s4, 0xffe0
	s_waitcnt vmcnt(0)
	v_ldexp_f64 v[2:3], v[0:1], s4
	s_mov_b32 s4, 0
	s_mov_b32 s5, 0xc1f00000
	v_floor_f64_e32 v[2:3], v[2:3]
	v_fma_f64 v[0:1], v[2:3], s[4:5], v[0:1]
	v_cvt_u32_f64_e32 v0, v[0:1]
	global_store_byte v[4:5], v0, off
	s_endpgm
.LBB86_2133:
	s_endpgm
.LBB86_2134:
	v_readlane_b32 s18, v47, 19
	s_mov_b64 s[6:7], 0
	s_mov_b64 s[4:5], -1
	v_readlane_b32 s19, v47, 20
	s_branch .LBB86_2090
.LBB86_2135:
	s_trap 2
	s_or_b64 s[18:19], s[18:19], exec
	s_cbranch_execz .LBB86_1604
	s_branch .LBB86_1605
.LBB86_2136:
	s_andn2_saveexec_b64 s[12:13], s[12:13]
	s_cbranch_execz .LBB86_1684
.LBB86_2137:
	s_mov_b32 s15, 0x46000000
	v_add_f32_e64 v3, |v2|, s15
	v_and_b32_e32 v3, 0xff, v3
	v_cmp_ne_u32_e32 vcc, 0, v3
	s_andn2_b64 s[10:11], s[10:11], exec
	s_and_b64 s[16:17], vcc, exec
	s_or_b64 s[10:11], s[10:11], s[16:17]
	s_or_b64 exec, exec, s[12:13]
	v_mov_b32_e32 v6, 0
	s_and_saveexec_b64 s[12:13], s[10:11]
	s_cbranch_execnz .LBB86_1685
	s_branch .LBB86_1686
.LBB86_2138:
	s_trap 2
	s_or_b64 s[18:19], s[18:19], exec
	s_cbranch_execz .LBB86_1732
	s_branch .LBB86_1733
.LBB86_2139:
	s_andn2_saveexec_b64 s[10:11], s[10:11]
	s_cbranch_execz .LBB86_1697
.LBB86_2140:
	s_mov_b32 s12, 0x42800000
	v_add_f32_e64 v3, |v2|, s12
	v_and_b32_e32 v3, 0xff, v3
	v_cmp_ne_u32_e32 vcc, 0, v3
	s_andn2_b64 s[8:9], s[8:9], exec
	s_and_b64 s[12:13], vcc, exec
	s_or_b64 s[8:9], s[8:9], s[12:13]
	s_or_b64 exec, exec, s[10:11]
	v_mov_b32_e32 v6, 0
	s_and_saveexec_b64 s[10:11], s[8:9]
	s_cbranch_execnz .LBB86_1698
	s_branch .LBB86_1699
.LBB86_2141:
	s_andn2_saveexec_b64 s[12:13], s[12:13]
	s_cbranch_execz .LBB86_1803
.LBB86_2142:
	s_mov_b32 s14, 0x46000000
	v_add_f32_e64 v3, |v2|, s14
	v_and_b32_e32 v3, 0xff, v3
	v_cmp_ne_u32_e32 vcc, 0, v3
	s_andn2_b64 s[10:11], s[10:11], exec
	s_and_b64 s[14:15], vcc, exec
	s_or_b64 s[10:11], s[10:11], s[14:15]
	s_or_b64 exec, exec, s[12:13]
	v_mov_b32_e32 v6, 0
	s_and_saveexec_b64 s[12:13], s[10:11]
	s_cbranch_execnz .LBB86_1804
	s_branch .LBB86_1805
.LBB86_2143:
	s_trap 2
	s_or_b64 s[18:19], s[18:19], exec
	s_cbranch_execz .LBB86_1851
	s_branch .LBB86_1852
.LBB86_2144:
	s_andn2_saveexec_b64 s[10:11], s[10:11]
	s_cbranch_execz .LBB86_1816
.LBB86_2145:
	s_mov_b32 s12, 0x42800000
	v_add_f32_e64 v3, |v2|, s12
	v_and_b32_e32 v3, 0xff, v3
	v_cmp_ne_u32_e32 vcc, 0, v3
	s_andn2_b64 s[8:9], s[8:9], exec
	s_and_b64 s[12:13], vcc, exec
	s_or_b64 s[8:9], s[8:9], s[12:13]
	s_or_b64 exec, exec, s[10:11]
	v_mov_b32_e32 v6, 0
	s_and_saveexec_b64 s[10:11], s[8:9]
	s_cbranch_execnz .LBB86_1817
	s_branch .LBB86_1818
.LBB86_2146:
	s_andn2_saveexec_b64 s[12:13], s[12:13]
	s_cbranch_execz .LBB86_1922
.LBB86_2147:
	s_mov_b32 s14, 0x46000000
	v_add_f32_e64 v3, |v2|, s14
	v_and_b32_e32 v3, 0xff, v3
	v_cmp_ne_u32_e32 vcc, 0, v3
	s_andn2_b64 s[10:11], s[10:11], exec
	s_and_b64 s[14:15], vcc, exec
	s_or_b64 s[10:11], s[10:11], s[14:15]
	s_or_b64 exec, exec, s[12:13]
	v_mov_b32_e32 v6, 0
	s_and_saveexec_b64 s[12:13], s[10:11]
	s_cbranch_execnz .LBB86_1923
	s_branch .LBB86_1924
.LBB86_2148:
	s_trap 2
	s_or_b64 s[18:19], s[18:19], exec
	s_cbranch_execz .LBB86_1970
	s_branch .LBB86_1971
.LBB86_2149:
	s_andn2_saveexec_b64 s[10:11], s[10:11]
	s_cbranch_execz .LBB86_1935
.LBB86_2150:
	s_mov_b32 s12, 0x42800000
	v_add_f32_e64 v3, |v2|, s12
	v_and_b32_e32 v3, 0xff, v3
	v_cmp_ne_u32_e32 vcc, 0, v3
	s_andn2_b64 s[8:9], s[8:9], exec
	s_and_b64 s[12:13], vcc, exec
	s_or_b64 s[8:9], s[8:9], s[12:13]
	s_or_b64 exec, exec, s[10:11]
	v_mov_b32_e32 v6, 0
	s_and_saveexec_b64 s[10:11], s[8:9]
	s_cbranch_execnz .LBB86_1936
	s_branch .LBB86_1937
.LBB86_2151:
	s_andn2_saveexec_b64 s[12:13], s[12:13]
	s_cbranch_execz .LBB86_2042
.LBB86_2152:
	s_mov_b32 s14, 0x46000000
	v_add_f32_e64 v3, |v2|, s14
	v_and_b32_e32 v3, 0xff, v3
	v_cmp_ne_u32_e32 vcc, 0, v3
	s_andn2_b64 s[10:11], s[10:11], exec
	s_and_b64 s[14:15], vcc, exec
	s_or_b64 s[10:11], s[10:11], s[14:15]
	s_or_b64 exec, exec, s[12:13]
	v_mov_b32_e32 v6, 0
	s_and_saveexec_b64 s[12:13], s[10:11]
	s_cbranch_execnz .LBB86_2043
	s_branch .LBB86_2044
.LBB86_2153:
	s_mov_b64 s[6:7], 0
	s_or_b64 s[18:19], s[18:19], exec
	s_trap 2
	s_branch .LBB86_2088
.LBB86_2154:
	s_andn2_saveexec_b64 s[10:11], s[10:11]
	s_cbranch_execz .LBB86_2054
.LBB86_2155:
	s_mov_b32 s12, 0x42800000
	v_add_f32_e64 v3, |v2|, s12
	v_and_b32_e32 v3, 0xff, v3
	v_cmp_ne_u32_e32 vcc, 0, v3
	s_andn2_b64 s[8:9], s[8:9], exec
	s_and_b64 s[12:13], vcc, exec
	s_or_b64 s[8:9], s[8:9], s[12:13]
	s_or_b64 exec, exec, s[10:11]
	v_mov_b32_e32 v6, 0
	s_and_saveexec_b64 s[10:11], s[8:9]
	s_cbranch_execnz .LBB86_2055
	s_branch .LBB86_2056
	.section	.rodata,"a",@progbits
	.p2align	6, 0x0
	.amdhsa_kernel _ZN2at6native32elementwise_kernel_manual_unrollILi128ELi4EZNS0_15gpu_kernel_implIZZZNS0_21polygamma_kernel_cudaERNS_18TensorIteratorBaseElENKUlvE_clEvENKUlvE_clEvEUldE_EEvS4_RKT_EUlibE0_EEviT1_
		.amdhsa_group_segment_fixed_size 0
		.amdhsa_private_segment_fixed_size 8
		.amdhsa_kernarg_size 368
		.amdhsa_user_sgpr_count 6
		.amdhsa_user_sgpr_private_segment_buffer 1
		.amdhsa_user_sgpr_dispatch_ptr 0
		.amdhsa_user_sgpr_queue_ptr 0
		.amdhsa_user_sgpr_kernarg_segment_ptr 1
		.amdhsa_user_sgpr_dispatch_id 0
		.amdhsa_user_sgpr_flat_scratch_init 0
		.amdhsa_user_sgpr_private_segment_size 0
		.amdhsa_uses_dynamic_stack 0
		.amdhsa_system_sgpr_private_segment_wavefront_offset 1
		.amdhsa_system_sgpr_workgroup_id_x 1
		.amdhsa_system_sgpr_workgroup_id_y 0
		.amdhsa_system_sgpr_workgroup_id_z 0
		.amdhsa_system_sgpr_workgroup_info 0
		.amdhsa_system_vgpr_workitem_id 0
		.amdhsa_next_free_vgpr 58
		.amdhsa_next_free_sgpr 100
		.amdhsa_reserve_vcc 1
		.amdhsa_reserve_flat_scratch 0
		.amdhsa_float_round_mode_32 0
		.amdhsa_float_round_mode_16_64 0
		.amdhsa_float_denorm_mode_32 3
		.amdhsa_float_denorm_mode_16_64 3
		.amdhsa_dx10_clamp 1
		.amdhsa_ieee_mode 1
		.amdhsa_fp16_overflow 0
		.amdhsa_exception_fp_ieee_invalid_op 0
		.amdhsa_exception_fp_denorm_src 0
		.amdhsa_exception_fp_ieee_div_zero 0
		.amdhsa_exception_fp_ieee_overflow 0
		.amdhsa_exception_fp_ieee_underflow 0
		.amdhsa_exception_fp_ieee_inexact 0
		.amdhsa_exception_int_div_zero 0
	.end_amdhsa_kernel
	.section	.text._ZN2at6native32elementwise_kernel_manual_unrollILi128ELi4EZNS0_15gpu_kernel_implIZZZNS0_21polygamma_kernel_cudaERNS_18TensorIteratorBaseElENKUlvE_clEvENKUlvE_clEvEUldE_EEvS4_RKT_EUlibE0_EEviT1_,"axG",@progbits,_ZN2at6native32elementwise_kernel_manual_unrollILi128ELi4EZNS0_15gpu_kernel_implIZZZNS0_21polygamma_kernel_cudaERNS_18TensorIteratorBaseElENKUlvE_clEvENKUlvE_clEvEUldE_EEvS4_RKT_EUlibE0_EEviT1_,comdat
.Lfunc_end86:
	.size	_ZN2at6native32elementwise_kernel_manual_unrollILi128ELi4EZNS0_15gpu_kernel_implIZZZNS0_21polygamma_kernel_cudaERNS_18TensorIteratorBaseElENKUlvE_clEvENKUlvE_clEvEUldE_EEvS4_RKT_EUlibE0_EEviT1_, .Lfunc_end86-_ZN2at6native32elementwise_kernel_manual_unrollILi128ELi4EZNS0_15gpu_kernel_implIZZZNS0_21polygamma_kernel_cudaERNS_18TensorIteratorBaseElENKUlvE_clEvENKUlvE_clEvEUldE_EEvS4_RKT_EUlibE0_EEviT1_
                                        ; -- End function
	.set _ZN2at6native32elementwise_kernel_manual_unrollILi128ELi4EZNS0_15gpu_kernel_implIZZZNS0_21polygamma_kernel_cudaERNS_18TensorIteratorBaseElENKUlvE_clEvENKUlvE_clEvEUldE_EEvS4_RKT_EUlibE0_EEviT1_.num_vgpr, max(58, .L_ZZZZN2at6native21polygamma_kernel_cudaERNS_18TensorIteratorBaseElENKUlvE_clEvENKUlvE_clEvENKUldE_clEd.num_vgpr)
	.set _ZN2at6native32elementwise_kernel_manual_unrollILi128ELi4EZNS0_15gpu_kernel_implIZZZNS0_21polygamma_kernel_cudaERNS_18TensorIteratorBaseElENKUlvE_clEvENKUlvE_clEvEUldE_EEvS4_RKT_EUlibE0_EEviT1_.num_agpr, max(0, .L_ZZZZN2at6native21polygamma_kernel_cudaERNS_18TensorIteratorBaseElENKUlvE_clEvENKUlvE_clEvENKUldE_clEd.num_agpr)
	.set _ZN2at6native32elementwise_kernel_manual_unrollILi128ELi4EZNS0_15gpu_kernel_implIZZZNS0_21polygamma_kernel_cudaERNS_18TensorIteratorBaseElENKUlvE_clEvENKUlvE_clEvEUldE_EEvS4_RKT_EUlibE0_EEviT1_.numbered_sgpr, max(100, .L_ZZZZN2at6native21polygamma_kernel_cudaERNS_18TensorIteratorBaseElENKUlvE_clEvENKUlvE_clEvENKUldE_clEd.numbered_sgpr)
	.set _ZN2at6native32elementwise_kernel_manual_unrollILi128ELi4EZNS0_15gpu_kernel_implIZZZNS0_21polygamma_kernel_cudaERNS_18TensorIteratorBaseElENKUlvE_clEvENKUlvE_clEvEUldE_EEvS4_RKT_EUlibE0_EEviT1_.num_named_barrier, max(0, .L_ZZZZN2at6native21polygamma_kernel_cudaERNS_18TensorIteratorBaseElENKUlvE_clEvENKUlvE_clEvENKUldE_clEd.num_named_barrier)
	.set _ZN2at6native32elementwise_kernel_manual_unrollILi128ELi4EZNS0_15gpu_kernel_implIZZZNS0_21polygamma_kernel_cudaERNS_18TensorIteratorBaseElENKUlvE_clEvENKUlvE_clEvEUldE_EEvS4_RKT_EUlibE0_EEviT1_.private_seg_size, 0+max(.L_ZZZZN2at6native21polygamma_kernel_cudaERNS_18TensorIteratorBaseElENKUlvE_clEvENKUlvE_clEvENKUldE_clEd.private_seg_size)
	.set _ZN2at6native32elementwise_kernel_manual_unrollILi128ELi4EZNS0_15gpu_kernel_implIZZZNS0_21polygamma_kernel_cudaERNS_18TensorIteratorBaseElENKUlvE_clEvENKUlvE_clEvEUldE_EEvS4_RKT_EUlibE0_EEviT1_.uses_vcc, or(1, .L_ZZZZN2at6native21polygamma_kernel_cudaERNS_18TensorIteratorBaseElENKUlvE_clEvENKUlvE_clEvENKUldE_clEd.uses_vcc)
	.set _ZN2at6native32elementwise_kernel_manual_unrollILi128ELi4EZNS0_15gpu_kernel_implIZZZNS0_21polygamma_kernel_cudaERNS_18TensorIteratorBaseElENKUlvE_clEvENKUlvE_clEvEUldE_EEvS4_RKT_EUlibE0_EEviT1_.uses_flat_scratch, or(0, .L_ZZZZN2at6native21polygamma_kernel_cudaERNS_18TensorIteratorBaseElENKUlvE_clEvENKUlvE_clEvENKUldE_clEd.uses_flat_scratch)
	.set _ZN2at6native32elementwise_kernel_manual_unrollILi128ELi4EZNS0_15gpu_kernel_implIZZZNS0_21polygamma_kernel_cudaERNS_18TensorIteratorBaseElENKUlvE_clEvENKUlvE_clEvEUldE_EEvS4_RKT_EUlibE0_EEviT1_.has_dyn_sized_stack, or(0, .L_ZZZZN2at6native21polygamma_kernel_cudaERNS_18TensorIteratorBaseElENKUlvE_clEvENKUlvE_clEvENKUldE_clEd.has_dyn_sized_stack)
	.set _ZN2at6native32elementwise_kernel_manual_unrollILi128ELi4EZNS0_15gpu_kernel_implIZZZNS0_21polygamma_kernel_cudaERNS_18TensorIteratorBaseElENKUlvE_clEvENKUlvE_clEvEUldE_EEvS4_RKT_EUlibE0_EEviT1_.has_recursion, or(0, .L_ZZZZN2at6native21polygamma_kernel_cudaERNS_18TensorIteratorBaseElENKUlvE_clEvENKUlvE_clEvENKUldE_clEd.has_recursion)
	.set _ZN2at6native32elementwise_kernel_manual_unrollILi128ELi4EZNS0_15gpu_kernel_implIZZZNS0_21polygamma_kernel_cudaERNS_18TensorIteratorBaseElENKUlvE_clEvENKUlvE_clEvEUldE_EEvS4_RKT_EUlibE0_EEviT1_.has_indirect_call, or(0, .L_ZZZZN2at6native21polygamma_kernel_cudaERNS_18TensorIteratorBaseElENKUlvE_clEvENKUlvE_clEvENKUldE_clEd.has_indirect_call)
	.section	.AMDGPU.csdata,"",@progbits
; Kernel info:
; codeLenInByte = 45164
; TotalNumSgprs: 104
; NumVgprs: 58
; ScratchSize: 8
; MemoryBound: 1
; FloatMode: 240
; IeeeMode: 1
; LDSByteSize: 0 bytes/workgroup (compile time only)
; SGPRBlocks: 12
; VGPRBlocks: 14
; NumSGPRsForWavesPerEU: 104
; NumVGPRsForWavesPerEU: 58
; Occupancy: 4
; WaveLimiterHint : 1
; COMPUTE_PGM_RSRC2:SCRATCH_EN: 1
; COMPUTE_PGM_RSRC2:USER_SGPR: 6
; COMPUTE_PGM_RSRC2:TRAP_HANDLER: 0
; COMPUTE_PGM_RSRC2:TGID_X_EN: 1
; COMPUTE_PGM_RSRC2:TGID_Y_EN: 0
; COMPUTE_PGM_RSRC2:TGID_Z_EN: 0
; COMPUTE_PGM_RSRC2:TIDIG_COMP_CNT: 0
	.text
	.p2align	2                               ; -- Begin function _ZN3c104guts5applyIRZZZN2at6native21polygamma_kernel_cudaERNS2_18TensorIteratorBaseElENKUlvE_clEvENKUlvE0_clEvEUlfE_RSt5tupleIJfEEEEDaOT_OT0_
	.type	_ZN3c104guts5applyIRZZZN2at6native21polygamma_kernel_cudaERNS2_18TensorIteratorBaseElENKUlvE_clEvENKUlvE0_clEvEUlfE_RSt5tupleIJfEEEEDaOT_OT0_,@function
_ZN3c104guts5applyIRZZZN2at6native21polygamma_kernel_cudaERNS2_18TensorIteratorBaseElENKUlvE_clEvENKUlvE0_clEvEUlfE_RSt5tupleIJfEEEEDaOT_OT0_: ; @_ZN3c104guts5applyIRZZZN2at6native21polygamma_kernel_cudaERNS2_18TensorIteratorBaseElENKUlvE_clEvENKUlvE0_clEvEUlfE_RSt5tupleIJfEEEEDaOT_OT0_
; %bb.0:
	s_waitcnt vmcnt(0) expcnt(0) lgkmcnt(0)
	v_cvt_f32_i32_e32 v1, v0
	s_mov_b32 s4, 0x3c800000
                                        ; implicit-def: $vgpr3
	v_add_f32_e32 v1, 1.0, v1
	v_and_b32_e32 v4, 0x7fffffff, v1
	v_cmp_nlt_f32_e64 s[4:5], |v1|, s4
	s_and_saveexec_b64 s[6:7], s[4:5]
	s_xor_b64 s[6:7], exec, s[6:7]
	s_cbranch_execz .LBB87_30
; %bb.1:
	v_cmp_nlt_f32_e64 s[4:5], |v1|, 2.0
                                        ; implicit-def: $vgpr3
	s_and_saveexec_b64 s[8:9], s[4:5]
	s_xor_b64 s[8:9], exec, s[8:9]
	s_cbranch_execz .LBB87_11
; %bb.2:
	s_mov_b32 s4, 0x41000000
	v_cmp_nlt_f32_e64 s[4:5], |v1|, s4
                                        ; implicit-def: $vgpr3
	s_and_saveexec_b64 s[10:11], s[4:5]
	s_xor_b64 s[10:11], exec, s[10:11]
	s_cbranch_execz .LBB87_8
; %bb.3:
	s_mov_b32 s4, 0x5c800000
	v_cmp_nlt_f32_e64 s[4:5], |v1|, s4
                                        ; implicit-def: $vgpr3
	s_and_saveexec_b64 s[12:13], s[4:5]
	s_xor_b64 s[12:13], exec, s[12:13]
	s_cbranch_execz .LBB87_5
; %bb.4:
	s_mov_b32 s4, 0x800000
	v_cmp_lt_f32_e64 vcc, |v1|, s4
	v_cndmask_b32_e64 v3, 0, 32, vcc
	v_ldexp_f32 v3, |v1|, v3
	v_log_f32_e32 v3, v3
	s_mov_b32 s4, 0x3f317217
	s_mov_b32 s5, 0x7f800000
	v_mul_f32_e32 v5, 0x3f317217, v3
	v_fma_f32 v6, v3, s4, -v5
	v_fmac_f32_e32 v6, 0x3377d1cf, v3
	v_add_f32_e32 v5, v5, v6
	v_cmp_lt_f32_e64 s[4:5], |v3|, s5
	v_cndmask_b32_e64 v3, v3, v5, s[4:5]
	v_mov_b32_e32 v5, 0x41b17218
	v_cndmask_b32_e32 v5, 0, v5, vcc
	v_sub_f32_e32 v3, v3, v5
	v_fma_f32 v3, |v1|, v3, -|v1|
.LBB87_5:
	s_andn2_saveexec_b64 s[12:13], s[12:13]
	s_cbranch_execz .LBB87_7
; %bb.6:
	v_rcp_f32_e64 v5, |v1|
	v_mov_b32_e32 v3, 0x3a5b3dd2
	v_mov_b32_e32 v6, 0xba1c065c
	;; [unrolled: 1-line block ×3, first 2 shown]
	v_mul_f32_e32 v8, v5, v5
	v_fmac_f32_e32 v3, 0xbad5c4e8, v8
	v_fmac_f32_e32 v6, v8, v3
	s_mov_b32 s4, 0x800000
	v_fmac_f32_e32 v7, v8, v6
	v_mov_b32_e32 v3, 0xbb360b61
	v_cmp_lt_f32_e64 vcc, |v1|, s4
	v_fmac_f32_e32 v3, v8, v7
	v_cndmask_b32_e64 v7, 0, 32, vcc
	v_ldexp_f32 v7, |v1|, v7
	v_log_f32_e32 v7, v7
	v_mov_b32_e32 v6, 0x3daaaaab
	v_fmac_f32_e32 v6, v8, v3
	v_mov_b32_e32 v3, 0x3ed67f1d
	v_fmac_f32_e32 v3, v5, v6
	s_mov_b32 s4, 0x3f317217
	v_mul_f32_e32 v6, 0x3f317217, v7
	v_fma_f32 v8, v7, s4, -v6
	v_fmac_f32_e32 v8, 0x3377d1cf, v7
	s_mov_b32 s4, 0x7f800000
	v_add_f32_e32 v6, v6, v8
	v_cmp_lt_f32_e64 s[4:5], |v7|, s4
	v_cndmask_b32_e64 v6, v7, v6, s[4:5]
	v_mov_b32_e32 v7, 0x41b17218
	v_cndmask_b32_e32 v7, 0, v7, vcc
	v_sub_f32_e32 v6, v6, v7
	v_add_f32_e64 v5, |v1|, -0.5
	v_add_f32_e32 v6, -1.0, v6
	v_fmac_f32_e32 v3, v5, v6
.LBB87_7:
	s_or_b64 exec, exec, s[12:13]
.LBB87_8:
	s_andn2_saveexec_b64 s[10:11], s[10:11]
	s_cbranch_execz .LBB87_10
; %bb.9:
	v_cvt_i32_f32_e32 v3, v4
	v_mov_b32_e32 v5, 0x3af135b4
	v_mov_b32_e32 v6, 0x3cda40e4
	;; [unrolled: 1-line block ×3, first 2 shown]
	v_cvt_f32_i32_e32 v8, v3
	v_mov_b32_e32 v9, 0x3ea6cc7a
	v_mov_b32_e32 v10, 0x3e5c245a
	v_cmp_lt_i32_e32 vcc, 2, v3
	v_sub_f32_e64 v8, |v1|, v8
	v_fmac_f32_e32 v5, 0x3805ff67, v8
	v_fmac_f32_e32 v6, v8, v5
	;; [unrolled: 1-line block ×3, first 2 shown]
	v_mov_b32_e32 v6, 0x3a4beed6
	v_fmac_f32_e32 v9, v8, v7
	v_fmac_f32_e32 v6, 0x36f5d7bd, v8
	v_mov_b32_e32 v7, 0x3c98bf54
	v_fmac_f32_e32 v7, v8, v6
	v_mov_b32_e32 v6, 0x3e300f6e
	;; [unrolled: 2-line block ×4, first 2 shown]
	v_fmac_f32_e32 v6, v8, v7
	v_add_f32_e32 v7, 2.0, v8
	v_mov_b32_e32 v11, 0xbd9e233f
	v_fmac_f32_e32 v10, v8, v9
	v_add_f32_e32 v9, 0x40400000, v8
	v_cndmask_b32_e32 v7, 1.0, v7, vcc
	v_cmp_lt_i32_e32 vcc, 3, v3
	v_fmac_f32_e32 v11, v8, v10
	v_add_f32_e32 v10, 4.0, v8
	v_cndmask_b32_e32 v9, 1.0, v9, vcc
	v_cmp_lt_i32_e32 vcc, 4, v3
	v_mul_f32_e32 v5, v8, v11
	v_add_f32_e32 v11, 0x40a00000, v8
	v_mul_f32_e32 v7, v7, v9
	v_cndmask_b32_e32 v9, 1.0, v10, vcc
	v_cmp_lt_i32_e32 vcc, 5, v3
	v_add_f32_e32 v12, 0x40c00000, v8
	v_mul_f32_e32 v7, v9, v7
	v_cndmask_b32_e32 v9, 1.0, v11, vcc
	v_cmp_lt_i32_e32 vcc, 6, v3
	v_mul_f32_e32 v7, v9, v7
	v_cndmask_b32_e32 v3, 1.0, v12, vcc
	v_mul_f32_e32 v3, v3, v7
	s_mov_b32 s4, 0x800000
	v_cmp_gt_f32_e32 vcc, s4, v3
	v_cndmask_b32_e64 v7, 0, 32, vcc
	v_fma_f32 v6, v8, v6, 1.0
	v_ldexp_f32 v3, v3, v7
	v_rcp_f32_e32 v6, v6
	v_log_f32_e32 v3, v3
	s_mov_b32 s4, 0x3f317217
	v_mul_f32_e32 v5, v5, v6
	v_mul_f32_e32 v6, 0x3f317217, v3
	v_fma_f32 v7, v3, s4, -v6
	v_fmac_f32_e32 v7, 0x3377d1cf, v3
	s_mov_b32 s4, 0x7f800000
	v_add_f32_e32 v6, v6, v7
	v_cmp_lt_f32_e64 s[4:5], |v3|, s4
	v_cndmask_b32_e64 v3, v3, v6, s[4:5]
	v_mov_b32_e32 v6, 0x41b17218
	v_cndmask_b32_e32 v6, 0, v6, vcc
	v_fmac_f32_e32 v5, 0.5, v8
	v_sub_f32_e32 v3, v3, v6
	v_add_f32_e32 v3, v3, v5
.LBB87_10:
	s_or_b64 exec, exec, s[10:11]
.LBB87_11:
	s_andn2_saveexec_b64 s[8:9], s[8:9]
	s_cbranch_execz .LBB87_29
; %bb.12:
	s_mov_b32 s4, 0x3f666666
	v_cmp_le_f32_e64 s[4:5], |v1|, s4
                                        ; implicit-def: $vgpr3
                                        ; implicit-def: $vgpr6
                                        ; implicit-def: $vgpr5
	s_and_saveexec_b64 s[10:11], s[4:5]
	s_xor_b64 s[10:11], exec, s[10:11]
	s_cbranch_execz .LBB87_14
; %bb.13:
	s_mov_b32 s4, 0x800000
	v_cmp_lt_f32_e64 vcc, |v1|, s4
	v_cndmask_b32_e64 v3, 0, 32, vcc
	v_ldexp_f32 v3, |v1|, v3
	v_log_f32_e32 v3, v3
	s_mov_b32 s4, 0x3f317217
	s_mov_b32 s5, 0x7f800000
	v_mul_f32_e32 v5, 0x3f317217, v3
	v_fma_f32 v6, v3, s4, -v5
	v_fmac_f32_e32 v6, 0x3377d1cf, v3
	v_add_f32_e32 v5, v5, v6
	v_cmp_lt_f32_e64 s[4:5], |v3|, s5
	v_cndmask_b32_e64 v3, v3, v5, s[4:5]
	v_mov_b32_e32 v5, 0x41b17218
	v_cndmask_b32_e32 v5, 0, v5, vcc
	s_mov_b32 s4, 0x3f3b4a23
	s_mov_b32 s5, 0xbeec5b0c
	v_sub_f32_e32 v3, v3, v5
	v_sub_f32_e64 v5, 1.0, |v1|
	v_add_f32_e64 v6, |v1|, s5
	v_cmp_lt_f32_e64 vcc, |v1|, s4
	s_mov_b32 s4, 0x3e6d3309
	v_cndmask_b32_e32 v5, v5, v6, vcc
	v_cndmask_b32_e64 v6, 0, 1, vcc
	v_cmp_lt_f32_e64 s[4:5], |v1|, s4
	v_xor_b32_e32 v3, 0x80000000, v3
	v_cndmask_b32_e64 v5, v5, |v1|, s[4:5]
	v_cndmask_b32_e64 v6, v6, 2, s[4:5]
.LBB87_14:
	s_andn2_saveexec_b64 s[4:5], s[10:11]
	s_cbranch_execz .LBB87_16
; %bb.15:
	s_mov_b32 s10, 0x3fdda512
	s_mov_b32 s11, 0xbfbb16c3
	v_sub_f32_e64 v3, 2.0, |v1|
	v_add_f32_e64 v5, |v1|, s11
	v_cmp_lt_f32_e64 vcc, |v1|, s10
	v_cndmask_b32_e32 v5, v3, v5, vcc
	v_cndmask_b32_e64 v3, v3, 1.0, vcc
	v_cvt_i32_f32_e32 v3, v3
	s_mov_b32 s10, 0x3f9d70a4
	v_add_f32_e64 v6, |v1|, -1.0
	v_cmp_lt_f32_e64 vcc, |v1|, s10
	v_cndmask_b32_e32 v5, v5, v6, vcc
	v_cndmask_b32_e64 v6, v3, 2, vcc
	v_mov_b32_e32 v3, 0
.LBB87_16:
	s_or_b64 exec, exec, s[4:5]
	v_cmp_lt_i32_e32 vcc, 0, v6
	s_and_saveexec_b64 s[4:5], vcc
	s_xor_b64 s[4:5], exec, s[4:5]
	s_cbranch_execz .LBB87_24
; %bb.17:
	v_cmp_lt_i32_e32 vcc, 1, v6
	s_and_saveexec_b64 s[10:11], vcc
	s_xor_b64 s[10:11], exec, s[10:11]
	s_cbranch_execz .LBB87_21
; %bb.18:
	v_cmp_eq_u32_e32 vcc, 2, v6
	s_and_saveexec_b64 s[12:13], vcc
	s_cbranch_execz .LBB87_20
; %bb.19:
	v_mov_b32_e32 v6, 0x3e6a7578
	v_fmac_f32_e32 v6, 0x3c5b3c5e, v5
	v_mov_b32_e32 v7, 0x3f7a4bb2
	v_fmac_f32_e32 v7, v5, v6
	;; [unrolled: 2-line block ×8, first 2 shown]
	v_fma_f32 v6, v5, v8, 1.0
	v_rcp_f32_e32 v6, v6
	v_mov_b32_e32 v8, 0xbd9e233f
	v_fmac_f32_e32 v8, v5, v7
	v_mul_f32_e32 v7, v5, v8
	v_mul_f32_e32 v6, v7, v6
	v_fmac_f32_e32 v6, -0.5, v5
	v_add_f32_e32 v3, v3, v6
.LBB87_20:
	s_or_b64 exec, exec, s[12:13]
                                        ; implicit-def: $vgpr5
.LBB87_21:
	s_andn2_saveexec_b64 s[10:11], s[10:11]
	s_cbranch_execz .LBB87_23
; %bb.22:
	v_mul_f32_e32 v6, v5, v5
	v_mul_f32_e32 v7, v5, v6
	v_mov_b32_e32 v8, 0xbab7f476
	v_fmac_f32_e32 v8, 0x39a57b6b, v7
	v_mov_b32_e32 v9, 0x3bc7e707
	v_fmac_f32_e32 v9, v7, v8
	;; [unrolled: 2-line block ×12, first 2 shown]
	v_fmac_f32_e32 v10, v5, v11
	s_mov_b32 s12, 0xa2863e55
	v_fma_f32 v5, v7, -v10, s12
	v_fma_f32 v5, v6, v9, -v5
	v_add_f32_e32 v5, 0xbdf8cdce, v5
	v_add_f32_e32 v3, v3, v5
.LBB87_23:
	s_or_b64 exec, exec, s[10:11]
                                        ; implicit-def: $vgpr6
                                        ; implicit-def: $vgpr5
.LBB87_24:
	s_andn2_saveexec_b64 s[4:5], s[4:5]
	s_cbranch_execz .LBB87_28
; %bb.25:
	v_cmp_eq_u32_e32 vcc, 0, v6
	s_and_saveexec_b64 s[10:11], vcc
	s_cbranch_execz .LBB87_27
; %bb.26:
	v_mul_f32_e32 v6, v5, v5
	v_mov_b32_e32 v7, 0x39679767
	v_fmac_f32_e32 v7, 0x37d383a2, v6
	v_mov_b32_e32 v8, 0x3a9c54a1
	v_fmac_f32_e32 v8, v6, v7
	;; [unrolled: 2-line block ×10, first 2 shown]
	v_mul_f32_e32 v6, v6, v8
	v_fmac_f32_e32 v6, v5, v7
	v_fmac_f32_e32 v6, -0.5, v5
	v_add_f32_e32 v3, v3, v6
.LBB87_27:
	s_or_b64 exec, exec, s[10:11]
.LBB87_28:
	s_or_b64 exec, exec, s[4:5]
.LBB87_29:
	s_or_b64 exec, exec, s[8:9]
.LBB87_30:
	s_andn2_saveexec_b64 s[6:7], s[6:7]
	s_cbranch_execz .LBB87_32
; %bb.31:
	s_mov_b32 s4, 0x3e8a8991
	v_mov_b32_e32 v3, 0xbecd26ab
	v_fma_f32 v3, |v1|, s4, v3
	s_mov_b32 s4, 0x3f528d33
	v_fma_f32 v3, |v1|, v3, s4
	s_mov_b32 s4, 0x800000
	v_cmp_lt_f32_e64 vcc, |v1|, s4
	v_cndmask_b32_e64 v5, 0, 32, vcc
	v_ldexp_f32 v5, |v1|, v5
	v_log_f32_e32 v5, v5
	s_mov_b32 s4, 0xbf13c468
	v_fma_f32 v3, |v1|, v3, s4
	s_mov_b32 s4, 0x3f317217
	v_mul_f32_e32 v6, 0x3f317217, v5
	v_fma_f32 v7, v5, s4, -v6
	v_fmac_f32_e32 v7, 0x3377d1cf, v5
	s_mov_b32 s4, 0x7f800000
	v_add_f32_e32 v6, v6, v7
	v_cmp_lt_f32_e64 s[4:5], |v5|, s4
	v_cndmask_b32_e64 v5, v5, v6, s[4:5]
	v_mov_b32_e32 v6, 0x41b17218
	v_cndmask_b32_e32 v6, 0, v6, vcc
	v_sub_f32_e32 v5, v5, v6
	v_fma_f32 v3, |v1|, v3, -v5
.LBB87_32:
	s_or_b64 exec, exec, s[6:7]
	v_cmp_le_f32_e64 s[4:5], 0, v1
	v_cmp_nle_f32_e32 vcc, 0, v1
	s_and_saveexec_b64 s[6:7], vcc
	s_xor_b64 s[8:9], exec, s[6:7]
	s_cbranch_execz .LBB87_36
; %bb.33:
	s_mov_b32 s6, 0x4b000000
	s_mov_b32 s10, 0x35000000
	v_cmp_lt_f32_e64 s[6:7], |v1|, s6
	v_cmp_gt_f32_e64 s[10:11], |v1|, s10
	s_and_b64 s[6:7], s[6:7], s[10:11]
	s_and_saveexec_b64 s[10:11], s[6:7]
	s_cbranch_execz .LBB87_35
; %bb.34:
	v_mul_f32_e64 v5, |v1|, 0.5
	v_fract_f32_e32 v6, v5
	s_mov_b32 s12, 0x7f800000
	v_add_f32_e32 v6, v6, v6
	v_cmp_neq_f32_e32 vcc, s12, v5
	v_cndmask_b32_e32 v5, 0, v6, vcc
	v_cmp_gt_f32_e64 s[6:7], |v1|, 1.0
	v_cndmask_b32_e64 v5, |v1|, v5, s[6:7]
	v_add_f32_e32 v6, v5, v5
	v_rndne_f32_e32 v6, v6
	v_fmac_f32_e32 v5, -0.5, v6
	v_mul_f32_e32 v7, v5, v5
	v_mov_b32_e32 v8, 0xbf1f24be
	v_fmac_f32_e32 v8, 0x3e75aa41, v7
	v_mov_b32_e32 v9, 0x40234736
	v_fmac_f32_e32 v9, v7, v8
	;; [unrolled: 2-line block ×3, first 2 shown]
	v_mul_f32_e32 v9, v5, v7
	v_mul_f32_e32 v8, v9, v8
	v_fmac_f32_e32 v8, 0x40490fdb, v5
	v_mov_b32_e32 v5, 0x3e642e9d
	v_cvt_i32_f32_e32 v6, v6
	v_fmac_f32_e32 v5, 0x3d4be544, v7
	v_mov_b32_e32 v9, 0xbfaad1da
	v_fmac_f32_e32 v9, v7, v5
	v_mov_b32_e32 v5, 0x4081e0d3
	;; [unrolled: 2-line block ×3, first 2 shown]
	v_fmac_f32_e32 v9, v7, v5
	v_fma_f32 v5, v7, v9, 1.0
	v_and_b32_e32 v7, 1, v6
	v_lshlrev_b32_e32 v6, 30, v6
	v_cmp_eq_u32_e32 vcc, 0, v7
	v_and_b32_e32 v6, 0x80000000, v6
	v_xor_b32_e32 v4, v4, v1
	v_cndmask_b32_e32 v5, v5, v8, vcc
	v_xor_b32_e32 v4, v4, v6
	v_xor_b32_e32 v4, v4, v5
	v_mul_f32_e32 v4, v1, v4
	v_frexp_mant_f32_e64 v5, |v4|
	v_rcp_f32_e32 v5, v5
	v_frexp_exp_i32_f32_e32 v4, v4
	v_sub_u32_e32 v4, 2, v4
	s_mov_b32 s6, 0x800000
	v_mul_f32_e32 v5, 0x3f490fdb, v5
	v_ldexp_f32 v4, v5, v4
	v_cmp_gt_f32_e32 vcc, s6, v4
	v_cndmask_b32_e64 v5, 0, 32, vcc
	v_ldexp_f32 v4, v4, v5
	v_log_f32_e32 v4, v4
	s_mov_b32 s6, 0x3f317217
	v_mul_f32_e32 v5, 0x3f317217, v4
	v_fma_f32 v6, v4, s6, -v5
	v_fmac_f32_e32 v6, 0x3377d1cf, v4
	v_add_f32_e32 v5, v5, v6
	v_cmp_lt_f32_e64 s[6:7], |v4|, s12
	v_cndmask_b32_e64 v4, v4, v5, s[6:7]
	v_mov_b32_e32 v5, 0x41b17218
	v_cndmask_b32_e32 v5, 0, v5, vcc
	v_sub_f32_e32 v4, v4, v5
	v_sub_f32_e32 v3, v4, v3
	v_fract_f32_e32 v4, v1
	v_mov_b32_e32 v5, 0x7f800000
	v_cmp_neq_f32_e32 vcc, 0, v4
	v_cndmask_b32_e32 v3, v5, v3, vcc
.LBB87_35:
	s_or_b64 exec, exec, s[10:11]
.LBB87_36:
	s_andn2_saveexec_b64 s[8:9], s[8:9]
; %bb.37:
	v_cmp_eq_f32_e32 vcc, 1.0, v1
	v_cmp_eq_f32_e64 s[6:7], 2.0, v1
	s_or_b64 s[6:7], vcc, s[6:7]
	v_cndmask_b32_e64 v3, v3, 0, s[6:7]
; %bb.38:
	s_or_b64 exec, exec, s[8:9]
	v_cmp_ne_u32_e32 vcc, 0, v0
	v_mov_b32_e32 v4, 0x7f800000
	v_mov_b32_e32 v6, 0x7f800000
	s_and_saveexec_b64 s[10:11], vcc
	s_cbranch_execz .LBB87_56
; %bb.39:
	v_cmp_lt_i32_e32 vcc, -1, v0
	v_mov_b32_e32 v6, 0x7fc00000
	s_and_saveexec_b64 s[12:13], vcc
	s_cbranch_execz .LBB87_55
; %bb.40:
	v_floor_f32_e32 v5, v2
	v_cmp_nge_f32_e32 vcc, 0, v2
	v_cmp_neq_f32_e64 s[6:7], v2, v5
	s_mov_b32 s24, 0
	s_or_b64 s[6:7], vcc, s[6:7]
	v_mov_b32_e32 v6, 0x7f800000
	s_and_saveexec_b64 s[14:15], s[6:7]
	s_cbranch_execz .LBB87_54
; %bb.41:
	v_add_u32_e32 v5, 1, v0
	v_cvt_f32_i32_e32 v5, v5
	v_frexp_mant_f32_e64 v6, |v2|
	s_mov_b32 s25, 0x3f2aaaab
	v_cmp_neq_f32_e32 vcc, 1.0, v2
	v_cndmask_b32_e64 v11, 1.0, -v5, vcc
	v_cmp_gt_f32_e32 vcc, s25, v6
	v_cndmask_b32_e64 v7, 1.0, 2.0, vcc
	v_mul_f32_e32 v6, v6, v7
	v_add_f32_e32 v7, 1.0, v6
	v_rcp_f32_e32 v8, v7
	v_add_f32_e32 v9, -1.0, v6
	v_add_f32_e32 v10, -1.0, v7
	v_sub_f32_e32 v6, v6, v10
	v_mul_f32_e32 v10, v9, v8
	v_mul_f32_e32 v12, v7, v10
	v_fma_f32 v7, v10, v7, -v12
	v_fmac_f32_e32 v7, v10, v6
	v_add_f32_e32 v6, v12, v7
	v_sub_f32_e32 v13, v9, v6
	v_sub_f32_e32 v12, v6, v12
	;; [unrolled: 1-line block ×5, first 2 shown]
	v_add_f32_e32 v6, v7, v6
	v_add_f32_e32 v6, v13, v6
	v_mul_f32_e32 v6, v8, v6
	v_add_f32_e32 v12, v10, v6
	v_sub_f32_e32 v7, v12, v10
	v_sub_f32_e32 v6, v6, v7
	v_mul_f32_e32 v8, v12, v12
	v_fma_f32 v9, v12, v12, -v8
	v_add_f32_e32 v7, v6, v6
	v_fmac_f32_e32 v9, v12, v7
	v_add_f32_e32 v10, v8, v9
	v_sub_f32_e32 v8, v10, v8
	v_sub_f32_e32 v8, v9, v8
	v_mul_f32_e32 v9, v12, v10
	v_fma_f32 v14, v10, v12, -v9
	v_fmac_f32_e32 v14, v10, v6
	v_mov_b32_e32 v13, 0x3e91f4c4
	v_fmac_f32_e32 v14, v8, v12
	v_fmac_f32_e32 v13, 0x3e76c4e1, v10
	v_mov_b32_e32 v7, 0x3ecccdef
	v_add_f32_e32 v15, v9, v14
	v_fma_f32 v13, v10, v13, v7
	v_sub_f32_e32 v9, v15, v9
	v_sub_f32_e32 v14, v14, v9
	v_mul_f32_e32 v9, v10, v13
	v_fma_f32 v10, v10, v13, -v9
	v_fmac_f32_e32 v10, v8, v13
	v_add_f32_e32 v13, v9, v10
	v_sub_f32_e32 v8, v13, v9
	v_sub_f32_e32 v10, v10, v8
	v_cvt_f64_f32_e64 v[8:9], |v2|
	v_add_f32_e32 v16, 0x3f2aaaaa, v13
	v_add_f32_e32 v17, 0xbf2aaaaa, v16
	v_add_f32_e32 v10, 0x31739010, v10
	v_frexp_exp_i32_f64_e32 v8, v[8:9]
	v_sub_f32_e32 v13, v13, v17
	v_add_f32_e32 v9, v10, v13
	v_add_f32_e32 v10, v16, v9
	v_sub_f32_e32 v13, v16, v10
	v_add_f32_e32 v9, v9, v13
	v_mul_f32_e32 v13, v15, v10
	v_fma_f32 v16, v15, v10, -v13
	v_subbrev_co_u32_e32 v8, vcc, 0, v8, vcc
	v_cvt_f32_i32_e32 v8, v8
	v_fmac_f32_e32 v16, v15, v9
	s_mov_b32 s26, 0x3f317218
	v_fmac_f32_e32 v16, v14, v10
	v_mul_f32_e32 v9, 0x3f317218, v8
	v_fma_f32 v10, v8, s26, -v9
	v_fmac_f32_e32 v10, 0xb102e308, v8
	v_ldexp_f32 v8, v12, 1
	v_add_f32_e32 v12, v9, v10
	v_sub_f32_e32 v9, v12, v9
	v_sub_f32_e32 v9, v10, v9
	v_add_f32_e32 v10, v13, v16
	v_sub_f32_e32 v13, v10, v13
	v_add_f32_e32 v14, v8, v10
	v_ldexp_f32 v6, v6, 1
	v_sub_f32_e32 v13, v16, v13
	v_sub_f32_e32 v8, v14, v8
	;; [unrolled: 1-line block ×3, first 2 shown]
	v_add_f32_e32 v6, v6, v13
	v_add_f32_e32 v6, v6, v8
	;; [unrolled: 1-line block ×3, first 2 shown]
	v_sub_f32_e32 v10, v8, v14
	v_sub_f32_e32 v6, v6, v10
	v_add_f32_e32 v10, v12, v8
	v_sub_f32_e32 v13, v10, v12
	v_sub_f32_e32 v14, v10, v13
	;; [unrolled: 1-line block ×4, first 2 shown]
	v_add_f32_e32 v8, v8, v12
	v_add_f32_e32 v12, v9, v6
	v_sub_f32_e32 v13, v12, v9
	v_sub_f32_e32 v14, v12, v13
	;; [unrolled: 1-line block ×4, first 2 shown]
	v_add_f32_e32 v8, v12, v8
	v_add_f32_e32 v6, v6, v9
	;; [unrolled: 1-line block ×3, first 2 shown]
	v_sub_f32_e32 v10, v9, v10
	v_sub_f32_e32 v8, v8, v10
	v_add_f32_e32 v6, v6, v8
	v_add_f32_e32 v8, v9, v6
	v_sub_f32_e32 v9, v8, v9
	v_sub_f32_e32 v6, v6, v9
	v_mul_f32_e32 v9, v11, v8
	v_fma_f32 v8, v11, v8, -v9
	v_fmac_f32_e32 v8, v11, v6
	s_movk_i32 s27, 0x204
	v_add_f32_e32 v6, v9, v8
	v_cmp_class_f32_e64 vcc, v9, s27
	v_sub_f32_e32 v10, v6, v9
	v_cndmask_b32_e32 v6, v6, v9, vcc
	s_mov_b32 s29, 0x42b17218
	v_sub_f32_e32 v10, v8, v10
	v_mov_b32_e32 v8, 0x37000000
	v_cmp_eq_f32_e32 vcc, s29, v6
	v_cndmask_b32_e32 v9, 0, v8, vcc
	v_sub_f32_e32 v12, v6, v9
	s_mov_b32 s40, 0x3fb8aa3b
	v_mul_f32_e32 v13, 0x3fb8aa3b, v12
	v_fma_f32 v14, v12, s40, -v13
	v_rndne_f32_e32 v15, v13
	v_fmac_f32_e32 v14, 0x32a5705f, v12
	v_sub_f32_e32 v13, v13, v15
	v_add_f32_e32 v13, v13, v14
	v_exp_f32_e32 v13, v13
	v_cvt_i32_f32_e32 v14, v15
	s_mov_b32 s28, 0x7f800000
	v_cmp_neq_f32_e64 vcc, |v6|, s28
	v_cndmask_b32_e32 v6, 0, v10, vcc
	s_mov_b32 s41, 0xc2ce8ed0
	v_add_f32_e32 v6, v9, v6
	v_ldexp_f32 v9, v13, v14
	v_cmp_ngt_f32_e32 vcc, s41, v12
	v_cndmask_b32_e32 v10, 0, v9, vcc
	v_mov_b32_e32 v9, 0x7f800000
	v_cmp_nlt_f32_e32 vcc, s29, v12
	v_cndmask_b32_e32 v10, v9, v10, vcc
	v_fma_f32 v6, v10, v6, v10
	v_cmp_class_f32_e64 vcc, v10, s27
	v_trunc_f32_e32 v12, v11
	v_cndmask_b32_e32 v6, v6, v10, vcc
	v_cmp_eq_f32_e32 vcc, v12, v11
	v_mul_f32_e32 v12, 0.5, v11
	v_trunc_f32_e32 v13, v12
	v_cmp_neq_f32_e64 s[6:7], v13, v12
	s_and_b64 s[6:7], vcc, s[6:7]
	v_cndmask_b32_e64 v12, 1.0, v2, s[6:7]
	s_brev_b32 s42, -2
	v_mov_b32_e32 v10, 0x7fc00000
	v_bfi_b32 v6, s42, v6, v12
	v_cndmask_b32_e32 v12, v10, v6, vcc
	v_cmp_gt_f32_e32 vcc, 0, v2
	v_cndmask_b32_e32 v6, v6, v12, vcc
	v_cmp_eq_f32_e32 vcc, 0, v2
	v_cmp_gt_f32_e64 s[8:9], 0, v11
	s_xor_b64 s[8:9], vcc, s[8:9]
	v_cmp_class_f32_e64 s[16:17], v2, s27
	v_cndmask_b32_e64 v11, v9, 0, s[8:9]
	v_cndmask_b32_e64 v12, 0, v2, s[6:7]
	v_bfi_b32 v11, s42, v11, v12
	s_or_b64 vcc, vcc, s[16:17]
	v_cndmask_b32_e32 v6, v6, v11, vcc
	v_cmp_o_f32_e32 vcc, v2, v2
	v_cndmask_b32_e32 v6, v10, v6, vcc
	s_mov_b64 s[16:17], 0
	s_mov_b32 s43, 0x41100000
                                        ; implicit-def: $sgpr18_sgpr19
                                        ; implicit-def: $sgpr22_sgpr23
                                        ; implicit-def: $sgpr20_sgpr21
	s_branch .LBB87_43
.LBB87_42:                              ;   in Loop: Header=BB87_43 Depth=1
	s_or_b64 exec, exec, s[6:7]
	s_and_b64 s[6:7], exec, s[22:23]
	s_or_b64 s[16:17], s[6:7], s[16:17]
	s_andn2_b64 s[6:7], s[18:19], exec
	s_and_b64 s[8:9], s[20:21], exec
	s_or_b64 s[18:19], s[6:7], s[8:9]
	s_andn2_b64 exec, exec, s[16:17]
	s_cbranch_execz .LBB87_45
.LBB87_43:                              ; =>This Inner Loop Header: Depth=1
	v_add_f32_e32 v2, 1.0, v2
	v_cmp_neq_f32_e32 vcc, 1.0, v2
	v_frexp_mant_f32_e64 v11, |v2|
	v_cndmask_b32_e64 v13, 1.0, -v5, vcc
	v_cmp_gt_f32_e32 vcc, s25, v11
	v_cndmask_b32_e64 v12, 1.0, 2.0, vcc
	v_mul_f32_e32 v11, v11, v12
	v_add_f32_e32 v12, 1.0, v11
	v_rcp_f32_e32 v14, v12
	v_add_f32_e32 v15, -1.0, v11
	v_add_f32_e32 v16, -1.0, v12
	v_sub_f32_e32 v11, v11, v16
	v_mul_f32_e32 v16, v15, v14
	v_mul_f32_e32 v17, v12, v16
	v_fma_f32 v12, v16, v12, -v17
	v_fmac_f32_e32 v12, v16, v11
	v_add_f32_e32 v11, v17, v12
	v_sub_f32_e32 v18, v15, v11
	v_sub_f32_e32 v17, v11, v17
	;; [unrolled: 1-line block ×5, first 2 shown]
	v_add_f32_e32 v11, v12, v11
	v_add_f32_e32 v11, v18, v11
	v_mul_f32_e32 v11, v14, v11
	v_add_f32_e32 v14, v16, v11
	v_sub_f32_e32 v12, v14, v16
	v_sub_f32_e32 v15, v11, v12
	v_mul_f32_e32 v11, v14, v14
	v_fma_f32 v12, v14, v14, -v11
	v_add_f32_e32 v16, v15, v15
	v_fmac_f32_e32 v12, v14, v16
	v_add_f32_e32 v16, v11, v12
	v_sub_f32_e32 v11, v16, v11
	v_sub_f32_e32 v11, v12, v11
	v_mul_f32_e32 v12, v14, v16
	v_fma_f32 v18, v16, v14, -v12
	v_fmac_f32_e32 v18, v16, v15
	v_mov_b32_e32 v17, 0x3e91f4c4
	v_fmac_f32_e32 v18, v11, v14
	v_fmac_f32_e32 v17, 0x3e76c4e1, v16
	v_add_f32_e32 v19, v12, v18
	v_fma_f32 v17, v16, v17, v7
	v_sub_f32_e32 v12, v19, v12
	v_sub_f32_e32 v18, v18, v12
	v_mul_f32_e32 v12, v16, v17
	v_fma_f32 v16, v16, v17, -v12
	v_fmac_f32_e32 v16, v11, v17
	v_add_f32_e32 v17, v12, v16
	v_sub_f32_e32 v21, v17, v12
	v_cvt_f64_f32_e64 v[11:12], |v2|
	v_add_f32_e32 v20, 0x3f2aaaaa, v17
	v_sub_f32_e32 v16, v16, v21
	v_add_f32_e32 v21, 0xbf2aaaaa, v20
	v_frexp_exp_i32_f64_e32 v11, v[11:12]
	v_add_f32_e32 v16, 0x31739010, v16
	v_sub_f32_e32 v12, v17, v21
	v_add_f32_e32 v12, v16, v12
	v_add_f32_e32 v16, v20, v12
	v_sub_f32_e32 v17, v20, v16
	v_add_f32_e32 v12, v12, v17
	v_mul_f32_e32 v17, v19, v16
	v_subbrev_co_u32_e32 v11, vcc, 0, v11, vcc
	v_cvt_f32_i32_e32 v11, v11
	v_fma_f32 v20, v19, v16, -v17
	v_fmac_f32_e32 v20, v19, v12
	v_fmac_f32_e32 v20, v18, v16
	v_mul_f32_e32 v12, 0x3f317218, v11
	v_fma_f32 v16, v11, s26, -v12
	v_fmac_f32_e32 v16, 0xb102e308, v11
	v_ldexp_f32 v11, v15, 1
	v_add_f32_e32 v15, v12, v16
	v_sub_f32_e32 v12, v15, v12
	v_ldexp_f32 v14, v14, 1
	v_sub_f32_e32 v12, v16, v12
	v_add_f32_e32 v16, v17, v20
	v_sub_f32_e32 v17, v16, v17
	v_add_f32_e32 v18, v14, v16
	v_sub_f32_e32 v17, v20, v17
	v_sub_f32_e32 v14, v18, v14
	;; [unrolled: 1-line block ×3, first 2 shown]
	v_add_f32_e32 v11, v11, v17
	v_add_f32_e32 v11, v11, v14
	;; [unrolled: 1-line block ×3, first 2 shown]
	v_sub_f32_e32 v16, v14, v18
	v_sub_f32_e32 v11, v11, v16
	v_add_f32_e32 v16, v15, v14
	v_sub_f32_e32 v17, v16, v15
	v_sub_f32_e32 v18, v16, v17
	;; [unrolled: 1-line block ×4, first 2 shown]
	v_add_f32_e32 v14, v14, v15
	v_add_f32_e32 v15, v12, v11
	v_sub_f32_e32 v17, v15, v12
	v_sub_f32_e32 v18, v15, v17
	v_sub_f32_e32 v12, v12, v18
	v_sub_f32_e32 v11, v11, v17
	v_add_f32_e32 v11, v11, v12
	v_add_f32_e32 v12, v15, v14
	;; [unrolled: 1-line block ×3, first 2 shown]
	v_sub_f32_e32 v15, v14, v16
	v_sub_f32_e32 v12, v12, v15
	v_add_f32_e32 v11, v11, v12
	v_add_f32_e32 v12, v14, v11
	v_sub_f32_e32 v14, v12, v14
	v_sub_f32_e32 v11, v11, v14
	v_mul_f32_e32 v14, v13, v12
	v_fma_f32 v12, v13, v12, -v14
	v_fmac_f32_e32 v12, v13, v11
	v_add_f32_e32 v11, v14, v12
	v_cmp_class_f32_e64 vcc, v14, s27
	v_sub_f32_e32 v15, v11, v14
	v_cndmask_b32_e32 v11, v11, v14, vcc
	v_cmp_eq_f32_e32 vcc, s29, v11
	v_cndmask_b32_e32 v14, 0, v8, vcc
	v_sub_f32_e32 v12, v12, v15
	v_sub_f32_e32 v15, v11, v14
	v_mul_f32_e32 v16, 0x3fb8aa3b, v15
	v_fma_f32 v17, v15, s40, -v16
	v_rndne_f32_e32 v18, v16
	v_fmac_f32_e32 v17, 0x32a5705f, v15
	v_sub_f32_e32 v16, v16, v18
	v_add_f32_e32 v16, v16, v17
	v_exp_f32_e32 v16, v16
	v_cvt_i32_f32_e32 v17, v18
	v_cmp_neq_f32_e64 vcc, |v11|, s28
	v_cndmask_b32_e32 v11, 0, v12, vcc
	v_cmp_ngt_f32_e32 vcc, s41, v15
	v_ldexp_f32 v12, v16, v17
	v_cndmask_b32_e32 v12, 0, v12, vcc
	v_cmp_nlt_f32_e32 vcc, s29, v15
	v_add_f32_e32 v11, v14, v11
	v_cndmask_b32_e32 v12, v9, v12, vcc
	v_fma_f32 v11, v12, v11, v12
	v_cmp_class_f32_e64 vcc, v12, s27
	v_cndmask_b32_e32 v11, v11, v12, vcc
	v_trunc_f32_e32 v12, v13
	v_cmp_eq_f32_e32 vcc, v12, v13
	v_mul_f32_e32 v12, 0.5, v13
	v_trunc_f32_e32 v14, v12
	v_cmp_neq_f32_e64 s[6:7], v14, v12
	s_and_b64 s[6:7], vcc, s[6:7]
	v_cndmask_b32_e64 v12, 1.0, v2, s[6:7]
	v_bfi_b32 v11, s42, v11, v12
	v_cndmask_b32_e32 v12, v10, v11, vcc
	v_cmp_gt_f32_e32 vcc, 0, v2
	v_cndmask_b32_e32 v11, v11, v12, vcc
	v_cmp_eq_f32_e32 vcc, 0, v2
	v_cmp_gt_f32_e64 s[8:9], 0, v13
	s_xor_b64 s[8:9], vcc, s[8:9]
	v_cmp_class_f32_e64 s[44:45], v2, s27
	v_cndmask_b32_e64 v12, v9, 0, s[8:9]
	v_cndmask_b32_e64 v13, 0, v2, s[6:7]
	v_bfi_b32 v12, s42, v12, v13
	s_or_b64 vcc, vcc, s[44:45]
	v_cndmask_b32_e32 v11, v11, v12, vcc
	v_cmp_o_f32_e32 vcc, v2, v2
	v_cndmask_b32_e32 v11, v10, v11, vcc
	v_add_f32_e32 v6, v6, v11
	v_mul_f32_e32 v12, 0xa5000000, v6
	v_cmp_nlt_f32_e32 vcc, v12, v11
	v_mul_f32_e32 v12, 0x25000000, v6
	v_cmp_nlt_f32_e64 s[6:7], v11, v12
	s_or_b64 s[8:9], vcc, s[6:7]
	s_or_b64 s[20:21], s[20:21], exec
	s_or_b64 s[22:23], s[22:23], exec
	s_and_saveexec_b64 s[6:7], s[8:9]
	s_cbranch_execz .LBB87_42
; %bb.44:                               ;   in Loop: Header=BB87_43 Depth=1
	s_add_i32 s44, s24, 1
	s_cmp_gt_u32 s24, 7
	s_cselect_b64 s[8:9], -1, 0
	v_cmp_nge_f32_e32 vcc, s43, v2
	s_and_b64 s[8:9], s[8:9], vcc
	s_andn2_b64 s[22:23], s[22:23], exec
	s_and_b64 s[8:9], s[8:9], exec
	s_andn2_b64 s[20:21], s[20:21], exec
	s_or_b64 s[22:23], s[22:23], s[8:9]
	s_mov_b32 s24, s44
	s_branch .LBB87_42
.LBB87_45:
	s_or_b64 exec, exec, s[16:17]
	s_xor_b64 s[6:7], s[18:19], -1
	s_and_saveexec_b64 s[8:9], s[6:7]
	s_xor_b64 s[6:7], exec, s[8:9]
	s_cbranch_execz .LBB87_53
; %bb.46:
	v_mul_f32_e32 v9, v2, v11
	v_add_f32_e32 v10, -1.0, v5
	v_div_scale_f32 v7, s[8:9], v10, v10, v9
	v_div_scale_f32 v8, vcc, v9, v10, v9
	s_mov_b64 s[8:9], 0
	s_mov_b32 s26, 0x25000000
	s_mov_b64 s[18:19], 0
                                        ; implicit-def: $sgpr16_sgpr17
	v_rcp_f32_e32 v12, v7
	v_fma_f32 v13, -v7, v12, 1.0
	v_fmac_f32_e32 v12, v13, v12
	v_mul_f32_e32 v13, v8, v12
	v_fma_f32 v14, -v7, v13, v8
	v_fmac_f32_e32 v13, v14, v12
	v_fma_f32 v7, -v7, v13, v8
	v_div_fmas_f32 v12, v7, v12, v13
	v_mov_b32_e32 v8, 1.0
	v_mov_b32_e32 v7, 0
	v_div_fixup_f32 v9, v12, v10, v9
	v_add_f32_e32 v6, v6, v9
	v_fmac_f32_e32 v6, -0.5, v11
	s_branch .LBB87_49
.LBB87_47:                              ;   in Loop: Header=BB87_49 Depth=1
	s_or_b64 exec, exec, s[22:23]
	s_andn2_b64 s[16:17], s[16:17], exec
	s_and_b64 s[22:23], s[24:25], exec
	s_or_b64 s[16:17], s[16:17], s[22:23]
.LBB87_48:                              ;   in Loop: Header=BB87_49 Depth=1
	s_or_b64 exec, exec, s[20:21]
	s_and_b64 s[20:21], exec, s[16:17]
	s_or_b64 s[8:9], s[20:21], s[8:9]
	s_andn2_b64 exec, exec, s[8:9]
	s_cbranch_execz .LBB87_52
.LBB87_49:                              ; =>This Inner Loop Header: Depth=1
	v_div_scale_f32 v9, s[20:21], v2, v2, v11
	v_div_scale_f32 v10, vcc, v11, v2, v11
	s_getpc_b64 s[20:21]
	s_add_u32 s20, s20, _ZZ4zetaIfLb1EET_S0_S0_E1A@rel32@lo+4
	s_addc_u32 s21, s21, _ZZ4zetaIfLb1EET_S0_S0_E1A@rel32@hi+12
	s_add_u32 s20, s20, s18
	s_addc_u32 s21, s21, s19
	s_load_dword s22, s[20:21], 0x0
	s_or_b64 s[16:17], s[16:17], exec
	v_rcp_f32_e32 v12, v9
	v_fma_f32 v13, -v9, v12, 1.0
	v_fmac_f32_e32 v12, v13, v12
	v_mul_f32_e32 v13, v10, v12
	v_fma_f32 v14, -v9, v13, v10
	v_fmac_f32_e32 v13, v14, v12
	v_fma_f32 v9, -v9, v13, v10
	v_div_fmas_f32 v10, v9, v12, v13
	v_add_f32_e32 v9, v7, v5
	v_mul_f32_e32 v9, v8, v9
	v_div_fixup_f32 v10, v10, v2, v11
	v_mul_f32_e32 v8, v10, v9
	s_waitcnt lgkmcnt(0)
	v_div_scale_f32 v11, s[20:21], s22, s22, v8
	v_div_scale_f32 v12, vcc, v8, s22, v8
	v_rcp_f32_e32 v13, v11
	v_fma_f32 v14, -v11, v13, 1.0
	v_fmac_f32_e32 v13, v14, v13
	v_mul_f32_e32 v14, v12, v13
	v_fma_f32 v15, -v11, v14, v12
	v_fmac_f32_e32 v14, v15, v13
	v_fma_f32 v11, -v11, v14, v12
	v_div_fmas_f32 v11, v11, v13, v14
	v_div_fixup_f32 v8, v11, s22, v8
	v_add_f32_e32 v6, v6, v8
	v_div_scale_f32 v11, s[20:21], v6, v6, v8
	v_div_scale_f32 v12, vcc, v8, v6, v8
	v_rcp_f32_e32 v13, v11
	v_fma_f32 v14, -v11, v13, 1.0
	v_fmac_f32_e32 v13, v14, v13
	v_mul_f32_e32 v14, v12, v13
	v_fma_f32 v15, -v11, v14, v12
	v_fmac_f32_e32 v14, v15, v13
	v_fma_f32 v11, -v11, v14, v12
	v_div_fmas_f32 v11, v11, v13, v14
	v_div_fixup_f32 v8, v11, v6, v8
	v_cmp_nlt_f32_e64 s[22:23], |v8|, s26
                                        ; implicit-def: $vgpr11
                                        ; implicit-def: $vgpr8
	s_and_saveexec_b64 s[20:21], s[22:23]
	s_cbranch_execz .LBB87_48
; %bb.50:                               ;   in Loop: Header=BB87_49 Depth=1
	v_div_scale_f32 v8, s[22:23], v2, v2, v10
	v_div_scale_f32 v11, vcc, v10, v2, v10
	v_add_f32_e32 v7, 1.0, v7
	v_rcp_f32_e32 v12, v8
	v_fma_f32 v13, -v8, v12, 1.0
	v_fmac_f32_e32 v12, v13, v12
	v_mul_f32_e32 v13, v11, v12
	v_fma_f32 v14, -v8, v13, v11
	v_fmac_f32_e32 v13, v14, v12
	v_fma_f32 v8, -v8, v13, v11
	v_div_fmas_f32 v8, v8, v12, v13
	v_div_fixup_f32 v8, v8, v2, v10
	v_div_scale_f32 v10, s[22:23], v2, v2, v8
	v_div_scale_f32 v11, vcc, v8, v2, v8
	s_getpc_b64 s[22:23]
	s_add_u32 s22, s22, _ZZ4zetaIfLb1EET_S0_S0_E1A@rel32@lo+8
	s_addc_u32 s23, s23, _ZZ4zetaIfLb1EET_S0_S0_E1A@rel32@hi+16
	s_add_u32 s22, s22, s18
	s_addc_u32 s23, s23, s19
	s_load_dword s24, s[22:23], 0x0
	v_rcp_f32_e32 v12, v10
	v_fma_f32 v13, -v10, v12, 1.0
	v_fmac_f32_e32 v12, v13, v12
	v_mul_f32_e32 v13, v11, v12
	v_fma_f32 v14, -v10, v13, v11
	v_fmac_f32_e32 v13, v14, v12
	v_fma_f32 v10, -v10, v13, v11
	v_div_fmas_f32 v11, v10, v12, v13
	v_add_f32_e32 v12, v7, v5
	v_add_f32_e32 v10, 1.0, v7
	v_mul_f32_e32 v7, v12, v9
	v_add_f32_e32 v9, v10, v5
	v_mul_f32_e32 v12, v7, v9
	v_div_fixup_f32 v9, v11, v2, v8
	v_mul_f32_e32 v7, v9, v12
	s_waitcnt lgkmcnt(0)
	v_div_scale_f32 v8, s[22:23], s24, s24, v7
	v_div_scale_f32 v11, vcc, v7, s24, v7
	v_rcp_f32_e32 v13, v8
	v_fma_f32 v14, -v8, v13, 1.0
	v_fmac_f32_e32 v13, v14, v13
	v_mul_f32_e32 v14, v11, v13
	v_fma_f32 v15, -v8, v14, v11
	v_fmac_f32_e32 v14, v15, v13
	v_fma_f32 v8, -v8, v14, v11
	v_div_fmas_f32 v8, v8, v13, v14
	v_div_fixup_f32 v7, v8, s24, v7
	v_add_f32_e32 v6, v6, v7
	v_div_scale_f32 v8, s[22:23], v6, v6, v7
	v_div_scale_f32 v11, vcc, v7, v6, v7
	s_mov_b64 s[24:25], -1
	v_rcp_f32_e32 v13, v8
	v_fma_f32 v14, -v8, v13, 1.0
	v_fmac_f32_e32 v13, v14, v13
	v_mul_f32_e32 v14, v11, v13
	v_fma_f32 v15, -v8, v14, v11
	v_fmac_f32_e32 v14, v15, v13
	v_fma_f32 v8, -v8, v14, v11
	v_div_fmas_f32 v8, v8, v13, v14
                                        ; implicit-def: $vgpr11
	v_div_fixup_f32 v7, v8, v6, v7
	v_cmp_nlt_f32_e64 s[28:29], |v7|, s26
                                        ; implicit-def: $vgpr7
                                        ; implicit-def: $vgpr8
	s_and_saveexec_b64 s[22:23], s[28:29]
	s_cbranch_execz .LBB87_47
; %bb.51:                               ;   in Loop: Header=BB87_49 Depth=1
	v_div_scale_f32 v7, s[24:25], v2, v2, v9
	v_div_scale_f32 v8, vcc, v9, v2, v9
	s_add_u32 s18, s18, 8
	s_addc_u32 s19, s19, 0
	s_cmp_eq_u32 s18, 48
	s_cselect_b64 s[24:25], -1, 0
	s_orn2_b64 s[24:25], s[24:25], exec
	v_rcp_f32_e32 v11, v7
	v_fma_f32 v13, -v7, v11, 1.0
	v_fmac_f32_e32 v11, v13, v11
	v_mul_f32_e32 v13, v8, v11
	v_fma_f32 v14, -v7, v13, v8
	v_fmac_f32_e32 v13, v14, v11
	v_fma_f32 v7, -v7, v13, v8
	v_div_fmas_f32 v11, v7, v11, v13
	v_add_f32_e32 v7, 1.0, v10
	v_add_f32_e32 v8, v7, v5
	v_add_f32_e32 v7, 1.0, v7
	v_mul_f32_e32 v8, v8, v12
	v_div_fixup_f32 v11, v11, v2, v9
	s_branch .LBB87_47
.LBB87_52:
	s_or_b64 exec, exec, s[8:9]
.LBB87_53:
	s_or_b64 exec, exec, s[6:7]
.LBB87_54:
	s_or_b64 exec, exec, s[14:15]
.LBB87_55:
	s_or_b64 exec, exec, s[12:13]
.LBB87_56:
	s_or_b64 exec, exec, s[10:11]
	s_mov_b32 s6, 0x4b000000
	v_cmp_lt_f32_e64 s[6:7], |v1|, s6
	v_mov_b32_e32 v2, 0x244
	s_or_b64 vcc, s[4:5], s[6:7]
	v_cndmask_b32_e32 v3, v4, v3, vcc
	v_cmp_class_f32_e32 vcc, v1, v2
	v_cndmask_b32_e32 v1, v3, v4, vcc
	s_mov_b32 s4, 0x3fb8aa3b
	v_mul_f32_e32 v2, 0x3fb8aa3b, v1
	v_fma_f32 v3, v1, s4, -v2
	v_rndne_f32_e32 v5, v2
	v_fmac_f32_e32 v3, 0x32a5705f, v1
	v_sub_f32_e32 v2, v2, v5
	v_add_f32_e32 v2, v2, v3
	v_exp_f32_e32 v2, v2
	v_cvt_i32_f32_e32 v3, v5
	s_mov_b32 s4, 0xc2ce8ed0
	v_cmp_ngt_f32_e32 vcc, s4, v1
	s_mov_b32 s4, 0x42b17218
	v_ldexp_f32 v2, v2, v3
	v_and_b32_e32 v0, 1, v0
	v_cndmask_b32_e32 v2, 0, v2, vcc
	v_cmp_nlt_f32_e32 vcc, s4, v1
	v_cndmask_b32_e32 v1, v4, v2, vcc
	v_cmp_eq_u32_e32 vcc, 0, v0
	v_cndmask_b32_e64 v0, v1, -v1, vcc
	v_mul_f32_e32 v0, v0, v6
	s_setpc_b64 s[30:31]
.Lfunc_end87:
	.size	_ZN3c104guts5applyIRZZZN2at6native21polygamma_kernel_cudaERNS2_18TensorIteratorBaseElENKUlvE_clEvENKUlvE0_clEvEUlfE_RSt5tupleIJfEEEEDaOT_OT0_, .Lfunc_end87-_ZN3c104guts5applyIRZZZN2at6native21polygamma_kernel_cudaERNS2_18TensorIteratorBaseElENKUlvE_clEvENKUlvE0_clEvEUlfE_RSt5tupleIJfEEEEDaOT_OT0_
                                        ; -- End function
	.set .L_ZN3c104guts5applyIRZZZN2at6native21polygamma_kernel_cudaERNS2_18TensorIteratorBaseElENKUlvE_clEvENKUlvE0_clEvEUlfE_RSt5tupleIJfEEEEDaOT_OT0_.num_vgpr, 22
	.set .L_ZN3c104guts5applyIRZZZN2at6native21polygamma_kernel_cudaERNS2_18TensorIteratorBaseElENKUlvE_clEvENKUlvE0_clEvEUlfE_RSt5tupleIJfEEEEDaOT_OT0_.num_agpr, 0
	.set .L_ZN3c104guts5applyIRZZZN2at6native21polygamma_kernel_cudaERNS2_18TensorIteratorBaseElENKUlvE_clEvENKUlvE0_clEvEUlfE_RSt5tupleIJfEEEEDaOT_OT0_.numbered_sgpr, 46
	.set .L_ZN3c104guts5applyIRZZZN2at6native21polygamma_kernel_cudaERNS2_18TensorIteratorBaseElENKUlvE_clEvENKUlvE0_clEvEUlfE_RSt5tupleIJfEEEEDaOT_OT0_.num_named_barrier, 0
	.set .L_ZN3c104guts5applyIRZZZN2at6native21polygamma_kernel_cudaERNS2_18TensorIteratorBaseElENKUlvE_clEvENKUlvE0_clEvEUlfE_RSt5tupleIJfEEEEDaOT_OT0_.private_seg_size, 0
	.set .L_ZN3c104guts5applyIRZZZN2at6native21polygamma_kernel_cudaERNS2_18TensorIteratorBaseElENKUlvE_clEvENKUlvE0_clEvEUlfE_RSt5tupleIJfEEEEDaOT_OT0_.uses_vcc, 1
	.set .L_ZN3c104guts5applyIRZZZN2at6native21polygamma_kernel_cudaERNS2_18TensorIteratorBaseElENKUlvE_clEvENKUlvE0_clEvEUlfE_RSt5tupleIJfEEEEDaOT_OT0_.uses_flat_scratch, 0
	.set .L_ZN3c104guts5applyIRZZZN2at6native21polygamma_kernel_cudaERNS2_18TensorIteratorBaseElENKUlvE_clEvENKUlvE0_clEvEUlfE_RSt5tupleIJfEEEEDaOT_OT0_.has_dyn_sized_stack, 0
	.set .L_ZN3c104guts5applyIRZZZN2at6native21polygamma_kernel_cudaERNS2_18TensorIteratorBaseElENKUlvE_clEvENKUlvE0_clEvEUlfE_RSt5tupleIJfEEEEDaOT_OT0_.has_recursion, 0
	.set .L_ZN3c104guts5applyIRZZZN2at6native21polygamma_kernel_cudaERNS2_18TensorIteratorBaseElENKUlvE_clEvENKUlvE0_clEvEUlfE_RSt5tupleIJfEEEEDaOT_OT0_.has_indirect_call, 0
	.section	.AMDGPU.csdata,"",@progbits
; Function info:
; codeLenInByte = 5492
; TotalNumSgprs: 50
; NumVgprs: 22
; ScratchSize: 0
; MemoryBound: 0
	.section	.text._ZN2at6native29vectorized_elementwise_kernelILi16EZZZNS0_21polygamma_kernel_cudaERNS_18TensorIteratorBaseElENKUlvE_clEvENKUlvE0_clEvEUlfE_St5arrayIPcLm2EEEEviT0_T1_,"axG",@progbits,_ZN2at6native29vectorized_elementwise_kernelILi16EZZZNS0_21polygamma_kernel_cudaERNS_18TensorIteratorBaseElENKUlvE_clEvENKUlvE0_clEvEUlfE_St5arrayIPcLm2EEEEviT0_T1_,comdat
	.globl	_ZN2at6native29vectorized_elementwise_kernelILi16EZZZNS0_21polygamma_kernel_cudaERNS_18TensorIteratorBaseElENKUlvE_clEvENKUlvE0_clEvEUlfE_St5arrayIPcLm2EEEEviT0_T1_ ; -- Begin function _ZN2at6native29vectorized_elementwise_kernelILi16EZZZNS0_21polygamma_kernel_cudaERNS_18TensorIteratorBaseElENKUlvE_clEvENKUlvE0_clEvEUlfE_St5arrayIPcLm2EEEEviT0_T1_
	.p2align	8
	.type	_ZN2at6native29vectorized_elementwise_kernelILi16EZZZNS0_21polygamma_kernel_cudaERNS_18TensorIteratorBaseElENKUlvE_clEvENKUlvE0_clEvEUlfE_St5arrayIPcLm2EEEEviT0_T1_,@function
_ZN2at6native29vectorized_elementwise_kernelILi16EZZZNS0_21polygamma_kernel_cudaERNS_18TensorIteratorBaseElENKUlvE_clEvENKUlvE0_clEvEUlfE_St5arrayIPcLm2EEEEviT0_T1_: ; @_ZN2at6native29vectorized_elementwise_kernelILi16EZZZNS0_21polygamma_kernel_cudaERNS_18TensorIteratorBaseElENKUlvE_clEvENKUlvE0_clEvEUlfE_St5arrayIPcLm2EEEEviT0_T1_
; %bb.0:
	s_add_u32 s0, s0, s7
	s_load_dword s7, s[4:5], 0x0
	s_load_dwordx4 s[36:39], s[4:5], 0x8
	s_load_dwordx2 s[48:49], s[4:5], 0x18
	s_addc_u32 s1, s1, 0
	s_lshl_b32 s46, s6, 10
	s_waitcnt lgkmcnt(0)
	s_sub_i32 s33, s7, s46
	v_mov_b32_e32 v22, v0
	s_cmpk_gt_i32 s33, 0x3ff
	s_mov_b64 s[4:5], -1
	s_mov_b32 s32, 0
	s_cbranch_scc0 .LBB88_2
; %bb.1:
	s_ashr_i32 s47, s46, 31
	s_lshl_b64 s[34:35], s[46:47], 2
	s_add_u32 s4, s48, s34
	s_addc_u32 s5, s49, s35
	v_lshlrev_b32_e32 v27, 4, v22
	global_load_dwordx4 v[23:26], v27, s[4:5]
	s_getpc_b64 s[50:51]
	s_add_u32 s50, s50, _ZN3c104guts5applyIRZZZN2at6native21polygamma_kernel_cudaERNS2_18TensorIteratorBaseElENKUlvE_clEvENKUlvE0_clEvEUlfE_RSt5tupleIJfEEEEDaOT_OT0_@rel32@lo+4
	s_addc_u32 s51, s51, _ZN3c104guts5applyIRZZZN2at6native21polygamma_kernel_cudaERNS2_18TensorIteratorBaseElENKUlvE_clEvENKUlvE0_clEvEUlfE_RSt5tupleIJfEEEEDaOT_OT0_@rel32@hi+12
	v_mov_b32_e32 v0, s36
	v_mov_b32_e32 v1, s37
	s_waitcnt vmcnt(0)
	v_mov_b32_e32 v2, v23
	s_swappc_b64 s[30:31], s[50:51]
	v_mov_b32_e32 v23, v0
	v_mov_b32_e32 v0, s36
	v_mov_b32_e32 v1, s37
	v_mov_b32_e32 v2, v24
	s_swappc_b64 s[30:31], s[50:51]
	v_mov_b32_e32 v24, v0
	v_mov_b32_e32 v0, s36
	v_mov_b32_e32 v1, s37
	v_mov_b32_e32 v2, v25
	s_swappc_b64 s[30:31], s[50:51]
	v_mov_b32_e32 v25, v0
	v_mov_b32_e32 v0, s36
	v_mov_b32_e32 v1, s37
	v_mov_b32_e32 v2, v26
	s_swappc_b64 s[30:31], s[50:51]
	s_add_u32 s4, s38, s34
	v_mov_b32_e32 v26, v0
	s_addc_u32 s5, s39, s35
	global_store_dwordx4 v27, v[23:26], s[4:5]
	s_mov_b64 s[4:5], 0
.LBB88_2:
	s_andn2_b64 vcc, exec, s[4:5]
	s_cbranch_vccnz .LBB88_23
; %bb.3:
	v_cmp_gt_i32_e64 s[34:35], s33, v22
	v_mov_b32_e32 v23, 0
	v_or_b32_e32 v30, s46, v22
	v_mov_b32_e32 v2, 0
	v_mov_b32_e32 v0, v22
	s_and_saveexec_b64 s[4:5], s[34:35]
	s_cbranch_execz .LBB88_5
; %bb.4:
	v_mov_b32_e32 v31, 0
	v_lshlrev_b64 v[0:1], 2, v[30:31]
	v_mov_b32_e32 v2, s49
	v_add_co_u32_e32 v0, vcc, s48, v0
	v_addc_co_u32_e32 v1, vcc, v2, v1, vcc
	global_load_dword v2, v[0:1], off
	v_or_b32_e32 v0, 0x100, v22
.LBB88_5:
	s_or_b64 exec, exec, s[4:5]
	v_cmp_gt_i32_e32 vcc, s33, v0
	s_and_saveexec_b64 s[4:5], vcc
	s_cbranch_execz .LBB88_7
; %bb.6:
	v_add_u32_e32 v3, s46, v0
	v_mov_b32_e32 v4, 0
	v_lshlrev_b64 v[3:4], 2, v[3:4]
	v_mov_b32_e32 v1, s49
	v_add_co_u32_e32 v3, vcc, s48, v3
	v_addc_co_u32_e32 v4, vcc, v1, v4, vcc
	global_load_dword v23, v[3:4], off
	v_add_u32_e32 v0, 0x100, v0
.LBB88_7:
	s_or_b64 exec, exec, s[4:5]
	v_cmp_gt_i32_e32 vcc, s33, v0
	v_mov_b32_e32 v24, 0
	v_mov_b32_e32 v25, 0
	s_and_saveexec_b64 s[4:5], vcc
	s_cbranch_execz .LBB88_9
; %bb.8:
	v_add_u32_e32 v3, s46, v0
	v_mov_b32_e32 v4, 0
	v_lshlrev_b64 v[3:4], 2, v[3:4]
	v_mov_b32_e32 v1, s49
	v_add_co_u32_e32 v3, vcc, s48, v3
	v_addc_co_u32_e32 v4, vcc, v1, v4, vcc
	global_load_dword v25, v[3:4], off
	v_add_u32_e32 v0, 0x100, v0
.LBB88_9:
	s_or_b64 exec, exec, s[4:5]
	v_cmp_gt_i32_e32 vcc, s33, v0
	s_and_saveexec_b64 s[4:5], vcc
	s_cbranch_execz .LBB88_11
; %bb.10:
	v_add_u32_e32 v0, s46, v0
	v_mov_b32_e32 v1, 0
	v_lshlrev_b64 v[0:1], 2, v[0:1]
	v_mov_b32_e32 v3, s49
	v_add_co_u32_e32 v0, vcc, s48, v0
	v_addc_co_u32_e32 v1, vcc, v3, v1, vcc
	global_load_dword v24, v[0:1], off
.LBB88_11:
	s_or_b64 exec, exec, s[4:5]
	v_mov_b32_e32 v26, 0
	v_mov_b32_e32 v27, v26
	;; [unrolled: 1-line block ×4, first 2 shown]
	s_and_saveexec_b64 s[48:49], s[34:35]
	s_cbranch_execz .LBB88_13
; %bb.12:
	s_getpc_b64 s[4:5]
	s_add_u32 s4, s4, _ZN3c104guts5applyIRZZZN2at6native21polygamma_kernel_cudaERNS2_18TensorIteratorBaseElENKUlvE_clEvENKUlvE0_clEvEUlfE_RSt5tupleIJfEEEEDaOT_OT0_@rel32@lo+4
	s_addc_u32 s5, s5, _ZN3c104guts5applyIRZZZN2at6native21polygamma_kernel_cudaERNS2_18TensorIteratorBaseElENKUlvE_clEvENKUlvE0_clEvEUlfE_RSt5tupleIJfEEEEDaOT_OT0_@rel32@hi+12
	v_mov_b32_e32 v0, s36
	v_mov_b32_e32 v1, s37
	s_swappc_b64 s[30:31], s[4:5]
	v_mov_b32_e32 v3, v26
	v_mov_b32_e32 v1, v26
	;; [unrolled: 1-line block ×7, first 2 shown]
.LBB88_13:
	s_or_b64 exec, exec, s[48:49]
	v_or_b32_e32 v32, 0x100, v22
	v_cmp_gt_i32_e32 vcc, s33, v32
	s_and_saveexec_b64 s[48:49], vcc
	s_cbranch_execz .LBB88_15
; %bb.14:
	s_getpc_b64 s[4:5]
	s_add_u32 s4, s4, _ZN3c104guts5applyIRZZZN2at6native21polygamma_kernel_cudaERNS2_18TensorIteratorBaseElENKUlvE_clEvENKUlvE0_clEvEUlfE_RSt5tupleIJfEEEEDaOT_OT0_@rel32@lo+4
	s_addc_u32 s5, s5, _ZN3c104guts5applyIRZZZN2at6native21polygamma_kernel_cudaERNS2_18TensorIteratorBaseElENKUlvE_clEvENKUlvE0_clEvEUlfE_RSt5tupleIJfEEEEDaOT_OT0_@rel32@hi+12
	v_mov_b32_e32 v0, s36
	v_mov_b32_e32 v1, s37
	s_waitcnt vmcnt(0)
	v_mov_b32_e32 v2, v23
	s_swappc_b64 s[30:31], s[4:5]
	v_mov_b32_e32 v27, v0
.LBB88_15:
	s_or_b64 exec, exec, s[48:49]
	v_or_b32_e32 v0, 0x200, v22
	v_cmp_gt_i32_e32 vcc, s33, v0
	s_and_saveexec_b64 s[48:49], vcc
	s_cbranch_execz .LBB88_17
; %bb.16:
	s_getpc_b64 s[4:5]
	s_add_u32 s4, s4, _ZN3c104guts5applyIRZZZN2at6native21polygamma_kernel_cudaERNS2_18TensorIteratorBaseElENKUlvE_clEvENKUlvE0_clEvEUlfE_RSt5tupleIJfEEEEDaOT_OT0_@rel32@lo+4
	s_addc_u32 s5, s5, _ZN3c104guts5applyIRZZZN2at6native21polygamma_kernel_cudaERNS2_18TensorIteratorBaseElENKUlvE_clEvENKUlvE0_clEvEUlfE_RSt5tupleIJfEEEEDaOT_OT0_@rel32@hi+12
	v_mov_b32_e32 v0, s36
	v_mov_b32_e32 v1, s37
	s_waitcnt vmcnt(0)
	v_mov_b32_e32 v2, v25
	s_swappc_b64 s[30:31], s[4:5]
	v_mov_b32_e32 v28, v0
.LBB88_17:
	s_or_b64 exec, exec, s[48:49]
	v_or_b32_e32 v0, 0x300, v22
	v_cmp_gt_i32_e32 vcc, s33, v0
	s_and_saveexec_b64 s[48:49], vcc
	s_cbranch_execnz .LBB88_24
; %bb.18:
	s_or_b64 exec, exec, s[48:49]
	s_and_saveexec_b64 s[4:5], s[34:35]
	s_xor_b64 s[4:5], exec, s[4:5]
	s_cbranch_execnz .LBB88_25
.LBB88_19:
	s_or_b64 exec, exec, s[4:5]
	v_cmp_gt_i32_e32 vcc, s33, v22
	s_and_saveexec_b64 s[4:5], vcc
	s_cbranch_execnz .LBB88_26
.LBB88_20:
	s_or_b64 exec, exec, s[4:5]
	v_cmp_gt_i32_e32 vcc, s33, v22
	s_and_saveexec_b64 s[4:5], vcc
	s_cbranch_execnz .LBB88_27
.LBB88_21:
	s_or_b64 exec, exec, s[4:5]
	v_cmp_gt_i32_e32 vcc, s33, v22
	s_and_saveexec_b64 s[4:5], vcc
	s_cbranch_execz .LBB88_23
.LBB88_22:
	v_add_u32_e32 v0, s46, v22
	v_mov_b32_e32 v1, 0
	v_lshlrev_b64 v[0:1], 2, v[0:1]
	s_waitcnt vmcnt(0)
	v_mov_b32_e32 v2, s39
	v_add_co_u32_e32 v0, vcc, s38, v0
	v_addc_co_u32_e32 v1, vcc, v2, v1, vcc
	global_store_dword v[0:1], v29, off
.LBB88_23:
	s_endpgm
.LBB88_24:
	s_getpc_b64 s[4:5]
	s_add_u32 s4, s4, _ZN3c104guts5applyIRZZZN2at6native21polygamma_kernel_cudaERNS2_18TensorIteratorBaseElENKUlvE_clEvENKUlvE0_clEvEUlfE_RSt5tupleIJfEEEEDaOT_OT0_@rel32@lo+4
	s_addc_u32 s5, s5, _ZN3c104guts5applyIRZZZN2at6native21polygamma_kernel_cudaERNS2_18TensorIteratorBaseElENKUlvE_clEvENKUlvE0_clEvEUlfE_RSt5tupleIJfEEEEDaOT_OT0_@rel32@hi+12
	v_mov_b32_e32 v0, s36
	v_mov_b32_e32 v1, s37
	s_waitcnt vmcnt(0)
	v_mov_b32_e32 v2, v24
	s_swappc_b64 s[30:31], s[4:5]
	v_mov_b32_e32 v29, v0
	s_or_b64 exec, exec, s[48:49]
	s_and_saveexec_b64 s[4:5], s[34:35]
	s_xor_b64 s[4:5], exec, s[4:5]
	s_cbranch_execz .LBB88_19
.LBB88_25:
	v_mov_b32_e32 v31, 0
	v_lshlrev_b64 v[0:1], 2, v[30:31]
	s_waitcnt vmcnt(0)
	v_mov_b32_e32 v2, s39
	v_add_co_u32_e32 v0, vcc, s38, v0
	v_addc_co_u32_e32 v1, vcc, v2, v1, vcc
	v_mov_b32_e32 v22, v32
	global_store_dword v[0:1], v26, off
	s_or_b64 exec, exec, s[4:5]
	v_cmp_gt_i32_e32 vcc, s33, v22
	s_and_saveexec_b64 s[4:5], vcc
	s_cbranch_execz .LBB88_20
.LBB88_26:
	v_add_u32_e32 v0, s46, v22
	v_mov_b32_e32 v1, 0
	v_lshlrev_b64 v[0:1], 2, v[0:1]
	s_waitcnt vmcnt(0)
	v_mov_b32_e32 v2, s39
	v_add_co_u32_e32 v0, vcc, s38, v0
	v_addc_co_u32_e32 v1, vcc, v2, v1, vcc
	v_add_u32_e32 v22, 0x100, v22
	global_store_dword v[0:1], v27, off
	s_or_b64 exec, exec, s[4:5]
	v_cmp_gt_i32_e32 vcc, s33, v22
	s_and_saveexec_b64 s[4:5], vcc
	s_cbranch_execz .LBB88_21
.LBB88_27:
	v_add_u32_e32 v0, s46, v22
	v_mov_b32_e32 v1, 0
	v_lshlrev_b64 v[0:1], 2, v[0:1]
	s_waitcnt vmcnt(0)
	v_mov_b32_e32 v2, s39
	v_add_co_u32_e32 v0, vcc, s38, v0
	v_addc_co_u32_e32 v1, vcc, v2, v1, vcc
	v_add_u32_e32 v22, 0x100, v22
	global_store_dword v[0:1], v28, off
	s_or_b64 exec, exec, s[4:5]
	v_cmp_gt_i32_e32 vcc, s33, v22
	s_and_saveexec_b64 s[4:5], vcc
	s_cbranch_execnz .LBB88_22
	s_branch .LBB88_23
	.section	.rodata,"a",@progbits
	.p2align	6, 0x0
	.amdhsa_kernel _ZN2at6native29vectorized_elementwise_kernelILi16EZZZNS0_21polygamma_kernel_cudaERNS_18TensorIteratorBaseElENKUlvE_clEvENKUlvE0_clEvEUlfE_St5arrayIPcLm2EEEEviT0_T1_
		.amdhsa_group_segment_fixed_size 0
		.amdhsa_private_segment_fixed_size 0
		.amdhsa_kernarg_size 32
		.amdhsa_user_sgpr_count 6
		.amdhsa_user_sgpr_private_segment_buffer 1
		.amdhsa_user_sgpr_dispatch_ptr 0
		.amdhsa_user_sgpr_queue_ptr 0
		.amdhsa_user_sgpr_kernarg_segment_ptr 1
		.amdhsa_user_sgpr_dispatch_id 0
		.amdhsa_user_sgpr_flat_scratch_init 0
		.amdhsa_user_sgpr_private_segment_size 0
		.amdhsa_uses_dynamic_stack 0
		.amdhsa_system_sgpr_private_segment_wavefront_offset 0
		.amdhsa_system_sgpr_workgroup_id_x 1
		.amdhsa_system_sgpr_workgroup_id_y 0
		.amdhsa_system_sgpr_workgroup_id_z 0
		.amdhsa_system_sgpr_workgroup_info 0
		.amdhsa_system_vgpr_workitem_id 0
		.amdhsa_next_free_vgpr 33
		.amdhsa_next_free_sgpr 52
		.amdhsa_reserve_vcc 1
		.amdhsa_reserve_flat_scratch 0
		.amdhsa_float_round_mode_32 0
		.amdhsa_float_round_mode_16_64 0
		.amdhsa_float_denorm_mode_32 3
		.amdhsa_float_denorm_mode_16_64 3
		.amdhsa_dx10_clamp 1
		.amdhsa_ieee_mode 1
		.amdhsa_fp16_overflow 0
		.amdhsa_exception_fp_ieee_invalid_op 0
		.amdhsa_exception_fp_denorm_src 0
		.amdhsa_exception_fp_ieee_div_zero 0
		.amdhsa_exception_fp_ieee_overflow 0
		.amdhsa_exception_fp_ieee_underflow 0
		.amdhsa_exception_fp_ieee_inexact 0
		.amdhsa_exception_int_div_zero 0
	.end_amdhsa_kernel
	.section	.text._ZN2at6native29vectorized_elementwise_kernelILi16EZZZNS0_21polygamma_kernel_cudaERNS_18TensorIteratorBaseElENKUlvE_clEvENKUlvE0_clEvEUlfE_St5arrayIPcLm2EEEEviT0_T1_,"axG",@progbits,_ZN2at6native29vectorized_elementwise_kernelILi16EZZZNS0_21polygamma_kernel_cudaERNS_18TensorIteratorBaseElENKUlvE_clEvENKUlvE0_clEvEUlfE_St5arrayIPcLm2EEEEviT0_T1_,comdat
.Lfunc_end88:
	.size	_ZN2at6native29vectorized_elementwise_kernelILi16EZZZNS0_21polygamma_kernel_cudaERNS_18TensorIteratorBaseElENKUlvE_clEvENKUlvE0_clEvEUlfE_St5arrayIPcLm2EEEEviT0_T1_, .Lfunc_end88-_ZN2at6native29vectorized_elementwise_kernelILi16EZZZNS0_21polygamma_kernel_cudaERNS_18TensorIteratorBaseElENKUlvE_clEvENKUlvE0_clEvEUlfE_St5arrayIPcLm2EEEEviT0_T1_
                                        ; -- End function
	.set _ZN2at6native29vectorized_elementwise_kernelILi16EZZZNS0_21polygamma_kernel_cudaERNS_18TensorIteratorBaseElENKUlvE_clEvENKUlvE0_clEvEUlfE_St5arrayIPcLm2EEEEviT0_T1_.num_vgpr, max(33, .L_ZN3c104guts5applyIRZZZN2at6native21polygamma_kernel_cudaERNS2_18TensorIteratorBaseElENKUlvE_clEvENKUlvE0_clEvEUlfE_RSt5tupleIJfEEEEDaOT_OT0_.num_vgpr)
	.set _ZN2at6native29vectorized_elementwise_kernelILi16EZZZNS0_21polygamma_kernel_cudaERNS_18TensorIteratorBaseElENKUlvE_clEvENKUlvE0_clEvEUlfE_St5arrayIPcLm2EEEEviT0_T1_.num_agpr, max(0, .L_ZN3c104guts5applyIRZZZN2at6native21polygamma_kernel_cudaERNS2_18TensorIteratorBaseElENKUlvE_clEvENKUlvE0_clEvEUlfE_RSt5tupleIJfEEEEDaOT_OT0_.num_agpr)
	.set _ZN2at6native29vectorized_elementwise_kernelILi16EZZZNS0_21polygamma_kernel_cudaERNS_18TensorIteratorBaseElENKUlvE_clEvENKUlvE0_clEvEUlfE_St5arrayIPcLm2EEEEviT0_T1_.numbered_sgpr, max(52, .L_ZN3c104guts5applyIRZZZN2at6native21polygamma_kernel_cudaERNS2_18TensorIteratorBaseElENKUlvE_clEvENKUlvE0_clEvEUlfE_RSt5tupleIJfEEEEDaOT_OT0_.numbered_sgpr)
	.set _ZN2at6native29vectorized_elementwise_kernelILi16EZZZNS0_21polygamma_kernel_cudaERNS_18TensorIteratorBaseElENKUlvE_clEvENKUlvE0_clEvEUlfE_St5arrayIPcLm2EEEEviT0_T1_.num_named_barrier, max(0, .L_ZN3c104guts5applyIRZZZN2at6native21polygamma_kernel_cudaERNS2_18TensorIteratorBaseElENKUlvE_clEvENKUlvE0_clEvEUlfE_RSt5tupleIJfEEEEDaOT_OT0_.num_named_barrier)
	.set _ZN2at6native29vectorized_elementwise_kernelILi16EZZZNS0_21polygamma_kernel_cudaERNS_18TensorIteratorBaseElENKUlvE_clEvENKUlvE0_clEvEUlfE_St5arrayIPcLm2EEEEviT0_T1_.private_seg_size, 0+max(.L_ZN3c104guts5applyIRZZZN2at6native21polygamma_kernel_cudaERNS2_18TensorIteratorBaseElENKUlvE_clEvENKUlvE0_clEvEUlfE_RSt5tupleIJfEEEEDaOT_OT0_.private_seg_size)
	.set _ZN2at6native29vectorized_elementwise_kernelILi16EZZZNS0_21polygamma_kernel_cudaERNS_18TensorIteratorBaseElENKUlvE_clEvENKUlvE0_clEvEUlfE_St5arrayIPcLm2EEEEviT0_T1_.uses_vcc, or(1, .L_ZN3c104guts5applyIRZZZN2at6native21polygamma_kernel_cudaERNS2_18TensorIteratorBaseElENKUlvE_clEvENKUlvE0_clEvEUlfE_RSt5tupleIJfEEEEDaOT_OT0_.uses_vcc)
	.set _ZN2at6native29vectorized_elementwise_kernelILi16EZZZNS0_21polygamma_kernel_cudaERNS_18TensorIteratorBaseElENKUlvE_clEvENKUlvE0_clEvEUlfE_St5arrayIPcLm2EEEEviT0_T1_.uses_flat_scratch, or(0, .L_ZN3c104guts5applyIRZZZN2at6native21polygamma_kernel_cudaERNS2_18TensorIteratorBaseElENKUlvE_clEvENKUlvE0_clEvEUlfE_RSt5tupleIJfEEEEDaOT_OT0_.uses_flat_scratch)
	.set _ZN2at6native29vectorized_elementwise_kernelILi16EZZZNS0_21polygamma_kernel_cudaERNS_18TensorIteratorBaseElENKUlvE_clEvENKUlvE0_clEvEUlfE_St5arrayIPcLm2EEEEviT0_T1_.has_dyn_sized_stack, or(0, .L_ZN3c104guts5applyIRZZZN2at6native21polygamma_kernel_cudaERNS2_18TensorIteratorBaseElENKUlvE_clEvENKUlvE0_clEvEUlfE_RSt5tupleIJfEEEEDaOT_OT0_.has_dyn_sized_stack)
	.set _ZN2at6native29vectorized_elementwise_kernelILi16EZZZNS0_21polygamma_kernel_cudaERNS_18TensorIteratorBaseElENKUlvE_clEvENKUlvE0_clEvEUlfE_St5arrayIPcLm2EEEEviT0_T1_.has_recursion, or(0, .L_ZN3c104guts5applyIRZZZN2at6native21polygamma_kernel_cudaERNS2_18TensorIteratorBaseElENKUlvE_clEvENKUlvE0_clEvEUlfE_RSt5tupleIJfEEEEDaOT_OT0_.has_recursion)
	.set _ZN2at6native29vectorized_elementwise_kernelILi16EZZZNS0_21polygamma_kernel_cudaERNS_18TensorIteratorBaseElENKUlvE_clEvENKUlvE0_clEvEUlfE_St5arrayIPcLm2EEEEviT0_T1_.has_indirect_call, or(0, .L_ZN3c104guts5applyIRZZZN2at6native21polygamma_kernel_cudaERNS2_18TensorIteratorBaseElENKUlvE_clEvENKUlvE0_clEvEUlfE_RSt5tupleIJfEEEEDaOT_OT0_.has_indirect_call)
	.section	.AMDGPU.csdata,"",@progbits
; Kernel info:
; codeLenInByte = 1080
; TotalNumSgprs: 56
; NumVgprs: 33
; ScratchSize: 0
; MemoryBound: 0
; FloatMode: 240
; IeeeMode: 1
; LDSByteSize: 0 bytes/workgroup (compile time only)
; SGPRBlocks: 6
; VGPRBlocks: 8
; NumSGPRsForWavesPerEU: 56
; NumVGPRsForWavesPerEU: 33
; Occupancy: 7
; WaveLimiterHint : 0
; COMPUTE_PGM_RSRC2:SCRATCH_EN: 0
; COMPUTE_PGM_RSRC2:USER_SGPR: 6
; COMPUTE_PGM_RSRC2:TRAP_HANDLER: 0
; COMPUTE_PGM_RSRC2:TGID_X_EN: 1
; COMPUTE_PGM_RSRC2:TGID_Y_EN: 0
; COMPUTE_PGM_RSRC2:TGID_Z_EN: 0
; COMPUTE_PGM_RSRC2:TIDIG_COMP_CNT: 0
	.section	.text._ZN2at6native29vectorized_elementwise_kernelILi8EZZZNS0_21polygamma_kernel_cudaERNS_18TensorIteratorBaseElENKUlvE_clEvENKUlvE0_clEvEUlfE_St5arrayIPcLm2EEEEviT0_T1_,"axG",@progbits,_ZN2at6native29vectorized_elementwise_kernelILi8EZZZNS0_21polygamma_kernel_cudaERNS_18TensorIteratorBaseElENKUlvE_clEvENKUlvE0_clEvEUlfE_St5arrayIPcLm2EEEEviT0_T1_,comdat
	.globl	_ZN2at6native29vectorized_elementwise_kernelILi8EZZZNS0_21polygamma_kernel_cudaERNS_18TensorIteratorBaseElENKUlvE_clEvENKUlvE0_clEvEUlfE_St5arrayIPcLm2EEEEviT0_T1_ ; -- Begin function _ZN2at6native29vectorized_elementwise_kernelILi8EZZZNS0_21polygamma_kernel_cudaERNS_18TensorIteratorBaseElENKUlvE_clEvENKUlvE0_clEvEUlfE_St5arrayIPcLm2EEEEviT0_T1_
	.p2align	8
	.type	_ZN2at6native29vectorized_elementwise_kernelILi8EZZZNS0_21polygamma_kernel_cudaERNS_18TensorIteratorBaseElENKUlvE_clEvENKUlvE0_clEvEUlfE_St5arrayIPcLm2EEEEviT0_T1_,@function
_ZN2at6native29vectorized_elementwise_kernelILi8EZZZNS0_21polygamma_kernel_cudaERNS_18TensorIteratorBaseElENKUlvE_clEvENKUlvE0_clEvEUlfE_St5arrayIPcLm2EEEEviT0_T1_: ; @_ZN2at6native29vectorized_elementwise_kernelILi8EZZZNS0_21polygamma_kernel_cudaERNS_18TensorIteratorBaseElENKUlvE_clEvENKUlvE0_clEvEUlfE_St5arrayIPcLm2EEEEviT0_T1_
; %bb.0:
	s_add_u32 s0, s0, s7
	s_load_dword s7, s[4:5], 0x0
	s_load_dwordx4 s[36:39], s[4:5], 0x8
	s_load_dwordx2 s[48:49], s[4:5], 0x18
	s_addc_u32 s1, s1, 0
	s_lshl_b32 s46, s6, 10
	s_waitcnt lgkmcnt(0)
	s_sub_i32 s33, s7, s46
	v_mov_b32_e32 v22, v0
	s_cmpk_gt_i32 s33, 0x3ff
	s_mov_b64 s[4:5], -1
	s_mov_b32 s32, 0
	s_cbranch_scc0 .LBB89_2
; %bb.1:
	s_ashr_i32 s47, s46, 31
	s_lshl_b64 s[34:35], s[46:47], 2
	s_add_u32 s4, s48, s34
	s_addc_u32 s5, s49, s35
	v_lshlrev_b32_e32 v27, 4, v22
	global_load_dwordx4 v[23:26], v27, s[4:5]
	s_getpc_b64 s[50:51]
	s_add_u32 s50, s50, _ZN3c104guts5applyIRZZZN2at6native21polygamma_kernel_cudaERNS2_18TensorIteratorBaseElENKUlvE_clEvENKUlvE0_clEvEUlfE_RSt5tupleIJfEEEEDaOT_OT0_@rel32@lo+4
	s_addc_u32 s51, s51, _ZN3c104guts5applyIRZZZN2at6native21polygamma_kernel_cudaERNS2_18TensorIteratorBaseElENKUlvE_clEvENKUlvE0_clEvEUlfE_RSt5tupleIJfEEEEDaOT_OT0_@rel32@hi+12
	v_mov_b32_e32 v0, s36
	v_mov_b32_e32 v1, s37
	s_waitcnt vmcnt(0)
	v_mov_b32_e32 v2, v23
	s_swappc_b64 s[30:31], s[50:51]
	v_mov_b32_e32 v23, v0
	v_mov_b32_e32 v0, s36
	v_mov_b32_e32 v1, s37
	v_mov_b32_e32 v2, v24
	s_swappc_b64 s[30:31], s[50:51]
	v_mov_b32_e32 v24, v0
	v_mov_b32_e32 v0, s36
	v_mov_b32_e32 v1, s37
	;; [unrolled: 5-line block ×3, first 2 shown]
	v_mov_b32_e32 v2, v26
	s_swappc_b64 s[30:31], s[50:51]
	s_add_u32 s4, s38, s34
	v_mov_b32_e32 v26, v0
	s_addc_u32 s5, s39, s35
	global_store_dwordx4 v27, v[23:26], s[4:5]
	s_mov_b64 s[4:5], 0
.LBB89_2:
	s_andn2_b64 vcc, exec, s[4:5]
	s_cbranch_vccnz .LBB89_23
; %bb.3:
	v_cmp_gt_i32_e64 s[34:35], s33, v22
	v_mov_b32_e32 v23, 0
	v_or_b32_e32 v30, s46, v22
	v_mov_b32_e32 v2, 0
	v_mov_b32_e32 v0, v22
	s_and_saveexec_b64 s[4:5], s[34:35]
	s_cbranch_execz .LBB89_5
; %bb.4:
	v_mov_b32_e32 v31, 0
	v_lshlrev_b64 v[0:1], 2, v[30:31]
	v_mov_b32_e32 v2, s49
	v_add_co_u32_e32 v0, vcc, s48, v0
	v_addc_co_u32_e32 v1, vcc, v2, v1, vcc
	global_load_dword v2, v[0:1], off
	v_or_b32_e32 v0, 0x100, v22
.LBB89_5:
	s_or_b64 exec, exec, s[4:5]
	v_cmp_gt_i32_e32 vcc, s33, v0
	s_and_saveexec_b64 s[4:5], vcc
	s_cbranch_execz .LBB89_7
; %bb.6:
	v_add_u32_e32 v3, s46, v0
	v_mov_b32_e32 v4, 0
	v_lshlrev_b64 v[3:4], 2, v[3:4]
	v_mov_b32_e32 v1, s49
	v_add_co_u32_e32 v3, vcc, s48, v3
	v_addc_co_u32_e32 v4, vcc, v1, v4, vcc
	global_load_dword v23, v[3:4], off
	v_add_u32_e32 v0, 0x100, v0
.LBB89_7:
	s_or_b64 exec, exec, s[4:5]
	v_cmp_gt_i32_e32 vcc, s33, v0
	v_mov_b32_e32 v24, 0
	v_mov_b32_e32 v25, 0
	s_and_saveexec_b64 s[4:5], vcc
	s_cbranch_execz .LBB89_9
; %bb.8:
	v_add_u32_e32 v3, s46, v0
	v_mov_b32_e32 v4, 0
	v_lshlrev_b64 v[3:4], 2, v[3:4]
	v_mov_b32_e32 v1, s49
	v_add_co_u32_e32 v3, vcc, s48, v3
	v_addc_co_u32_e32 v4, vcc, v1, v4, vcc
	global_load_dword v25, v[3:4], off
	v_add_u32_e32 v0, 0x100, v0
.LBB89_9:
	s_or_b64 exec, exec, s[4:5]
	v_cmp_gt_i32_e32 vcc, s33, v0
	s_and_saveexec_b64 s[4:5], vcc
	s_cbranch_execz .LBB89_11
; %bb.10:
	v_add_u32_e32 v0, s46, v0
	v_mov_b32_e32 v1, 0
	v_lshlrev_b64 v[0:1], 2, v[0:1]
	v_mov_b32_e32 v3, s49
	v_add_co_u32_e32 v0, vcc, s48, v0
	v_addc_co_u32_e32 v1, vcc, v3, v1, vcc
	global_load_dword v24, v[0:1], off
.LBB89_11:
	s_or_b64 exec, exec, s[4:5]
	v_mov_b32_e32 v26, 0
	v_mov_b32_e32 v27, v26
	;; [unrolled: 1-line block ×4, first 2 shown]
	s_and_saveexec_b64 s[48:49], s[34:35]
	s_cbranch_execz .LBB89_13
; %bb.12:
	s_getpc_b64 s[4:5]
	s_add_u32 s4, s4, _ZN3c104guts5applyIRZZZN2at6native21polygamma_kernel_cudaERNS2_18TensorIteratorBaseElENKUlvE_clEvENKUlvE0_clEvEUlfE_RSt5tupleIJfEEEEDaOT_OT0_@rel32@lo+4
	s_addc_u32 s5, s5, _ZN3c104guts5applyIRZZZN2at6native21polygamma_kernel_cudaERNS2_18TensorIteratorBaseElENKUlvE_clEvENKUlvE0_clEvEUlfE_RSt5tupleIJfEEEEDaOT_OT0_@rel32@hi+12
	v_mov_b32_e32 v0, s36
	v_mov_b32_e32 v1, s37
	s_swappc_b64 s[30:31], s[4:5]
	v_mov_b32_e32 v3, v26
	v_mov_b32_e32 v1, v26
	;; [unrolled: 1-line block ×7, first 2 shown]
.LBB89_13:
	s_or_b64 exec, exec, s[48:49]
	v_or_b32_e32 v32, 0x100, v22
	v_cmp_gt_i32_e32 vcc, s33, v32
	s_and_saveexec_b64 s[48:49], vcc
	s_cbranch_execz .LBB89_15
; %bb.14:
	s_getpc_b64 s[4:5]
	s_add_u32 s4, s4, _ZN3c104guts5applyIRZZZN2at6native21polygamma_kernel_cudaERNS2_18TensorIteratorBaseElENKUlvE_clEvENKUlvE0_clEvEUlfE_RSt5tupleIJfEEEEDaOT_OT0_@rel32@lo+4
	s_addc_u32 s5, s5, _ZN3c104guts5applyIRZZZN2at6native21polygamma_kernel_cudaERNS2_18TensorIteratorBaseElENKUlvE_clEvENKUlvE0_clEvEUlfE_RSt5tupleIJfEEEEDaOT_OT0_@rel32@hi+12
	v_mov_b32_e32 v0, s36
	v_mov_b32_e32 v1, s37
	s_waitcnt vmcnt(0)
	v_mov_b32_e32 v2, v23
	s_swappc_b64 s[30:31], s[4:5]
	v_mov_b32_e32 v27, v0
.LBB89_15:
	s_or_b64 exec, exec, s[48:49]
	v_or_b32_e32 v0, 0x200, v22
	v_cmp_gt_i32_e32 vcc, s33, v0
	s_and_saveexec_b64 s[48:49], vcc
	s_cbranch_execz .LBB89_17
; %bb.16:
	s_getpc_b64 s[4:5]
	s_add_u32 s4, s4, _ZN3c104guts5applyIRZZZN2at6native21polygamma_kernel_cudaERNS2_18TensorIteratorBaseElENKUlvE_clEvENKUlvE0_clEvEUlfE_RSt5tupleIJfEEEEDaOT_OT0_@rel32@lo+4
	s_addc_u32 s5, s5, _ZN3c104guts5applyIRZZZN2at6native21polygamma_kernel_cudaERNS2_18TensorIteratorBaseElENKUlvE_clEvENKUlvE0_clEvEUlfE_RSt5tupleIJfEEEEDaOT_OT0_@rel32@hi+12
	v_mov_b32_e32 v0, s36
	v_mov_b32_e32 v1, s37
	s_waitcnt vmcnt(0)
	v_mov_b32_e32 v2, v25
	s_swappc_b64 s[30:31], s[4:5]
	v_mov_b32_e32 v28, v0
.LBB89_17:
	s_or_b64 exec, exec, s[48:49]
	v_or_b32_e32 v0, 0x300, v22
	v_cmp_gt_i32_e32 vcc, s33, v0
	s_and_saveexec_b64 s[48:49], vcc
	s_cbranch_execnz .LBB89_24
; %bb.18:
	s_or_b64 exec, exec, s[48:49]
	s_and_saveexec_b64 s[4:5], s[34:35]
	s_xor_b64 s[4:5], exec, s[4:5]
	s_cbranch_execnz .LBB89_25
.LBB89_19:
	s_or_b64 exec, exec, s[4:5]
	v_cmp_gt_i32_e32 vcc, s33, v22
	s_and_saveexec_b64 s[4:5], vcc
	s_cbranch_execnz .LBB89_26
.LBB89_20:
	s_or_b64 exec, exec, s[4:5]
	v_cmp_gt_i32_e32 vcc, s33, v22
	s_and_saveexec_b64 s[4:5], vcc
	s_cbranch_execnz .LBB89_27
.LBB89_21:
	s_or_b64 exec, exec, s[4:5]
	v_cmp_gt_i32_e32 vcc, s33, v22
	s_and_saveexec_b64 s[4:5], vcc
	s_cbranch_execz .LBB89_23
.LBB89_22:
	v_add_u32_e32 v0, s46, v22
	v_mov_b32_e32 v1, 0
	v_lshlrev_b64 v[0:1], 2, v[0:1]
	s_waitcnt vmcnt(0)
	v_mov_b32_e32 v2, s39
	v_add_co_u32_e32 v0, vcc, s38, v0
	v_addc_co_u32_e32 v1, vcc, v2, v1, vcc
	global_store_dword v[0:1], v29, off
.LBB89_23:
	s_endpgm
.LBB89_24:
	s_getpc_b64 s[4:5]
	s_add_u32 s4, s4, _ZN3c104guts5applyIRZZZN2at6native21polygamma_kernel_cudaERNS2_18TensorIteratorBaseElENKUlvE_clEvENKUlvE0_clEvEUlfE_RSt5tupleIJfEEEEDaOT_OT0_@rel32@lo+4
	s_addc_u32 s5, s5, _ZN3c104guts5applyIRZZZN2at6native21polygamma_kernel_cudaERNS2_18TensorIteratorBaseElENKUlvE_clEvENKUlvE0_clEvEUlfE_RSt5tupleIJfEEEEDaOT_OT0_@rel32@hi+12
	v_mov_b32_e32 v0, s36
	v_mov_b32_e32 v1, s37
	s_waitcnt vmcnt(0)
	v_mov_b32_e32 v2, v24
	s_swappc_b64 s[30:31], s[4:5]
	v_mov_b32_e32 v29, v0
	s_or_b64 exec, exec, s[48:49]
	s_and_saveexec_b64 s[4:5], s[34:35]
	s_xor_b64 s[4:5], exec, s[4:5]
	s_cbranch_execz .LBB89_19
.LBB89_25:
	v_mov_b32_e32 v31, 0
	v_lshlrev_b64 v[0:1], 2, v[30:31]
	s_waitcnt vmcnt(0)
	v_mov_b32_e32 v2, s39
	v_add_co_u32_e32 v0, vcc, s38, v0
	v_addc_co_u32_e32 v1, vcc, v2, v1, vcc
	v_mov_b32_e32 v22, v32
	global_store_dword v[0:1], v26, off
	s_or_b64 exec, exec, s[4:5]
	v_cmp_gt_i32_e32 vcc, s33, v22
	s_and_saveexec_b64 s[4:5], vcc
	s_cbranch_execz .LBB89_20
.LBB89_26:
	v_add_u32_e32 v0, s46, v22
	v_mov_b32_e32 v1, 0
	v_lshlrev_b64 v[0:1], 2, v[0:1]
	s_waitcnt vmcnt(0)
	v_mov_b32_e32 v2, s39
	v_add_co_u32_e32 v0, vcc, s38, v0
	v_addc_co_u32_e32 v1, vcc, v2, v1, vcc
	v_add_u32_e32 v22, 0x100, v22
	global_store_dword v[0:1], v27, off
	s_or_b64 exec, exec, s[4:5]
	v_cmp_gt_i32_e32 vcc, s33, v22
	s_and_saveexec_b64 s[4:5], vcc
	s_cbranch_execz .LBB89_21
.LBB89_27:
	v_add_u32_e32 v0, s46, v22
	v_mov_b32_e32 v1, 0
	v_lshlrev_b64 v[0:1], 2, v[0:1]
	s_waitcnt vmcnt(0)
	v_mov_b32_e32 v2, s39
	v_add_co_u32_e32 v0, vcc, s38, v0
	v_addc_co_u32_e32 v1, vcc, v2, v1, vcc
	v_add_u32_e32 v22, 0x100, v22
	global_store_dword v[0:1], v28, off
	s_or_b64 exec, exec, s[4:5]
	v_cmp_gt_i32_e32 vcc, s33, v22
	s_and_saveexec_b64 s[4:5], vcc
	s_cbranch_execnz .LBB89_22
	s_branch .LBB89_23
	.section	.rodata,"a",@progbits
	.p2align	6, 0x0
	.amdhsa_kernel _ZN2at6native29vectorized_elementwise_kernelILi8EZZZNS0_21polygamma_kernel_cudaERNS_18TensorIteratorBaseElENKUlvE_clEvENKUlvE0_clEvEUlfE_St5arrayIPcLm2EEEEviT0_T1_
		.amdhsa_group_segment_fixed_size 0
		.amdhsa_private_segment_fixed_size 0
		.amdhsa_kernarg_size 32
		.amdhsa_user_sgpr_count 6
		.amdhsa_user_sgpr_private_segment_buffer 1
		.amdhsa_user_sgpr_dispatch_ptr 0
		.amdhsa_user_sgpr_queue_ptr 0
		.amdhsa_user_sgpr_kernarg_segment_ptr 1
		.amdhsa_user_sgpr_dispatch_id 0
		.amdhsa_user_sgpr_flat_scratch_init 0
		.amdhsa_user_sgpr_private_segment_size 0
		.amdhsa_uses_dynamic_stack 0
		.amdhsa_system_sgpr_private_segment_wavefront_offset 0
		.amdhsa_system_sgpr_workgroup_id_x 1
		.amdhsa_system_sgpr_workgroup_id_y 0
		.amdhsa_system_sgpr_workgroup_id_z 0
		.amdhsa_system_sgpr_workgroup_info 0
		.amdhsa_system_vgpr_workitem_id 0
		.amdhsa_next_free_vgpr 33
		.amdhsa_next_free_sgpr 52
		.amdhsa_reserve_vcc 1
		.amdhsa_reserve_flat_scratch 0
		.amdhsa_float_round_mode_32 0
		.amdhsa_float_round_mode_16_64 0
		.amdhsa_float_denorm_mode_32 3
		.amdhsa_float_denorm_mode_16_64 3
		.amdhsa_dx10_clamp 1
		.amdhsa_ieee_mode 1
		.amdhsa_fp16_overflow 0
		.amdhsa_exception_fp_ieee_invalid_op 0
		.amdhsa_exception_fp_denorm_src 0
		.amdhsa_exception_fp_ieee_div_zero 0
		.amdhsa_exception_fp_ieee_overflow 0
		.amdhsa_exception_fp_ieee_underflow 0
		.amdhsa_exception_fp_ieee_inexact 0
		.amdhsa_exception_int_div_zero 0
	.end_amdhsa_kernel
	.section	.text._ZN2at6native29vectorized_elementwise_kernelILi8EZZZNS0_21polygamma_kernel_cudaERNS_18TensorIteratorBaseElENKUlvE_clEvENKUlvE0_clEvEUlfE_St5arrayIPcLm2EEEEviT0_T1_,"axG",@progbits,_ZN2at6native29vectorized_elementwise_kernelILi8EZZZNS0_21polygamma_kernel_cudaERNS_18TensorIteratorBaseElENKUlvE_clEvENKUlvE0_clEvEUlfE_St5arrayIPcLm2EEEEviT0_T1_,comdat
.Lfunc_end89:
	.size	_ZN2at6native29vectorized_elementwise_kernelILi8EZZZNS0_21polygamma_kernel_cudaERNS_18TensorIteratorBaseElENKUlvE_clEvENKUlvE0_clEvEUlfE_St5arrayIPcLm2EEEEviT0_T1_, .Lfunc_end89-_ZN2at6native29vectorized_elementwise_kernelILi8EZZZNS0_21polygamma_kernel_cudaERNS_18TensorIteratorBaseElENKUlvE_clEvENKUlvE0_clEvEUlfE_St5arrayIPcLm2EEEEviT0_T1_
                                        ; -- End function
	.set _ZN2at6native29vectorized_elementwise_kernelILi8EZZZNS0_21polygamma_kernel_cudaERNS_18TensorIteratorBaseElENKUlvE_clEvENKUlvE0_clEvEUlfE_St5arrayIPcLm2EEEEviT0_T1_.num_vgpr, max(33, .L_ZN3c104guts5applyIRZZZN2at6native21polygamma_kernel_cudaERNS2_18TensorIteratorBaseElENKUlvE_clEvENKUlvE0_clEvEUlfE_RSt5tupleIJfEEEEDaOT_OT0_.num_vgpr)
	.set _ZN2at6native29vectorized_elementwise_kernelILi8EZZZNS0_21polygamma_kernel_cudaERNS_18TensorIteratorBaseElENKUlvE_clEvENKUlvE0_clEvEUlfE_St5arrayIPcLm2EEEEviT0_T1_.num_agpr, max(0, .L_ZN3c104guts5applyIRZZZN2at6native21polygamma_kernel_cudaERNS2_18TensorIteratorBaseElENKUlvE_clEvENKUlvE0_clEvEUlfE_RSt5tupleIJfEEEEDaOT_OT0_.num_agpr)
	.set _ZN2at6native29vectorized_elementwise_kernelILi8EZZZNS0_21polygamma_kernel_cudaERNS_18TensorIteratorBaseElENKUlvE_clEvENKUlvE0_clEvEUlfE_St5arrayIPcLm2EEEEviT0_T1_.numbered_sgpr, max(52, .L_ZN3c104guts5applyIRZZZN2at6native21polygamma_kernel_cudaERNS2_18TensorIteratorBaseElENKUlvE_clEvENKUlvE0_clEvEUlfE_RSt5tupleIJfEEEEDaOT_OT0_.numbered_sgpr)
	.set _ZN2at6native29vectorized_elementwise_kernelILi8EZZZNS0_21polygamma_kernel_cudaERNS_18TensorIteratorBaseElENKUlvE_clEvENKUlvE0_clEvEUlfE_St5arrayIPcLm2EEEEviT0_T1_.num_named_barrier, max(0, .L_ZN3c104guts5applyIRZZZN2at6native21polygamma_kernel_cudaERNS2_18TensorIteratorBaseElENKUlvE_clEvENKUlvE0_clEvEUlfE_RSt5tupleIJfEEEEDaOT_OT0_.num_named_barrier)
	.set _ZN2at6native29vectorized_elementwise_kernelILi8EZZZNS0_21polygamma_kernel_cudaERNS_18TensorIteratorBaseElENKUlvE_clEvENKUlvE0_clEvEUlfE_St5arrayIPcLm2EEEEviT0_T1_.private_seg_size, 0+max(.L_ZN3c104guts5applyIRZZZN2at6native21polygamma_kernel_cudaERNS2_18TensorIteratorBaseElENKUlvE_clEvENKUlvE0_clEvEUlfE_RSt5tupleIJfEEEEDaOT_OT0_.private_seg_size)
	.set _ZN2at6native29vectorized_elementwise_kernelILi8EZZZNS0_21polygamma_kernel_cudaERNS_18TensorIteratorBaseElENKUlvE_clEvENKUlvE0_clEvEUlfE_St5arrayIPcLm2EEEEviT0_T1_.uses_vcc, or(1, .L_ZN3c104guts5applyIRZZZN2at6native21polygamma_kernel_cudaERNS2_18TensorIteratorBaseElENKUlvE_clEvENKUlvE0_clEvEUlfE_RSt5tupleIJfEEEEDaOT_OT0_.uses_vcc)
	.set _ZN2at6native29vectorized_elementwise_kernelILi8EZZZNS0_21polygamma_kernel_cudaERNS_18TensorIteratorBaseElENKUlvE_clEvENKUlvE0_clEvEUlfE_St5arrayIPcLm2EEEEviT0_T1_.uses_flat_scratch, or(0, .L_ZN3c104guts5applyIRZZZN2at6native21polygamma_kernel_cudaERNS2_18TensorIteratorBaseElENKUlvE_clEvENKUlvE0_clEvEUlfE_RSt5tupleIJfEEEEDaOT_OT0_.uses_flat_scratch)
	.set _ZN2at6native29vectorized_elementwise_kernelILi8EZZZNS0_21polygamma_kernel_cudaERNS_18TensorIteratorBaseElENKUlvE_clEvENKUlvE0_clEvEUlfE_St5arrayIPcLm2EEEEviT0_T1_.has_dyn_sized_stack, or(0, .L_ZN3c104guts5applyIRZZZN2at6native21polygamma_kernel_cudaERNS2_18TensorIteratorBaseElENKUlvE_clEvENKUlvE0_clEvEUlfE_RSt5tupleIJfEEEEDaOT_OT0_.has_dyn_sized_stack)
	.set _ZN2at6native29vectorized_elementwise_kernelILi8EZZZNS0_21polygamma_kernel_cudaERNS_18TensorIteratorBaseElENKUlvE_clEvENKUlvE0_clEvEUlfE_St5arrayIPcLm2EEEEviT0_T1_.has_recursion, or(0, .L_ZN3c104guts5applyIRZZZN2at6native21polygamma_kernel_cudaERNS2_18TensorIteratorBaseElENKUlvE_clEvENKUlvE0_clEvEUlfE_RSt5tupleIJfEEEEDaOT_OT0_.has_recursion)
	.set _ZN2at6native29vectorized_elementwise_kernelILi8EZZZNS0_21polygamma_kernel_cudaERNS_18TensorIteratorBaseElENKUlvE_clEvENKUlvE0_clEvEUlfE_St5arrayIPcLm2EEEEviT0_T1_.has_indirect_call, or(0, .L_ZN3c104guts5applyIRZZZN2at6native21polygamma_kernel_cudaERNS2_18TensorIteratorBaseElENKUlvE_clEvENKUlvE0_clEvEUlfE_RSt5tupleIJfEEEEDaOT_OT0_.has_indirect_call)
	.section	.AMDGPU.csdata,"",@progbits
; Kernel info:
; codeLenInByte = 1080
; TotalNumSgprs: 56
; NumVgprs: 33
; ScratchSize: 0
; MemoryBound: 0
; FloatMode: 240
; IeeeMode: 1
; LDSByteSize: 0 bytes/workgroup (compile time only)
; SGPRBlocks: 6
; VGPRBlocks: 8
; NumSGPRsForWavesPerEU: 56
; NumVGPRsForWavesPerEU: 33
; Occupancy: 7
; WaveLimiterHint : 0
; COMPUTE_PGM_RSRC2:SCRATCH_EN: 0
; COMPUTE_PGM_RSRC2:USER_SGPR: 6
; COMPUTE_PGM_RSRC2:TRAP_HANDLER: 0
; COMPUTE_PGM_RSRC2:TGID_X_EN: 1
; COMPUTE_PGM_RSRC2:TGID_Y_EN: 0
; COMPUTE_PGM_RSRC2:TGID_Z_EN: 0
; COMPUTE_PGM_RSRC2:TIDIG_COMP_CNT: 0
	.section	.text._ZN2at6native29vectorized_elementwise_kernelILi4EZZZNS0_21polygamma_kernel_cudaERNS_18TensorIteratorBaseElENKUlvE_clEvENKUlvE0_clEvEUlfE_St5arrayIPcLm2EEEEviT0_T1_,"axG",@progbits,_ZN2at6native29vectorized_elementwise_kernelILi4EZZZNS0_21polygamma_kernel_cudaERNS_18TensorIteratorBaseElENKUlvE_clEvENKUlvE0_clEvEUlfE_St5arrayIPcLm2EEEEviT0_T1_,comdat
	.globl	_ZN2at6native29vectorized_elementwise_kernelILi4EZZZNS0_21polygamma_kernel_cudaERNS_18TensorIteratorBaseElENKUlvE_clEvENKUlvE0_clEvEUlfE_St5arrayIPcLm2EEEEviT0_T1_ ; -- Begin function _ZN2at6native29vectorized_elementwise_kernelILi4EZZZNS0_21polygamma_kernel_cudaERNS_18TensorIteratorBaseElENKUlvE_clEvENKUlvE0_clEvEUlfE_St5arrayIPcLm2EEEEviT0_T1_
	.p2align	8
	.type	_ZN2at6native29vectorized_elementwise_kernelILi4EZZZNS0_21polygamma_kernel_cudaERNS_18TensorIteratorBaseElENKUlvE_clEvENKUlvE0_clEvEUlfE_St5arrayIPcLm2EEEEviT0_T1_,@function
_ZN2at6native29vectorized_elementwise_kernelILi4EZZZNS0_21polygamma_kernel_cudaERNS_18TensorIteratorBaseElENKUlvE_clEvENKUlvE0_clEvEUlfE_St5arrayIPcLm2EEEEviT0_T1_: ; @_ZN2at6native29vectorized_elementwise_kernelILi4EZZZNS0_21polygamma_kernel_cudaERNS_18TensorIteratorBaseElENKUlvE_clEvENKUlvE0_clEvEUlfE_St5arrayIPcLm2EEEEviT0_T1_
; %bb.0:
	s_add_u32 s0, s0, s7
	s_load_dword s7, s[4:5], 0x0
	s_load_dwordx4 s[36:39], s[4:5], 0x8
	s_load_dwordx2 s[48:49], s[4:5], 0x18
	s_addc_u32 s1, s1, 0
	s_lshl_b32 s46, s6, 10
	s_waitcnt lgkmcnt(0)
	s_sub_i32 s33, s7, s46
	v_mov_b32_e32 v22, v0
	s_cmpk_gt_i32 s33, 0x3ff
	s_mov_b64 s[4:5], -1
	s_mov_b32 s32, 0
	s_cbranch_scc0 .LBB90_2
; %bb.1:
	s_ashr_i32 s47, s46, 31
	s_lshl_b64 s[34:35], s[46:47], 2
	s_add_u32 s4, s48, s34
	s_addc_u32 s5, s49, s35
	v_lshlrev_b32_e32 v27, 4, v22
	global_load_dwordx4 v[23:26], v27, s[4:5]
	s_getpc_b64 s[50:51]
	s_add_u32 s50, s50, _ZN3c104guts5applyIRZZZN2at6native21polygamma_kernel_cudaERNS2_18TensorIteratorBaseElENKUlvE_clEvENKUlvE0_clEvEUlfE_RSt5tupleIJfEEEEDaOT_OT0_@rel32@lo+4
	s_addc_u32 s51, s51, _ZN3c104guts5applyIRZZZN2at6native21polygamma_kernel_cudaERNS2_18TensorIteratorBaseElENKUlvE_clEvENKUlvE0_clEvEUlfE_RSt5tupleIJfEEEEDaOT_OT0_@rel32@hi+12
	v_mov_b32_e32 v0, s36
	v_mov_b32_e32 v1, s37
	s_waitcnt vmcnt(0)
	v_mov_b32_e32 v2, v23
	s_swappc_b64 s[30:31], s[50:51]
	v_mov_b32_e32 v23, v0
	v_mov_b32_e32 v0, s36
	v_mov_b32_e32 v1, s37
	v_mov_b32_e32 v2, v24
	s_swappc_b64 s[30:31], s[50:51]
	v_mov_b32_e32 v24, v0
	v_mov_b32_e32 v0, s36
	v_mov_b32_e32 v1, s37
	;; [unrolled: 5-line block ×3, first 2 shown]
	v_mov_b32_e32 v2, v26
	s_swappc_b64 s[30:31], s[50:51]
	s_add_u32 s4, s38, s34
	v_mov_b32_e32 v26, v0
	s_addc_u32 s5, s39, s35
	global_store_dwordx4 v27, v[23:26], s[4:5]
	s_mov_b64 s[4:5], 0
.LBB90_2:
	s_andn2_b64 vcc, exec, s[4:5]
	s_cbranch_vccnz .LBB90_23
; %bb.3:
	v_cmp_gt_i32_e64 s[34:35], s33, v22
	v_mov_b32_e32 v23, 0
	v_or_b32_e32 v30, s46, v22
	v_mov_b32_e32 v2, 0
	v_mov_b32_e32 v0, v22
	s_and_saveexec_b64 s[4:5], s[34:35]
	s_cbranch_execz .LBB90_5
; %bb.4:
	v_mov_b32_e32 v31, 0
	v_lshlrev_b64 v[0:1], 2, v[30:31]
	v_mov_b32_e32 v2, s49
	v_add_co_u32_e32 v0, vcc, s48, v0
	v_addc_co_u32_e32 v1, vcc, v2, v1, vcc
	global_load_dword v2, v[0:1], off
	v_or_b32_e32 v0, 0x100, v22
.LBB90_5:
	s_or_b64 exec, exec, s[4:5]
	v_cmp_gt_i32_e32 vcc, s33, v0
	s_and_saveexec_b64 s[4:5], vcc
	s_cbranch_execz .LBB90_7
; %bb.6:
	v_add_u32_e32 v3, s46, v0
	v_mov_b32_e32 v4, 0
	v_lshlrev_b64 v[3:4], 2, v[3:4]
	v_mov_b32_e32 v1, s49
	v_add_co_u32_e32 v3, vcc, s48, v3
	v_addc_co_u32_e32 v4, vcc, v1, v4, vcc
	global_load_dword v23, v[3:4], off
	v_add_u32_e32 v0, 0x100, v0
.LBB90_7:
	s_or_b64 exec, exec, s[4:5]
	v_cmp_gt_i32_e32 vcc, s33, v0
	v_mov_b32_e32 v24, 0
	v_mov_b32_e32 v25, 0
	s_and_saveexec_b64 s[4:5], vcc
	s_cbranch_execz .LBB90_9
; %bb.8:
	v_add_u32_e32 v3, s46, v0
	v_mov_b32_e32 v4, 0
	v_lshlrev_b64 v[3:4], 2, v[3:4]
	v_mov_b32_e32 v1, s49
	v_add_co_u32_e32 v3, vcc, s48, v3
	v_addc_co_u32_e32 v4, vcc, v1, v4, vcc
	global_load_dword v25, v[3:4], off
	v_add_u32_e32 v0, 0x100, v0
.LBB90_9:
	s_or_b64 exec, exec, s[4:5]
	v_cmp_gt_i32_e32 vcc, s33, v0
	s_and_saveexec_b64 s[4:5], vcc
	s_cbranch_execz .LBB90_11
; %bb.10:
	v_add_u32_e32 v0, s46, v0
	v_mov_b32_e32 v1, 0
	v_lshlrev_b64 v[0:1], 2, v[0:1]
	v_mov_b32_e32 v3, s49
	v_add_co_u32_e32 v0, vcc, s48, v0
	v_addc_co_u32_e32 v1, vcc, v3, v1, vcc
	global_load_dword v24, v[0:1], off
.LBB90_11:
	s_or_b64 exec, exec, s[4:5]
	v_mov_b32_e32 v26, 0
	v_mov_b32_e32 v27, v26
	;; [unrolled: 1-line block ×4, first 2 shown]
	s_and_saveexec_b64 s[48:49], s[34:35]
	s_cbranch_execz .LBB90_13
; %bb.12:
	s_getpc_b64 s[4:5]
	s_add_u32 s4, s4, _ZN3c104guts5applyIRZZZN2at6native21polygamma_kernel_cudaERNS2_18TensorIteratorBaseElENKUlvE_clEvENKUlvE0_clEvEUlfE_RSt5tupleIJfEEEEDaOT_OT0_@rel32@lo+4
	s_addc_u32 s5, s5, _ZN3c104guts5applyIRZZZN2at6native21polygamma_kernel_cudaERNS2_18TensorIteratorBaseElENKUlvE_clEvENKUlvE0_clEvEUlfE_RSt5tupleIJfEEEEDaOT_OT0_@rel32@hi+12
	v_mov_b32_e32 v0, s36
	v_mov_b32_e32 v1, s37
	s_swappc_b64 s[30:31], s[4:5]
	v_mov_b32_e32 v3, v26
	v_mov_b32_e32 v1, v26
	;; [unrolled: 1-line block ×7, first 2 shown]
.LBB90_13:
	s_or_b64 exec, exec, s[48:49]
	v_or_b32_e32 v32, 0x100, v22
	v_cmp_gt_i32_e32 vcc, s33, v32
	s_and_saveexec_b64 s[48:49], vcc
	s_cbranch_execz .LBB90_15
; %bb.14:
	s_getpc_b64 s[4:5]
	s_add_u32 s4, s4, _ZN3c104guts5applyIRZZZN2at6native21polygamma_kernel_cudaERNS2_18TensorIteratorBaseElENKUlvE_clEvENKUlvE0_clEvEUlfE_RSt5tupleIJfEEEEDaOT_OT0_@rel32@lo+4
	s_addc_u32 s5, s5, _ZN3c104guts5applyIRZZZN2at6native21polygamma_kernel_cudaERNS2_18TensorIteratorBaseElENKUlvE_clEvENKUlvE0_clEvEUlfE_RSt5tupleIJfEEEEDaOT_OT0_@rel32@hi+12
	v_mov_b32_e32 v0, s36
	v_mov_b32_e32 v1, s37
	s_waitcnt vmcnt(0)
	v_mov_b32_e32 v2, v23
	s_swappc_b64 s[30:31], s[4:5]
	v_mov_b32_e32 v27, v0
.LBB90_15:
	s_or_b64 exec, exec, s[48:49]
	v_or_b32_e32 v0, 0x200, v22
	v_cmp_gt_i32_e32 vcc, s33, v0
	s_and_saveexec_b64 s[48:49], vcc
	s_cbranch_execz .LBB90_17
; %bb.16:
	s_getpc_b64 s[4:5]
	s_add_u32 s4, s4, _ZN3c104guts5applyIRZZZN2at6native21polygamma_kernel_cudaERNS2_18TensorIteratorBaseElENKUlvE_clEvENKUlvE0_clEvEUlfE_RSt5tupleIJfEEEEDaOT_OT0_@rel32@lo+4
	s_addc_u32 s5, s5, _ZN3c104guts5applyIRZZZN2at6native21polygamma_kernel_cudaERNS2_18TensorIteratorBaseElENKUlvE_clEvENKUlvE0_clEvEUlfE_RSt5tupleIJfEEEEDaOT_OT0_@rel32@hi+12
	v_mov_b32_e32 v0, s36
	v_mov_b32_e32 v1, s37
	s_waitcnt vmcnt(0)
	v_mov_b32_e32 v2, v25
	s_swappc_b64 s[30:31], s[4:5]
	v_mov_b32_e32 v28, v0
.LBB90_17:
	s_or_b64 exec, exec, s[48:49]
	v_or_b32_e32 v0, 0x300, v22
	v_cmp_gt_i32_e32 vcc, s33, v0
	s_and_saveexec_b64 s[48:49], vcc
	s_cbranch_execnz .LBB90_24
; %bb.18:
	s_or_b64 exec, exec, s[48:49]
	s_and_saveexec_b64 s[4:5], s[34:35]
	s_xor_b64 s[4:5], exec, s[4:5]
	s_cbranch_execnz .LBB90_25
.LBB90_19:
	s_or_b64 exec, exec, s[4:5]
	v_cmp_gt_i32_e32 vcc, s33, v22
	s_and_saveexec_b64 s[4:5], vcc
	s_cbranch_execnz .LBB90_26
.LBB90_20:
	s_or_b64 exec, exec, s[4:5]
	v_cmp_gt_i32_e32 vcc, s33, v22
	s_and_saveexec_b64 s[4:5], vcc
	s_cbranch_execnz .LBB90_27
.LBB90_21:
	s_or_b64 exec, exec, s[4:5]
	v_cmp_gt_i32_e32 vcc, s33, v22
	s_and_saveexec_b64 s[4:5], vcc
	s_cbranch_execz .LBB90_23
.LBB90_22:
	v_add_u32_e32 v0, s46, v22
	v_mov_b32_e32 v1, 0
	v_lshlrev_b64 v[0:1], 2, v[0:1]
	s_waitcnt vmcnt(0)
	v_mov_b32_e32 v2, s39
	v_add_co_u32_e32 v0, vcc, s38, v0
	v_addc_co_u32_e32 v1, vcc, v2, v1, vcc
	global_store_dword v[0:1], v29, off
.LBB90_23:
	s_endpgm
.LBB90_24:
	s_getpc_b64 s[4:5]
	s_add_u32 s4, s4, _ZN3c104guts5applyIRZZZN2at6native21polygamma_kernel_cudaERNS2_18TensorIteratorBaseElENKUlvE_clEvENKUlvE0_clEvEUlfE_RSt5tupleIJfEEEEDaOT_OT0_@rel32@lo+4
	s_addc_u32 s5, s5, _ZN3c104guts5applyIRZZZN2at6native21polygamma_kernel_cudaERNS2_18TensorIteratorBaseElENKUlvE_clEvENKUlvE0_clEvEUlfE_RSt5tupleIJfEEEEDaOT_OT0_@rel32@hi+12
	v_mov_b32_e32 v0, s36
	v_mov_b32_e32 v1, s37
	s_waitcnt vmcnt(0)
	v_mov_b32_e32 v2, v24
	s_swappc_b64 s[30:31], s[4:5]
	v_mov_b32_e32 v29, v0
	s_or_b64 exec, exec, s[48:49]
	s_and_saveexec_b64 s[4:5], s[34:35]
	s_xor_b64 s[4:5], exec, s[4:5]
	s_cbranch_execz .LBB90_19
.LBB90_25:
	v_mov_b32_e32 v31, 0
	v_lshlrev_b64 v[0:1], 2, v[30:31]
	s_waitcnt vmcnt(0)
	v_mov_b32_e32 v2, s39
	v_add_co_u32_e32 v0, vcc, s38, v0
	v_addc_co_u32_e32 v1, vcc, v2, v1, vcc
	v_mov_b32_e32 v22, v32
	global_store_dword v[0:1], v26, off
	s_or_b64 exec, exec, s[4:5]
	v_cmp_gt_i32_e32 vcc, s33, v22
	s_and_saveexec_b64 s[4:5], vcc
	s_cbranch_execz .LBB90_20
.LBB90_26:
	v_add_u32_e32 v0, s46, v22
	v_mov_b32_e32 v1, 0
	v_lshlrev_b64 v[0:1], 2, v[0:1]
	s_waitcnt vmcnt(0)
	v_mov_b32_e32 v2, s39
	v_add_co_u32_e32 v0, vcc, s38, v0
	v_addc_co_u32_e32 v1, vcc, v2, v1, vcc
	v_add_u32_e32 v22, 0x100, v22
	global_store_dword v[0:1], v27, off
	s_or_b64 exec, exec, s[4:5]
	v_cmp_gt_i32_e32 vcc, s33, v22
	s_and_saveexec_b64 s[4:5], vcc
	s_cbranch_execz .LBB90_21
.LBB90_27:
	v_add_u32_e32 v0, s46, v22
	v_mov_b32_e32 v1, 0
	v_lshlrev_b64 v[0:1], 2, v[0:1]
	s_waitcnt vmcnt(0)
	v_mov_b32_e32 v2, s39
	v_add_co_u32_e32 v0, vcc, s38, v0
	v_addc_co_u32_e32 v1, vcc, v2, v1, vcc
	v_add_u32_e32 v22, 0x100, v22
	global_store_dword v[0:1], v28, off
	s_or_b64 exec, exec, s[4:5]
	v_cmp_gt_i32_e32 vcc, s33, v22
	s_and_saveexec_b64 s[4:5], vcc
	s_cbranch_execnz .LBB90_22
	s_branch .LBB90_23
	.section	.rodata,"a",@progbits
	.p2align	6, 0x0
	.amdhsa_kernel _ZN2at6native29vectorized_elementwise_kernelILi4EZZZNS0_21polygamma_kernel_cudaERNS_18TensorIteratorBaseElENKUlvE_clEvENKUlvE0_clEvEUlfE_St5arrayIPcLm2EEEEviT0_T1_
		.amdhsa_group_segment_fixed_size 0
		.amdhsa_private_segment_fixed_size 0
		.amdhsa_kernarg_size 32
		.amdhsa_user_sgpr_count 6
		.amdhsa_user_sgpr_private_segment_buffer 1
		.amdhsa_user_sgpr_dispatch_ptr 0
		.amdhsa_user_sgpr_queue_ptr 0
		.amdhsa_user_sgpr_kernarg_segment_ptr 1
		.amdhsa_user_sgpr_dispatch_id 0
		.amdhsa_user_sgpr_flat_scratch_init 0
		.amdhsa_user_sgpr_private_segment_size 0
		.amdhsa_uses_dynamic_stack 0
		.amdhsa_system_sgpr_private_segment_wavefront_offset 0
		.amdhsa_system_sgpr_workgroup_id_x 1
		.amdhsa_system_sgpr_workgroup_id_y 0
		.amdhsa_system_sgpr_workgroup_id_z 0
		.amdhsa_system_sgpr_workgroup_info 0
		.amdhsa_system_vgpr_workitem_id 0
		.amdhsa_next_free_vgpr 33
		.amdhsa_next_free_sgpr 52
		.amdhsa_reserve_vcc 1
		.amdhsa_reserve_flat_scratch 0
		.amdhsa_float_round_mode_32 0
		.amdhsa_float_round_mode_16_64 0
		.amdhsa_float_denorm_mode_32 3
		.amdhsa_float_denorm_mode_16_64 3
		.amdhsa_dx10_clamp 1
		.amdhsa_ieee_mode 1
		.amdhsa_fp16_overflow 0
		.amdhsa_exception_fp_ieee_invalid_op 0
		.amdhsa_exception_fp_denorm_src 0
		.amdhsa_exception_fp_ieee_div_zero 0
		.amdhsa_exception_fp_ieee_overflow 0
		.amdhsa_exception_fp_ieee_underflow 0
		.amdhsa_exception_fp_ieee_inexact 0
		.amdhsa_exception_int_div_zero 0
	.end_amdhsa_kernel
	.section	.text._ZN2at6native29vectorized_elementwise_kernelILi4EZZZNS0_21polygamma_kernel_cudaERNS_18TensorIteratorBaseElENKUlvE_clEvENKUlvE0_clEvEUlfE_St5arrayIPcLm2EEEEviT0_T1_,"axG",@progbits,_ZN2at6native29vectorized_elementwise_kernelILi4EZZZNS0_21polygamma_kernel_cudaERNS_18TensorIteratorBaseElENKUlvE_clEvENKUlvE0_clEvEUlfE_St5arrayIPcLm2EEEEviT0_T1_,comdat
.Lfunc_end90:
	.size	_ZN2at6native29vectorized_elementwise_kernelILi4EZZZNS0_21polygamma_kernel_cudaERNS_18TensorIteratorBaseElENKUlvE_clEvENKUlvE0_clEvEUlfE_St5arrayIPcLm2EEEEviT0_T1_, .Lfunc_end90-_ZN2at6native29vectorized_elementwise_kernelILi4EZZZNS0_21polygamma_kernel_cudaERNS_18TensorIteratorBaseElENKUlvE_clEvENKUlvE0_clEvEUlfE_St5arrayIPcLm2EEEEviT0_T1_
                                        ; -- End function
	.set _ZN2at6native29vectorized_elementwise_kernelILi4EZZZNS0_21polygamma_kernel_cudaERNS_18TensorIteratorBaseElENKUlvE_clEvENKUlvE0_clEvEUlfE_St5arrayIPcLm2EEEEviT0_T1_.num_vgpr, max(33, .L_ZN3c104guts5applyIRZZZN2at6native21polygamma_kernel_cudaERNS2_18TensorIteratorBaseElENKUlvE_clEvENKUlvE0_clEvEUlfE_RSt5tupleIJfEEEEDaOT_OT0_.num_vgpr)
	.set _ZN2at6native29vectorized_elementwise_kernelILi4EZZZNS0_21polygamma_kernel_cudaERNS_18TensorIteratorBaseElENKUlvE_clEvENKUlvE0_clEvEUlfE_St5arrayIPcLm2EEEEviT0_T1_.num_agpr, max(0, .L_ZN3c104guts5applyIRZZZN2at6native21polygamma_kernel_cudaERNS2_18TensorIteratorBaseElENKUlvE_clEvENKUlvE0_clEvEUlfE_RSt5tupleIJfEEEEDaOT_OT0_.num_agpr)
	.set _ZN2at6native29vectorized_elementwise_kernelILi4EZZZNS0_21polygamma_kernel_cudaERNS_18TensorIteratorBaseElENKUlvE_clEvENKUlvE0_clEvEUlfE_St5arrayIPcLm2EEEEviT0_T1_.numbered_sgpr, max(52, .L_ZN3c104guts5applyIRZZZN2at6native21polygamma_kernel_cudaERNS2_18TensorIteratorBaseElENKUlvE_clEvENKUlvE0_clEvEUlfE_RSt5tupleIJfEEEEDaOT_OT0_.numbered_sgpr)
	.set _ZN2at6native29vectorized_elementwise_kernelILi4EZZZNS0_21polygamma_kernel_cudaERNS_18TensorIteratorBaseElENKUlvE_clEvENKUlvE0_clEvEUlfE_St5arrayIPcLm2EEEEviT0_T1_.num_named_barrier, max(0, .L_ZN3c104guts5applyIRZZZN2at6native21polygamma_kernel_cudaERNS2_18TensorIteratorBaseElENKUlvE_clEvENKUlvE0_clEvEUlfE_RSt5tupleIJfEEEEDaOT_OT0_.num_named_barrier)
	.set _ZN2at6native29vectorized_elementwise_kernelILi4EZZZNS0_21polygamma_kernel_cudaERNS_18TensorIteratorBaseElENKUlvE_clEvENKUlvE0_clEvEUlfE_St5arrayIPcLm2EEEEviT0_T1_.private_seg_size, 0+max(.L_ZN3c104guts5applyIRZZZN2at6native21polygamma_kernel_cudaERNS2_18TensorIteratorBaseElENKUlvE_clEvENKUlvE0_clEvEUlfE_RSt5tupleIJfEEEEDaOT_OT0_.private_seg_size)
	.set _ZN2at6native29vectorized_elementwise_kernelILi4EZZZNS0_21polygamma_kernel_cudaERNS_18TensorIteratorBaseElENKUlvE_clEvENKUlvE0_clEvEUlfE_St5arrayIPcLm2EEEEviT0_T1_.uses_vcc, or(1, .L_ZN3c104guts5applyIRZZZN2at6native21polygamma_kernel_cudaERNS2_18TensorIteratorBaseElENKUlvE_clEvENKUlvE0_clEvEUlfE_RSt5tupleIJfEEEEDaOT_OT0_.uses_vcc)
	.set _ZN2at6native29vectorized_elementwise_kernelILi4EZZZNS0_21polygamma_kernel_cudaERNS_18TensorIteratorBaseElENKUlvE_clEvENKUlvE0_clEvEUlfE_St5arrayIPcLm2EEEEviT0_T1_.uses_flat_scratch, or(0, .L_ZN3c104guts5applyIRZZZN2at6native21polygamma_kernel_cudaERNS2_18TensorIteratorBaseElENKUlvE_clEvENKUlvE0_clEvEUlfE_RSt5tupleIJfEEEEDaOT_OT0_.uses_flat_scratch)
	.set _ZN2at6native29vectorized_elementwise_kernelILi4EZZZNS0_21polygamma_kernel_cudaERNS_18TensorIteratorBaseElENKUlvE_clEvENKUlvE0_clEvEUlfE_St5arrayIPcLm2EEEEviT0_T1_.has_dyn_sized_stack, or(0, .L_ZN3c104guts5applyIRZZZN2at6native21polygamma_kernel_cudaERNS2_18TensorIteratorBaseElENKUlvE_clEvENKUlvE0_clEvEUlfE_RSt5tupleIJfEEEEDaOT_OT0_.has_dyn_sized_stack)
	.set _ZN2at6native29vectorized_elementwise_kernelILi4EZZZNS0_21polygamma_kernel_cudaERNS_18TensorIteratorBaseElENKUlvE_clEvENKUlvE0_clEvEUlfE_St5arrayIPcLm2EEEEviT0_T1_.has_recursion, or(0, .L_ZN3c104guts5applyIRZZZN2at6native21polygamma_kernel_cudaERNS2_18TensorIteratorBaseElENKUlvE_clEvENKUlvE0_clEvEUlfE_RSt5tupleIJfEEEEDaOT_OT0_.has_recursion)
	.set _ZN2at6native29vectorized_elementwise_kernelILi4EZZZNS0_21polygamma_kernel_cudaERNS_18TensorIteratorBaseElENKUlvE_clEvENKUlvE0_clEvEUlfE_St5arrayIPcLm2EEEEviT0_T1_.has_indirect_call, or(0, .L_ZN3c104guts5applyIRZZZN2at6native21polygamma_kernel_cudaERNS2_18TensorIteratorBaseElENKUlvE_clEvENKUlvE0_clEvEUlfE_RSt5tupleIJfEEEEDaOT_OT0_.has_indirect_call)
	.section	.AMDGPU.csdata,"",@progbits
; Kernel info:
; codeLenInByte = 1080
; TotalNumSgprs: 56
; NumVgprs: 33
; ScratchSize: 0
; MemoryBound: 0
; FloatMode: 240
; IeeeMode: 1
; LDSByteSize: 0 bytes/workgroup (compile time only)
; SGPRBlocks: 6
; VGPRBlocks: 8
; NumSGPRsForWavesPerEU: 56
; NumVGPRsForWavesPerEU: 33
; Occupancy: 7
; WaveLimiterHint : 0
; COMPUTE_PGM_RSRC2:SCRATCH_EN: 0
; COMPUTE_PGM_RSRC2:USER_SGPR: 6
; COMPUTE_PGM_RSRC2:TRAP_HANDLER: 0
; COMPUTE_PGM_RSRC2:TGID_X_EN: 1
; COMPUTE_PGM_RSRC2:TGID_Y_EN: 0
; COMPUTE_PGM_RSRC2:TGID_Z_EN: 0
; COMPUTE_PGM_RSRC2:TIDIG_COMP_CNT: 0
	.section	.text._ZN2at6native29vectorized_elementwise_kernelILi2EZZZNS0_21polygamma_kernel_cudaERNS_18TensorIteratorBaseElENKUlvE_clEvENKUlvE0_clEvEUlfE_St5arrayIPcLm2EEEEviT0_T1_,"axG",@progbits,_ZN2at6native29vectorized_elementwise_kernelILi2EZZZNS0_21polygamma_kernel_cudaERNS_18TensorIteratorBaseElENKUlvE_clEvENKUlvE0_clEvEUlfE_St5arrayIPcLm2EEEEviT0_T1_,comdat
	.globl	_ZN2at6native29vectorized_elementwise_kernelILi2EZZZNS0_21polygamma_kernel_cudaERNS_18TensorIteratorBaseElENKUlvE_clEvENKUlvE0_clEvEUlfE_St5arrayIPcLm2EEEEviT0_T1_ ; -- Begin function _ZN2at6native29vectorized_elementwise_kernelILi2EZZZNS0_21polygamma_kernel_cudaERNS_18TensorIteratorBaseElENKUlvE_clEvENKUlvE0_clEvEUlfE_St5arrayIPcLm2EEEEviT0_T1_
	.p2align	8
	.type	_ZN2at6native29vectorized_elementwise_kernelILi2EZZZNS0_21polygamma_kernel_cudaERNS_18TensorIteratorBaseElENKUlvE_clEvENKUlvE0_clEvEUlfE_St5arrayIPcLm2EEEEviT0_T1_,@function
_ZN2at6native29vectorized_elementwise_kernelILi2EZZZNS0_21polygamma_kernel_cudaERNS_18TensorIteratorBaseElENKUlvE_clEvENKUlvE0_clEvEUlfE_St5arrayIPcLm2EEEEviT0_T1_: ; @_ZN2at6native29vectorized_elementwise_kernelILi2EZZZNS0_21polygamma_kernel_cudaERNS_18TensorIteratorBaseElENKUlvE_clEvENKUlvE0_clEvEUlfE_St5arrayIPcLm2EEEEviT0_T1_
; %bb.0:
	s_add_u32 s0, s0, s7
	s_load_dword s7, s[4:5], 0x0
	s_load_dwordx4 s[36:39], s[4:5], 0x8
	s_load_dwordx2 s[48:49], s[4:5], 0x18
	s_addc_u32 s1, s1, 0
	s_lshl_b32 s46, s6, 10
	s_waitcnt lgkmcnt(0)
	s_sub_i32 s33, s7, s46
	v_mov_b32_e32 v22, v0
	s_cmpk_gt_i32 s33, 0x3ff
	s_mov_b64 s[4:5], -1
	s_mov_b32 s32, 0
	s_cbranch_scc0 .LBB91_2
; %bb.1:
	s_ashr_i32 s47, s46, 31
	s_lshl_b64 s[34:35], s[46:47], 2
	s_add_u32 s4, s48, s34
	s_addc_u32 s5, s49, s35
	v_lshlrev_b32_e32 v27, 3, v22
	global_load_dwordx2 v[23:24], v27, s[4:5]
	global_load_dwordx2 v[25:26], v27, s[4:5] offset:2048
	s_getpc_b64 s[50:51]
	s_add_u32 s50, s50, _ZN3c104guts5applyIRZZZN2at6native21polygamma_kernel_cudaERNS2_18TensorIteratorBaseElENKUlvE_clEvENKUlvE0_clEvEUlfE_RSt5tupleIJfEEEEDaOT_OT0_@rel32@lo+4
	s_addc_u32 s51, s51, _ZN3c104guts5applyIRZZZN2at6native21polygamma_kernel_cudaERNS2_18TensorIteratorBaseElENKUlvE_clEvENKUlvE0_clEvEUlfE_RSt5tupleIJfEEEEDaOT_OT0_@rel32@hi+12
	v_mov_b32_e32 v0, s36
	v_mov_b32_e32 v1, s37
	s_waitcnt vmcnt(1)
	v_mov_b32_e32 v2, v23
	s_swappc_b64 s[30:31], s[50:51]
	v_mov_b32_e32 v23, v0
	v_mov_b32_e32 v0, s36
	v_mov_b32_e32 v1, s37
	v_mov_b32_e32 v2, v24
	s_swappc_b64 s[30:31], s[50:51]
	v_mov_b32_e32 v24, v0
	v_mov_b32_e32 v0, s36
	v_mov_b32_e32 v1, s37
	v_mov_b32_e32 v2, v25
	s_swappc_b64 s[30:31], s[50:51]
	v_mov_b32_e32 v25, v0
	v_mov_b32_e32 v0, s36
	v_mov_b32_e32 v1, s37
	v_mov_b32_e32 v2, v26
	s_swappc_b64 s[30:31], s[50:51]
	s_add_u32 s4, s38, s34
	s_addc_u32 s5, s39, s35
	v_mov_b32_e32 v26, v0
	global_store_dwordx2 v27, v[23:24], s[4:5]
	global_store_dwordx2 v27, v[25:26], s[4:5] offset:2048
	s_mov_b64 s[4:5], 0
.LBB91_2:
	s_andn2_b64 vcc, exec, s[4:5]
	s_cbranch_vccnz .LBB91_23
; %bb.3:
	v_cmp_gt_i32_e64 s[34:35], s33, v22
	v_mov_b32_e32 v23, 0
	v_or_b32_e32 v30, s46, v22
	v_mov_b32_e32 v2, 0
	v_mov_b32_e32 v0, v22
	s_and_saveexec_b64 s[4:5], s[34:35]
	s_cbranch_execz .LBB91_5
; %bb.4:
	v_mov_b32_e32 v31, 0
	v_lshlrev_b64 v[0:1], 2, v[30:31]
	v_mov_b32_e32 v2, s49
	v_add_co_u32_e32 v0, vcc, s48, v0
	v_addc_co_u32_e32 v1, vcc, v2, v1, vcc
	global_load_dword v2, v[0:1], off
	v_or_b32_e32 v0, 0x100, v22
.LBB91_5:
	s_or_b64 exec, exec, s[4:5]
	v_cmp_gt_i32_e32 vcc, s33, v0
	s_and_saveexec_b64 s[4:5], vcc
	s_cbranch_execz .LBB91_7
; %bb.6:
	v_add_u32_e32 v3, s46, v0
	v_mov_b32_e32 v4, 0
	v_lshlrev_b64 v[3:4], 2, v[3:4]
	v_mov_b32_e32 v1, s49
	v_add_co_u32_e32 v3, vcc, s48, v3
	v_addc_co_u32_e32 v4, vcc, v1, v4, vcc
	global_load_dword v23, v[3:4], off
	v_add_u32_e32 v0, 0x100, v0
.LBB91_7:
	s_or_b64 exec, exec, s[4:5]
	v_cmp_gt_i32_e32 vcc, s33, v0
	v_mov_b32_e32 v24, 0
	v_mov_b32_e32 v25, 0
	s_and_saveexec_b64 s[4:5], vcc
	s_cbranch_execz .LBB91_9
; %bb.8:
	v_add_u32_e32 v3, s46, v0
	v_mov_b32_e32 v4, 0
	v_lshlrev_b64 v[3:4], 2, v[3:4]
	v_mov_b32_e32 v1, s49
	v_add_co_u32_e32 v3, vcc, s48, v3
	v_addc_co_u32_e32 v4, vcc, v1, v4, vcc
	global_load_dword v25, v[3:4], off
	v_add_u32_e32 v0, 0x100, v0
.LBB91_9:
	s_or_b64 exec, exec, s[4:5]
	v_cmp_gt_i32_e32 vcc, s33, v0
	s_and_saveexec_b64 s[4:5], vcc
	s_cbranch_execz .LBB91_11
; %bb.10:
	v_add_u32_e32 v0, s46, v0
	v_mov_b32_e32 v1, 0
	v_lshlrev_b64 v[0:1], 2, v[0:1]
	v_mov_b32_e32 v3, s49
	v_add_co_u32_e32 v0, vcc, s48, v0
	v_addc_co_u32_e32 v1, vcc, v3, v1, vcc
	global_load_dword v24, v[0:1], off
.LBB91_11:
	s_or_b64 exec, exec, s[4:5]
	v_mov_b32_e32 v26, 0
	v_mov_b32_e32 v27, v26
	v_mov_b32_e32 v28, v26
	v_mov_b32_e32 v29, v26
	s_and_saveexec_b64 s[48:49], s[34:35]
	s_cbranch_execz .LBB91_13
; %bb.12:
	s_getpc_b64 s[4:5]
	s_add_u32 s4, s4, _ZN3c104guts5applyIRZZZN2at6native21polygamma_kernel_cudaERNS2_18TensorIteratorBaseElENKUlvE_clEvENKUlvE0_clEvEUlfE_RSt5tupleIJfEEEEDaOT_OT0_@rel32@lo+4
	s_addc_u32 s5, s5, _ZN3c104guts5applyIRZZZN2at6native21polygamma_kernel_cudaERNS2_18TensorIteratorBaseElENKUlvE_clEvENKUlvE0_clEvEUlfE_RSt5tupleIJfEEEEDaOT_OT0_@rel32@hi+12
	v_mov_b32_e32 v0, s36
	v_mov_b32_e32 v1, s37
	s_swappc_b64 s[30:31], s[4:5]
	v_mov_b32_e32 v3, v26
	v_mov_b32_e32 v1, v26
	;; [unrolled: 1-line block ×7, first 2 shown]
.LBB91_13:
	s_or_b64 exec, exec, s[48:49]
	v_or_b32_e32 v32, 0x100, v22
	v_cmp_gt_i32_e32 vcc, s33, v32
	s_and_saveexec_b64 s[48:49], vcc
	s_cbranch_execz .LBB91_15
; %bb.14:
	s_getpc_b64 s[4:5]
	s_add_u32 s4, s4, _ZN3c104guts5applyIRZZZN2at6native21polygamma_kernel_cudaERNS2_18TensorIteratorBaseElENKUlvE_clEvENKUlvE0_clEvEUlfE_RSt5tupleIJfEEEEDaOT_OT0_@rel32@lo+4
	s_addc_u32 s5, s5, _ZN3c104guts5applyIRZZZN2at6native21polygamma_kernel_cudaERNS2_18TensorIteratorBaseElENKUlvE_clEvENKUlvE0_clEvEUlfE_RSt5tupleIJfEEEEDaOT_OT0_@rel32@hi+12
	v_mov_b32_e32 v0, s36
	v_mov_b32_e32 v1, s37
	s_waitcnt vmcnt(0)
	v_mov_b32_e32 v2, v23
	s_swappc_b64 s[30:31], s[4:5]
	v_mov_b32_e32 v27, v0
.LBB91_15:
	s_or_b64 exec, exec, s[48:49]
	v_or_b32_e32 v0, 0x200, v22
	v_cmp_gt_i32_e32 vcc, s33, v0
	s_and_saveexec_b64 s[48:49], vcc
	s_cbranch_execz .LBB91_17
; %bb.16:
	s_getpc_b64 s[4:5]
	s_add_u32 s4, s4, _ZN3c104guts5applyIRZZZN2at6native21polygamma_kernel_cudaERNS2_18TensorIteratorBaseElENKUlvE_clEvENKUlvE0_clEvEUlfE_RSt5tupleIJfEEEEDaOT_OT0_@rel32@lo+4
	s_addc_u32 s5, s5, _ZN3c104guts5applyIRZZZN2at6native21polygamma_kernel_cudaERNS2_18TensorIteratorBaseElENKUlvE_clEvENKUlvE0_clEvEUlfE_RSt5tupleIJfEEEEDaOT_OT0_@rel32@hi+12
	v_mov_b32_e32 v0, s36
	v_mov_b32_e32 v1, s37
	s_waitcnt vmcnt(0)
	v_mov_b32_e32 v2, v25
	s_swappc_b64 s[30:31], s[4:5]
	v_mov_b32_e32 v28, v0
.LBB91_17:
	s_or_b64 exec, exec, s[48:49]
	v_or_b32_e32 v0, 0x300, v22
	v_cmp_gt_i32_e32 vcc, s33, v0
	s_and_saveexec_b64 s[48:49], vcc
	s_cbranch_execnz .LBB91_24
; %bb.18:
	s_or_b64 exec, exec, s[48:49]
	s_and_saveexec_b64 s[4:5], s[34:35]
	s_xor_b64 s[4:5], exec, s[4:5]
	s_cbranch_execnz .LBB91_25
.LBB91_19:
	s_or_b64 exec, exec, s[4:5]
	v_cmp_gt_i32_e32 vcc, s33, v22
	s_and_saveexec_b64 s[4:5], vcc
	s_cbranch_execnz .LBB91_26
.LBB91_20:
	s_or_b64 exec, exec, s[4:5]
	v_cmp_gt_i32_e32 vcc, s33, v22
	s_and_saveexec_b64 s[4:5], vcc
	s_cbranch_execnz .LBB91_27
.LBB91_21:
	s_or_b64 exec, exec, s[4:5]
	v_cmp_gt_i32_e32 vcc, s33, v22
	s_and_saveexec_b64 s[4:5], vcc
	s_cbranch_execz .LBB91_23
.LBB91_22:
	v_add_u32_e32 v0, s46, v22
	v_mov_b32_e32 v1, 0
	v_lshlrev_b64 v[0:1], 2, v[0:1]
	s_waitcnt vmcnt(0)
	v_mov_b32_e32 v2, s39
	v_add_co_u32_e32 v0, vcc, s38, v0
	v_addc_co_u32_e32 v1, vcc, v2, v1, vcc
	global_store_dword v[0:1], v29, off
.LBB91_23:
	s_endpgm
.LBB91_24:
	s_getpc_b64 s[4:5]
	s_add_u32 s4, s4, _ZN3c104guts5applyIRZZZN2at6native21polygamma_kernel_cudaERNS2_18TensorIteratorBaseElENKUlvE_clEvENKUlvE0_clEvEUlfE_RSt5tupleIJfEEEEDaOT_OT0_@rel32@lo+4
	s_addc_u32 s5, s5, _ZN3c104guts5applyIRZZZN2at6native21polygamma_kernel_cudaERNS2_18TensorIteratorBaseElENKUlvE_clEvENKUlvE0_clEvEUlfE_RSt5tupleIJfEEEEDaOT_OT0_@rel32@hi+12
	v_mov_b32_e32 v0, s36
	v_mov_b32_e32 v1, s37
	s_waitcnt vmcnt(0)
	v_mov_b32_e32 v2, v24
	s_swappc_b64 s[30:31], s[4:5]
	v_mov_b32_e32 v29, v0
	s_or_b64 exec, exec, s[48:49]
	s_and_saveexec_b64 s[4:5], s[34:35]
	s_xor_b64 s[4:5], exec, s[4:5]
	s_cbranch_execz .LBB91_19
.LBB91_25:
	v_mov_b32_e32 v31, 0
	v_lshlrev_b64 v[0:1], 2, v[30:31]
	s_waitcnt vmcnt(0)
	v_mov_b32_e32 v2, s39
	v_add_co_u32_e32 v0, vcc, s38, v0
	v_addc_co_u32_e32 v1, vcc, v2, v1, vcc
	v_mov_b32_e32 v22, v32
	global_store_dword v[0:1], v26, off
	s_or_b64 exec, exec, s[4:5]
	v_cmp_gt_i32_e32 vcc, s33, v22
	s_and_saveexec_b64 s[4:5], vcc
	s_cbranch_execz .LBB91_20
.LBB91_26:
	v_add_u32_e32 v0, s46, v22
	v_mov_b32_e32 v1, 0
	v_lshlrev_b64 v[0:1], 2, v[0:1]
	s_waitcnt vmcnt(0)
	v_mov_b32_e32 v2, s39
	v_add_co_u32_e32 v0, vcc, s38, v0
	v_addc_co_u32_e32 v1, vcc, v2, v1, vcc
	v_add_u32_e32 v22, 0x100, v22
	global_store_dword v[0:1], v27, off
	s_or_b64 exec, exec, s[4:5]
	v_cmp_gt_i32_e32 vcc, s33, v22
	s_and_saveexec_b64 s[4:5], vcc
	s_cbranch_execz .LBB91_21
.LBB91_27:
	v_add_u32_e32 v0, s46, v22
	v_mov_b32_e32 v1, 0
	v_lshlrev_b64 v[0:1], 2, v[0:1]
	s_waitcnt vmcnt(0)
	v_mov_b32_e32 v2, s39
	v_add_co_u32_e32 v0, vcc, s38, v0
	v_addc_co_u32_e32 v1, vcc, v2, v1, vcc
	v_add_u32_e32 v22, 0x100, v22
	global_store_dword v[0:1], v28, off
	s_or_b64 exec, exec, s[4:5]
	v_cmp_gt_i32_e32 vcc, s33, v22
	s_and_saveexec_b64 s[4:5], vcc
	s_cbranch_execnz .LBB91_22
	s_branch .LBB91_23
	.section	.rodata,"a",@progbits
	.p2align	6, 0x0
	.amdhsa_kernel _ZN2at6native29vectorized_elementwise_kernelILi2EZZZNS0_21polygamma_kernel_cudaERNS_18TensorIteratorBaseElENKUlvE_clEvENKUlvE0_clEvEUlfE_St5arrayIPcLm2EEEEviT0_T1_
		.amdhsa_group_segment_fixed_size 0
		.amdhsa_private_segment_fixed_size 0
		.amdhsa_kernarg_size 32
		.amdhsa_user_sgpr_count 6
		.amdhsa_user_sgpr_private_segment_buffer 1
		.amdhsa_user_sgpr_dispatch_ptr 0
		.amdhsa_user_sgpr_queue_ptr 0
		.amdhsa_user_sgpr_kernarg_segment_ptr 1
		.amdhsa_user_sgpr_dispatch_id 0
		.amdhsa_user_sgpr_flat_scratch_init 0
		.amdhsa_user_sgpr_private_segment_size 0
		.amdhsa_uses_dynamic_stack 0
		.amdhsa_system_sgpr_private_segment_wavefront_offset 0
		.amdhsa_system_sgpr_workgroup_id_x 1
		.amdhsa_system_sgpr_workgroup_id_y 0
		.amdhsa_system_sgpr_workgroup_id_z 0
		.amdhsa_system_sgpr_workgroup_info 0
		.amdhsa_system_vgpr_workitem_id 0
		.amdhsa_next_free_vgpr 33
		.amdhsa_next_free_sgpr 52
		.amdhsa_reserve_vcc 1
		.amdhsa_reserve_flat_scratch 0
		.amdhsa_float_round_mode_32 0
		.amdhsa_float_round_mode_16_64 0
		.amdhsa_float_denorm_mode_32 3
		.amdhsa_float_denorm_mode_16_64 3
		.amdhsa_dx10_clamp 1
		.amdhsa_ieee_mode 1
		.amdhsa_fp16_overflow 0
		.amdhsa_exception_fp_ieee_invalid_op 0
		.amdhsa_exception_fp_denorm_src 0
		.amdhsa_exception_fp_ieee_div_zero 0
		.amdhsa_exception_fp_ieee_overflow 0
		.amdhsa_exception_fp_ieee_underflow 0
		.amdhsa_exception_fp_ieee_inexact 0
		.amdhsa_exception_int_div_zero 0
	.end_amdhsa_kernel
	.section	.text._ZN2at6native29vectorized_elementwise_kernelILi2EZZZNS0_21polygamma_kernel_cudaERNS_18TensorIteratorBaseElENKUlvE_clEvENKUlvE0_clEvEUlfE_St5arrayIPcLm2EEEEviT0_T1_,"axG",@progbits,_ZN2at6native29vectorized_elementwise_kernelILi2EZZZNS0_21polygamma_kernel_cudaERNS_18TensorIteratorBaseElENKUlvE_clEvENKUlvE0_clEvEUlfE_St5arrayIPcLm2EEEEviT0_T1_,comdat
.Lfunc_end91:
	.size	_ZN2at6native29vectorized_elementwise_kernelILi2EZZZNS0_21polygamma_kernel_cudaERNS_18TensorIteratorBaseElENKUlvE_clEvENKUlvE0_clEvEUlfE_St5arrayIPcLm2EEEEviT0_T1_, .Lfunc_end91-_ZN2at6native29vectorized_elementwise_kernelILi2EZZZNS0_21polygamma_kernel_cudaERNS_18TensorIteratorBaseElENKUlvE_clEvENKUlvE0_clEvEUlfE_St5arrayIPcLm2EEEEviT0_T1_
                                        ; -- End function
	.set _ZN2at6native29vectorized_elementwise_kernelILi2EZZZNS0_21polygamma_kernel_cudaERNS_18TensorIteratorBaseElENKUlvE_clEvENKUlvE0_clEvEUlfE_St5arrayIPcLm2EEEEviT0_T1_.num_vgpr, max(33, .L_ZN3c104guts5applyIRZZZN2at6native21polygamma_kernel_cudaERNS2_18TensorIteratorBaseElENKUlvE_clEvENKUlvE0_clEvEUlfE_RSt5tupleIJfEEEEDaOT_OT0_.num_vgpr)
	.set _ZN2at6native29vectorized_elementwise_kernelILi2EZZZNS0_21polygamma_kernel_cudaERNS_18TensorIteratorBaseElENKUlvE_clEvENKUlvE0_clEvEUlfE_St5arrayIPcLm2EEEEviT0_T1_.num_agpr, max(0, .L_ZN3c104guts5applyIRZZZN2at6native21polygamma_kernel_cudaERNS2_18TensorIteratorBaseElENKUlvE_clEvENKUlvE0_clEvEUlfE_RSt5tupleIJfEEEEDaOT_OT0_.num_agpr)
	.set _ZN2at6native29vectorized_elementwise_kernelILi2EZZZNS0_21polygamma_kernel_cudaERNS_18TensorIteratorBaseElENKUlvE_clEvENKUlvE0_clEvEUlfE_St5arrayIPcLm2EEEEviT0_T1_.numbered_sgpr, max(52, .L_ZN3c104guts5applyIRZZZN2at6native21polygamma_kernel_cudaERNS2_18TensorIteratorBaseElENKUlvE_clEvENKUlvE0_clEvEUlfE_RSt5tupleIJfEEEEDaOT_OT0_.numbered_sgpr)
	.set _ZN2at6native29vectorized_elementwise_kernelILi2EZZZNS0_21polygamma_kernel_cudaERNS_18TensorIteratorBaseElENKUlvE_clEvENKUlvE0_clEvEUlfE_St5arrayIPcLm2EEEEviT0_T1_.num_named_barrier, max(0, .L_ZN3c104guts5applyIRZZZN2at6native21polygamma_kernel_cudaERNS2_18TensorIteratorBaseElENKUlvE_clEvENKUlvE0_clEvEUlfE_RSt5tupleIJfEEEEDaOT_OT0_.num_named_barrier)
	.set _ZN2at6native29vectorized_elementwise_kernelILi2EZZZNS0_21polygamma_kernel_cudaERNS_18TensorIteratorBaseElENKUlvE_clEvENKUlvE0_clEvEUlfE_St5arrayIPcLm2EEEEviT0_T1_.private_seg_size, 0+max(.L_ZN3c104guts5applyIRZZZN2at6native21polygamma_kernel_cudaERNS2_18TensorIteratorBaseElENKUlvE_clEvENKUlvE0_clEvEUlfE_RSt5tupleIJfEEEEDaOT_OT0_.private_seg_size)
	.set _ZN2at6native29vectorized_elementwise_kernelILi2EZZZNS0_21polygamma_kernel_cudaERNS_18TensorIteratorBaseElENKUlvE_clEvENKUlvE0_clEvEUlfE_St5arrayIPcLm2EEEEviT0_T1_.uses_vcc, or(1, .L_ZN3c104guts5applyIRZZZN2at6native21polygamma_kernel_cudaERNS2_18TensorIteratorBaseElENKUlvE_clEvENKUlvE0_clEvEUlfE_RSt5tupleIJfEEEEDaOT_OT0_.uses_vcc)
	.set _ZN2at6native29vectorized_elementwise_kernelILi2EZZZNS0_21polygamma_kernel_cudaERNS_18TensorIteratorBaseElENKUlvE_clEvENKUlvE0_clEvEUlfE_St5arrayIPcLm2EEEEviT0_T1_.uses_flat_scratch, or(0, .L_ZN3c104guts5applyIRZZZN2at6native21polygamma_kernel_cudaERNS2_18TensorIteratorBaseElENKUlvE_clEvENKUlvE0_clEvEUlfE_RSt5tupleIJfEEEEDaOT_OT0_.uses_flat_scratch)
	.set _ZN2at6native29vectorized_elementwise_kernelILi2EZZZNS0_21polygamma_kernel_cudaERNS_18TensorIteratorBaseElENKUlvE_clEvENKUlvE0_clEvEUlfE_St5arrayIPcLm2EEEEviT0_T1_.has_dyn_sized_stack, or(0, .L_ZN3c104guts5applyIRZZZN2at6native21polygamma_kernel_cudaERNS2_18TensorIteratorBaseElENKUlvE_clEvENKUlvE0_clEvEUlfE_RSt5tupleIJfEEEEDaOT_OT0_.has_dyn_sized_stack)
	.set _ZN2at6native29vectorized_elementwise_kernelILi2EZZZNS0_21polygamma_kernel_cudaERNS_18TensorIteratorBaseElENKUlvE_clEvENKUlvE0_clEvEUlfE_St5arrayIPcLm2EEEEviT0_T1_.has_recursion, or(0, .L_ZN3c104guts5applyIRZZZN2at6native21polygamma_kernel_cudaERNS2_18TensorIteratorBaseElENKUlvE_clEvENKUlvE0_clEvEUlfE_RSt5tupleIJfEEEEDaOT_OT0_.has_recursion)
	.set _ZN2at6native29vectorized_elementwise_kernelILi2EZZZNS0_21polygamma_kernel_cudaERNS_18TensorIteratorBaseElENKUlvE_clEvENKUlvE0_clEvEUlfE_St5arrayIPcLm2EEEEviT0_T1_.has_indirect_call, or(0, .L_ZN3c104guts5applyIRZZZN2at6native21polygamma_kernel_cudaERNS2_18TensorIteratorBaseElENKUlvE_clEvENKUlvE0_clEvEUlfE_RSt5tupleIJfEEEEDaOT_OT0_.has_indirect_call)
	.section	.AMDGPU.csdata,"",@progbits
; Kernel info:
; codeLenInByte = 1096
; TotalNumSgprs: 56
; NumVgprs: 33
; ScratchSize: 0
; MemoryBound: 0
; FloatMode: 240
; IeeeMode: 1
; LDSByteSize: 0 bytes/workgroup (compile time only)
; SGPRBlocks: 6
; VGPRBlocks: 8
; NumSGPRsForWavesPerEU: 56
; NumVGPRsForWavesPerEU: 33
; Occupancy: 7
; WaveLimiterHint : 1
; COMPUTE_PGM_RSRC2:SCRATCH_EN: 0
; COMPUTE_PGM_RSRC2:USER_SGPR: 6
; COMPUTE_PGM_RSRC2:TRAP_HANDLER: 0
; COMPUTE_PGM_RSRC2:TGID_X_EN: 1
; COMPUTE_PGM_RSRC2:TGID_Y_EN: 0
; COMPUTE_PGM_RSRC2:TGID_Z_EN: 0
; COMPUTE_PGM_RSRC2:TIDIG_COMP_CNT: 0
	.section	.text._ZN2at6native27unrolled_elementwise_kernelIZZZNS0_21polygamma_kernel_cudaERNS_18TensorIteratorBaseElENKUlvE_clEvENKUlvE0_clEvEUlfE_St5arrayIPcLm2EELi4E23TrivialOffsetCalculatorILi1EjESB_NS0_6memory15LoadWithoutCastENSC_16StoreWithoutCastEEEviT_T0_T2_T3_T4_T5_,"axG",@progbits,_ZN2at6native27unrolled_elementwise_kernelIZZZNS0_21polygamma_kernel_cudaERNS_18TensorIteratorBaseElENKUlvE_clEvENKUlvE0_clEvEUlfE_St5arrayIPcLm2EELi4E23TrivialOffsetCalculatorILi1EjESB_NS0_6memory15LoadWithoutCastENSC_16StoreWithoutCastEEEviT_T0_T2_T3_T4_T5_,comdat
	.globl	_ZN2at6native27unrolled_elementwise_kernelIZZZNS0_21polygamma_kernel_cudaERNS_18TensorIteratorBaseElENKUlvE_clEvENKUlvE0_clEvEUlfE_St5arrayIPcLm2EELi4E23TrivialOffsetCalculatorILi1EjESB_NS0_6memory15LoadWithoutCastENSC_16StoreWithoutCastEEEviT_T0_T2_T3_T4_T5_ ; -- Begin function _ZN2at6native27unrolled_elementwise_kernelIZZZNS0_21polygamma_kernel_cudaERNS_18TensorIteratorBaseElENKUlvE_clEvENKUlvE0_clEvEUlfE_St5arrayIPcLm2EELi4E23TrivialOffsetCalculatorILi1EjESB_NS0_6memory15LoadWithoutCastENSC_16StoreWithoutCastEEEviT_T0_T2_T3_T4_T5_
	.p2align	8
	.type	_ZN2at6native27unrolled_elementwise_kernelIZZZNS0_21polygamma_kernel_cudaERNS_18TensorIteratorBaseElENKUlvE_clEvENKUlvE0_clEvEUlfE_St5arrayIPcLm2EELi4E23TrivialOffsetCalculatorILi1EjESB_NS0_6memory15LoadWithoutCastENSC_16StoreWithoutCastEEEviT_T0_T2_T3_T4_T5_,@function
_ZN2at6native27unrolled_elementwise_kernelIZZZNS0_21polygamma_kernel_cudaERNS_18TensorIteratorBaseElENKUlvE_clEvENKUlvE0_clEvEUlfE_St5arrayIPcLm2EELi4E23TrivialOffsetCalculatorILi1EjESB_NS0_6memory15LoadWithoutCastENSC_16StoreWithoutCastEEEviT_T0_T2_T3_T4_T5_: ; @_ZN2at6native27unrolled_elementwise_kernelIZZZNS0_21polygamma_kernel_cudaERNS_18TensorIteratorBaseElENKUlvE_clEvENKUlvE0_clEvEUlfE_St5arrayIPcLm2EELi4E23TrivialOffsetCalculatorILi1EjESB_NS0_6memory15LoadWithoutCastENSC_16StoreWithoutCastEEEviT_T0_T2_T3_T4_T5_
; %bb.0:
	s_add_u32 s0, s0, s7
	s_load_dword s7, s[4:5], 0x0
	s_load_dwordx2 s[8:9], s[4:5], 0x18
	s_addc_u32 s1, s1, 0
	s_lshl_b32 s33, s6, 10
	v_mov_b32_e32 v22, v0
	s_waitcnt lgkmcnt(0)
	s_sub_i32 s48, s7, s33
	v_cmp_gt_i32_e64 s[34:35], s48, v22
	v_mov_b32_e32 v23, 0
	v_or_b32_e32 v30, s33, v22
	v_mov_b32_e32 v2, 0
	s_mov_b32 s32, 0
	s_and_saveexec_b64 s[6:7], s[34:35]
	s_cbranch_execz .LBB92_2
; %bb.1:
	v_mov_b32_e32 v31, 0
	v_lshlrev_b64 v[0:1], 2, v[30:31]
	v_mov_b32_e32 v2, s9
	v_add_co_u32_e32 v0, vcc, s8, v0
	v_addc_co_u32_e32 v1, vcc, v2, v1, vcc
	global_load_dword v2, v[0:1], off
	v_or_b32_e32 v0, 0x100, v22
.LBB92_2:
	s_or_b64 exec, exec, s[6:7]
	s_load_dwordx4 s[36:39], s[4:5], 0x8
	v_cmp_gt_i32_e32 vcc, s48, v0
	s_and_saveexec_b64 s[4:5], vcc
	s_cbranch_execz .LBB92_4
; %bb.3:
	v_add_u32_e32 v3, s33, v0
	v_mov_b32_e32 v4, 0
	v_lshlrev_b64 v[3:4], 2, v[3:4]
	v_mov_b32_e32 v1, s9
	v_add_co_u32_e32 v3, vcc, s8, v3
	v_addc_co_u32_e32 v4, vcc, v1, v4, vcc
	global_load_dword v23, v[3:4], off
	v_add_u32_e32 v0, 0x100, v0
.LBB92_4:
	s_or_b64 exec, exec, s[4:5]
	v_cmp_gt_i32_e32 vcc, s48, v0
	v_mov_b32_e32 v24, 0
	v_mov_b32_e32 v25, 0
	s_and_saveexec_b64 s[4:5], vcc
	s_cbranch_execz .LBB92_6
; %bb.5:
	v_add_u32_e32 v3, s33, v0
	v_mov_b32_e32 v4, 0
	v_lshlrev_b64 v[3:4], 2, v[3:4]
	v_mov_b32_e32 v1, s9
	v_add_co_u32_e32 v3, vcc, s8, v3
	v_addc_co_u32_e32 v4, vcc, v1, v4, vcc
	global_load_dword v25, v[3:4], off
	v_add_u32_e32 v0, 0x100, v0
.LBB92_6:
	s_or_b64 exec, exec, s[4:5]
	v_cmp_gt_i32_e32 vcc, s48, v0
	s_and_saveexec_b64 s[4:5], vcc
	s_cbranch_execz .LBB92_8
; %bb.7:
	v_add_u32_e32 v0, s33, v0
	v_mov_b32_e32 v1, 0
	v_lshlrev_b64 v[0:1], 2, v[0:1]
	v_mov_b32_e32 v3, s9
	v_add_co_u32_e32 v0, vcc, s8, v0
	v_addc_co_u32_e32 v1, vcc, v3, v1, vcc
	global_load_dword v24, v[0:1], off
.LBB92_8:
	s_or_b64 exec, exec, s[4:5]
	v_mov_b32_e32 v26, 0
	v_mov_b32_e32 v27, v26
	;; [unrolled: 1-line block ×4, first 2 shown]
	s_and_saveexec_b64 s[46:47], s[34:35]
	s_cbranch_execz .LBB92_10
; %bb.9:
	s_getpc_b64 s[4:5]
	s_add_u32 s4, s4, _ZN3c104guts5applyIRZZZN2at6native21polygamma_kernel_cudaERNS2_18TensorIteratorBaseElENKUlvE_clEvENKUlvE0_clEvEUlfE_RSt5tupleIJfEEEEDaOT_OT0_@rel32@lo+4
	s_addc_u32 s5, s5, _ZN3c104guts5applyIRZZZN2at6native21polygamma_kernel_cudaERNS2_18TensorIteratorBaseElENKUlvE_clEvENKUlvE0_clEvEUlfE_RSt5tupleIJfEEEEDaOT_OT0_@rel32@hi+12
	s_waitcnt lgkmcnt(0)
	v_mov_b32_e32 v0, s36
	v_mov_b32_e32 v1, s37
	s_swappc_b64 s[30:31], s[4:5]
	v_mov_b32_e32 v3, v26
	v_mov_b32_e32 v1, v26
	;; [unrolled: 1-line block ×7, first 2 shown]
.LBB92_10:
	s_or_b64 exec, exec, s[46:47]
	v_or_b32_e32 v32, 0x100, v22
	v_cmp_gt_i32_e32 vcc, s48, v32
	s_and_saveexec_b64 s[46:47], vcc
	s_cbranch_execz .LBB92_12
; %bb.11:
	s_getpc_b64 s[4:5]
	s_add_u32 s4, s4, _ZN3c104guts5applyIRZZZN2at6native21polygamma_kernel_cudaERNS2_18TensorIteratorBaseElENKUlvE_clEvENKUlvE0_clEvEUlfE_RSt5tupleIJfEEEEDaOT_OT0_@rel32@lo+4
	s_addc_u32 s5, s5, _ZN3c104guts5applyIRZZZN2at6native21polygamma_kernel_cudaERNS2_18TensorIteratorBaseElENKUlvE_clEvENKUlvE0_clEvEUlfE_RSt5tupleIJfEEEEDaOT_OT0_@rel32@hi+12
	s_waitcnt lgkmcnt(0)
	v_mov_b32_e32 v0, s36
	v_mov_b32_e32 v1, s37
	s_waitcnt vmcnt(0)
	v_mov_b32_e32 v2, v23
	s_swappc_b64 s[30:31], s[4:5]
	v_mov_b32_e32 v27, v0
.LBB92_12:
	s_or_b64 exec, exec, s[46:47]
	v_or_b32_e32 v0, 0x200, v22
	v_cmp_gt_i32_e32 vcc, s48, v0
	s_and_saveexec_b64 s[46:47], vcc
	s_cbranch_execz .LBB92_14
; %bb.13:
	s_getpc_b64 s[4:5]
	s_add_u32 s4, s4, _ZN3c104guts5applyIRZZZN2at6native21polygamma_kernel_cudaERNS2_18TensorIteratorBaseElENKUlvE_clEvENKUlvE0_clEvEUlfE_RSt5tupleIJfEEEEDaOT_OT0_@rel32@lo+4
	s_addc_u32 s5, s5, _ZN3c104guts5applyIRZZZN2at6native21polygamma_kernel_cudaERNS2_18TensorIteratorBaseElENKUlvE_clEvENKUlvE0_clEvEUlfE_RSt5tupleIJfEEEEDaOT_OT0_@rel32@hi+12
	s_waitcnt lgkmcnt(0)
	v_mov_b32_e32 v0, s36
	v_mov_b32_e32 v1, s37
	s_waitcnt vmcnt(0)
	v_mov_b32_e32 v2, v25
	s_swappc_b64 s[30:31], s[4:5]
	v_mov_b32_e32 v28, v0
.LBB92_14:
	s_or_b64 exec, exec, s[46:47]
	v_or_b32_e32 v0, 0x300, v22
	v_cmp_gt_i32_e32 vcc, s48, v0
	s_and_saveexec_b64 s[46:47], vcc
	s_cbranch_execnz .LBB92_20
; %bb.15:
	s_or_b64 exec, exec, s[46:47]
	s_and_saveexec_b64 s[4:5], s[34:35]
	s_xor_b64 s[4:5], exec, s[4:5]
	s_cbranch_execnz .LBB92_21
.LBB92_16:
	s_or_b64 exec, exec, s[4:5]
	v_cmp_gt_i32_e32 vcc, s48, v22
	s_and_saveexec_b64 s[4:5], vcc
	s_cbranch_execnz .LBB92_22
.LBB92_17:
	s_or_b64 exec, exec, s[4:5]
	v_cmp_gt_i32_e32 vcc, s48, v22
	s_and_saveexec_b64 s[4:5], vcc
	s_cbranch_execnz .LBB92_23
.LBB92_18:
	s_or_b64 exec, exec, s[4:5]
	v_cmp_gt_i32_e32 vcc, s48, v22
	s_and_saveexec_b64 s[4:5], vcc
	s_cbranch_execnz .LBB92_24
.LBB92_19:
	s_endpgm
.LBB92_20:
	s_getpc_b64 s[4:5]
	s_add_u32 s4, s4, _ZN3c104guts5applyIRZZZN2at6native21polygamma_kernel_cudaERNS2_18TensorIteratorBaseElENKUlvE_clEvENKUlvE0_clEvEUlfE_RSt5tupleIJfEEEEDaOT_OT0_@rel32@lo+4
	s_addc_u32 s5, s5, _ZN3c104guts5applyIRZZZN2at6native21polygamma_kernel_cudaERNS2_18TensorIteratorBaseElENKUlvE_clEvENKUlvE0_clEvEUlfE_RSt5tupleIJfEEEEDaOT_OT0_@rel32@hi+12
	s_waitcnt lgkmcnt(0)
	v_mov_b32_e32 v0, s36
	v_mov_b32_e32 v1, s37
	s_waitcnt vmcnt(0)
	v_mov_b32_e32 v2, v24
	s_swappc_b64 s[30:31], s[4:5]
	v_mov_b32_e32 v29, v0
	s_or_b64 exec, exec, s[46:47]
	s_and_saveexec_b64 s[4:5], s[34:35]
	s_xor_b64 s[4:5], exec, s[4:5]
	s_cbranch_execz .LBB92_16
.LBB92_21:
	v_mov_b32_e32 v31, 0
	v_lshlrev_b64 v[0:1], 2, v[30:31]
	s_waitcnt vmcnt(0) lgkmcnt(0)
	v_mov_b32_e32 v2, s39
	v_add_co_u32_e32 v0, vcc, s38, v0
	v_addc_co_u32_e32 v1, vcc, v2, v1, vcc
	v_mov_b32_e32 v22, v32
	global_store_dword v[0:1], v26, off
	s_or_b64 exec, exec, s[4:5]
	v_cmp_gt_i32_e32 vcc, s48, v22
	s_and_saveexec_b64 s[4:5], vcc
	s_cbranch_execz .LBB92_17
.LBB92_22:
	v_add_u32_e32 v0, s33, v22
	v_mov_b32_e32 v1, 0
	v_lshlrev_b64 v[0:1], 2, v[0:1]
	s_waitcnt vmcnt(0)
	v_add_u32_e32 v2, 0x100, v22
	s_waitcnt lgkmcnt(0)
	v_mov_b32_e32 v3, s39
	v_add_co_u32_e32 v0, vcc, s38, v0
	v_addc_co_u32_e32 v1, vcc, v3, v1, vcc
	v_mov_b32_e32 v22, v2
	global_store_dword v[0:1], v27, off
	s_or_b64 exec, exec, s[4:5]
	v_cmp_gt_i32_e32 vcc, s48, v22
	s_and_saveexec_b64 s[4:5], vcc
	s_cbranch_execz .LBB92_18
.LBB92_23:
	v_add_u32_e32 v0, s33, v22
	v_mov_b32_e32 v1, 0
	v_lshlrev_b64 v[0:1], 2, v[0:1]
	s_waitcnt vmcnt(0)
	v_add_u32_e32 v2, 0x100, v22
	s_waitcnt lgkmcnt(0)
	v_mov_b32_e32 v3, s39
	v_add_co_u32_e32 v0, vcc, s38, v0
	v_addc_co_u32_e32 v1, vcc, v3, v1, vcc
	v_mov_b32_e32 v22, v2
	global_store_dword v[0:1], v28, off
	s_or_b64 exec, exec, s[4:5]
	v_cmp_gt_i32_e32 vcc, s48, v22
	s_and_saveexec_b64 s[4:5], vcc
	s_cbranch_execz .LBB92_19
.LBB92_24:
	v_add_u32_e32 v0, s33, v22
	v_mov_b32_e32 v1, 0
	v_lshlrev_b64 v[0:1], 2, v[0:1]
	s_waitcnt vmcnt(0) lgkmcnt(0)
	v_mov_b32_e32 v2, s39
	v_add_co_u32_e32 v0, vcc, s38, v0
	v_addc_co_u32_e32 v1, vcc, v2, v1, vcc
	global_store_dword v[0:1], v29, off
	s_endpgm
	.section	.rodata,"a",@progbits
	.p2align	6, 0x0
	.amdhsa_kernel _ZN2at6native27unrolled_elementwise_kernelIZZZNS0_21polygamma_kernel_cudaERNS_18TensorIteratorBaseElENKUlvE_clEvENKUlvE0_clEvEUlfE_St5arrayIPcLm2EELi4E23TrivialOffsetCalculatorILi1EjESB_NS0_6memory15LoadWithoutCastENSC_16StoreWithoutCastEEEviT_T0_T2_T3_T4_T5_
		.amdhsa_group_segment_fixed_size 0
		.amdhsa_private_segment_fixed_size 0
		.amdhsa_kernarg_size 36
		.amdhsa_user_sgpr_count 6
		.amdhsa_user_sgpr_private_segment_buffer 1
		.amdhsa_user_sgpr_dispatch_ptr 0
		.amdhsa_user_sgpr_queue_ptr 0
		.amdhsa_user_sgpr_kernarg_segment_ptr 1
		.amdhsa_user_sgpr_dispatch_id 0
		.amdhsa_user_sgpr_flat_scratch_init 0
		.amdhsa_user_sgpr_private_segment_size 0
		.amdhsa_uses_dynamic_stack 0
		.amdhsa_system_sgpr_private_segment_wavefront_offset 0
		.amdhsa_system_sgpr_workgroup_id_x 1
		.amdhsa_system_sgpr_workgroup_id_y 0
		.amdhsa_system_sgpr_workgroup_id_z 0
		.amdhsa_system_sgpr_workgroup_info 0
		.amdhsa_system_vgpr_workitem_id 0
		.amdhsa_next_free_vgpr 33
		.amdhsa_next_free_sgpr 49
		.amdhsa_reserve_vcc 1
		.amdhsa_reserve_flat_scratch 0
		.amdhsa_float_round_mode_32 0
		.amdhsa_float_round_mode_16_64 0
		.amdhsa_float_denorm_mode_32 3
		.amdhsa_float_denorm_mode_16_64 3
		.amdhsa_dx10_clamp 1
		.amdhsa_ieee_mode 1
		.amdhsa_fp16_overflow 0
		.amdhsa_exception_fp_ieee_invalid_op 0
		.amdhsa_exception_fp_denorm_src 0
		.amdhsa_exception_fp_ieee_div_zero 0
		.amdhsa_exception_fp_ieee_overflow 0
		.amdhsa_exception_fp_ieee_underflow 0
		.amdhsa_exception_fp_ieee_inexact 0
		.amdhsa_exception_int_div_zero 0
	.end_amdhsa_kernel
	.section	.text._ZN2at6native27unrolled_elementwise_kernelIZZZNS0_21polygamma_kernel_cudaERNS_18TensorIteratorBaseElENKUlvE_clEvENKUlvE0_clEvEUlfE_St5arrayIPcLm2EELi4E23TrivialOffsetCalculatorILi1EjESB_NS0_6memory15LoadWithoutCastENSC_16StoreWithoutCastEEEviT_T0_T2_T3_T4_T5_,"axG",@progbits,_ZN2at6native27unrolled_elementwise_kernelIZZZNS0_21polygamma_kernel_cudaERNS_18TensorIteratorBaseElENKUlvE_clEvENKUlvE0_clEvEUlfE_St5arrayIPcLm2EELi4E23TrivialOffsetCalculatorILi1EjESB_NS0_6memory15LoadWithoutCastENSC_16StoreWithoutCastEEEviT_T0_T2_T3_T4_T5_,comdat
.Lfunc_end92:
	.size	_ZN2at6native27unrolled_elementwise_kernelIZZZNS0_21polygamma_kernel_cudaERNS_18TensorIteratorBaseElENKUlvE_clEvENKUlvE0_clEvEUlfE_St5arrayIPcLm2EELi4E23TrivialOffsetCalculatorILi1EjESB_NS0_6memory15LoadWithoutCastENSC_16StoreWithoutCastEEEviT_T0_T2_T3_T4_T5_, .Lfunc_end92-_ZN2at6native27unrolled_elementwise_kernelIZZZNS0_21polygamma_kernel_cudaERNS_18TensorIteratorBaseElENKUlvE_clEvENKUlvE0_clEvEUlfE_St5arrayIPcLm2EELi4E23TrivialOffsetCalculatorILi1EjESB_NS0_6memory15LoadWithoutCastENSC_16StoreWithoutCastEEEviT_T0_T2_T3_T4_T5_
                                        ; -- End function
	.set _ZN2at6native27unrolled_elementwise_kernelIZZZNS0_21polygamma_kernel_cudaERNS_18TensorIteratorBaseElENKUlvE_clEvENKUlvE0_clEvEUlfE_St5arrayIPcLm2EELi4E23TrivialOffsetCalculatorILi1EjESB_NS0_6memory15LoadWithoutCastENSC_16StoreWithoutCastEEEviT_T0_T2_T3_T4_T5_.num_vgpr, max(33, .L_ZN3c104guts5applyIRZZZN2at6native21polygamma_kernel_cudaERNS2_18TensorIteratorBaseElENKUlvE_clEvENKUlvE0_clEvEUlfE_RSt5tupleIJfEEEEDaOT_OT0_.num_vgpr)
	.set _ZN2at6native27unrolled_elementwise_kernelIZZZNS0_21polygamma_kernel_cudaERNS_18TensorIteratorBaseElENKUlvE_clEvENKUlvE0_clEvEUlfE_St5arrayIPcLm2EELi4E23TrivialOffsetCalculatorILi1EjESB_NS0_6memory15LoadWithoutCastENSC_16StoreWithoutCastEEEviT_T0_T2_T3_T4_T5_.num_agpr, max(0, .L_ZN3c104guts5applyIRZZZN2at6native21polygamma_kernel_cudaERNS2_18TensorIteratorBaseElENKUlvE_clEvENKUlvE0_clEvEUlfE_RSt5tupleIJfEEEEDaOT_OT0_.num_agpr)
	.set _ZN2at6native27unrolled_elementwise_kernelIZZZNS0_21polygamma_kernel_cudaERNS_18TensorIteratorBaseElENKUlvE_clEvENKUlvE0_clEvEUlfE_St5arrayIPcLm2EELi4E23TrivialOffsetCalculatorILi1EjESB_NS0_6memory15LoadWithoutCastENSC_16StoreWithoutCastEEEviT_T0_T2_T3_T4_T5_.numbered_sgpr, max(49, .L_ZN3c104guts5applyIRZZZN2at6native21polygamma_kernel_cudaERNS2_18TensorIteratorBaseElENKUlvE_clEvENKUlvE0_clEvEUlfE_RSt5tupleIJfEEEEDaOT_OT0_.numbered_sgpr)
	.set _ZN2at6native27unrolled_elementwise_kernelIZZZNS0_21polygamma_kernel_cudaERNS_18TensorIteratorBaseElENKUlvE_clEvENKUlvE0_clEvEUlfE_St5arrayIPcLm2EELi4E23TrivialOffsetCalculatorILi1EjESB_NS0_6memory15LoadWithoutCastENSC_16StoreWithoutCastEEEviT_T0_T2_T3_T4_T5_.num_named_barrier, max(0, .L_ZN3c104guts5applyIRZZZN2at6native21polygamma_kernel_cudaERNS2_18TensorIteratorBaseElENKUlvE_clEvENKUlvE0_clEvEUlfE_RSt5tupleIJfEEEEDaOT_OT0_.num_named_barrier)
	.set _ZN2at6native27unrolled_elementwise_kernelIZZZNS0_21polygamma_kernel_cudaERNS_18TensorIteratorBaseElENKUlvE_clEvENKUlvE0_clEvEUlfE_St5arrayIPcLm2EELi4E23TrivialOffsetCalculatorILi1EjESB_NS0_6memory15LoadWithoutCastENSC_16StoreWithoutCastEEEviT_T0_T2_T3_T4_T5_.private_seg_size, 0+max(.L_ZN3c104guts5applyIRZZZN2at6native21polygamma_kernel_cudaERNS2_18TensorIteratorBaseElENKUlvE_clEvENKUlvE0_clEvEUlfE_RSt5tupleIJfEEEEDaOT_OT0_.private_seg_size)
	.set _ZN2at6native27unrolled_elementwise_kernelIZZZNS0_21polygamma_kernel_cudaERNS_18TensorIteratorBaseElENKUlvE_clEvENKUlvE0_clEvEUlfE_St5arrayIPcLm2EELi4E23TrivialOffsetCalculatorILi1EjESB_NS0_6memory15LoadWithoutCastENSC_16StoreWithoutCastEEEviT_T0_T2_T3_T4_T5_.uses_vcc, or(1, .L_ZN3c104guts5applyIRZZZN2at6native21polygamma_kernel_cudaERNS2_18TensorIteratorBaseElENKUlvE_clEvENKUlvE0_clEvEUlfE_RSt5tupleIJfEEEEDaOT_OT0_.uses_vcc)
	.set _ZN2at6native27unrolled_elementwise_kernelIZZZNS0_21polygamma_kernel_cudaERNS_18TensorIteratorBaseElENKUlvE_clEvENKUlvE0_clEvEUlfE_St5arrayIPcLm2EELi4E23TrivialOffsetCalculatorILi1EjESB_NS0_6memory15LoadWithoutCastENSC_16StoreWithoutCastEEEviT_T0_T2_T3_T4_T5_.uses_flat_scratch, or(0, .L_ZN3c104guts5applyIRZZZN2at6native21polygamma_kernel_cudaERNS2_18TensorIteratorBaseElENKUlvE_clEvENKUlvE0_clEvEUlfE_RSt5tupleIJfEEEEDaOT_OT0_.uses_flat_scratch)
	.set _ZN2at6native27unrolled_elementwise_kernelIZZZNS0_21polygamma_kernel_cudaERNS_18TensorIteratorBaseElENKUlvE_clEvENKUlvE0_clEvEUlfE_St5arrayIPcLm2EELi4E23TrivialOffsetCalculatorILi1EjESB_NS0_6memory15LoadWithoutCastENSC_16StoreWithoutCastEEEviT_T0_T2_T3_T4_T5_.has_dyn_sized_stack, or(0, .L_ZN3c104guts5applyIRZZZN2at6native21polygamma_kernel_cudaERNS2_18TensorIteratorBaseElENKUlvE_clEvENKUlvE0_clEvEUlfE_RSt5tupleIJfEEEEDaOT_OT0_.has_dyn_sized_stack)
	.set _ZN2at6native27unrolled_elementwise_kernelIZZZNS0_21polygamma_kernel_cudaERNS_18TensorIteratorBaseElENKUlvE_clEvENKUlvE0_clEvEUlfE_St5arrayIPcLm2EELi4E23TrivialOffsetCalculatorILi1EjESB_NS0_6memory15LoadWithoutCastENSC_16StoreWithoutCastEEEviT_T0_T2_T3_T4_T5_.has_recursion, or(0, .L_ZN3c104guts5applyIRZZZN2at6native21polygamma_kernel_cudaERNS2_18TensorIteratorBaseElENKUlvE_clEvENKUlvE0_clEvEUlfE_RSt5tupleIJfEEEEDaOT_OT0_.has_recursion)
	.set _ZN2at6native27unrolled_elementwise_kernelIZZZNS0_21polygamma_kernel_cudaERNS_18TensorIteratorBaseElENKUlvE_clEvENKUlvE0_clEvEUlfE_St5arrayIPcLm2EELi4E23TrivialOffsetCalculatorILi1EjESB_NS0_6memory15LoadWithoutCastENSC_16StoreWithoutCastEEEviT_T0_T2_T3_T4_T5_.has_indirect_call, or(0, .L_ZN3c104guts5applyIRZZZN2at6native21polygamma_kernel_cudaERNS2_18TensorIteratorBaseElENKUlvE_clEvENKUlvE0_clEvEUlfE_RSt5tupleIJfEEEEDaOT_OT0_.has_indirect_call)
	.section	.AMDGPU.csdata,"",@progbits
; Kernel info:
; codeLenInByte = 936
; TotalNumSgprs: 53
; NumVgprs: 33
; ScratchSize: 0
; MemoryBound: 0
; FloatMode: 240
; IeeeMode: 1
; LDSByteSize: 0 bytes/workgroup (compile time only)
; SGPRBlocks: 6
; VGPRBlocks: 8
; NumSGPRsForWavesPerEU: 53
; NumVGPRsForWavesPerEU: 33
; Occupancy: 7
; WaveLimiterHint : 0
; COMPUTE_PGM_RSRC2:SCRATCH_EN: 0
; COMPUTE_PGM_RSRC2:USER_SGPR: 6
; COMPUTE_PGM_RSRC2:TRAP_HANDLER: 0
; COMPUTE_PGM_RSRC2:TGID_X_EN: 1
; COMPUTE_PGM_RSRC2:TGID_Y_EN: 0
; COMPUTE_PGM_RSRC2:TGID_Z_EN: 0
; COMPUTE_PGM_RSRC2:TIDIG_COMP_CNT: 0
	.text
	.p2align	2                               ; -- Begin function _ZN2at6native6invokeIZZZNS0_21polygamma_kernel_cudaERNS_18TensorIteratorBaseElENKUlvE_clEvENKUlvE0_clEvEUlfE_j15function_traitsIS6_EEENT1_11result_typeERKT_PrKPcPKT0_i
	.type	_ZN2at6native6invokeIZZZNS0_21polygamma_kernel_cudaERNS_18TensorIteratorBaseElENKUlvE_clEvENKUlvE0_clEvEUlfE_j15function_traitsIS6_EEENT1_11result_typeERKT_PrKPcPKT0_i,@function
_ZN2at6native6invokeIZZZNS0_21polygamma_kernel_cudaERNS_18TensorIteratorBaseElENKUlvE_clEvENKUlvE0_clEvEUlfE_j15function_traitsIS6_EEENT1_11result_typeERKT_PrKPcPKT0_i: ; @_ZN2at6native6invokeIZZZNS0_21polygamma_kernel_cudaERNS_18TensorIteratorBaseElENKUlvE_clEvENKUlvE0_clEvEUlfE_j15function_traitsIS6_EEENT1_11result_typeERKT_PrKPcPKT0_i
; %bb.0:
	s_waitcnt vmcnt(0) expcnt(0) lgkmcnt(0)
	v_add_co_u32_e32 v1, vcc, v2, v4
	v_addc_co_u32_e32 v2, vcc, 0, v3, vcc
	flat_load_dword v2, v[1:2]
	v_cvt_f32_i32_e32 v1, v0
	s_mov_b32 s4, 0x3c800000
                                        ; implicit-def: $vgpr3
	v_add_f32_e32 v1, 1.0, v1
	v_and_b32_e32 v4, 0x7fffffff, v1
	v_cmp_nlt_f32_e64 s[4:5], |v1|, s4
	s_and_saveexec_b64 s[6:7], s[4:5]
	s_xor_b64 s[6:7], exec, s[6:7]
	s_cbranch_execz .LBB93_30
; %bb.1:
	v_cmp_nlt_f32_e64 s[4:5], |v1|, 2.0
                                        ; implicit-def: $vgpr3
	s_and_saveexec_b64 s[8:9], s[4:5]
	s_xor_b64 s[8:9], exec, s[8:9]
	s_cbranch_execz .LBB93_11
; %bb.2:
	s_mov_b32 s4, 0x41000000
	v_cmp_nlt_f32_e64 s[4:5], |v1|, s4
                                        ; implicit-def: $vgpr3
	s_and_saveexec_b64 s[10:11], s[4:5]
	s_xor_b64 s[10:11], exec, s[10:11]
	s_cbranch_execz .LBB93_8
; %bb.3:
	s_mov_b32 s4, 0x5c800000
	v_cmp_nlt_f32_e64 s[4:5], |v1|, s4
                                        ; implicit-def: $vgpr3
	s_and_saveexec_b64 s[12:13], s[4:5]
	s_xor_b64 s[12:13], exec, s[12:13]
	s_cbranch_execz .LBB93_5
; %bb.4:
	s_mov_b32 s4, 0x800000
	v_cmp_lt_f32_e64 vcc, |v1|, s4
	v_cndmask_b32_e64 v3, 0, 32, vcc
	v_ldexp_f32 v3, |v1|, v3
	v_log_f32_e32 v3, v3
	s_mov_b32 s4, 0x3f317217
	s_mov_b32 s5, 0x7f800000
	v_mul_f32_e32 v5, 0x3f317217, v3
	v_fma_f32 v6, v3, s4, -v5
	v_fmac_f32_e32 v6, 0x3377d1cf, v3
	v_add_f32_e32 v5, v5, v6
	v_cmp_lt_f32_e64 s[4:5], |v3|, s5
	v_cndmask_b32_e64 v3, v3, v5, s[4:5]
	v_mov_b32_e32 v5, 0x41b17218
	v_cndmask_b32_e32 v5, 0, v5, vcc
	v_sub_f32_e32 v3, v3, v5
	v_fma_f32 v3, |v1|, v3, -|v1|
.LBB93_5:
	s_andn2_saveexec_b64 s[12:13], s[12:13]
	s_cbranch_execz .LBB93_7
; %bb.6:
	v_rcp_f32_e64 v5, |v1|
	v_mov_b32_e32 v3, 0x3a5b3dd2
	v_mov_b32_e32 v6, 0xba1c065c
	;; [unrolled: 1-line block ×3, first 2 shown]
	v_mul_f32_e32 v8, v5, v5
	v_fmac_f32_e32 v3, 0xbad5c4e8, v8
	v_fmac_f32_e32 v6, v8, v3
	s_mov_b32 s4, 0x800000
	v_fmac_f32_e32 v7, v8, v6
	v_mov_b32_e32 v3, 0xbb360b61
	v_cmp_lt_f32_e64 vcc, |v1|, s4
	v_fmac_f32_e32 v3, v8, v7
	v_cndmask_b32_e64 v7, 0, 32, vcc
	v_ldexp_f32 v7, |v1|, v7
	v_log_f32_e32 v7, v7
	v_mov_b32_e32 v6, 0x3daaaaab
	v_fmac_f32_e32 v6, v8, v3
	v_mov_b32_e32 v3, 0x3ed67f1d
	v_fmac_f32_e32 v3, v5, v6
	s_mov_b32 s4, 0x3f317217
	v_mul_f32_e32 v6, 0x3f317217, v7
	v_fma_f32 v8, v7, s4, -v6
	v_fmac_f32_e32 v8, 0x3377d1cf, v7
	s_mov_b32 s4, 0x7f800000
	v_add_f32_e32 v6, v6, v8
	v_cmp_lt_f32_e64 s[4:5], |v7|, s4
	v_cndmask_b32_e64 v6, v7, v6, s[4:5]
	v_mov_b32_e32 v7, 0x41b17218
	v_cndmask_b32_e32 v7, 0, v7, vcc
	v_sub_f32_e32 v6, v6, v7
	v_add_f32_e64 v5, |v1|, -0.5
	v_add_f32_e32 v6, -1.0, v6
	v_fmac_f32_e32 v3, v5, v6
.LBB93_7:
	s_or_b64 exec, exec, s[12:13]
.LBB93_8:
	s_andn2_saveexec_b64 s[10:11], s[10:11]
	s_cbranch_execz .LBB93_10
; %bb.9:
	v_cvt_i32_f32_e32 v3, v4
	v_mov_b32_e32 v5, 0x3af135b4
	v_mov_b32_e32 v6, 0x3cda40e4
	;; [unrolled: 1-line block ×3, first 2 shown]
	v_cvt_f32_i32_e32 v8, v3
	v_mov_b32_e32 v9, 0x3ea6cc7a
	v_mov_b32_e32 v10, 0x3e5c245a
	v_cmp_lt_i32_e32 vcc, 2, v3
	v_sub_f32_e64 v8, |v1|, v8
	v_fmac_f32_e32 v5, 0x3805ff67, v8
	v_fmac_f32_e32 v6, v8, v5
	;; [unrolled: 1-line block ×3, first 2 shown]
	v_mov_b32_e32 v6, 0x3a4beed6
	v_fmac_f32_e32 v9, v8, v7
	v_fmac_f32_e32 v6, 0x36f5d7bd, v8
	v_mov_b32_e32 v7, 0x3c98bf54
	v_fmac_f32_e32 v7, v8, v6
	v_mov_b32_e32 v6, 0x3e300f6e
	;; [unrolled: 2-line block ×4, first 2 shown]
	v_fmac_f32_e32 v6, v8, v7
	v_add_f32_e32 v7, 2.0, v8
	v_mov_b32_e32 v11, 0xbd9e233f
	v_fmac_f32_e32 v10, v8, v9
	v_add_f32_e32 v9, 0x40400000, v8
	v_cndmask_b32_e32 v7, 1.0, v7, vcc
	v_cmp_lt_i32_e32 vcc, 3, v3
	v_fmac_f32_e32 v11, v8, v10
	v_add_f32_e32 v10, 4.0, v8
	v_cndmask_b32_e32 v9, 1.0, v9, vcc
	v_cmp_lt_i32_e32 vcc, 4, v3
	v_mul_f32_e32 v5, v8, v11
	v_add_f32_e32 v11, 0x40a00000, v8
	v_mul_f32_e32 v7, v7, v9
	v_cndmask_b32_e32 v9, 1.0, v10, vcc
	v_cmp_lt_i32_e32 vcc, 5, v3
	v_add_f32_e32 v12, 0x40c00000, v8
	v_mul_f32_e32 v7, v9, v7
	v_cndmask_b32_e32 v9, 1.0, v11, vcc
	v_cmp_lt_i32_e32 vcc, 6, v3
	v_mul_f32_e32 v7, v9, v7
	v_cndmask_b32_e32 v3, 1.0, v12, vcc
	v_mul_f32_e32 v3, v3, v7
	s_mov_b32 s4, 0x800000
	v_cmp_gt_f32_e32 vcc, s4, v3
	v_cndmask_b32_e64 v7, 0, 32, vcc
	v_fma_f32 v6, v8, v6, 1.0
	v_ldexp_f32 v3, v3, v7
	v_rcp_f32_e32 v6, v6
	v_log_f32_e32 v3, v3
	s_mov_b32 s4, 0x3f317217
	v_mul_f32_e32 v5, v5, v6
	v_mul_f32_e32 v6, 0x3f317217, v3
	v_fma_f32 v7, v3, s4, -v6
	v_fmac_f32_e32 v7, 0x3377d1cf, v3
	s_mov_b32 s4, 0x7f800000
	v_add_f32_e32 v6, v6, v7
	v_cmp_lt_f32_e64 s[4:5], |v3|, s4
	v_cndmask_b32_e64 v3, v3, v6, s[4:5]
	v_mov_b32_e32 v6, 0x41b17218
	v_cndmask_b32_e32 v6, 0, v6, vcc
	v_fmac_f32_e32 v5, 0.5, v8
	v_sub_f32_e32 v3, v3, v6
	v_add_f32_e32 v3, v3, v5
.LBB93_10:
	s_or_b64 exec, exec, s[10:11]
.LBB93_11:
	s_andn2_saveexec_b64 s[8:9], s[8:9]
	s_cbranch_execz .LBB93_29
; %bb.12:
	s_mov_b32 s4, 0x3f666666
	v_cmp_le_f32_e64 s[4:5], |v1|, s4
                                        ; implicit-def: $vgpr3
                                        ; implicit-def: $vgpr6
                                        ; implicit-def: $vgpr5
	s_and_saveexec_b64 s[10:11], s[4:5]
	s_xor_b64 s[10:11], exec, s[10:11]
	s_cbranch_execz .LBB93_14
; %bb.13:
	s_mov_b32 s4, 0x800000
	v_cmp_lt_f32_e64 vcc, |v1|, s4
	v_cndmask_b32_e64 v3, 0, 32, vcc
	v_ldexp_f32 v3, |v1|, v3
	v_log_f32_e32 v3, v3
	s_mov_b32 s4, 0x3f317217
	s_mov_b32 s5, 0x7f800000
	v_mul_f32_e32 v5, 0x3f317217, v3
	v_fma_f32 v6, v3, s4, -v5
	v_fmac_f32_e32 v6, 0x3377d1cf, v3
	v_add_f32_e32 v5, v5, v6
	v_cmp_lt_f32_e64 s[4:5], |v3|, s5
	v_cndmask_b32_e64 v3, v3, v5, s[4:5]
	v_mov_b32_e32 v5, 0x41b17218
	v_cndmask_b32_e32 v5, 0, v5, vcc
	s_mov_b32 s4, 0x3f3b4a23
	s_mov_b32 s5, 0xbeec5b0c
	v_sub_f32_e32 v3, v3, v5
	v_sub_f32_e64 v5, 1.0, |v1|
	v_add_f32_e64 v6, |v1|, s5
	v_cmp_lt_f32_e64 vcc, |v1|, s4
	s_mov_b32 s4, 0x3e6d3309
	v_cndmask_b32_e32 v5, v5, v6, vcc
	v_cndmask_b32_e64 v6, 0, 1, vcc
	v_cmp_lt_f32_e64 s[4:5], |v1|, s4
	v_xor_b32_e32 v3, 0x80000000, v3
	v_cndmask_b32_e64 v5, v5, |v1|, s[4:5]
	v_cndmask_b32_e64 v6, v6, 2, s[4:5]
.LBB93_14:
	s_andn2_saveexec_b64 s[4:5], s[10:11]
	s_cbranch_execz .LBB93_16
; %bb.15:
	s_mov_b32 s10, 0x3fdda512
	s_mov_b32 s11, 0xbfbb16c3
	v_sub_f32_e64 v3, 2.0, |v1|
	v_add_f32_e64 v5, |v1|, s11
	v_cmp_lt_f32_e64 vcc, |v1|, s10
	v_cndmask_b32_e32 v5, v3, v5, vcc
	v_cndmask_b32_e64 v3, v3, 1.0, vcc
	v_cvt_i32_f32_e32 v3, v3
	s_mov_b32 s10, 0x3f9d70a4
	v_add_f32_e64 v6, |v1|, -1.0
	v_cmp_lt_f32_e64 vcc, |v1|, s10
	v_cndmask_b32_e32 v5, v5, v6, vcc
	v_cndmask_b32_e64 v6, v3, 2, vcc
	v_mov_b32_e32 v3, 0
.LBB93_16:
	s_or_b64 exec, exec, s[4:5]
	v_cmp_lt_i32_e32 vcc, 0, v6
	s_and_saveexec_b64 s[4:5], vcc
	s_xor_b64 s[4:5], exec, s[4:5]
	s_cbranch_execz .LBB93_24
; %bb.17:
	v_cmp_lt_i32_e32 vcc, 1, v6
	s_and_saveexec_b64 s[10:11], vcc
	s_xor_b64 s[10:11], exec, s[10:11]
	s_cbranch_execz .LBB93_21
; %bb.18:
	v_cmp_eq_u32_e32 vcc, 2, v6
	s_and_saveexec_b64 s[12:13], vcc
	s_cbranch_execz .LBB93_20
; %bb.19:
	v_mov_b32_e32 v6, 0x3e6a7578
	v_fmac_f32_e32 v6, 0x3c5b3c5e, v5
	v_mov_b32_e32 v7, 0x3f7a4bb2
	v_fmac_f32_e32 v7, v5, v6
	;; [unrolled: 2-line block ×8, first 2 shown]
	v_fma_f32 v6, v5, v8, 1.0
	v_rcp_f32_e32 v6, v6
	v_mov_b32_e32 v8, 0xbd9e233f
	v_fmac_f32_e32 v8, v5, v7
	v_mul_f32_e32 v7, v5, v8
	v_mul_f32_e32 v6, v7, v6
	v_fmac_f32_e32 v6, -0.5, v5
	v_add_f32_e32 v3, v3, v6
.LBB93_20:
	s_or_b64 exec, exec, s[12:13]
                                        ; implicit-def: $vgpr5
.LBB93_21:
	s_andn2_saveexec_b64 s[10:11], s[10:11]
	s_cbranch_execz .LBB93_23
; %bb.22:
	v_mul_f32_e32 v6, v5, v5
	v_mul_f32_e32 v7, v5, v6
	v_mov_b32_e32 v8, 0xbab7f476
	v_fmac_f32_e32 v8, 0x39a57b6b, v7
	v_mov_b32_e32 v9, 0x3bc7e707
	v_fmac_f32_e32 v9, v7, v8
	;; [unrolled: 2-line block ×12, first 2 shown]
	v_fmac_f32_e32 v10, v5, v11
	s_mov_b32 s12, 0xa2863e55
	v_fma_f32 v5, v7, -v10, s12
	v_fma_f32 v5, v6, v9, -v5
	v_add_f32_e32 v5, 0xbdf8cdce, v5
	v_add_f32_e32 v3, v3, v5
.LBB93_23:
	s_or_b64 exec, exec, s[10:11]
                                        ; implicit-def: $vgpr6
                                        ; implicit-def: $vgpr5
.LBB93_24:
	s_andn2_saveexec_b64 s[4:5], s[4:5]
	s_cbranch_execz .LBB93_28
; %bb.25:
	v_cmp_eq_u32_e32 vcc, 0, v6
	s_and_saveexec_b64 s[10:11], vcc
	s_cbranch_execz .LBB93_27
; %bb.26:
	v_mul_f32_e32 v6, v5, v5
	v_mov_b32_e32 v7, 0x39679767
	v_fmac_f32_e32 v7, 0x37d383a2, v6
	v_mov_b32_e32 v8, 0x3a9c54a1
	v_fmac_f32_e32 v8, v6, v7
	;; [unrolled: 2-line block ×10, first 2 shown]
	v_mul_f32_e32 v6, v6, v8
	v_fmac_f32_e32 v6, v5, v7
	v_fmac_f32_e32 v6, -0.5, v5
	v_add_f32_e32 v3, v3, v6
.LBB93_27:
	s_or_b64 exec, exec, s[10:11]
.LBB93_28:
	s_or_b64 exec, exec, s[4:5]
.LBB93_29:
	s_or_b64 exec, exec, s[8:9]
.LBB93_30:
	s_andn2_saveexec_b64 s[6:7], s[6:7]
	s_cbranch_execz .LBB93_32
; %bb.31:
	s_mov_b32 s4, 0x3e8a8991
	v_mov_b32_e32 v3, 0xbecd26ab
	v_fma_f32 v3, |v1|, s4, v3
	s_mov_b32 s4, 0x3f528d33
	v_fma_f32 v3, |v1|, v3, s4
	s_mov_b32 s4, 0x800000
	v_cmp_lt_f32_e64 vcc, |v1|, s4
	v_cndmask_b32_e64 v5, 0, 32, vcc
	v_ldexp_f32 v5, |v1|, v5
	v_log_f32_e32 v5, v5
	s_mov_b32 s4, 0xbf13c468
	v_fma_f32 v3, |v1|, v3, s4
	s_mov_b32 s4, 0x3f317217
	v_mul_f32_e32 v6, 0x3f317217, v5
	v_fma_f32 v7, v5, s4, -v6
	v_fmac_f32_e32 v7, 0x3377d1cf, v5
	s_mov_b32 s4, 0x7f800000
	v_add_f32_e32 v6, v6, v7
	v_cmp_lt_f32_e64 s[4:5], |v5|, s4
	v_cndmask_b32_e64 v5, v5, v6, s[4:5]
	v_mov_b32_e32 v6, 0x41b17218
	v_cndmask_b32_e32 v6, 0, v6, vcc
	v_sub_f32_e32 v5, v5, v6
	v_fma_f32 v3, |v1|, v3, -v5
.LBB93_32:
	s_or_b64 exec, exec, s[6:7]
	v_cmp_le_f32_e64 s[4:5], 0, v1
	v_cmp_nle_f32_e32 vcc, 0, v1
	s_and_saveexec_b64 s[6:7], vcc
	s_xor_b64 s[8:9], exec, s[6:7]
	s_cbranch_execz .LBB93_36
; %bb.33:
	s_mov_b32 s6, 0x4b000000
	s_mov_b32 s10, 0x35000000
	v_cmp_lt_f32_e64 s[6:7], |v1|, s6
	v_cmp_gt_f32_e64 s[10:11], |v1|, s10
	s_and_b64 s[6:7], s[6:7], s[10:11]
	s_and_saveexec_b64 s[10:11], s[6:7]
	s_cbranch_execz .LBB93_35
; %bb.34:
	v_mul_f32_e64 v5, |v1|, 0.5
	v_fract_f32_e32 v6, v5
	s_mov_b32 s12, 0x7f800000
	v_add_f32_e32 v6, v6, v6
	v_cmp_neq_f32_e32 vcc, s12, v5
	v_cndmask_b32_e32 v5, 0, v6, vcc
	v_cmp_gt_f32_e64 s[6:7], |v1|, 1.0
	v_cndmask_b32_e64 v5, |v1|, v5, s[6:7]
	v_add_f32_e32 v6, v5, v5
	v_rndne_f32_e32 v6, v6
	v_fmac_f32_e32 v5, -0.5, v6
	v_mul_f32_e32 v7, v5, v5
	v_mov_b32_e32 v8, 0xbf1f24be
	v_fmac_f32_e32 v8, 0x3e75aa41, v7
	v_mov_b32_e32 v9, 0x40234736
	v_fmac_f32_e32 v9, v7, v8
	;; [unrolled: 2-line block ×3, first 2 shown]
	v_mul_f32_e32 v9, v5, v7
	v_mul_f32_e32 v8, v9, v8
	v_fmac_f32_e32 v8, 0x40490fdb, v5
	v_mov_b32_e32 v5, 0x3e642e9d
	v_cvt_i32_f32_e32 v6, v6
	v_fmac_f32_e32 v5, 0x3d4be544, v7
	v_mov_b32_e32 v9, 0xbfaad1da
	v_fmac_f32_e32 v9, v7, v5
	v_mov_b32_e32 v5, 0x4081e0d3
	;; [unrolled: 2-line block ×3, first 2 shown]
	v_fmac_f32_e32 v9, v7, v5
	v_fma_f32 v5, v7, v9, 1.0
	v_and_b32_e32 v7, 1, v6
	v_lshlrev_b32_e32 v6, 30, v6
	v_cmp_eq_u32_e32 vcc, 0, v7
	v_and_b32_e32 v6, 0x80000000, v6
	v_xor_b32_e32 v4, v4, v1
	v_cndmask_b32_e32 v5, v5, v8, vcc
	v_xor_b32_e32 v4, v4, v6
	v_xor_b32_e32 v4, v4, v5
	v_mul_f32_e32 v4, v1, v4
	v_frexp_mant_f32_e64 v5, |v4|
	v_rcp_f32_e32 v5, v5
	v_frexp_exp_i32_f32_e32 v4, v4
	v_sub_u32_e32 v4, 2, v4
	s_mov_b32 s6, 0x800000
	v_mul_f32_e32 v5, 0x3f490fdb, v5
	v_ldexp_f32 v4, v5, v4
	v_cmp_gt_f32_e32 vcc, s6, v4
	v_cndmask_b32_e64 v5, 0, 32, vcc
	v_ldexp_f32 v4, v4, v5
	v_log_f32_e32 v4, v4
	s_mov_b32 s6, 0x3f317217
	v_mul_f32_e32 v5, 0x3f317217, v4
	v_fma_f32 v6, v4, s6, -v5
	v_fmac_f32_e32 v6, 0x3377d1cf, v4
	v_add_f32_e32 v5, v5, v6
	v_cmp_lt_f32_e64 s[6:7], |v4|, s12
	v_cndmask_b32_e64 v4, v4, v5, s[6:7]
	v_mov_b32_e32 v5, 0x41b17218
	v_cndmask_b32_e32 v5, 0, v5, vcc
	v_sub_f32_e32 v4, v4, v5
	v_sub_f32_e32 v3, v4, v3
	v_fract_f32_e32 v4, v1
	v_mov_b32_e32 v5, 0x7f800000
	v_cmp_neq_f32_e32 vcc, 0, v4
	v_cndmask_b32_e32 v3, v5, v3, vcc
.LBB93_35:
	s_or_b64 exec, exec, s[10:11]
.LBB93_36:
	s_andn2_saveexec_b64 s[8:9], s[8:9]
; %bb.37:
	v_cmp_eq_f32_e32 vcc, 1.0, v1
	v_cmp_eq_f32_e64 s[6:7], 2.0, v1
	s_or_b64 s[6:7], vcc, s[6:7]
	v_cndmask_b32_e64 v3, v3, 0, s[6:7]
; %bb.38:
	s_or_b64 exec, exec, s[8:9]
	v_cmp_ne_u32_e32 vcc, 0, v0
	v_mov_b32_e32 v4, 0x7f800000
	v_mov_b32_e32 v6, 0x7f800000
	s_and_saveexec_b64 s[10:11], vcc
	s_cbranch_execz .LBB93_56
; %bb.39:
	v_cmp_lt_i32_e32 vcc, -1, v0
	v_mov_b32_e32 v6, 0x7fc00000
	s_and_saveexec_b64 s[12:13], vcc
	s_cbranch_execz .LBB93_55
; %bb.40:
	s_waitcnt vmcnt(0) lgkmcnt(0)
	v_floor_f32_e32 v5, v2
	v_cmp_nge_f32_e32 vcc, 0, v2
	v_cmp_neq_f32_e64 s[6:7], v2, v5
	s_mov_b32 s24, 0
	s_or_b64 s[6:7], vcc, s[6:7]
	v_mov_b32_e32 v6, 0x7f800000
	s_and_saveexec_b64 s[14:15], s[6:7]
	s_cbranch_execz .LBB93_54
; %bb.41:
	v_add_u32_e32 v5, 1, v0
	v_cvt_f32_i32_e32 v5, v5
	v_frexp_mant_f32_e64 v7, |v2|
	s_mov_b32 s25, 0x3f2aaaab
	v_cmp_neq_f32_e32 vcc, 1.0, v2
	v_cndmask_b32_e64 v6, 1.0, -v5, vcc
	v_cmp_gt_f32_e32 vcc, s25, v7
	v_cndmask_b32_e64 v8, 1.0, 2.0, vcc
	v_mul_f32_e32 v7, v7, v8
	v_add_f32_e32 v8, 1.0, v7
	v_rcp_f32_e32 v9, v8
	v_add_f32_e32 v10, -1.0, v7
	v_add_f32_e32 v11, -1.0, v8
	v_sub_f32_e32 v7, v7, v11
	v_mul_f32_e32 v11, v10, v9
	v_mul_f32_e32 v12, v8, v11
	v_fma_f32 v8, v11, v8, -v12
	v_fmac_f32_e32 v8, v11, v7
	v_add_f32_e32 v7, v12, v8
	v_sub_f32_e32 v13, v10, v7
	v_sub_f32_e32 v12, v7, v12
	v_sub_f32_e32 v10, v10, v13
	v_sub_f32_e32 v7, v10, v7
	v_sub_f32_e32 v8, v12, v8
	v_add_f32_e32 v7, v8, v7
	v_add_f32_e32 v7, v13, v7
	v_mul_f32_e32 v7, v9, v7
	v_add_f32_e32 v10, v11, v7
	v_sub_f32_e32 v8, v10, v11
	v_sub_f32_e32 v11, v7, v8
	v_mul_f32_e32 v8, v10, v10
	v_fma_f32 v9, v10, v10, -v8
	v_add_f32_e32 v7, v11, v11
	v_fmac_f32_e32 v9, v10, v7
	v_add_f32_e32 v12, v8, v9
	v_sub_f32_e32 v8, v12, v8
	v_sub_f32_e32 v8, v9, v8
	v_mul_f32_e32 v9, v10, v12
	v_fma_f32 v14, v12, v10, -v9
	v_fmac_f32_e32 v14, v12, v11
	v_mov_b32_e32 v13, 0x3e91f4c4
	v_fmac_f32_e32 v14, v8, v10
	v_fmac_f32_e32 v13, 0x3e76c4e1, v12
	v_mov_b32_e32 v7, 0x3ecccdef
	v_add_f32_e32 v15, v9, v14
	v_fma_f32 v13, v12, v13, v7
	v_sub_f32_e32 v9, v15, v9
	v_sub_f32_e32 v14, v14, v9
	v_mul_f32_e32 v9, v12, v13
	v_fma_f32 v12, v12, v13, -v9
	v_fmac_f32_e32 v12, v8, v13
	v_add_f32_e32 v13, v9, v12
	v_sub_f32_e32 v8, v13, v9
	v_sub_f32_e32 v12, v12, v8
	v_cvt_f64_f32_e64 v[8:9], |v2|
	v_add_f32_e32 v16, 0x3f2aaaaa, v13
	v_add_f32_e32 v17, 0xbf2aaaaa, v16
	;; [unrolled: 1-line block ×3, first 2 shown]
	v_frexp_exp_i32_f64_e32 v8, v[8:9]
	v_sub_f32_e32 v13, v13, v17
	v_add_f32_e32 v9, v12, v13
	v_add_f32_e32 v12, v16, v9
	v_sub_f32_e32 v13, v16, v12
	v_add_f32_e32 v9, v9, v13
	v_mul_f32_e32 v13, v15, v12
	v_fma_f32 v16, v15, v12, -v13
	v_subbrev_co_u32_e32 v8, vcc, 0, v8, vcc
	v_cvt_f32_i32_e32 v8, v8
	v_fmac_f32_e32 v16, v15, v9
	s_mov_b32 s26, 0x3f317218
	v_fmac_f32_e32 v16, v14, v12
	v_mul_f32_e32 v9, 0x3f317218, v8
	v_fma_f32 v12, v8, s26, -v9
	v_fmac_f32_e32 v12, 0xb102e308, v8
	v_ldexp_f32 v8, v11, 1
	v_add_f32_e32 v11, v9, v12
	v_sub_f32_e32 v9, v11, v9
	v_ldexp_f32 v10, v10, 1
	v_sub_f32_e32 v9, v12, v9
	v_add_f32_e32 v12, v13, v16
	v_sub_f32_e32 v13, v12, v13
	v_add_f32_e32 v14, v10, v12
	v_sub_f32_e32 v13, v16, v13
	v_sub_f32_e32 v10, v14, v10
	;; [unrolled: 1-line block ×3, first 2 shown]
	v_add_f32_e32 v8, v8, v13
	v_add_f32_e32 v8, v8, v10
	v_add_f32_e32 v10, v14, v8
	v_sub_f32_e32 v12, v10, v14
	v_sub_f32_e32 v8, v8, v12
	v_add_f32_e32 v12, v11, v10
	v_sub_f32_e32 v13, v12, v11
	v_sub_f32_e32 v14, v12, v13
	;; [unrolled: 1-line block ×4, first 2 shown]
	v_add_f32_e32 v10, v10, v11
	v_add_f32_e32 v11, v9, v8
	v_sub_f32_e32 v13, v11, v9
	v_sub_f32_e32 v14, v11, v13
	;; [unrolled: 1-line block ×4, first 2 shown]
	v_add_f32_e32 v8, v8, v9
	v_add_f32_e32 v9, v11, v10
	v_add_f32_e32 v10, v12, v9
	v_sub_f32_e32 v11, v10, v12
	v_sub_f32_e32 v9, v9, v11
	v_add_f32_e32 v8, v8, v9
	v_add_f32_e32 v9, v10, v8
	v_sub_f32_e32 v10, v9, v10
	v_sub_f32_e32 v8, v8, v10
	v_mul_f32_e32 v10, v6, v9
	v_fma_f32 v9, v6, v9, -v10
	v_fmac_f32_e32 v9, v6, v8
	s_movk_i32 s27, 0x204
	v_add_f32_e32 v8, v10, v9
	v_cmp_class_f32_e64 vcc, v10, s27
	v_sub_f32_e32 v11, v8, v10
	v_cndmask_b32_e32 v10, v8, v10, vcc
	s_mov_b32 s29, 0x42b17218
	v_mov_b32_e32 v8, 0x37000000
	v_cmp_eq_f32_e32 vcc, s29, v10
	v_sub_f32_e32 v9, v9, v11
	v_cndmask_b32_e32 v11, 0, v8, vcc
	v_sub_f32_e32 v12, v10, v11
	s_mov_b32 s40, 0x3fb8aa3b
	v_mul_f32_e32 v13, 0x3fb8aa3b, v12
	v_fma_f32 v14, v12, s40, -v13
	v_rndne_f32_e32 v15, v13
	v_fmac_f32_e32 v14, 0x32a5705f, v12
	v_sub_f32_e32 v13, v13, v15
	v_add_f32_e32 v13, v13, v14
	v_exp_f32_e32 v13, v13
	v_cvt_i32_f32_e32 v14, v15
	s_mov_b32 s28, 0x7f800000
	v_cmp_neq_f32_e64 vcc, |v10|, s28
	v_cndmask_b32_e32 v9, 0, v9, vcc
	s_mov_b32 s41, 0xc2ce8ed0
	v_add_f32_e32 v10, v11, v9
	v_ldexp_f32 v9, v13, v14
	v_cmp_ngt_f32_e32 vcc, s41, v12
	v_cndmask_b32_e32 v11, 0, v9, vcc
	v_mov_b32_e32 v9, 0x7f800000
	v_cmp_nlt_f32_e32 vcc, s29, v12
	v_cndmask_b32_e32 v11, v9, v11, vcc
	v_fma_f32 v10, v11, v10, v11
	v_cmp_class_f32_e64 vcc, v11, s27
	v_trunc_f32_e32 v12, v6
	v_cndmask_b32_e32 v11, v10, v11, vcc
	v_cmp_eq_f32_e32 vcc, v12, v6
	v_mul_f32_e32 v12, 0.5, v6
	v_trunc_f32_e32 v13, v12
	v_cmp_neq_f32_e64 s[6:7], v13, v12
	s_and_b64 s[6:7], vcc, s[6:7]
	v_cndmask_b32_e64 v12, 1.0, v2, s[6:7]
	s_brev_b32 s42, -2
	v_mov_b32_e32 v10, 0x7fc00000
	v_bfi_b32 v11, s42, v11, v12
	v_cndmask_b32_e32 v12, v10, v11, vcc
	v_cmp_gt_f32_e32 vcc, 0, v2
	v_cndmask_b32_e32 v11, v11, v12, vcc
	v_cmp_eq_f32_e32 vcc, 0, v2
	v_cmp_gt_f32_e64 s[8:9], 0, v6
	s_xor_b64 s[8:9], vcc, s[8:9]
	v_cmp_class_f32_e64 s[16:17], v2, s27
	v_cndmask_b32_e64 v6, v9, 0, s[8:9]
	v_cndmask_b32_e64 v12, 0, v2, s[6:7]
	v_bfi_b32 v6, s42, v6, v12
	s_or_b64 vcc, vcc, s[16:17]
	v_cndmask_b32_e32 v6, v11, v6, vcc
	v_cmp_o_f32_e32 vcc, v2, v2
	v_cndmask_b32_e32 v6, v10, v6, vcc
	s_mov_b64 s[16:17], 0
	s_mov_b32 s43, 0x41100000
                                        ; implicit-def: $sgpr18_sgpr19
                                        ; implicit-def: $sgpr22_sgpr23
                                        ; implicit-def: $sgpr20_sgpr21
	s_branch .LBB93_43
.LBB93_42:                              ;   in Loop: Header=BB93_43 Depth=1
	s_or_b64 exec, exec, s[6:7]
	s_and_b64 s[6:7], exec, s[22:23]
	s_or_b64 s[16:17], s[6:7], s[16:17]
	s_andn2_b64 s[6:7], s[18:19], exec
	s_and_b64 s[8:9], s[20:21], exec
	s_or_b64 s[18:19], s[6:7], s[8:9]
	s_andn2_b64 exec, exec, s[16:17]
	s_cbranch_execz .LBB93_45
.LBB93_43:                              ; =>This Inner Loop Header: Depth=1
	v_add_f32_e32 v2, 1.0, v2
	v_cmp_neq_f32_e32 vcc, 1.0, v2
	v_frexp_mant_f32_e64 v12, |v2|
	v_cndmask_b32_e64 v11, 1.0, -v5, vcc
	v_cmp_gt_f32_e32 vcc, s25, v12
	v_cndmask_b32_e64 v13, 1.0, 2.0, vcc
	v_mul_f32_e32 v12, v12, v13
	v_add_f32_e32 v13, 1.0, v12
	v_rcp_f32_e32 v14, v13
	v_add_f32_e32 v15, -1.0, v12
	v_add_f32_e32 v16, -1.0, v13
	v_sub_f32_e32 v12, v12, v16
	v_mul_f32_e32 v16, v15, v14
	v_mul_f32_e32 v17, v13, v16
	v_fma_f32 v13, v16, v13, -v17
	v_fmac_f32_e32 v13, v16, v12
	v_add_f32_e32 v12, v17, v13
	v_sub_f32_e32 v18, v15, v12
	v_sub_f32_e32 v17, v12, v17
	;; [unrolled: 1-line block ×5, first 2 shown]
	v_add_f32_e32 v12, v13, v12
	v_add_f32_e32 v12, v18, v12
	v_mul_f32_e32 v12, v14, v12
	v_add_f32_e32 v14, v16, v12
	v_sub_f32_e32 v13, v14, v16
	v_sub_f32_e32 v15, v12, v13
	v_mul_f32_e32 v12, v14, v14
	v_fma_f32 v13, v14, v14, -v12
	v_add_f32_e32 v16, v15, v15
	v_fmac_f32_e32 v13, v14, v16
	v_add_f32_e32 v16, v12, v13
	v_sub_f32_e32 v12, v16, v12
	v_sub_f32_e32 v12, v13, v12
	v_mul_f32_e32 v13, v14, v16
	v_fma_f32 v18, v16, v14, -v13
	v_fmac_f32_e32 v18, v16, v15
	v_mov_b32_e32 v17, 0x3e91f4c4
	v_fmac_f32_e32 v18, v12, v14
	v_fmac_f32_e32 v17, 0x3e76c4e1, v16
	v_add_f32_e32 v19, v13, v18
	v_fma_f32 v17, v16, v17, v7
	v_sub_f32_e32 v13, v19, v13
	v_sub_f32_e32 v18, v18, v13
	v_mul_f32_e32 v13, v16, v17
	v_fma_f32 v16, v16, v17, -v13
	v_fmac_f32_e32 v16, v12, v17
	v_add_f32_e32 v17, v13, v16
	v_sub_f32_e32 v21, v17, v13
	v_cvt_f64_f32_e64 v[12:13], |v2|
	v_add_f32_e32 v20, 0x3f2aaaaa, v17
	v_sub_f32_e32 v16, v16, v21
	v_add_f32_e32 v21, 0xbf2aaaaa, v20
	v_frexp_exp_i32_f64_e32 v12, v[12:13]
	v_add_f32_e32 v16, 0x31739010, v16
	v_sub_f32_e32 v13, v17, v21
	v_add_f32_e32 v13, v16, v13
	v_add_f32_e32 v16, v20, v13
	v_sub_f32_e32 v17, v20, v16
	v_add_f32_e32 v13, v13, v17
	v_mul_f32_e32 v17, v19, v16
	v_subbrev_co_u32_e32 v12, vcc, 0, v12, vcc
	v_cvt_f32_i32_e32 v12, v12
	v_fma_f32 v20, v19, v16, -v17
	v_fmac_f32_e32 v20, v19, v13
	v_fmac_f32_e32 v20, v18, v16
	v_mul_f32_e32 v13, 0x3f317218, v12
	v_fma_f32 v16, v12, s26, -v13
	v_fmac_f32_e32 v16, 0xb102e308, v12
	v_ldexp_f32 v12, v15, 1
	v_add_f32_e32 v15, v13, v16
	v_sub_f32_e32 v13, v15, v13
	v_ldexp_f32 v14, v14, 1
	v_sub_f32_e32 v13, v16, v13
	v_add_f32_e32 v16, v17, v20
	v_sub_f32_e32 v17, v16, v17
	v_add_f32_e32 v18, v14, v16
	v_sub_f32_e32 v17, v20, v17
	v_sub_f32_e32 v14, v18, v14
	;; [unrolled: 1-line block ×3, first 2 shown]
	v_add_f32_e32 v12, v12, v17
	v_add_f32_e32 v12, v12, v14
	;; [unrolled: 1-line block ×3, first 2 shown]
	v_sub_f32_e32 v16, v14, v18
	v_sub_f32_e32 v12, v12, v16
	v_add_f32_e32 v16, v15, v14
	v_sub_f32_e32 v17, v16, v15
	v_sub_f32_e32 v18, v16, v17
	;; [unrolled: 1-line block ×4, first 2 shown]
	v_add_f32_e32 v14, v14, v15
	v_add_f32_e32 v15, v13, v12
	v_sub_f32_e32 v17, v15, v13
	v_sub_f32_e32 v18, v15, v17
	;; [unrolled: 1-line block ×4, first 2 shown]
	v_add_f32_e32 v12, v12, v13
	v_add_f32_e32 v13, v15, v14
	;; [unrolled: 1-line block ×3, first 2 shown]
	v_sub_f32_e32 v15, v14, v16
	v_sub_f32_e32 v13, v13, v15
	v_add_f32_e32 v12, v12, v13
	v_add_f32_e32 v13, v14, v12
	v_sub_f32_e32 v14, v13, v14
	v_sub_f32_e32 v12, v12, v14
	v_mul_f32_e32 v14, v11, v13
	v_fma_f32 v13, v11, v13, -v14
	v_fmac_f32_e32 v13, v11, v12
	v_add_f32_e32 v12, v14, v13
	v_cmp_class_f32_e64 vcc, v14, s27
	v_sub_f32_e32 v15, v12, v14
	v_cndmask_b32_e32 v12, v12, v14, vcc
	v_cmp_eq_f32_e32 vcc, s29, v12
	v_cndmask_b32_e32 v14, 0, v8, vcc
	v_sub_f32_e32 v13, v13, v15
	v_sub_f32_e32 v15, v12, v14
	v_mul_f32_e32 v16, 0x3fb8aa3b, v15
	v_fma_f32 v17, v15, s40, -v16
	v_rndne_f32_e32 v18, v16
	v_fmac_f32_e32 v17, 0x32a5705f, v15
	v_sub_f32_e32 v16, v16, v18
	v_add_f32_e32 v16, v16, v17
	v_exp_f32_e32 v16, v16
	v_cvt_i32_f32_e32 v17, v18
	v_cmp_neq_f32_e64 vcc, |v12|, s28
	v_cndmask_b32_e32 v12, 0, v13, vcc
	v_cmp_ngt_f32_e32 vcc, s41, v15
	v_ldexp_f32 v13, v16, v17
	v_cndmask_b32_e32 v13, 0, v13, vcc
	v_cmp_nlt_f32_e32 vcc, s29, v15
	v_add_f32_e32 v12, v14, v12
	v_cndmask_b32_e32 v13, v9, v13, vcc
	v_fma_f32 v12, v13, v12, v13
	v_cmp_class_f32_e64 vcc, v13, s27
	v_cndmask_b32_e32 v12, v12, v13, vcc
	v_trunc_f32_e32 v13, v11
	v_cmp_eq_f32_e32 vcc, v13, v11
	v_mul_f32_e32 v13, 0.5, v11
	v_trunc_f32_e32 v14, v13
	v_cmp_neq_f32_e64 s[6:7], v14, v13
	s_and_b64 s[6:7], vcc, s[6:7]
	v_cndmask_b32_e64 v13, 1.0, v2, s[6:7]
	v_bfi_b32 v12, s42, v12, v13
	v_cndmask_b32_e32 v13, v10, v12, vcc
	v_cmp_gt_f32_e32 vcc, 0, v2
	v_cndmask_b32_e32 v12, v12, v13, vcc
	v_cmp_eq_f32_e32 vcc, 0, v2
	v_cmp_gt_f32_e64 s[8:9], 0, v11
	s_xor_b64 s[8:9], vcc, s[8:9]
	v_cmp_class_f32_e64 s[44:45], v2, s27
	v_cndmask_b32_e64 v11, v9, 0, s[8:9]
	v_cndmask_b32_e64 v13, 0, v2, s[6:7]
	v_bfi_b32 v11, s42, v11, v13
	s_or_b64 vcc, vcc, s[44:45]
	v_cndmask_b32_e32 v11, v12, v11, vcc
	v_cmp_o_f32_e32 vcc, v2, v2
	v_cndmask_b32_e32 v11, v10, v11, vcc
	v_add_f32_e32 v6, v6, v11
	v_mul_f32_e32 v12, 0xa5000000, v6
	v_cmp_nlt_f32_e32 vcc, v12, v11
	v_mul_f32_e32 v12, 0x25000000, v6
	v_cmp_nlt_f32_e64 s[6:7], v11, v12
	s_or_b64 s[8:9], vcc, s[6:7]
	s_or_b64 s[20:21], s[20:21], exec
	s_or_b64 s[22:23], s[22:23], exec
	s_and_saveexec_b64 s[6:7], s[8:9]
	s_cbranch_execz .LBB93_42
; %bb.44:                               ;   in Loop: Header=BB93_43 Depth=1
	s_add_i32 s44, s24, 1
	s_cmp_gt_u32 s24, 7
	s_cselect_b64 s[8:9], -1, 0
	v_cmp_nge_f32_e32 vcc, s43, v2
	s_and_b64 s[8:9], s[8:9], vcc
	s_andn2_b64 s[22:23], s[22:23], exec
	s_and_b64 s[8:9], s[8:9], exec
	s_andn2_b64 s[20:21], s[20:21], exec
	s_or_b64 s[22:23], s[22:23], s[8:9]
	s_mov_b32 s24, s44
	s_branch .LBB93_42
.LBB93_45:
	s_or_b64 exec, exec, s[16:17]
	s_xor_b64 s[6:7], s[18:19], -1
	s_and_saveexec_b64 s[8:9], s[6:7]
	s_xor_b64 s[6:7], exec, s[8:9]
	s_cbranch_execz .LBB93_53
; %bb.46:
	v_mul_f32_e32 v9, v2, v11
	v_add_f32_e32 v10, -1.0, v5
	v_div_scale_f32 v7, s[8:9], v10, v10, v9
	v_div_scale_f32 v8, vcc, v9, v10, v9
	s_mov_b64 s[8:9], 0
	s_mov_b32 s26, 0x25000000
	s_mov_b64 s[18:19], 0
                                        ; implicit-def: $sgpr16_sgpr17
	v_rcp_f32_e32 v12, v7
	v_fma_f32 v13, -v7, v12, 1.0
	v_fmac_f32_e32 v12, v13, v12
	v_mul_f32_e32 v13, v8, v12
	v_fma_f32 v14, -v7, v13, v8
	v_fmac_f32_e32 v13, v14, v12
	v_fma_f32 v7, -v7, v13, v8
	v_div_fmas_f32 v12, v7, v12, v13
	v_mov_b32_e32 v8, 1.0
	v_mov_b32_e32 v7, 0
	v_div_fixup_f32 v9, v12, v10, v9
	v_add_f32_e32 v6, v6, v9
	v_fmac_f32_e32 v6, -0.5, v11
	s_branch .LBB93_49
.LBB93_47:                              ;   in Loop: Header=BB93_49 Depth=1
	s_or_b64 exec, exec, s[22:23]
	s_andn2_b64 s[16:17], s[16:17], exec
	s_and_b64 s[22:23], s[24:25], exec
	s_or_b64 s[16:17], s[16:17], s[22:23]
.LBB93_48:                              ;   in Loop: Header=BB93_49 Depth=1
	s_or_b64 exec, exec, s[20:21]
	s_and_b64 s[20:21], exec, s[16:17]
	s_or_b64 s[8:9], s[20:21], s[8:9]
	s_andn2_b64 exec, exec, s[8:9]
	s_cbranch_execz .LBB93_52
.LBB93_49:                              ; =>This Inner Loop Header: Depth=1
	v_div_scale_f32 v9, s[20:21], v2, v2, v11
	v_div_scale_f32 v10, vcc, v11, v2, v11
	s_getpc_b64 s[20:21]
	s_add_u32 s20, s20, _ZZ4zetaIfLb1EET_S0_S0_E1A@rel32@lo+4
	s_addc_u32 s21, s21, _ZZ4zetaIfLb1EET_S0_S0_E1A@rel32@hi+12
	s_add_u32 s20, s20, s18
	s_addc_u32 s21, s21, s19
	s_load_dword s22, s[20:21], 0x0
	s_or_b64 s[16:17], s[16:17], exec
	v_rcp_f32_e32 v12, v9
	v_fma_f32 v13, -v9, v12, 1.0
	v_fmac_f32_e32 v12, v13, v12
	v_mul_f32_e32 v13, v10, v12
	v_fma_f32 v14, -v9, v13, v10
	v_fmac_f32_e32 v13, v14, v12
	v_fma_f32 v9, -v9, v13, v10
	v_div_fmas_f32 v10, v9, v12, v13
	v_add_f32_e32 v9, v7, v5
	v_mul_f32_e32 v9, v8, v9
	v_div_fixup_f32 v10, v10, v2, v11
	v_mul_f32_e32 v8, v10, v9
	s_waitcnt lgkmcnt(0)
	v_div_scale_f32 v11, s[20:21], s22, s22, v8
	v_div_scale_f32 v12, vcc, v8, s22, v8
	v_rcp_f32_e32 v13, v11
	v_fma_f32 v14, -v11, v13, 1.0
	v_fmac_f32_e32 v13, v14, v13
	v_mul_f32_e32 v14, v12, v13
	v_fma_f32 v15, -v11, v14, v12
	v_fmac_f32_e32 v14, v15, v13
	v_fma_f32 v11, -v11, v14, v12
	v_div_fmas_f32 v11, v11, v13, v14
	v_div_fixup_f32 v8, v11, s22, v8
	v_add_f32_e32 v6, v6, v8
	v_div_scale_f32 v11, s[20:21], v6, v6, v8
	v_div_scale_f32 v12, vcc, v8, v6, v8
	v_rcp_f32_e32 v13, v11
	v_fma_f32 v14, -v11, v13, 1.0
	v_fmac_f32_e32 v13, v14, v13
	v_mul_f32_e32 v14, v12, v13
	v_fma_f32 v15, -v11, v14, v12
	v_fmac_f32_e32 v14, v15, v13
	v_fma_f32 v11, -v11, v14, v12
	v_div_fmas_f32 v11, v11, v13, v14
	v_div_fixup_f32 v8, v11, v6, v8
	v_cmp_nlt_f32_e64 s[22:23], |v8|, s26
                                        ; implicit-def: $vgpr11
                                        ; implicit-def: $vgpr8
	s_and_saveexec_b64 s[20:21], s[22:23]
	s_cbranch_execz .LBB93_48
; %bb.50:                               ;   in Loop: Header=BB93_49 Depth=1
	v_div_scale_f32 v8, s[22:23], v2, v2, v10
	v_div_scale_f32 v11, vcc, v10, v2, v10
	v_add_f32_e32 v7, 1.0, v7
	v_rcp_f32_e32 v12, v8
	v_fma_f32 v13, -v8, v12, 1.0
	v_fmac_f32_e32 v12, v13, v12
	v_mul_f32_e32 v13, v11, v12
	v_fma_f32 v14, -v8, v13, v11
	v_fmac_f32_e32 v13, v14, v12
	v_fma_f32 v8, -v8, v13, v11
	v_div_fmas_f32 v8, v8, v12, v13
	v_div_fixup_f32 v8, v8, v2, v10
	v_div_scale_f32 v10, s[22:23], v2, v2, v8
	v_div_scale_f32 v11, vcc, v8, v2, v8
	s_getpc_b64 s[22:23]
	s_add_u32 s22, s22, _ZZ4zetaIfLb1EET_S0_S0_E1A@rel32@lo+8
	s_addc_u32 s23, s23, _ZZ4zetaIfLb1EET_S0_S0_E1A@rel32@hi+16
	s_add_u32 s22, s22, s18
	s_addc_u32 s23, s23, s19
	s_load_dword s24, s[22:23], 0x0
	v_rcp_f32_e32 v12, v10
	v_fma_f32 v13, -v10, v12, 1.0
	v_fmac_f32_e32 v12, v13, v12
	v_mul_f32_e32 v13, v11, v12
	v_fma_f32 v14, -v10, v13, v11
	v_fmac_f32_e32 v13, v14, v12
	v_fma_f32 v10, -v10, v13, v11
	v_div_fmas_f32 v11, v10, v12, v13
	v_add_f32_e32 v12, v7, v5
	v_add_f32_e32 v10, 1.0, v7
	v_mul_f32_e32 v7, v12, v9
	v_add_f32_e32 v9, v10, v5
	v_mul_f32_e32 v12, v7, v9
	v_div_fixup_f32 v9, v11, v2, v8
	v_mul_f32_e32 v7, v9, v12
	s_waitcnt lgkmcnt(0)
	v_div_scale_f32 v8, s[22:23], s24, s24, v7
	v_div_scale_f32 v11, vcc, v7, s24, v7
	v_rcp_f32_e32 v13, v8
	v_fma_f32 v14, -v8, v13, 1.0
	v_fmac_f32_e32 v13, v14, v13
	v_mul_f32_e32 v14, v11, v13
	v_fma_f32 v15, -v8, v14, v11
	v_fmac_f32_e32 v14, v15, v13
	v_fma_f32 v8, -v8, v14, v11
	v_div_fmas_f32 v8, v8, v13, v14
	v_div_fixup_f32 v7, v8, s24, v7
	v_add_f32_e32 v6, v6, v7
	v_div_scale_f32 v8, s[22:23], v6, v6, v7
	v_div_scale_f32 v11, vcc, v7, v6, v7
	s_mov_b64 s[24:25], -1
	v_rcp_f32_e32 v13, v8
	v_fma_f32 v14, -v8, v13, 1.0
	v_fmac_f32_e32 v13, v14, v13
	v_mul_f32_e32 v14, v11, v13
	v_fma_f32 v15, -v8, v14, v11
	v_fmac_f32_e32 v14, v15, v13
	v_fma_f32 v8, -v8, v14, v11
	v_div_fmas_f32 v8, v8, v13, v14
                                        ; implicit-def: $vgpr11
	v_div_fixup_f32 v7, v8, v6, v7
	v_cmp_nlt_f32_e64 s[28:29], |v7|, s26
                                        ; implicit-def: $vgpr7
                                        ; implicit-def: $vgpr8
	s_and_saveexec_b64 s[22:23], s[28:29]
	s_cbranch_execz .LBB93_47
; %bb.51:                               ;   in Loop: Header=BB93_49 Depth=1
	v_div_scale_f32 v7, s[24:25], v2, v2, v9
	v_div_scale_f32 v8, vcc, v9, v2, v9
	s_add_u32 s18, s18, 8
	s_addc_u32 s19, s19, 0
	s_cmp_eq_u32 s18, 48
	s_cselect_b64 s[24:25], -1, 0
	s_orn2_b64 s[24:25], s[24:25], exec
	v_rcp_f32_e32 v11, v7
	v_fma_f32 v13, -v7, v11, 1.0
	v_fmac_f32_e32 v11, v13, v11
	v_mul_f32_e32 v13, v8, v11
	v_fma_f32 v14, -v7, v13, v8
	v_fmac_f32_e32 v13, v14, v11
	v_fma_f32 v7, -v7, v13, v8
	v_div_fmas_f32 v11, v7, v11, v13
	v_add_f32_e32 v7, 1.0, v10
	v_add_f32_e32 v8, v7, v5
	v_add_f32_e32 v7, 1.0, v7
	v_mul_f32_e32 v8, v8, v12
	v_div_fixup_f32 v11, v11, v2, v9
	s_branch .LBB93_47
.LBB93_52:
	s_or_b64 exec, exec, s[8:9]
.LBB93_53:
	s_or_b64 exec, exec, s[6:7]
.LBB93_54:
	s_or_b64 exec, exec, s[14:15]
.LBB93_55:
	s_or_b64 exec, exec, s[12:13]
.LBB93_56:
	s_or_b64 exec, exec, s[10:11]
	s_mov_b32 s6, 0x4b000000
	v_cmp_lt_f32_e64 s[6:7], |v1|, s6
	s_waitcnt vmcnt(0) lgkmcnt(0)
	v_mov_b32_e32 v2, 0x244
	s_or_b64 vcc, s[4:5], s[6:7]
	v_cndmask_b32_e32 v3, v4, v3, vcc
	v_cmp_class_f32_e32 vcc, v1, v2
	v_cndmask_b32_e32 v1, v3, v4, vcc
	s_mov_b32 s4, 0x3fb8aa3b
	v_mul_f32_e32 v2, 0x3fb8aa3b, v1
	v_fma_f32 v3, v1, s4, -v2
	v_rndne_f32_e32 v5, v2
	v_fmac_f32_e32 v3, 0x32a5705f, v1
	v_sub_f32_e32 v2, v2, v5
	v_add_f32_e32 v2, v2, v3
	v_exp_f32_e32 v2, v2
	v_cvt_i32_f32_e32 v3, v5
	s_mov_b32 s4, 0xc2ce8ed0
	v_cmp_ngt_f32_e32 vcc, s4, v1
	s_mov_b32 s4, 0x42b17218
	v_ldexp_f32 v2, v2, v3
	v_and_b32_e32 v0, 1, v0
	v_cndmask_b32_e32 v2, 0, v2, vcc
	v_cmp_nlt_f32_e32 vcc, s4, v1
	v_cndmask_b32_e32 v1, v4, v2, vcc
	v_cmp_eq_u32_e32 vcc, 0, v0
	v_cndmask_b32_e64 v0, v1, -v1, vcc
	v_mul_f32_e32 v0, v0, v6
	s_setpc_b64 s[30:31]
.Lfunc_end93:
	.size	_ZN2at6native6invokeIZZZNS0_21polygamma_kernel_cudaERNS_18TensorIteratorBaseElENKUlvE_clEvENKUlvE0_clEvEUlfE_j15function_traitsIS6_EEENT1_11result_typeERKT_PrKPcPKT0_i, .Lfunc_end93-_ZN2at6native6invokeIZZZNS0_21polygamma_kernel_cudaERNS_18TensorIteratorBaseElENKUlvE_clEvENKUlvE0_clEvEUlfE_j15function_traitsIS6_EEENT1_11result_typeERKT_PrKPcPKT0_i
                                        ; -- End function
	.set .L_ZN2at6native6invokeIZZZNS0_21polygamma_kernel_cudaERNS_18TensorIteratorBaseElENKUlvE_clEvENKUlvE0_clEvEUlfE_j15function_traitsIS6_EEENT1_11result_typeERKT_PrKPcPKT0_i.num_vgpr, 22
	.set .L_ZN2at6native6invokeIZZZNS0_21polygamma_kernel_cudaERNS_18TensorIteratorBaseElENKUlvE_clEvENKUlvE0_clEvEUlfE_j15function_traitsIS6_EEENT1_11result_typeERKT_PrKPcPKT0_i.num_agpr, 0
	.set .L_ZN2at6native6invokeIZZZNS0_21polygamma_kernel_cudaERNS_18TensorIteratorBaseElENKUlvE_clEvENKUlvE0_clEvEUlfE_j15function_traitsIS6_EEENT1_11result_typeERKT_PrKPcPKT0_i.numbered_sgpr, 46
	.set .L_ZN2at6native6invokeIZZZNS0_21polygamma_kernel_cudaERNS_18TensorIteratorBaseElENKUlvE_clEvENKUlvE0_clEvEUlfE_j15function_traitsIS6_EEENT1_11result_typeERKT_PrKPcPKT0_i.num_named_barrier, 0
	.set .L_ZN2at6native6invokeIZZZNS0_21polygamma_kernel_cudaERNS_18TensorIteratorBaseElENKUlvE_clEvENKUlvE0_clEvEUlfE_j15function_traitsIS6_EEENT1_11result_typeERKT_PrKPcPKT0_i.private_seg_size, 0
	.set .L_ZN2at6native6invokeIZZZNS0_21polygamma_kernel_cudaERNS_18TensorIteratorBaseElENKUlvE_clEvENKUlvE0_clEvEUlfE_j15function_traitsIS6_EEENT1_11result_typeERKT_PrKPcPKT0_i.uses_vcc, 1
	.set .L_ZN2at6native6invokeIZZZNS0_21polygamma_kernel_cudaERNS_18TensorIteratorBaseElENKUlvE_clEvENKUlvE0_clEvEUlfE_j15function_traitsIS6_EEENT1_11result_typeERKT_PrKPcPKT0_i.uses_flat_scratch, 0
	.set .L_ZN2at6native6invokeIZZZNS0_21polygamma_kernel_cudaERNS_18TensorIteratorBaseElENKUlvE_clEvENKUlvE0_clEvEUlfE_j15function_traitsIS6_EEENT1_11result_typeERKT_PrKPcPKT0_i.has_dyn_sized_stack, 0
	.set .L_ZN2at6native6invokeIZZZNS0_21polygamma_kernel_cudaERNS_18TensorIteratorBaseElENKUlvE_clEvENKUlvE0_clEvEUlfE_j15function_traitsIS6_EEENT1_11result_typeERKT_PrKPcPKT0_i.has_recursion, 0
	.set .L_ZN2at6native6invokeIZZZNS0_21polygamma_kernel_cudaERNS_18TensorIteratorBaseElENKUlvE_clEvENKUlvE0_clEvEUlfE_j15function_traitsIS6_EEENT1_11result_typeERKT_PrKPcPKT0_i.has_indirect_call, 0
	.section	.AMDGPU.csdata,"",@progbits
; Function info:
; codeLenInByte = 5516
; TotalNumSgprs: 50
; NumVgprs: 22
; ScratchSize: 0
; MemoryBound: 0
	.section	.text._ZN2at6native32elementwise_kernel_manual_unrollILi128ELi4EZNS0_22gpu_kernel_impl_nocastIZZZNS0_21polygamma_kernel_cudaERNS_18TensorIteratorBaseElENKUlvE_clEvENKUlvE0_clEvEUlfE_EEvS4_RKT_EUlibE_EEviT1_,"axG",@progbits,_ZN2at6native32elementwise_kernel_manual_unrollILi128ELi4EZNS0_22gpu_kernel_impl_nocastIZZZNS0_21polygamma_kernel_cudaERNS_18TensorIteratorBaseElENKUlvE_clEvENKUlvE0_clEvEUlfE_EEvS4_RKT_EUlibE_EEviT1_,comdat
	.globl	_ZN2at6native32elementwise_kernel_manual_unrollILi128ELi4EZNS0_22gpu_kernel_impl_nocastIZZZNS0_21polygamma_kernel_cudaERNS_18TensorIteratorBaseElENKUlvE_clEvENKUlvE0_clEvEUlfE_EEvS4_RKT_EUlibE_EEviT1_ ; -- Begin function _ZN2at6native32elementwise_kernel_manual_unrollILi128ELi4EZNS0_22gpu_kernel_impl_nocastIZZZNS0_21polygamma_kernel_cudaERNS_18TensorIteratorBaseElENKUlvE_clEvENKUlvE0_clEvEUlfE_EEvS4_RKT_EUlibE_EEviT1_
	.p2align	8
	.type	_ZN2at6native32elementwise_kernel_manual_unrollILi128ELi4EZNS0_22gpu_kernel_impl_nocastIZZZNS0_21polygamma_kernel_cudaERNS_18TensorIteratorBaseElENKUlvE_clEvENKUlvE0_clEvEUlfE_EEvS4_RKT_EUlibE_EEviT1_,@function
_ZN2at6native32elementwise_kernel_manual_unrollILi128ELi4EZNS0_22gpu_kernel_impl_nocastIZZZNS0_21polygamma_kernel_cudaERNS_18TensorIteratorBaseElENKUlvE_clEvENKUlvE0_clEvEUlfE_EEvS4_RKT_EUlibE_EEviT1_: ; @_ZN2at6native32elementwise_kernel_manual_unrollILi128ELi4EZNS0_22gpu_kernel_impl_nocastIZZZNS0_21polygamma_kernel_cudaERNS_18TensorIteratorBaseElENKUlvE_clEvENKUlvE0_clEvEUlfE_EEvS4_RKT_EUlibE_EEviT1_
; %bb.0:
	s_load_dword s71, s[4:5], 0x0
	s_load_dword s33, s[4:5], 0x8
	s_add_u32 s0, s0, s7
	s_addc_u32 s1, s1, 0
	s_add_u32 s34, s4, 8
	s_addc_u32 s35, s5, 0
	v_lshl_or_b32 v24, s6, 9, v0
	s_waitcnt lgkmcnt(0)
	s_add_i32 s70, s33, -1
	v_or_b32_e32 v0, 0x180, v24
	s_cmp_gt_u32 s70, 1
	v_cmp_le_i32_e32 vcc, s71, v0
	s_cselect_b64 s[46:47], -1, 0
	s_mov_b32 s32, 0
	s_and_saveexec_b64 s[4:5], vcc
	s_xor_b64 s[56:57], exec, s[4:5]
	s_cbranch_execz .LBB94_7
; %bb.1:
	s_load_dwordx4 s[48:51], s[34:35], 0x4
	s_load_dwordx2 s[60:61], s[34:35], 0x14
	s_load_dwordx2 s[58:59], s[34:35], 0x158
	s_load_dwordx4 s[52:55], s[34:35], 0xc4
	s_load_dwordx4 s[36:39], s[34:35], 0x148
	s_cmp_lg_u32 s33, 0
	s_cselect_b64 s[66:67], -1, 0
	s_add_u32 s64, s34, 0xc4
	s_addc_u32 s65, s35, 0
	s_min_u32 s72, s70, 15
	s_cmp_gt_u32 s33, 1
	s_cselect_b64 s[62:63], -1, 0
	v_cmp_gt_i32_e32 vcc, s71, v24
	s_and_saveexec_b64 s[68:69], vcc
	s_cbranch_execz .LBB94_14
; %bb.2:
	s_andn2_b64 vcc, exec, s[46:47]
	s_cbranch_vccnz .LBB94_21
; %bb.3:
	s_andn2_b64 vcc, exec, s[66:67]
	s_cbranch_vccnz .LBB94_73
; %bb.4:
	s_add_i32 s29, s72, 1
	s_cmp_eq_u32 s70, 2
	s_cbranch_scc1 .LBB94_75
; %bb.5:
	s_and_b32 s28, s29, 28
	v_mov_b32_e32 v4, 0
	s_mov_b32 s30, 0
	s_mov_b64 s[24:25], s[34:35]
	s_mov_b64 s[26:27], s[64:65]
	v_mov_b32_e32 v22, 0
	v_mov_b32_e32 v0, v24
.LBB94_6:                               ; =>This Inner Loop Header: Depth=1
	s_load_dwordx8 s[12:19], s[24:25], 0x4
	s_load_dwordx4 s[20:23], s[24:25], 0x24
	s_load_dwordx8 s[4:11], s[26:27], 0x0
	s_add_u32 s24, s24, 48
	s_addc_u32 s25, s25, 0
	s_waitcnt lgkmcnt(0)
	v_mul_hi_u32 v1, s13, v0
	s_add_i32 s30, s30, 4
	s_add_u32 s26, s26, 32
	s_addc_u32 s27, s27, 0
	v_add_u32_e32 v1, v0, v1
	v_lshrrev_b32_e32 v1, s14, v1
	v_mul_lo_u32 v2, v1, s12
	v_mul_hi_u32 v3, s16, v1
	s_cmp_lg_u32 s28, s30
	v_sub_u32_e32 v0, v0, v2
	v_add_u32_e32 v2, v1, v3
	v_mul_lo_u32 v3, v0, s4
	v_mul_lo_u32 v5, v0, s5
	v_lshrrev_b32_e32 v0, s17, v2
	v_mul_lo_u32 v2, v0, s15
	v_mul_hi_u32 v6, s19, v0
	v_sub_u32_e32 v1, v1, v2
	v_add_u32_e32 v2, v0, v6
	v_lshrrev_b32_e32 v2, s20, v2
	v_mul_hi_u32 v7, s22, v2
	v_mul_lo_u32 v8, v2, s18
	v_mul_lo_u32 v6, v1, s6
	;; [unrolled: 1-line block ×3, first 2 shown]
	v_sub_u32_e32 v8, v0, v8
	v_add_u32_e32 v0, v2, v7
	v_lshrrev_b32_e32 v0, s23, v0
	v_mul_lo_u32 v7, v0, s21
	v_mul_lo_u32 v9, v8, s8
	;; [unrolled: 1-line block ×3, first 2 shown]
	v_add3_u32 v3, v3, v22, v6
	v_sub_u32_e32 v2, v2, v7
	v_mul_lo_u32 v7, v2, s10
	v_mul_lo_u32 v2, v2, s11
	v_add3_u32 v1, v5, v4, v1
	v_add3_u32 v22, v9, v3, v7
	;; [unrolled: 1-line block ×3, first 2 shown]
	s_cbranch_scc1 .LBB94_6
	s_branch .LBB94_76
.LBB94_7:
	s_andn2_saveexec_b64 s[4:5], s[56:57]
	s_cbranch_execz .LBB94_101
.LBB94_8:
	v_cndmask_b32_e64 v1, 0, 1, s[46:47]
	v_cmp_ne_u32_e64 s[4:5], 1, v1
	s_andn2_b64 vcc, exec, s[46:47]
	s_cbranch_vccnz .LBB94_20
; %bb.9:
	s_cmp_lg_u32 s33, 0
	s_mov_b32 s30, 0
	s_cbranch_scc0 .LBB94_23
; %bb.10:
	s_min_u32 s31, s70, 15
	s_add_i32 s31, s31, 1
	s_cmp_eq_u32 s70, 2
	s_cbranch_scc1 .LBB94_24
; %bb.11:
	s_and_b32 s30, s31, 28
	s_add_u32 s6, s34, 0xc4
	s_addc_u32 s7, s35, 0
	v_mov_b32_e32 v4, 0
	s_waitcnt lgkmcnt(0)
	s_mov_b32 s36, 0
	s_mov_b64 s[28:29], s[34:35]
	v_mov_b32_e32 v26, 0
	v_mov_b32_e32 v1, v24
.LBB94_12:                              ; =>This Inner Loop Header: Depth=1
	s_load_dwordx8 s[16:23], s[28:29], 0x4
	s_load_dwordx4 s[24:27], s[28:29], 0x24
	s_load_dwordx8 s[8:15], s[6:7], 0x0
	s_add_u32 s28, s28, 48
	s_addc_u32 s29, s29, 0
	s_waitcnt lgkmcnt(0)
	v_mul_hi_u32 v2, s17, v1
	s_add_i32 s36, s36, 4
	s_add_u32 s6, s6, 32
	s_addc_u32 s7, s7, 0
	v_add_u32_e32 v2, v1, v2
	v_lshrrev_b32_e32 v2, s18, v2
	v_mul_lo_u32 v3, v2, s16
	v_mul_hi_u32 v5, s20, v2
	s_cmp_lg_u32 s30, s36
	v_sub_u32_e32 v1, v1, v3
	v_add_u32_e32 v3, v2, v5
	v_mul_lo_u32 v5, v1, s8
	v_mul_lo_u32 v6, v1, s9
	v_lshrrev_b32_e32 v1, s21, v3
	v_mul_lo_u32 v3, v1, s19
	v_mul_hi_u32 v7, s23, v1
	v_sub_u32_e32 v2, v2, v3
	v_add_u32_e32 v3, v1, v7
	v_lshrrev_b32_e32 v3, s24, v3
	v_mul_hi_u32 v8, s26, v3
	v_mul_lo_u32 v9, v3, s22
	v_mul_lo_u32 v7, v2, s10
	;; [unrolled: 1-line block ×3, first 2 shown]
	v_sub_u32_e32 v9, v1, v9
	v_add_u32_e32 v1, v3, v8
	v_lshrrev_b32_e32 v1, s27, v1
	v_mul_lo_u32 v8, v1, s25
	v_mul_lo_u32 v10, v9, s12
	;; [unrolled: 1-line block ×3, first 2 shown]
	v_add3_u32 v5, v5, v26, v7
	v_sub_u32_e32 v3, v3, v8
	v_mul_lo_u32 v8, v3, s14
	v_mul_lo_u32 v3, v3, s15
	v_add3_u32 v2, v6, v4, v2
	v_add3_u32 v26, v10, v5, v8
	;; [unrolled: 1-line block ×3, first 2 shown]
	s_cbranch_scc1 .LBB94_12
; %bb.13:
	s_and_b32 s10, s31, 3
	s_cmp_eq_u32 s10, 0
	s_cbranch_scc0 .LBB94_25
	s_branch .LBB94_27
.LBB94_14:
	s_or_b64 exec, exec, s[68:69]
	v_cmp_gt_i32_e32 vcc, s71, v24
	s_and_saveexec_b64 s[68:69], vcc
	s_cbranch_execz .LBB94_83
.LBB94_15:
	s_andn2_b64 vcc, exec, s[46:47]
	s_cbranch_vccnz .LBB94_22
; %bb.16:
	s_andn2_b64 vcc, exec, s[66:67]
	s_cbranch_vccnz .LBB94_74
; %bb.17:
	s_add_i32 s29, s72, 1
	s_cmp_eq_u32 s70, 2
	s_cbranch_scc1 .LBB94_91
; %bb.18:
	s_and_b32 s28, s29, 28
	v_mov_b32_e32 v4, 0
	s_mov_b32 s30, 0
	s_mov_b64 s[24:25], s[34:35]
	s_mov_b64 s[26:27], s[64:65]
	v_mov_b32_e32 v22, 0
	v_mov_b32_e32 v0, v24
.LBB94_19:                              ; =>This Inner Loop Header: Depth=1
	s_load_dwordx8 s[12:19], s[24:25], 0x4
	s_load_dwordx4 s[20:23], s[24:25], 0x24
	s_load_dwordx8 s[4:11], s[26:27], 0x0
	s_add_u32 s24, s24, 48
	s_addc_u32 s25, s25, 0
	s_waitcnt lgkmcnt(0)
	v_mul_hi_u32 v1, s13, v0
	s_add_i32 s30, s30, 4
	s_add_u32 s26, s26, 32
	s_addc_u32 s27, s27, 0
	v_add_u32_e32 v1, v0, v1
	v_lshrrev_b32_e32 v1, s14, v1
	v_mul_lo_u32 v2, v1, s12
	v_mul_hi_u32 v3, s16, v1
	s_cmp_eq_u32 s28, s30
	v_sub_u32_e32 v0, v0, v2
	v_add_u32_e32 v2, v1, v3
	v_mul_lo_u32 v3, v0, s4
	v_mul_lo_u32 v5, v0, s5
	v_lshrrev_b32_e32 v0, s17, v2
	v_mul_lo_u32 v2, v0, s15
	v_mul_hi_u32 v6, s19, v0
	v_sub_u32_e32 v1, v1, v2
	v_add_u32_e32 v2, v0, v6
	v_lshrrev_b32_e32 v2, s20, v2
	v_mul_hi_u32 v7, s22, v2
	v_mul_lo_u32 v8, v2, s18
	v_mul_lo_u32 v6, v1, s6
	v_mul_lo_u32 v1, v1, s7
	v_sub_u32_e32 v8, v0, v8
	v_add_u32_e32 v0, v2, v7
	v_lshrrev_b32_e32 v0, s23, v0
	v_mul_lo_u32 v7, v0, s21
	v_mul_lo_u32 v9, v8, s8
	;; [unrolled: 1-line block ×3, first 2 shown]
	v_add3_u32 v3, v3, v22, v6
	v_sub_u32_e32 v2, v2, v7
	v_mul_lo_u32 v7, v2, s10
	v_mul_lo_u32 v2, v2, s11
	v_add3_u32 v1, v5, v4, v1
	v_add3_u32 v22, v9, v3, v7
	;; [unrolled: 1-line block ×3, first 2 shown]
	s_cbranch_scc0 .LBB94_19
	s_branch .LBB94_92
.LBB94_20:
                                        ; implicit-def: $vgpr26
                                        ; implicit-def: $vgpr4
	s_branch .LBB94_28
.LBB94_21:
                                        ; implicit-def: $vgpr22
                                        ; implicit-def: $vgpr4
	s_branch .LBB94_80
.LBB94_22:
                                        ; implicit-def: $vgpr22
                                        ; implicit-def: $vgpr4
	s_branch .LBB94_96
.LBB94_23:
	v_mov_b32_e32 v26, 0
	v_mov_b32_e32 v4, 0
	s_branch .LBB94_27
.LBB94_24:
	v_mov_b32_e32 v26, 0
	v_mov_b32_e32 v4, 0
	;; [unrolled: 1-line block ×3, first 2 shown]
	s_and_b32 s10, s31, 3
	s_cmp_eq_u32 s10, 0
	s_cbranch_scc1 .LBB94_27
.LBB94_25:
	s_lshl_b32 s6, s30, 3
	s_add_u32 s6, s34, s6
	s_addc_u32 s7, s35, 0
	s_add_u32 s6, s6, 0xc4
	s_addc_u32 s7, s7, 0
	s_mul_i32 s8, s30, 12
	s_add_u32 s8, s34, s8
	s_addc_u32 s9, s35, 0
.LBB94_26:                              ; =>This Inner Loop Header: Depth=1
	s_load_dwordx2 s[12:13], s[8:9], 0x4
	s_load_dword s11, s[8:9], 0xc
	s_load_dwordx2 s[14:15], s[6:7], 0x0
	s_add_u32 s8, s8, 12
	s_addc_u32 s9, s9, 0
	s_waitcnt lgkmcnt(0)
	v_mul_hi_u32 v2, s13, v1
	s_add_u32 s6, s6, 8
	s_addc_u32 s7, s7, 0
	s_add_i32 s10, s10, -1
	v_add_u32_e32 v2, v1, v2
	v_lshrrev_b32_e32 v2, s11, v2
	v_mul_lo_u32 v3, v2, s12
	s_cmp_lg_u32 s10, 0
	v_sub_u32_e32 v1, v1, v3
	v_mad_u64_u32 v[26:27], s[12:13], v1, s14, v[26:27]
	v_mad_u64_u32 v[4:5], s[12:13], v1, s15, v[4:5]
	v_mov_b32_e32 v1, v2
	s_cbranch_scc1 .LBB94_26
.LBB94_27:
	s_cbranch_execnz .LBB94_30
.LBB94_28:
	s_load_dwordx4 s[8:11], s[34:35], 0x4
	s_load_dwordx2 s[6:7], s[34:35], 0xc4
	s_cmp_lt_u32 s33, 2
	s_waitcnt lgkmcnt(0)
	v_mul_hi_u32 v1, s9, v24
	v_add_u32_e32 v1, v24, v1
	v_lshrrev_b32_e32 v1, s10, v1
	v_mul_lo_u32 v2, v1, s8
	v_sub_u32_e32 v2, v24, v2
	v_mul_lo_u32 v26, v2, s6
	v_mul_lo_u32 v4, v2, s7
	s_cbranch_scc1 .LBB94_30
; %bb.29:
	s_load_dwordx4 s[8:11], s[34:35], 0x10
	s_load_dwordx2 s[6:7], s[34:35], 0xcc
	s_waitcnt lgkmcnt(0)
	v_mul_hi_u32 v2, s9, v1
	v_add_u32_e32 v2, v1, v2
	v_lshrrev_b32_e32 v2, s10, v2
	v_mul_lo_u32 v2, v2, s8
	v_sub_u32_e32 v1, v1, v2
	v_mad_u64_u32 v[26:27], s[8:9], v1, s6, v[26:27]
	v_mad_u64_u32 v[4:5], s[6:7], v1, s7, v[4:5]
.LBB94_30:
	s_and_b64 vcc, exec, s[4:5]
	v_add_u32_e32 v1, 0x80, v24
	s_cbranch_vccnz .LBB94_36
; %bb.31:
	s_cmp_lg_u32 s33, 0
	s_mov_b32 s30, 0
	s_cbranch_scc0 .LBB94_37
; %bb.32:
	s_min_u32 s31, s70, 15
	s_add_i32 s31, s31, 1
	s_cmp_eq_u32 s70, 2
	s_cbranch_scc1 .LBB94_38
; %bb.33:
	s_and_b32 s30, s31, 28
	s_add_u32 s6, s34, 0xc4
	s_addc_u32 s7, s35, 0
	v_mov_b32_e32 v22, 0
	s_waitcnt lgkmcnt(0)
	s_mov_b32 s36, 0
	s_mov_b64 s[28:29], s[34:35]
	v_mov_b32_e32 v27, 0
	v_mov_b32_e32 v2, v1
.LBB94_34:                              ; =>This Inner Loop Header: Depth=1
	s_load_dwordx8 s[16:23], s[28:29], 0x4
	s_load_dwordx4 s[24:27], s[28:29], 0x24
	s_load_dwordx8 s[8:15], s[6:7], 0x0
	s_add_u32 s28, s28, 48
	s_addc_u32 s29, s29, 0
	s_waitcnt lgkmcnt(0)
	v_mul_hi_u32 v3, s17, v2
	s_add_i32 s36, s36, 4
	s_add_u32 s6, s6, 32
	s_addc_u32 s7, s7, 0
	v_add_u32_e32 v3, v2, v3
	v_lshrrev_b32_e32 v3, s18, v3
	v_mul_lo_u32 v5, v3, s16
	v_mul_hi_u32 v6, s20, v3
	s_cmp_lg_u32 s30, s36
	v_sub_u32_e32 v2, v2, v5
	v_add_u32_e32 v5, v3, v6
	v_mul_lo_u32 v6, v2, s8
	v_mul_lo_u32 v7, v2, s9
	v_lshrrev_b32_e32 v2, s21, v5
	v_mul_lo_u32 v5, v2, s19
	v_mul_hi_u32 v8, s23, v2
	v_sub_u32_e32 v3, v3, v5
	v_add_u32_e32 v5, v2, v8
	v_lshrrev_b32_e32 v5, s24, v5
	v_mul_hi_u32 v9, s26, v5
	v_mul_lo_u32 v10, v5, s22
	v_mul_lo_u32 v8, v3, s10
	;; [unrolled: 1-line block ×3, first 2 shown]
	v_sub_u32_e32 v10, v2, v10
	v_add_u32_e32 v2, v5, v9
	v_lshrrev_b32_e32 v2, s27, v2
	v_mul_lo_u32 v9, v2, s25
	v_mul_lo_u32 v11, v10, s12
	;; [unrolled: 1-line block ×3, first 2 shown]
	v_add3_u32 v6, v6, v27, v8
	v_sub_u32_e32 v5, v5, v9
	v_mul_lo_u32 v9, v5, s14
	v_mul_lo_u32 v5, v5, s15
	v_add3_u32 v3, v7, v22, v3
	v_add3_u32 v27, v11, v6, v9
	;; [unrolled: 1-line block ×3, first 2 shown]
	s_cbranch_scc1 .LBB94_34
; %bb.35:
	s_and_b32 s10, s31, 3
	s_cmp_eq_u32 s10, 0
	s_cbranch_scc0 .LBB94_39
	s_branch .LBB94_41
.LBB94_36:
                                        ; implicit-def: $vgpr27
                                        ; implicit-def: $vgpr22
	s_branch .LBB94_42
.LBB94_37:
	v_mov_b32_e32 v27, 0
	v_mov_b32_e32 v22, 0
	s_branch .LBB94_41
.LBB94_38:
	v_mov_b32_e32 v27, 0
	v_mov_b32_e32 v22, 0
	;; [unrolled: 1-line block ×3, first 2 shown]
	s_and_b32 s10, s31, 3
	s_cmp_eq_u32 s10, 0
	s_cbranch_scc1 .LBB94_41
.LBB94_39:
	s_lshl_b32 s6, s30, 3
	s_add_u32 s6, s34, s6
	s_addc_u32 s7, s35, 0
	s_add_u32 s6, s6, 0xc4
	s_addc_u32 s7, s7, 0
	s_mul_i32 s8, s30, 12
	s_add_u32 s8, s34, s8
	s_addc_u32 s9, s35, 0
.LBB94_40:                              ; =>This Inner Loop Header: Depth=1
	s_load_dwordx2 s[12:13], s[8:9], 0x4
	s_load_dword s11, s[8:9], 0xc
	s_load_dwordx2 s[14:15], s[6:7], 0x0
	s_add_u32 s8, s8, 12
	s_addc_u32 s9, s9, 0
	s_waitcnt lgkmcnt(0)
	v_mul_hi_u32 v3, s13, v2
	s_add_u32 s6, s6, 8
	s_addc_u32 s7, s7, 0
	s_add_i32 s10, s10, -1
	v_add_u32_e32 v3, v2, v3
	v_lshrrev_b32_e32 v3, s11, v3
	v_mul_lo_u32 v5, v3, s12
	s_cmp_lg_u32 s10, 0
	v_sub_u32_e32 v2, v2, v5
	v_mad_u64_u32 v[27:28], s[12:13], v2, s14, v[27:28]
	v_mad_u64_u32 v[22:23], s[12:13], v2, s15, v[22:23]
	v_mov_b32_e32 v2, v3
	s_cbranch_scc1 .LBB94_40
.LBB94_41:
	s_cbranch_execnz .LBB94_44
.LBB94_42:
	s_load_dwordx4 s[8:11], s[34:35], 0x4
	s_load_dwordx2 s[6:7], s[34:35], 0xc4
	s_cmp_lt_u32 s33, 2
	s_waitcnt lgkmcnt(0)
	v_mul_hi_u32 v2, s9, v1
	v_add_u32_e32 v2, v1, v2
	v_lshrrev_b32_e32 v2, s10, v2
	v_mul_lo_u32 v3, v2, s8
	v_sub_u32_e32 v1, v1, v3
	v_mul_lo_u32 v27, v1, s6
	v_mul_lo_u32 v22, v1, s7
	s_cbranch_scc1 .LBB94_44
; %bb.43:
	s_load_dwordx4 s[8:11], s[34:35], 0x10
	s_load_dwordx2 s[6:7], s[34:35], 0xcc
	s_waitcnt lgkmcnt(0)
	v_mul_hi_u32 v1, s9, v2
	v_add_u32_e32 v1, v2, v1
	v_lshrrev_b32_e32 v1, s10, v1
	v_mul_lo_u32 v1, v1, s8
	v_sub_u32_e32 v1, v2, v1
	v_mad_u64_u32 v[27:28], s[8:9], v1, s6, v[27:28]
	v_mad_u64_u32 v[22:23], s[6:7], v1, s7, v[22:23]
.LBB94_44:
	s_and_b64 vcc, exec, s[4:5]
	v_add_u32_e32 v1, 0x100, v24
	s_cbranch_vccnz .LBB94_50
; %bb.45:
	s_cmp_lg_u32 s33, 0
	s_mov_b32 s30, 0
	s_cbranch_scc0 .LBB94_51
; %bb.46:
	s_min_u32 s31, s70, 15
	s_add_i32 s31, s31, 1
	s_cmp_eq_u32 s70, 2
	s_cbranch_scc1 .LBB94_52
; %bb.47:
	s_and_b32 s30, s31, 28
	s_add_u32 s6, s34, 0xc4
	s_addc_u32 s7, s35, 0
	v_mov_b32_e32 v23, 0
	s_waitcnt lgkmcnt(0)
	s_mov_b32 s36, 0
	s_mov_b64 s[28:29], s[34:35]
	v_mov_b32_e32 v28, 0
	v_mov_b32_e32 v2, v1
.LBB94_48:                              ; =>This Inner Loop Header: Depth=1
	s_load_dwordx8 s[16:23], s[28:29], 0x4
	s_load_dwordx4 s[24:27], s[28:29], 0x24
	s_load_dwordx8 s[8:15], s[6:7], 0x0
	s_add_u32 s28, s28, 48
	s_addc_u32 s29, s29, 0
	s_waitcnt lgkmcnt(0)
	v_mul_hi_u32 v3, s17, v2
	s_add_i32 s36, s36, 4
	s_add_u32 s6, s6, 32
	s_addc_u32 s7, s7, 0
	v_add_u32_e32 v3, v2, v3
	v_lshrrev_b32_e32 v3, s18, v3
	v_mul_lo_u32 v5, v3, s16
	v_mul_hi_u32 v6, s20, v3
	s_cmp_lg_u32 s30, s36
	v_sub_u32_e32 v2, v2, v5
	v_add_u32_e32 v5, v3, v6
	v_mul_lo_u32 v6, v2, s8
	v_mul_lo_u32 v7, v2, s9
	v_lshrrev_b32_e32 v2, s21, v5
	v_mul_lo_u32 v5, v2, s19
	v_mul_hi_u32 v8, s23, v2
	v_sub_u32_e32 v3, v3, v5
	v_add_u32_e32 v5, v2, v8
	v_lshrrev_b32_e32 v5, s24, v5
	v_mul_hi_u32 v9, s26, v5
	v_mul_lo_u32 v10, v5, s22
	v_mul_lo_u32 v8, v3, s10
	;; [unrolled: 1-line block ×3, first 2 shown]
	v_sub_u32_e32 v10, v2, v10
	v_add_u32_e32 v2, v5, v9
	v_lshrrev_b32_e32 v2, s27, v2
	v_mul_lo_u32 v9, v2, s25
	v_mul_lo_u32 v11, v10, s12
	;; [unrolled: 1-line block ×3, first 2 shown]
	v_add3_u32 v6, v6, v28, v8
	v_sub_u32_e32 v5, v5, v9
	v_mul_lo_u32 v9, v5, s14
	v_mul_lo_u32 v5, v5, s15
	v_add3_u32 v3, v7, v23, v3
	v_add3_u32 v28, v11, v6, v9
	;; [unrolled: 1-line block ×3, first 2 shown]
	s_cbranch_scc1 .LBB94_48
; %bb.49:
	s_and_b32 s10, s31, 3
	s_cmp_eq_u32 s10, 0
	s_cbranch_scc0 .LBB94_53
	s_branch .LBB94_55
.LBB94_50:
                                        ; implicit-def: $vgpr28
                                        ; implicit-def: $vgpr23
	s_branch .LBB94_56
.LBB94_51:
	v_mov_b32_e32 v28, 0
	v_mov_b32_e32 v23, 0
	s_branch .LBB94_55
.LBB94_52:
	v_mov_b32_e32 v28, 0
	v_mov_b32_e32 v23, 0
	;; [unrolled: 1-line block ×3, first 2 shown]
	s_and_b32 s10, s31, 3
	s_cmp_eq_u32 s10, 0
	s_cbranch_scc1 .LBB94_55
.LBB94_53:
	s_lshl_b32 s6, s30, 3
	s_add_u32 s6, s34, s6
	s_addc_u32 s7, s35, 0
	s_add_u32 s6, s6, 0xc4
	s_addc_u32 s7, s7, 0
	s_mul_i32 s8, s30, 12
	s_add_u32 s8, s34, s8
	s_addc_u32 s9, s35, 0
.LBB94_54:                              ; =>This Inner Loop Header: Depth=1
	s_load_dwordx2 s[12:13], s[8:9], 0x4
	s_load_dword s11, s[8:9], 0xc
	s_load_dwordx2 s[14:15], s[6:7], 0x0
	s_add_u32 s8, s8, 12
	s_addc_u32 s9, s9, 0
	s_waitcnt lgkmcnt(0)
	v_mul_hi_u32 v3, s13, v2
	s_add_u32 s6, s6, 8
	s_addc_u32 s7, s7, 0
	s_add_i32 s10, s10, -1
	v_add_u32_e32 v3, v2, v3
	v_lshrrev_b32_e32 v3, s11, v3
	v_mul_lo_u32 v5, v3, s12
	s_cmp_lg_u32 s10, 0
	v_sub_u32_e32 v2, v2, v5
	v_mad_u64_u32 v[28:29], s[12:13], v2, s14, v[28:29]
	v_mad_u64_u32 v[23:24], s[12:13], v2, s15, v[23:24]
	v_mov_b32_e32 v2, v3
	s_cbranch_scc1 .LBB94_54
.LBB94_55:
	s_cbranch_execnz .LBB94_58
.LBB94_56:
	s_load_dwordx4 s[8:11], s[34:35], 0x4
	s_load_dwordx2 s[6:7], s[34:35], 0xc4
	s_cmp_lt_u32 s33, 2
	s_waitcnt lgkmcnt(0)
	v_mul_hi_u32 v2, s9, v1
	v_add_u32_e32 v2, v1, v2
	v_lshrrev_b32_e32 v2, s10, v2
	v_mul_lo_u32 v3, v2, s8
	v_sub_u32_e32 v1, v1, v3
	v_mul_lo_u32 v28, v1, s6
	v_mul_lo_u32 v23, v1, s7
	s_cbranch_scc1 .LBB94_58
; %bb.57:
	s_load_dwordx4 s[8:11], s[34:35], 0x10
	s_load_dwordx2 s[6:7], s[34:35], 0xcc
	s_waitcnt lgkmcnt(0)
	v_mul_hi_u32 v1, s9, v2
	v_add_u32_e32 v1, v2, v1
	v_lshrrev_b32_e32 v1, s10, v1
	v_mul_lo_u32 v1, v1, s8
	v_sub_u32_e32 v1, v2, v1
	v_mad_u64_u32 v[28:29], s[8:9], v1, s6, v[28:29]
	v_mad_u64_u32 v[23:24], s[6:7], v1, s7, v[23:24]
.LBB94_58:
	s_and_b64 vcc, exec, s[4:5]
	s_cbranch_vccnz .LBB94_64
; %bb.59:
	s_cmp_lg_u32 s33, 0
	s_mov_b32 s28, 0
	s_cbranch_scc0 .LBB94_65
; %bb.60:
	s_min_u32 s29, s70, 15
	s_add_i32 s29, s29, 1
	s_cmp_eq_u32 s70, 2
	s_cbranch_scc1 .LBB94_66
; %bb.61:
	s_and_b32 s28, s29, 28
	s_add_u32 s24, s34, 0xc4
	s_addc_u32 s25, s35, 0
	v_mov_b32_e32 v24, 0
	s_mov_b32 s30, 0
	s_mov_b64 s[26:27], s[34:35]
	v_mov_b32_e32 v29, 0
	v_mov_b32_e32 v1, v0
.LBB94_62:                              ; =>This Inner Loop Header: Depth=1
	s_load_dwordx8 s[12:19], s[26:27], 0x4
	s_load_dwordx4 s[20:23], s[26:27], 0x24
	s_load_dwordx8 s[4:11], s[24:25], 0x0
	s_add_u32 s26, s26, 48
	s_addc_u32 s27, s27, 0
	s_waitcnt lgkmcnt(0)
	v_mul_hi_u32 v2, s13, v1
	s_add_i32 s30, s30, 4
	s_add_u32 s24, s24, 32
	s_addc_u32 s25, s25, 0
	v_add_u32_e32 v2, v1, v2
	v_lshrrev_b32_e32 v2, s14, v2
	v_mul_lo_u32 v3, v2, s12
	v_mul_hi_u32 v5, s16, v2
	s_cmp_lg_u32 s28, s30
	v_sub_u32_e32 v1, v1, v3
	v_add_u32_e32 v3, v2, v5
	v_mul_lo_u32 v5, v1, s4
	v_mul_lo_u32 v6, v1, s5
	v_lshrrev_b32_e32 v1, s17, v3
	v_mul_lo_u32 v3, v1, s15
	v_mul_hi_u32 v7, s19, v1
	v_sub_u32_e32 v2, v2, v3
	v_add_u32_e32 v3, v1, v7
	v_lshrrev_b32_e32 v3, s20, v3
	v_mul_hi_u32 v8, s22, v3
	v_mul_lo_u32 v9, v3, s18
	v_mul_lo_u32 v7, v2, s6
	;; [unrolled: 1-line block ×3, first 2 shown]
	v_sub_u32_e32 v9, v1, v9
	v_add_u32_e32 v1, v3, v8
	v_lshrrev_b32_e32 v1, s23, v1
	v_mul_lo_u32 v8, v1, s21
	v_mul_lo_u32 v10, v9, s8
	;; [unrolled: 1-line block ×3, first 2 shown]
	v_add3_u32 v5, v5, v29, v7
	v_sub_u32_e32 v3, v3, v8
	v_mul_lo_u32 v8, v3, s10
	v_mul_lo_u32 v3, v3, s11
	v_add3_u32 v2, v6, v24, v2
	v_add3_u32 v29, v10, v5, v8
	;; [unrolled: 1-line block ×3, first 2 shown]
	s_cbranch_scc1 .LBB94_62
; %bb.63:
	s_and_b32 s8, s29, 3
	s_cmp_eq_u32 s8, 0
	s_cbranch_scc0 .LBB94_67
	s_branch .LBB94_69
.LBB94_64:
                                        ; implicit-def: $vgpr29
                                        ; implicit-def: $vgpr24
	s_branch .LBB94_70
.LBB94_65:
	v_mov_b32_e32 v29, 0
	v_mov_b32_e32 v24, 0
	s_branch .LBB94_69
.LBB94_66:
	v_mov_b32_e32 v29, 0
	v_mov_b32_e32 v24, 0
	;; [unrolled: 1-line block ×3, first 2 shown]
	s_and_b32 s8, s29, 3
	s_cmp_eq_u32 s8, 0
	s_cbranch_scc1 .LBB94_69
.LBB94_67:
	s_lshl_b32 s4, s28, 3
	s_add_u32 s4, s34, s4
	s_addc_u32 s5, s35, 0
	s_add_u32 s4, s4, 0xc4
	s_addc_u32 s5, s5, 0
	s_mul_i32 s6, s28, 12
	s_add_u32 s6, s34, s6
	s_addc_u32 s7, s35, 0
.LBB94_68:                              ; =>This Inner Loop Header: Depth=1
	s_load_dwordx2 s[10:11], s[6:7], 0x4
	s_load_dword s9, s[6:7], 0xc
	s_load_dwordx2 s[12:13], s[4:5], 0x0
	s_add_u32 s6, s6, 12
	s_addc_u32 s7, s7, 0
	s_waitcnt lgkmcnt(0)
	v_mul_hi_u32 v2, s11, v1
	s_add_u32 s4, s4, 8
	s_addc_u32 s5, s5, 0
	s_add_i32 s8, s8, -1
	v_add_u32_e32 v2, v1, v2
	v_lshrrev_b32_e32 v2, s9, v2
	v_mul_lo_u32 v3, v2, s10
	s_cmp_lg_u32 s8, 0
	v_sub_u32_e32 v1, v1, v3
	v_mad_u64_u32 v[29:30], s[10:11], v1, s12, v[29:30]
	v_mad_u64_u32 v[24:25], s[10:11], v1, s13, v[24:25]
	v_mov_b32_e32 v1, v2
	s_cbranch_scc1 .LBB94_68
.LBB94_69:
	s_cbranch_execnz .LBB94_72
.LBB94_70:
	s_load_dwordx4 s[4:7], s[34:35], 0x4
	s_load_dwordx2 s[8:9], s[34:35], 0xc4
	s_cmp_lt_u32 s33, 2
	s_waitcnt lgkmcnt(0)
	v_mul_hi_u32 v1, s5, v0
	v_add_u32_e32 v1, v0, v1
	v_lshrrev_b32_e32 v1, s6, v1
	v_mul_lo_u32 v2, v1, s4
	v_sub_u32_e32 v0, v0, v2
	v_mul_lo_u32 v29, v0, s8
	v_mul_lo_u32 v24, v0, s9
	s_cbranch_scc1 .LBB94_72
; %bb.71:
	s_load_dwordx4 s[4:7], s[34:35], 0x10
	s_load_dwordx2 s[8:9], s[34:35], 0xcc
	s_waitcnt lgkmcnt(0)
	v_mul_hi_u32 v0, s5, v1
	v_add_u32_e32 v0, v1, v0
	v_lshrrev_b32_e32 v0, s6, v0
	v_mul_lo_u32 v0, v0, s4
	v_sub_u32_e32 v0, v1, v0
	v_mad_u64_u32 v[29:30], s[4:5], v0, s8, v[29:30]
	v_mad_u64_u32 v[24:25], s[4:5], v0, s9, v[24:25]
.LBB94_72:
	s_load_dwordx2 s[46:47], s[34:35], 0x158
	s_waitcnt lgkmcnt(0)
	s_load_dwordx4 s[36:39], s[34:35], 0x148
	s_getpc_b64 s[34:35]
	s_add_u32 s34, s34, _ZN2at6native6invokeIZZZNS0_21polygamma_kernel_cudaERNS_18TensorIteratorBaseElENKUlvE_clEvENKUlvE0_clEvEUlfE_j15function_traitsIS6_EEENT1_11result_typeERKT_PrKPcPKT0_i@rel32@lo+4
	s_addc_u32 s35, s35, _ZN2at6native6invokeIZZZNS0_21polygamma_kernel_cudaERNS_18TensorIteratorBaseElENKUlvE_clEvENKUlvE0_clEvEUlfE_j15function_traitsIS6_EEENT1_11result_typeERKT_PrKPcPKT0_i@rel32@hi+12
	v_mov_b32_e32 v0, s46
	v_mov_b32_e32 v1, s47
	s_waitcnt lgkmcnt(0)
	v_mov_b32_e32 v2, s38
	v_mov_b32_e32 v3, s39
	s_swappc_b64 s[30:31], s[34:35]
	v_mov_b32_e32 v25, v0
	v_mov_b32_e32 v0, s46
	v_mov_b32_e32 v1, s47
	v_mov_b32_e32 v2, s38
	v_mov_b32_e32 v3, s39
	v_mov_b32_e32 v4, v22
	s_swappc_b64 s[30:31], s[34:35]
	v_mov_b32_e32 v22, v0
	v_mov_b32_e32 v0, s46
	v_mov_b32_e32 v1, s47
	v_mov_b32_e32 v2, s38
	;; [unrolled: 7-line block ×3, first 2 shown]
	v_mov_b32_e32 v3, s39
	v_mov_b32_e32 v4, v24
	s_swappc_b64 s[30:31], s[34:35]
	global_store_dword v26, v25, s[36:37]
	global_store_dword v27, v22, s[36:37]
	;; [unrolled: 1-line block ×4, first 2 shown]
	s_endpgm
.LBB94_73:
	v_mov_b32_e32 v22, 0
	v_mov_b32_e32 v4, 0
	s_branch .LBB94_79
.LBB94_74:
	v_mov_b32_e32 v22, 0
	v_mov_b32_e32 v4, 0
	s_branch .LBB94_95
.LBB94_75:
	s_mov_b32 s28, 0
	v_mov_b32_e32 v22, 0
	v_mov_b32_e32 v4, 0
	;; [unrolled: 1-line block ×3, first 2 shown]
.LBB94_76:
	s_and_b32 s8, s29, 3
	s_cmp_eq_u32 s8, 0
	s_cbranch_scc1 .LBB94_79
; %bb.77:
	s_lshl_b32 s4, s28, 3
	s_add_u32 s4, s34, s4
	s_addc_u32 s5, s35, 0
	s_add_u32 s4, s4, 0xc4
	s_addc_u32 s5, s5, 0
	s_mul_i32 s6, s28, 12
	s_add_u32 s6, s34, s6
	s_addc_u32 s7, s35, 0
.LBB94_78:                              ; =>This Inner Loop Header: Depth=1
	s_load_dwordx2 s[10:11], s[6:7], 0x4
	s_load_dword s9, s[6:7], 0xc
	s_load_dwordx2 s[12:13], s[4:5], 0x0
	s_add_u32 s6, s6, 12
	s_addc_u32 s7, s7, 0
	s_waitcnt lgkmcnt(0)
	v_mul_hi_u32 v1, s11, v0
	s_add_u32 s4, s4, 8
	s_addc_u32 s5, s5, 0
	s_add_i32 s8, s8, -1
	v_add_u32_e32 v1, v0, v1
	v_lshrrev_b32_e32 v1, s9, v1
	v_mul_lo_u32 v2, v1, s10
	s_cmp_lg_u32 s8, 0
	v_sub_u32_e32 v0, v0, v2
	v_mad_u64_u32 v[22:23], s[10:11], v0, s12, v[22:23]
	v_mad_u64_u32 v[4:5], s[10:11], v0, s13, v[4:5]
	v_mov_b32_e32 v0, v1
	s_cbranch_scc1 .LBB94_78
.LBB94_79:
	s_cbranch_execnz .LBB94_82
.LBB94_80:
	s_waitcnt lgkmcnt(0)
	v_mul_hi_u32 v0, s49, v24
	s_andn2_b64 vcc, exec, s[62:63]
	v_add_u32_e32 v0, v24, v0
	v_lshrrev_b32_e32 v0, s50, v0
	v_mul_lo_u32 v1, v0, s48
	v_sub_u32_e32 v1, v24, v1
	v_mul_lo_u32 v22, v1, s52
	v_mul_lo_u32 v4, v1, s53
	s_cbranch_vccnz .LBB94_82
; %bb.81:
	v_mul_hi_u32 v1, s60, v0
	v_add_u32_e32 v1, v0, v1
	v_lshrrev_b32_e32 v1, s61, v1
	v_mul_lo_u32 v1, v1, s51
	v_sub_u32_e32 v0, v0, v1
	v_mad_u64_u32 v[22:23], s[4:5], v0, s54, v[22:23]
	v_mad_u64_u32 v[4:5], s[4:5], v0, s55, v[4:5]
.LBB94_82:
	s_getpc_b64 s[4:5]
	s_add_u32 s4, s4, _ZN2at6native6invokeIZZZNS0_21polygamma_kernel_cudaERNS_18TensorIteratorBaseElENKUlvE_clEvENKUlvE0_clEvEUlfE_j15function_traitsIS6_EEENT1_11result_typeERKT_PrKPcPKT0_i@rel32@lo+4
	s_addc_u32 s5, s5, _ZN2at6native6invokeIZZZNS0_21polygamma_kernel_cudaERNS_18TensorIteratorBaseElENKUlvE_clEvENKUlvE0_clEvEUlfE_j15function_traitsIS6_EEENT1_11result_typeERKT_PrKPcPKT0_i@rel32@hi+12
	s_waitcnt lgkmcnt(0)
	v_mov_b32_e32 v0, s58
	v_mov_b32_e32 v1, s59
	;; [unrolled: 1-line block ×4, first 2 shown]
	s_swappc_b64 s[30:31], s[4:5]
	v_add_u32_e32 v24, 0x80, v24
	global_store_dword v22, v0, s[36:37]
	s_or_b64 exec, exec, s[68:69]
	v_cmp_gt_i32_e32 vcc, s71, v24
	s_and_saveexec_b64 s[68:69], vcc
	s_cbranch_execnz .LBB94_15
.LBB94_83:
	s_or_b64 exec, exec, s[68:69]
	v_cmp_gt_i32_e32 vcc, s71, v24
	s_and_saveexec_b64 s[68:69], vcc
	s_cbranch_execz .LBB94_99
.LBB94_84:
	s_andn2_b64 vcc, exec, s[46:47]
	s_cbranch_vccnz .LBB94_89
; %bb.85:
	s_andn2_b64 vcc, exec, s[66:67]
	s_cbranch_vccnz .LBB94_90
; %bb.86:
	s_add_i32 s29, s72, 1
	s_cmp_eq_u32 s70, 2
	s_cbranch_scc1 .LBB94_102
; %bb.87:
	s_and_b32 s28, s29, 28
	v_mov_b32_e32 v4, 0
	s_mov_b32 s30, 0
	s_mov_b64 s[24:25], s[34:35]
	s_mov_b64 s[26:27], s[64:65]
	v_mov_b32_e32 v22, 0
	v_mov_b32_e32 v0, v24
.LBB94_88:                              ; =>This Inner Loop Header: Depth=1
	s_load_dwordx8 s[12:19], s[24:25], 0x4
	s_load_dwordx4 s[20:23], s[24:25], 0x24
	s_load_dwordx8 s[4:11], s[26:27], 0x0
	s_add_u32 s24, s24, 48
	s_addc_u32 s25, s25, 0
	s_waitcnt lgkmcnt(0)
	v_mul_hi_u32 v1, s13, v0
	s_add_i32 s30, s30, 4
	s_add_u32 s26, s26, 32
	s_addc_u32 s27, s27, 0
	v_add_u32_e32 v1, v0, v1
	v_lshrrev_b32_e32 v1, s14, v1
	v_mul_lo_u32 v2, v1, s12
	v_mul_hi_u32 v3, s16, v1
	s_cmp_eq_u32 s28, s30
	v_sub_u32_e32 v0, v0, v2
	v_add_u32_e32 v2, v1, v3
	v_mul_lo_u32 v3, v0, s4
	v_mul_lo_u32 v5, v0, s5
	v_lshrrev_b32_e32 v0, s17, v2
	v_mul_lo_u32 v2, v0, s15
	v_mul_hi_u32 v6, s19, v0
	v_sub_u32_e32 v1, v1, v2
	v_add_u32_e32 v2, v0, v6
	v_lshrrev_b32_e32 v2, s20, v2
	v_mul_hi_u32 v7, s22, v2
	v_mul_lo_u32 v8, v2, s18
	v_mul_lo_u32 v6, v1, s6
	;; [unrolled: 1-line block ×3, first 2 shown]
	v_sub_u32_e32 v8, v0, v8
	v_add_u32_e32 v0, v2, v7
	v_lshrrev_b32_e32 v0, s23, v0
	v_mul_lo_u32 v7, v0, s21
	v_mul_lo_u32 v9, v8, s8
	;; [unrolled: 1-line block ×3, first 2 shown]
	v_add3_u32 v3, v3, v22, v6
	v_sub_u32_e32 v2, v2, v7
	v_mul_lo_u32 v7, v2, s10
	v_mul_lo_u32 v2, v2, s11
	v_add3_u32 v1, v5, v4, v1
	v_add3_u32 v22, v9, v3, v7
	v_add3_u32 v4, v8, v1, v2
	s_cbranch_scc0 .LBB94_88
	s_branch .LBB94_103
.LBB94_89:
                                        ; implicit-def: $vgpr22
                                        ; implicit-def: $vgpr4
	s_branch .LBB94_107
.LBB94_90:
	v_mov_b32_e32 v22, 0
	v_mov_b32_e32 v4, 0
	s_branch .LBB94_106
.LBB94_91:
	s_mov_b32 s28, 0
	v_mov_b32_e32 v22, 0
	v_mov_b32_e32 v4, 0
	;; [unrolled: 1-line block ×3, first 2 shown]
.LBB94_92:
	s_and_b32 s8, s29, 3
	s_cmp_eq_u32 s8, 0
	s_cbranch_scc1 .LBB94_95
; %bb.93:
	s_lshl_b32 s4, s28, 3
	s_add_u32 s4, s34, s4
	s_addc_u32 s5, s35, 0
	s_add_u32 s4, s4, 0xc4
	s_addc_u32 s5, s5, 0
	s_mul_i32 s6, s28, 12
	s_add_u32 s6, s34, s6
	s_addc_u32 s7, s35, 0
.LBB94_94:                              ; =>This Inner Loop Header: Depth=1
	s_load_dwordx2 s[10:11], s[6:7], 0x4
	s_load_dword s9, s[6:7], 0xc
	s_load_dwordx2 s[12:13], s[4:5], 0x0
	s_add_u32 s6, s6, 12
	s_addc_u32 s7, s7, 0
	s_waitcnt lgkmcnt(0)
	v_mul_hi_u32 v1, s11, v0
	s_add_u32 s4, s4, 8
	s_addc_u32 s5, s5, 0
	s_add_i32 s8, s8, -1
	v_add_u32_e32 v1, v0, v1
	v_lshrrev_b32_e32 v1, s9, v1
	v_mul_lo_u32 v2, v1, s10
	s_cmp_lg_u32 s8, 0
	v_sub_u32_e32 v0, v0, v2
	v_mad_u64_u32 v[22:23], s[10:11], v0, s12, v[22:23]
	v_mad_u64_u32 v[4:5], s[10:11], v0, s13, v[4:5]
	v_mov_b32_e32 v0, v1
	s_cbranch_scc1 .LBB94_94
.LBB94_95:
	s_cbranch_execnz .LBB94_98
.LBB94_96:
	s_waitcnt lgkmcnt(0)
	v_mul_hi_u32 v0, s49, v24
	s_andn2_b64 vcc, exec, s[62:63]
	v_add_u32_e32 v0, v24, v0
	v_lshrrev_b32_e32 v0, s50, v0
	v_mul_lo_u32 v1, v0, s48
	v_sub_u32_e32 v1, v24, v1
	v_mul_lo_u32 v22, v1, s52
	v_mul_lo_u32 v4, v1, s53
	s_cbranch_vccnz .LBB94_98
; %bb.97:
	v_mul_hi_u32 v1, s60, v0
	v_add_u32_e32 v1, v0, v1
	v_lshrrev_b32_e32 v1, s61, v1
	v_mul_lo_u32 v1, v1, s51
	v_sub_u32_e32 v0, v0, v1
	v_mad_u64_u32 v[22:23], s[4:5], v0, s54, v[22:23]
	v_mad_u64_u32 v[4:5], s[4:5], v0, s55, v[4:5]
.LBB94_98:
	s_getpc_b64 s[4:5]
	s_add_u32 s4, s4, _ZN2at6native6invokeIZZZNS0_21polygamma_kernel_cudaERNS_18TensorIteratorBaseElENKUlvE_clEvENKUlvE0_clEvEUlfE_j15function_traitsIS6_EEENT1_11result_typeERKT_PrKPcPKT0_i@rel32@lo+4
	s_addc_u32 s5, s5, _ZN2at6native6invokeIZZZNS0_21polygamma_kernel_cudaERNS_18TensorIteratorBaseElENKUlvE_clEvENKUlvE0_clEvEUlfE_j15function_traitsIS6_EEENT1_11result_typeERKT_PrKPcPKT0_i@rel32@hi+12
	s_waitcnt lgkmcnt(0)
	v_mov_b32_e32 v0, s58
	v_mov_b32_e32 v1, s59
	;; [unrolled: 1-line block ×4, first 2 shown]
	s_swappc_b64 s[30:31], s[4:5]
	v_add_u32_e32 v24, 0x80, v24
	global_store_dword v22, v0, s[36:37]
	s_or_b64 exec, exec, s[68:69]
	v_cmp_gt_i32_e32 vcc, s71, v24
	s_and_saveexec_b64 s[68:69], vcc
	s_cbranch_execnz .LBB94_84
.LBB94_99:
	s_or_b64 exec, exec, s[68:69]
	v_cmp_gt_i32_e32 vcc, s71, v24
	s_and_saveexec_b64 s[68:69], vcc
	s_cbranch_execnz .LBB94_110
.LBB94_100:
	s_or_b64 exec, exec, s[68:69]
                                        ; implicit-def: $vgpr0
                                        ; implicit-def: $vgpr24
	s_andn2_saveexec_b64 s[4:5], s[56:57]
	s_cbranch_execnz .LBB94_8
.LBB94_101:
	s_endpgm
.LBB94_102:
	s_mov_b32 s28, 0
	v_mov_b32_e32 v22, 0
	v_mov_b32_e32 v4, 0
	;; [unrolled: 1-line block ×3, first 2 shown]
.LBB94_103:
	s_and_b32 s8, s29, 3
	s_cmp_eq_u32 s8, 0
	s_cbranch_scc1 .LBB94_106
; %bb.104:
	s_lshl_b32 s4, s28, 3
	s_add_u32 s4, s34, s4
	s_addc_u32 s5, s35, 0
	s_add_u32 s4, s4, 0xc4
	s_addc_u32 s5, s5, 0
	s_mul_i32 s6, s28, 12
	s_add_u32 s6, s34, s6
	s_addc_u32 s7, s35, 0
.LBB94_105:                             ; =>This Inner Loop Header: Depth=1
	s_load_dwordx2 s[10:11], s[6:7], 0x4
	s_load_dword s9, s[6:7], 0xc
	s_load_dwordx2 s[12:13], s[4:5], 0x0
	s_add_u32 s6, s6, 12
	s_addc_u32 s7, s7, 0
	s_waitcnt lgkmcnt(0)
	v_mul_hi_u32 v1, s11, v0
	s_add_u32 s4, s4, 8
	s_addc_u32 s5, s5, 0
	s_add_i32 s8, s8, -1
	v_add_u32_e32 v1, v0, v1
	v_lshrrev_b32_e32 v1, s9, v1
	v_mul_lo_u32 v2, v1, s10
	s_cmp_lg_u32 s8, 0
	v_sub_u32_e32 v0, v0, v2
	v_mad_u64_u32 v[22:23], s[10:11], v0, s12, v[22:23]
	v_mad_u64_u32 v[4:5], s[10:11], v0, s13, v[4:5]
	v_mov_b32_e32 v0, v1
	s_cbranch_scc1 .LBB94_105
.LBB94_106:
	s_cbranch_execnz .LBB94_109
.LBB94_107:
	s_waitcnt lgkmcnt(0)
	v_mul_hi_u32 v0, s49, v24
	s_andn2_b64 vcc, exec, s[62:63]
	v_add_u32_e32 v0, v24, v0
	v_lshrrev_b32_e32 v0, s50, v0
	v_mul_lo_u32 v1, v0, s48
	v_sub_u32_e32 v1, v24, v1
	v_mul_lo_u32 v22, v1, s52
	v_mul_lo_u32 v4, v1, s53
	s_cbranch_vccnz .LBB94_109
; %bb.108:
	v_mul_hi_u32 v1, s60, v0
	v_add_u32_e32 v1, v0, v1
	v_lshrrev_b32_e32 v1, s61, v1
	v_mul_lo_u32 v1, v1, s51
	v_sub_u32_e32 v0, v0, v1
	v_mad_u64_u32 v[22:23], s[4:5], v0, s54, v[22:23]
	v_mad_u64_u32 v[4:5], s[4:5], v0, s55, v[4:5]
.LBB94_109:
	s_getpc_b64 s[4:5]
	s_add_u32 s4, s4, _ZN2at6native6invokeIZZZNS0_21polygamma_kernel_cudaERNS_18TensorIteratorBaseElENKUlvE_clEvENKUlvE0_clEvEUlfE_j15function_traitsIS6_EEENT1_11result_typeERKT_PrKPcPKT0_i@rel32@lo+4
	s_addc_u32 s5, s5, _ZN2at6native6invokeIZZZNS0_21polygamma_kernel_cudaERNS_18TensorIteratorBaseElENKUlvE_clEvENKUlvE0_clEvEUlfE_j15function_traitsIS6_EEENT1_11result_typeERKT_PrKPcPKT0_i@rel32@hi+12
	s_waitcnt lgkmcnt(0)
	v_mov_b32_e32 v0, s58
	v_mov_b32_e32 v1, s59
	v_mov_b32_e32 v2, s38
	v_mov_b32_e32 v3, s39
	s_swappc_b64 s[30:31], s[4:5]
	v_add_u32_e32 v24, 0x80, v24
	global_store_dword v22, v0, s[36:37]
	s_or_b64 exec, exec, s[68:69]
	v_cmp_gt_i32_e32 vcc, s71, v24
	s_and_saveexec_b64 s[68:69], vcc
	s_cbranch_execz .LBB94_100
.LBB94_110:
	s_andn2_b64 vcc, exec, s[46:47]
	s_cbranch_vccnz .LBB94_115
; %bb.111:
	s_andn2_b64 vcc, exec, s[66:67]
	s_cbranch_vccnz .LBB94_116
; %bb.112:
	s_add_i32 s72, s72, 1
	s_cmp_eq_u32 s70, 2
	s_cbranch_scc1 .LBB94_117
; %bb.113:
	s_and_b32 s26, s72, 28
	v_mov_b32_e32 v4, 0
	s_mov_b32 s27, 0
	s_mov_b64 s[24:25], s[34:35]
	v_mov_b32_e32 v22, 0
	v_mov_b32_e32 v0, v24
.LBB94_114:                             ; =>This Inner Loop Header: Depth=1
	s_load_dwordx8 s[12:19], s[24:25], 0x4
	s_load_dwordx4 s[20:23], s[24:25], 0x24
	s_load_dwordx8 s[4:11], s[64:65], 0x0
	s_add_u32 s24, s24, 48
	s_addc_u32 s25, s25, 0
	s_waitcnt lgkmcnt(0)
	v_mul_hi_u32 v1, s13, v0
	s_add_i32 s27, s27, 4
	s_add_u32 s64, s64, 32
	s_addc_u32 s65, s65, 0
	v_add_u32_e32 v1, v0, v1
	v_lshrrev_b32_e32 v1, s14, v1
	v_mul_lo_u32 v2, v1, s12
	v_mul_hi_u32 v3, s16, v1
	s_cmp_eq_u32 s26, s27
	v_sub_u32_e32 v0, v0, v2
	v_add_u32_e32 v2, v1, v3
	v_mul_lo_u32 v3, v0, s4
	v_mul_lo_u32 v5, v0, s5
	v_lshrrev_b32_e32 v0, s17, v2
	v_mul_lo_u32 v2, v0, s15
	v_mul_hi_u32 v6, s19, v0
	v_sub_u32_e32 v1, v1, v2
	v_add_u32_e32 v2, v0, v6
	v_lshrrev_b32_e32 v2, s20, v2
	v_mul_hi_u32 v7, s22, v2
	v_mul_lo_u32 v8, v2, s18
	v_mul_lo_u32 v6, v1, s6
	;; [unrolled: 1-line block ×3, first 2 shown]
	v_sub_u32_e32 v8, v0, v8
	v_add_u32_e32 v0, v2, v7
	v_lshrrev_b32_e32 v0, s23, v0
	v_mul_lo_u32 v7, v0, s21
	v_mul_lo_u32 v9, v8, s8
	;; [unrolled: 1-line block ×3, first 2 shown]
	v_add3_u32 v3, v3, v22, v6
	v_sub_u32_e32 v2, v2, v7
	v_mul_lo_u32 v7, v2, s10
	v_mul_lo_u32 v2, v2, s11
	v_add3_u32 v1, v5, v4, v1
	v_add3_u32 v22, v9, v3, v7
	;; [unrolled: 1-line block ×3, first 2 shown]
	s_cbranch_scc0 .LBB94_114
	s_branch .LBB94_118
.LBB94_115:
                                        ; implicit-def: $vgpr22
                                        ; implicit-def: $vgpr4
	s_branch .LBB94_122
.LBB94_116:
	v_mov_b32_e32 v22, 0
	v_mov_b32_e32 v4, 0
	s_branch .LBB94_121
.LBB94_117:
	s_mov_b32 s26, 0
	v_mov_b32_e32 v22, 0
	v_mov_b32_e32 v4, 0
	;; [unrolled: 1-line block ×3, first 2 shown]
.LBB94_118:
	s_and_b32 s8, s72, 3
	s_cmp_eq_u32 s8, 0
	s_cbranch_scc1 .LBB94_121
; %bb.119:
	s_lshl_b32 s4, s26, 3
	s_add_u32 s4, s34, s4
	s_addc_u32 s5, s35, 0
	s_add_u32 s4, s4, 0xc4
	s_addc_u32 s5, s5, 0
	s_mul_i32 s6, s26, 12
	s_add_u32 s6, s34, s6
	s_addc_u32 s7, s35, 0
.LBB94_120:                             ; =>This Inner Loop Header: Depth=1
	s_load_dwordx2 s[10:11], s[6:7], 0x4
	s_load_dword s9, s[6:7], 0xc
	s_load_dwordx2 s[12:13], s[4:5], 0x0
	s_add_u32 s6, s6, 12
	s_addc_u32 s7, s7, 0
	s_waitcnt lgkmcnt(0)
	v_mul_hi_u32 v1, s11, v0
	s_add_u32 s4, s4, 8
	s_addc_u32 s5, s5, 0
	s_add_i32 s8, s8, -1
	v_add_u32_e32 v1, v0, v1
	v_lshrrev_b32_e32 v1, s9, v1
	v_mul_lo_u32 v2, v1, s10
	s_cmp_lg_u32 s8, 0
	v_sub_u32_e32 v0, v0, v2
	v_mad_u64_u32 v[22:23], s[10:11], v0, s12, v[22:23]
	v_mad_u64_u32 v[4:5], s[10:11], v0, s13, v[4:5]
	v_mov_b32_e32 v0, v1
	s_cbranch_scc1 .LBB94_120
.LBB94_121:
	s_cbranch_execnz .LBB94_124
.LBB94_122:
	s_waitcnt lgkmcnt(0)
	v_mul_hi_u32 v0, s49, v24
	s_andn2_b64 vcc, exec, s[62:63]
	v_add_u32_e32 v0, v24, v0
	v_lshrrev_b32_e32 v0, s50, v0
	v_mul_lo_u32 v1, v0, s48
	v_sub_u32_e32 v1, v24, v1
	v_mul_lo_u32 v22, v1, s52
	v_mul_lo_u32 v4, v1, s53
	s_cbranch_vccnz .LBB94_124
; %bb.123:
	v_mul_hi_u32 v1, s60, v0
	v_add_u32_e32 v1, v0, v1
	v_lshrrev_b32_e32 v1, s61, v1
	v_mul_lo_u32 v1, v1, s51
	v_sub_u32_e32 v0, v0, v1
	v_mad_u64_u32 v[22:23], s[4:5], v0, s54, v[22:23]
	v_mad_u64_u32 v[4:5], s[4:5], v0, s55, v[4:5]
.LBB94_124:
	s_getpc_b64 s[4:5]
	s_add_u32 s4, s4, _ZN2at6native6invokeIZZZNS0_21polygamma_kernel_cudaERNS_18TensorIteratorBaseElENKUlvE_clEvENKUlvE0_clEvEUlfE_j15function_traitsIS6_EEENT1_11result_typeERKT_PrKPcPKT0_i@rel32@lo+4
	s_addc_u32 s5, s5, _ZN2at6native6invokeIZZZNS0_21polygamma_kernel_cudaERNS_18TensorIteratorBaseElENKUlvE_clEvENKUlvE0_clEvEUlfE_j15function_traitsIS6_EEENT1_11result_typeERKT_PrKPcPKT0_i@rel32@hi+12
	s_waitcnt lgkmcnt(0)
	v_mov_b32_e32 v0, s58
	v_mov_b32_e32 v1, s59
	;; [unrolled: 1-line block ×4, first 2 shown]
	s_swappc_b64 s[30:31], s[4:5]
	global_store_dword v22, v0, s[36:37]
	s_or_b64 exec, exec, s[68:69]
                                        ; implicit-def: $vgpr0
                                        ; implicit-def: $vgpr24
	s_andn2_saveexec_b64 s[4:5], s[56:57]
	s_cbranch_execz .LBB94_101
	s_branch .LBB94_8
	.section	.rodata,"a",@progbits
	.p2align	6, 0x0
	.amdhsa_kernel _ZN2at6native32elementwise_kernel_manual_unrollILi128ELi4EZNS0_22gpu_kernel_impl_nocastIZZZNS0_21polygamma_kernel_cudaERNS_18TensorIteratorBaseElENKUlvE_clEvENKUlvE0_clEvEUlfE_EEvS4_RKT_EUlibE_EEviT1_
		.amdhsa_group_segment_fixed_size 0
		.amdhsa_private_segment_fixed_size 0
		.amdhsa_kernarg_size 360
		.amdhsa_user_sgpr_count 6
		.amdhsa_user_sgpr_private_segment_buffer 1
		.amdhsa_user_sgpr_dispatch_ptr 0
		.amdhsa_user_sgpr_queue_ptr 0
		.amdhsa_user_sgpr_kernarg_segment_ptr 1
		.amdhsa_user_sgpr_dispatch_id 0
		.amdhsa_user_sgpr_flat_scratch_init 0
		.amdhsa_user_sgpr_private_segment_size 0
		.amdhsa_uses_dynamic_stack 0
		.amdhsa_system_sgpr_private_segment_wavefront_offset 0
		.amdhsa_system_sgpr_workgroup_id_x 1
		.amdhsa_system_sgpr_workgroup_id_y 0
		.amdhsa_system_sgpr_workgroup_id_z 0
		.amdhsa_system_sgpr_workgroup_info 0
		.amdhsa_system_vgpr_workitem_id 0
		.amdhsa_next_free_vgpr 31
		.amdhsa_next_free_sgpr 73
		.amdhsa_reserve_vcc 1
		.amdhsa_reserve_flat_scratch 0
		.amdhsa_float_round_mode_32 0
		.amdhsa_float_round_mode_16_64 0
		.amdhsa_float_denorm_mode_32 3
		.amdhsa_float_denorm_mode_16_64 3
		.amdhsa_dx10_clamp 1
		.amdhsa_ieee_mode 1
		.amdhsa_fp16_overflow 0
		.amdhsa_exception_fp_ieee_invalid_op 0
		.amdhsa_exception_fp_denorm_src 0
		.amdhsa_exception_fp_ieee_div_zero 0
		.amdhsa_exception_fp_ieee_overflow 0
		.amdhsa_exception_fp_ieee_underflow 0
		.amdhsa_exception_fp_ieee_inexact 0
		.amdhsa_exception_int_div_zero 0
	.end_amdhsa_kernel
	.section	.text._ZN2at6native32elementwise_kernel_manual_unrollILi128ELi4EZNS0_22gpu_kernel_impl_nocastIZZZNS0_21polygamma_kernel_cudaERNS_18TensorIteratorBaseElENKUlvE_clEvENKUlvE0_clEvEUlfE_EEvS4_RKT_EUlibE_EEviT1_,"axG",@progbits,_ZN2at6native32elementwise_kernel_manual_unrollILi128ELi4EZNS0_22gpu_kernel_impl_nocastIZZZNS0_21polygamma_kernel_cudaERNS_18TensorIteratorBaseElENKUlvE_clEvENKUlvE0_clEvEUlfE_EEvS4_RKT_EUlibE_EEviT1_,comdat
.Lfunc_end94:
	.size	_ZN2at6native32elementwise_kernel_manual_unrollILi128ELi4EZNS0_22gpu_kernel_impl_nocastIZZZNS0_21polygamma_kernel_cudaERNS_18TensorIteratorBaseElENKUlvE_clEvENKUlvE0_clEvEUlfE_EEvS4_RKT_EUlibE_EEviT1_, .Lfunc_end94-_ZN2at6native32elementwise_kernel_manual_unrollILi128ELi4EZNS0_22gpu_kernel_impl_nocastIZZZNS0_21polygamma_kernel_cudaERNS_18TensorIteratorBaseElENKUlvE_clEvENKUlvE0_clEvEUlfE_EEvS4_RKT_EUlibE_EEviT1_
                                        ; -- End function
	.set _ZN2at6native32elementwise_kernel_manual_unrollILi128ELi4EZNS0_22gpu_kernel_impl_nocastIZZZNS0_21polygamma_kernel_cudaERNS_18TensorIteratorBaseElENKUlvE_clEvENKUlvE0_clEvEUlfE_EEvS4_RKT_EUlibE_EEviT1_.num_vgpr, max(31, .L_ZN2at6native6invokeIZZZNS0_21polygamma_kernel_cudaERNS_18TensorIteratorBaseElENKUlvE_clEvENKUlvE0_clEvEUlfE_j15function_traitsIS6_EEENT1_11result_typeERKT_PrKPcPKT0_i.num_vgpr)
	.set _ZN2at6native32elementwise_kernel_manual_unrollILi128ELi4EZNS0_22gpu_kernel_impl_nocastIZZZNS0_21polygamma_kernel_cudaERNS_18TensorIteratorBaseElENKUlvE_clEvENKUlvE0_clEvEUlfE_EEvS4_RKT_EUlibE_EEviT1_.num_agpr, max(0, .L_ZN2at6native6invokeIZZZNS0_21polygamma_kernel_cudaERNS_18TensorIteratorBaseElENKUlvE_clEvENKUlvE0_clEvEUlfE_j15function_traitsIS6_EEENT1_11result_typeERKT_PrKPcPKT0_i.num_agpr)
	.set _ZN2at6native32elementwise_kernel_manual_unrollILi128ELi4EZNS0_22gpu_kernel_impl_nocastIZZZNS0_21polygamma_kernel_cudaERNS_18TensorIteratorBaseElENKUlvE_clEvENKUlvE0_clEvEUlfE_EEvS4_RKT_EUlibE_EEviT1_.numbered_sgpr, max(73, .L_ZN2at6native6invokeIZZZNS0_21polygamma_kernel_cudaERNS_18TensorIteratorBaseElENKUlvE_clEvENKUlvE0_clEvEUlfE_j15function_traitsIS6_EEENT1_11result_typeERKT_PrKPcPKT0_i.numbered_sgpr)
	.set _ZN2at6native32elementwise_kernel_manual_unrollILi128ELi4EZNS0_22gpu_kernel_impl_nocastIZZZNS0_21polygamma_kernel_cudaERNS_18TensorIteratorBaseElENKUlvE_clEvENKUlvE0_clEvEUlfE_EEvS4_RKT_EUlibE_EEviT1_.num_named_barrier, max(0, .L_ZN2at6native6invokeIZZZNS0_21polygamma_kernel_cudaERNS_18TensorIteratorBaseElENKUlvE_clEvENKUlvE0_clEvEUlfE_j15function_traitsIS6_EEENT1_11result_typeERKT_PrKPcPKT0_i.num_named_barrier)
	.set _ZN2at6native32elementwise_kernel_manual_unrollILi128ELi4EZNS0_22gpu_kernel_impl_nocastIZZZNS0_21polygamma_kernel_cudaERNS_18TensorIteratorBaseElENKUlvE_clEvENKUlvE0_clEvEUlfE_EEvS4_RKT_EUlibE_EEviT1_.private_seg_size, 0+max(.L_ZN2at6native6invokeIZZZNS0_21polygamma_kernel_cudaERNS_18TensorIteratorBaseElENKUlvE_clEvENKUlvE0_clEvEUlfE_j15function_traitsIS6_EEENT1_11result_typeERKT_PrKPcPKT0_i.private_seg_size)
	.set _ZN2at6native32elementwise_kernel_manual_unrollILi128ELi4EZNS0_22gpu_kernel_impl_nocastIZZZNS0_21polygamma_kernel_cudaERNS_18TensorIteratorBaseElENKUlvE_clEvENKUlvE0_clEvEUlfE_EEvS4_RKT_EUlibE_EEviT1_.uses_vcc, or(1, .L_ZN2at6native6invokeIZZZNS0_21polygamma_kernel_cudaERNS_18TensorIteratorBaseElENKUlvE_clEvENKUlvE0_clEvEUlfE_j15function_traitsIS6_EEENT1_11result_typeERKT_PrKPcPKT0_i.uses_vcc)
	.set _ZN2at6native32elementwise_kernel_manual_unrollILi128ELi4EZNS0_22gpu_kernel_impl_nocastIZZZNS0_21polygamma_kernel_cudaERNS_18TensorIteratorBaseElENKUlvE_clEvENKUlvE0_clEvEUlfE_EEvS4_RKT_EUlibE_EEviT1_.uses_flat_scratch, or(0, .L_ZN2at6native6invokeIZZZNS0_21polygamma_kernel_cudaERNS_18TensorIteratorBaseElENKUlvE_clEvENKUlvE0_clEvEUlfE_j15function_traitsIS6_EEENT1_11result_typeERKT_PrKPcPKT0_i.uses_flat_scratch)
	.set _ZN2at6native32elementwise_kernel_manual_unrollILi128ELi4EZNS0_22gpu_kernel_impl_nocastIZZZNS0_21polygamma_kernel_cudaERNS_18TensorIteratorBaseElENKUlvE_clEvENKUlvE0_clEvEUlfE_EEvS4_RKT_EUlibE_EEviT1_.has_dyn_sized_stack, or(0, .L_ZN2at6native6invokeIZZZNS0_21polygamma_kernel_cudaERNS_18TensorIteratorBaseElENKUlvE_clEvENKUlvE0_clEvEUlfE_j15function_traitsIS6_EEENT1_11result_typeERKT_PrKPcPKT0_i.has_dyn_sized_stack)
	.set _ZN2at6native32elementwise_kernel_manual_unrollILi128ELi4EZNS0_22gpu_kernel_impl_nocastIZZZNS0_21polygamma_kernel_cudaERNS_18TensorIteratorBaseElENKUlvE_clEvENKUlvE0_clEvEUlfE_EEvS4_RKT_EUlibE_EEviT1_.has_recursion, or(0, .L_ZN2at6native6invokeIZZZNS0_21polygamma_kernel_cudaERNS_18TensorIteratorBaseElENKUlvE_clEvENKUlvE0_clEvEUlfE_j15function_traitsIS6_EEENT1_11result_typeERKT_PrKPcPKT0_i.has_recursion)
	.set _ZN2at6native32elementwise_kernel_manual_unrollILi128ELi4EZNS0_22gpu_kernel_impl_nocastIZZZNS0_21polygamma_kernel_cudaERNS_18TensorIteratorBaseElENKUlvE_clEvENKUlvE0_clEvEUlfE_EEvS4_RKT_EUlibE_EEviT1_.has_indirect_call, or(0, .L_ZN2at6native6invokeIZZZNS0_21polygamma_kernel_cudaERNS_18TensorIteratorBaseElENKUlvE_clEvENKUlvE0_clEvEUlfE_j15function_traitsIS6_EEENT1_11result_typeERKT_PrKPcPKT0_i.has_indirect_call)
	.section	.AMDGPU.csdata,"",@progbits
; Kernel info:
; codeLenInByte = 5896
; TotalNumSgprs: 77
; NumVgprs: 31
; ScratchSize: 0
; MemoryBound: 0
; FloatMode: 240
; IeeeMode: 1
; LDSByteSize: 0 bytes/workgroup (compile time only)
; SGPRBlocks: 9
; VGPRBlocks: 7
; NumSGPRsForWavesPerEU: 77
; NumVGPRsForWavesPerEU: 31
; Occupancy: 8
; WaveLimiterHint : 1
; COMPUTE_PGM_RSRC2:SCRATCH_EN: 0
; COMPUTE_PGM_RSRC2:USER_SGPR: 6
; COMPUTE_PGM_RSRC2:TRAP_HANDLER: 0
; COMPUTE_PGM_RSRC2:TGID_X_EN: 1
; COMPUTE_PGM_RSRC2:TGID_Y_EN: 0
; COMPUTE_PGM_RSRC2:TGID_Z_EN: 0
; COMPUTE_PGM_RSRC2:TIDIG_COMP_CNT: 0
	.text
	.p2align	2                               ; -- Begin function _ZN2at6native6invokeIZZZNS0_21polygamma_kernel_cudaERNS_18TensorIteratorBaseElENKUlvE_clEvENKUlvE0_clEvEUlfE_i15function_traitsIS6_EEENT1_11result_typeERKT_PrKPcPKT0_PKN3c1010ScalarTypeEi
	.type	_ZN2at6native6invokeIZZZNS0_21polygamma_kernel_cudaERNS_18TensorIteratorBaseElENKUlvE_clEvENKUlvE0_clEvEUlfE_i15function_traitsIS6_EEENT1_11result_typeERKT_PrKPcPKT0_PKN3c1010ScalarTypeEi,@function
_ZN2at6native6invokeIZZZNS0_21polygamma_kernel_cudaERNS_18TensorIteratorBaseElENKUlvE_clEvENKUlvE0_clEvEUlfE_i15function_traitsIS6_EEENT1_11result_typeERKT_PrKPcPKT0_PKN3c1010ScalarTypeEi: ; @_ZN2at6native6invokeIZZZNS0_21polygamma_kernel_cudaERNS_18TensorIteratorBaseElENKUlvE_clEvENKUlvE0_clEvEUlfE_i15function_traitsIS6_EEENT1_11result_typeERKT_PrKPcPKT0_PKN3c1010ScalarTypeEi
; %bb.0:
	s_waitcnt vmcnt(0) expcnt(0) lgkmcnt(0)
	v_mul_lo_u32 v1, v6, v4
	s_mov_b64 s[6:7], 0
	v_ashrrev_i32_e32 v4, 31, v1
	v_add_co_u32_e32 v1, vcc, v2, v1
	v_addc_co_u32_e32 v2, vcc, v3, v4, vcc
	v_mov_b32_e32 v3, 10
	v_cmp_gt_i16_sdwa s[4:5], v5, v3 src0_sel:BYTE_0 src1_sel:DWORD
                                        ; implicit-def: $vgpr3
	s_and_saveexec_b64 s[8:9], s[4:5]
	s_xor_b64 s[4:5], exec, s[8:9]
	s_cbranch_execnz .LBB95_4
; %bb.1:
	s_andn2_saveexec_b64 s[4:5], s[4:5]
	s_cbranch_execnz .LBB95_10
.LBB95_2:
	s_or_b64 exec, exec, s[4:5]
                                        ; implicit-def: $vgpr1
	s_and_saveexec_b64 s[10:11], s[6:7]
	s_cbranch_execnz .LBB95_51
.LBB95_3:
	s_or_b64 exec, exec, s[10:11]
	v_mov_b32_e32 v0, v1
	s_waitcnt vmcnt(0) lgkmcnt(0)
	s_setpc_b64 s[30:31]
.LBB95_4:
	v_mov_b32_e32 v3, 25
	v_cmp_gt_i16_sdwa s[10:11], v5, v3 src0_sel:BYTE_0 src1_sel:DWORD
	s_mov_b64 s[12:13], 0
	s_mov_b64 s[8:9], 0
                                        ; implicit-def: $vgpr3
	s_and_saveexec_b64 s[14:15], s[10:11]
	s_xor_b64 s[10:11], exec, s[14:15]
	s_cbranch_execnz .LBB95_96
; %bb.5:
	s_andn2_saveexec_b64 s[10:11], s[10:11]
	s_cbranch_execnz .LBB95_127
.LBB95_6:
	s_or_b64 exec, exec, s[10:11]
	s_and_saveexec_b64 s[10:11], s[12:13]
	s_cbranch_execnz .LBB95_150
.LBB95_7:
	s_or_b64 exec, exec, s[10:11]
	s_and_saveexec_b64 s[10:11], s[6:7]
	s_xor_b64 s[6:7], exec, s[10:11]
	s_cbranch_execz .LBB95_9
.LBB95_8:
	flat_load_ubyte v1, v[1:2]
	s_or_b64 s[8:9], s[8:9], exec
	s_waitcnt vmcnt(0) lgkmcnt(0)
	v_cmp_ne_u16_e32 vcc, 0, v1
	v_cndmask_b32_e64 v3, 0, 1.0, vcc
.LBB95_9:
	s_or_b64 exec, exec, s[6:7]
	s_and_b64 s[6:7], s[8:9], exec
                                        ; implicit-def: $vgpr5
                                        ; implicit-def: $vgpr1_vgpr2
	s_andn2_saveexec_b64 s[4:5], s[4:5]
	s_cbranch_execz .LBB95_2
.LBB95_10:
	v_mov_b32_e32 v3, 4
	v_cmp_gt_i16_sdwa s[8:9], v5, v3 src0_sel:BYTE_0 src1_sel:DWORD
                                        ; implicit-def: $vgpr3
	s_and_saveexec_b64 s[10:11], s[8:9]
	s_xor_b64 s[8:9], exec, s[10:11]
	s_cbranch_execz .LBB95_32
; %bb.11:
	v_mov_b32_e32 v3, 7
	v_cmp_gt_i16_sdwa s[10:11], v5, v3 src0_sel:BYTE_0 src1_sel:DWORD
                                        ; implicit-def: $vgpr3
	s_and_saveexec_b64 s[12:13], s[10:11]
	s_xor_b64 s[10:11], exec, s[12:13]
	s_cbranch_execz .LBB95_21
; %bb.12:
	;; [unrolled: 7-line block ×4, first 2 shown]
	flat_load_dwordx2 v[1:2], v[1:2]
	s_waitcnt vmcnt(0) lgkmcnt(0)
	v_cvt_f32_f64_e32 v3, v[1:2]
                                        ; implicit-def: $vgpr1_vgpr2
.LBB95_15:
	s_andn2_saveexec_b64 s[14:15], s[14:15]
	s_cbranch_execz .LBB95_17
; %bb.16:
	flat_load_dword v3, v[1:2]
.LBB95_17:
	s_or_b64 exec, exec, s[14:15]
                                        ; implicit-def: $vgpr1_vgpr2
.LBB95_18:
	s_andn2_saveexec_b64 s[12:13], s[12:13]
	s_cbranch_execz .LBB95_20
; %bb.19:
	flat_load_dword v1, v[1:2]
	s_waitcnt vmcnt(0) lgkmcnt(0)
	v_cvt_f32_f16_e32 v3, v1
.LBB95_20:
	s_or_b64 exec, exec, s[12:13]
                                        ; implicit-def: $vgpr1_vgpr2
                                        ; implicit-def: $vgpr5
.LBB95_21:
	s_andn2_saveexec_b64 s[10:11], s[10:11]
	s_cbranch_execz .LBB95_31
; %bb.22:
	s_waitcnt vmcnt(0) lgkmcnt(0)
	v_mov_b32_e32 v3, 5
	v_cmp_gt_i16_sdwa s[12:13], v5, v3 src0_sel:BYTE_0 src1_sel:DWORD
                                        ; implicit-def: $vgpr3
	s_and_saveexec_b64 s[14:15], s[12:13]
	s_xor_b64 s[12:13], exec, s[14:15]
	s_cbranch_execz .LBB95_28
; %bb.23:
	v_mov_b32_e32 v3, 6
	v_cmp_gt_i16_sdwa s[14:15], v5, v3 src0_sel:BYTE_0 src1_sel:DWORD
                                        ; implicit-def: $vgpr3
	s_and_saveexec_b64 s[16:17], s[14:15]
	s_xor_b64 s[14:15], exec, s[16:17]
	s_cbranch_execz .LBB95_25
; %bb.24:
	flat_load_dwordx2 v[1:2], v[1:2]
	s_waitcnt vmcnt(0) lgkmcnt(0)
	v_cvt_f32_f64_e32 v3, v[1:2]
                                        ; implicit-def: $vgpr1_vgpr2
.LBB95_25:
	s_andn2_saveexec_b64 s[14:15], s[14:15]
	s_cbranch_execz .LBB95_27
; %bb.26:
	flat_load_dword v3, v[1:2]
.LBB95_27:
	s_or_b64 exec, exec, s[14:15]
                                        ; implicit-def: $vgpr1_vgpr2
.LBB95_28:
	s_andn2_saveexec_b64 s[12:13], s[12:13]
	s_cbranch_execz .LBB95_30
; %bb.29:
	flat_load_ushort v1, v[1:2]
	s_waitcnt vmcnt(0) lgkmcnt(0)
	v_cvt_f32_f16_e32 v3, v1
.LBB95_30:
	s_or_b64 exec, exec, s[12:13]
.LBB95_31:
	s_or_b64 exec, exec, s[10:11]
                                        ; implicit-def: $vgpr5
                                        ; implicit-def: $vgpr1_vgpr2
.LBB95_32:
	s_andn2_saveexec_b64 s[8:9], s[8:9]
	s_cbranch_execz .LBB95_50
; %bb.33:
	s_waitcnt vmcnt(0) lgkmcnt(0)
	v_mov_b32_e32 v3, 1
	v_cmp_gt_i16_sdwa s[10:11], v5, v3 src0_sel:BYTE_0 src1_sel:DWORD
                                        ; implicit-def: $vgpr3
	s_and_saveexec_b64 s[12:13], s[10:11]
	s_xor_b64 s[10:11], exec, s[12:13]
	s_cbranch_execz .LBB95_43
; %bb.34:
	v_mov_b32_e32 v3, 2
	v_cmp_gt_i16_sdwa s[12:13], v5, v3 src0_sel:BYTE_0 src1_sel:DWORD
                                        ; implicit-def: $vgpr3
	s_and_saveexec_b64 s[14:15], s[12:13]
	s_xor_b64 s[12:13], exec, s[14:15]
	s_cbranch_execz .LBB95_40
; %bb.35:
	;; [unrolled: 7-line block ×3, first 2 shown]
	flat_load_dwordx2 v[1:2], v[1:2]
	s_waitcnt vmcnt(0) lgkmcnt(0)
	v_xor_b32_e32 v4, v1, v2
	v_ffbh_i32_e32 v3, v2
	v_ashrrev_i32_e32 v4, 31, v4
	v_add_u32_e32 v3, -1, v3
	v_add_u32_e32 v4, 32, v4
	v_min_u32_e32 v3, v3, v4
	v_lshlrev_b64 v[1:2], v3, v[1:2]
	v_min_u32_e32 v1, 1, v1
	v_or_b32_e32 v1, v2, v1
	v_cvt_f32_i32_e32 v1, v1
	v_sub_u32_e32 v2, 32, v3
	v_ldexp_f32 v3, v1, v2
                                        ; implicit-def: $vgpr1_vgpr2
.LBB95_37:
	s_andn2_saveexec_b64 s[14:15], s[14:15]
	s_cbranch_execz .LBB95_39
; %bb.38:
	flat_load_dword v1, v[1:2]
	s_waitcnt vmcnt(0) lgkmcnt(0)
	v_cvt_f32_i32_e32 v3, v1
.LBB95_39:
	s_or_b64 exec, exec, s[14:15]
                                        ; implicit-def: $vgpr1_vgpr2
.LBB95_40:
	s_andn2_saveexec_b64 s[12:13], s[12:13]
	s_cbranch_execz .LBB95_42
; %bb.41:
	flat_load_sshort v1, v[1:2]
	s_waitcnt vmcnt(0) lgkmcnt(0)
	v_cvt_f32_i32_e32 v3, v1
.LBB95_42:
	s_or_b64 exec, exec, s[12:13]
                                        ; implicit-def: $vgpr1_vgpr2
                                        ; implicit-def: $vgpr5
.LBB95_43:
	s_andn2_saveexec_b64 s[10:11], s[10:11]
	s_cbranch_execz .LBB95_49
; %bb.44:
	v_mov_b32_e32 v3, 0
	v_cmp_gt_i16_sdwa s[12:13], v5, v3 src0_sel:BYTE_0 src1_sel:DWORD
                                        ; implicit-def: $vgpr3
	s_and_saveexec_b64 s[14:15], s[12:13]
	s_xor_b64 s[12:13], exec, s[14:15]
	s_cbranch_execz .LBB95_46
; %bb.45:
	flat_load_sbyte v1, v[1:2]
	s_waitcnt vmcnt(0) lgkmcnt(0)
	v_cvt_f32_i32_e32 v3, v1
                                        ; implicit-def: $vgpr1_vgpr2
.LBB95_46:
	s_andn2_saveexec_b64 s[12:13], s[12:13]
	s_cbranch_execz .LBB95_48
; %bb.47:
	flat_load_ubyte v1, v[1:2]
	s_waitcnt vmcnt(0) lgkmcnt(0)
	v_cvt_f32_ubyte0_e32 v3, v1
.LBB95_48:
	s_or_b64 exec, exec, s[12:13]
.LBB95_49:
	s_or_b64 exec, exec, s[10:11]
.LBB95_50:
	s_or_b64 exec, exec, s[8:9]
	s_or_b64 s[6:7], s[6:7], exec
	s_or_b64 exec, exec, s[4:5]
                                        ; implicit-def: $vgpr1
	s_and_saveexec_b64 s[10:11], s[6:7]
	s_cbranch_execz .LBB95_3
.LBB95_51:
	v_cvt_f32_i32_e32 v1, v0
	s_mov_b32 s4, 0x3c800000
                                        ; implicit-def: $vgpr2
	v_add_f32_e32 v1, 1.0, v1
	v_and_b32_e32 v4, 0x7fffffff, v1
	v_cmp_nlt_f32_e64 s[4:5], |v1|, s4
	s_and_saveexec_b64 s[6:7], s[4:5]
	s_xor_b64 s[6:7], exec, s[6:7]
	s_cbranch_execz .LBB95_81
; %bb.52:
	v_cmp_nlt_f32_e64 s[4:5], |v1|, 2.0
                                        ; implicit-def: $vgpr2
	s_and_saveexec_b64 s[8:9], s[4:5]
	s_xor_b64 s[8:9], exec, s[8:9]
	s_cbranch_execz .LBB95_62
; %bb.53:
	s_mov_b32 s4, 0x41000000
	v_cmp_nlt_f32_e64 s[4:5], |v1|, s4
                                        ; implicit-def: $vgpr2
	s_and_saveexec_b64 s[12:13], s[4:5]
	s_xor_b64 s[12:13], exec, s[12:13]
	s_cbranch_execz .LBB95_59
; %bb.54:
	s_mov_b32 s4, 0x5c800000
	v_cmp_nlt_f32_e64 s[4:5], |v1|, s4
                                        ; implicit-def: $vgpr2
	s_and_saveexec_b64 s[14:15], s[4:5]
	s_xor_b64 s[14:15], exec, s[14:15]
	s_cbranch_execz .LBB95_56
; %bb.55:
	s_mov_b32 s4, 0x800000
	v_cmp_lt_f32_e64 vcc, |v1|, s4
	v_cndmask_b32_e64 v2, 0, 32, vcc
	v_ldexp_f32 v2, |v1|, v2
	v_log_f32_e32 v2, v2
	s_mov_b32 s4, 0x3f317217
	s_mov_b32 s5, 0x7f800000
	v_mul_f32_e32 v5, 0x3f317217, v2
	v_fma_f32 v6, v2, s4, -v5
	v_fmac_f32_e32 v6, 0x3377d1cf, v2
	v_add_f32_e32 v5, v5, v6
	v_cmp_lt_f32_e64 s[4:5], |v2|, s5
	v_cndmask_b32_e64 v2, v2, v5, s[4:5]
	v_mov_b32_e32 v5, 0x41b17218
	v_cndmask_b32_e32 v5, 0, v5, vcc
	v_sub_f32_e32 v2, v2, v5
	v_fma_f32 v2, |v1|, v2, -|v1|
.LBB95_56:
	s_andn2_saveexec_b64 s[14:15], s[14:15]
	s_cbranch_execz .LBB95_58
; %bb.57:
	v_rcp_f32_e64 v5, |v1|
	v_mov_b32_e32 v2, 0x3a5b3dd2
	v_mov_b32_e32 v6, 0xba1c065c
	;; [unrolled: 1-line block ×3, first 2 shown]
	v_mul_f32_e32 v8, v5, v5
	v_fmac_f32_e32 v2, 0xbad5c4e8, v8
	v_fmac_f32_e32 v6, v8, v2
	s_mov_b32 s4, 0x800000
	v_fmac_f32_e32 v7, v8, v6
	v_mov_b32_e32 v2, 0xbb360b61
	v_cmp_lt_f32_e64 vcc, |v1|, s4
	v_fmac_f32_e32 v2, v8, v7
	v_cndmask_b32_e64 v7, 0, 32, vcc
	v_ldexp_f32 v7, |v1|, v7
	v_log_f32_e32 v7, v7
	v_mov_b32_e32 v6, 0x3daaaaab
	v_fmac_f32_e32 v6, v8, v2
	v_mov_b32_e32 v2, 0x3ed67f1d
	v_fmac_f32_e32 v2, v5, v6
	s_mov_b32 s4, 0x3f317217
	v_mul_f32_e32 v6, 0x3f317217, v7
	v_fma_f32 v8, v7, s4, -v6
	v_fmac_f32_e32 v8, 0x3377d1cf, v7
	s_mov_b32 s4, 0x7f800000
	v_add_f32_e32 v6, v6, v8
	v_cmp_lt_f32_e64 s[4:5], |v7|, s4
	v_cndmask_b32_e64 v6, v7, v6, s[4:5]
	v_mov_b32_e32 v7, 0x41b17218
	v_cndmask_b32_e32 v7, 0, v7, vcc
	v_sub_f32_e32 v6, v6, v7
	v_add_f32_e64 v5, |v1|, -0.5
	v_add_f32_e32 v6, -1.0, v6
	v_fmac_f32_e32 v2, v5, v6
.LBB95_58:
	s_or_b64 exec, exec, s[14:15]
.LBB95_59:
	s_andn2_saveexec_b64 s[12:13], s[12:13]
	s_cbranch_execz .LBB95_61
; %bb.60:
	v_cvt_i32_f32_e32 v2, v4
	v_mov_b32_e32 v5, 0x3af135b4
	v_mov_b32_e32 v6, 0x3cda40e4
	;; [unrolled: 1-line block ×3, first 2 shown]
	v_cvt_f32_i32_e32 v8, v2
	v_mov_b32_e32 v9, 0x3ea6cc7a
	v_mov_b32_e32 v10, 0x3e5c245a
	v_cmp_lt_i32_e32 vcc, 2, v2
	v_sub_f32_e64 v8, |v1|, v8
	v_fmac_f32_e32 v5, 0x3805ff67, v8
	v_fmac_f32_e32 v6, v8, v5
	;; [unrolled: 1-line block ×3, first 2 shown]
	v_mov_b32_e32 v6, 0x3a4beed6
	v_fmac_f32_e32 v9, v8, v7
	v_fmac_f32_e32 v6, 0x36f5d7bd, v8
	v_mov_b32_e32 v7, 0x3c98bf54
	v_fmac_f32_e32 v7, v8, v6
	v_mov_b32_e32 v6, 0x3e300f6e
	;; [unrolled: 2-line block ×4, first 2 shown]
	v_fmac_f32_e32 v6, v8, v7
	v_add_f32_e32 v7, 2.0, v8
	v_mov_b32_e32 v11, 0xbd9e233f
	v_fmac_f32_e32 v10, v8, v9
	v_add_f32_e32 v9, 0x40400000, v8
	v_cndmask_b32_e32 v7, 1.0, v7, vcc
	v_cmp_lt_i32_e32 vcc, 3, v2
	v_fmac_f32_e32 v11, v8, v10
	v_add_f32_e32 v10, 4.0, v8
	v_cndmask_b32_e32 v9, 1.0, v9, vcc
	v_cmp_lt_i32_e32 vcc, 4, v2
	v_mul_f32_e32 v5, v8, v11
	v_add_f32_e32 v11, 0x40a00000, v8
	v_mul_f32_e32 v7, v7, v9
	v_cndmask_b32_e32 v9, 1.0, v10, vcc
	v_cmp_lt_i32_e32 vcc, 5, v2
	v_add_f32_e32 v12, 0x40c00000, v8
	v_mul_f32_e32 v7, v9, v7
	v_cndmask_b32_e32 v9, 1.0, v11, vcc
	v_cmp_lt_i32_e32 vcc, 6, v2
	v_mul_f32_e32 v7, v9, v7
	v_cndmask_b32_e32 v2, 1.0, v12, vcc
	v_mul_f32_e32 v2, v2, v7
	s_mov_b32 s4, 0x800000
	v_cmp_gt_f32_e32 vcc, s4, v2
	v_cndmask_b32_e64 v7, 0, 32, vcc
	v_fma_f32 v6, v8, v6, 1.0
	v_ldexp_f32 v2, v2, v7
	v_rcp_f32_e32 v6, v6
	v_log_f32_e32 v2, v2
	s_mov_b32 s4, 0x3f317217
	v_mul_f32_e32 v5, v5, v6
	v_mul_f32_e32 v6, 0x3f317217, v2
	v_fma_f32 v7, v2, s4, -v6
	v_fmac_f32_e32 v7, 0x3377d1cf, v2
	s_mov_b32 s4, 0x7f800000
	v_add_f32_e32 v6, v6, v7
	v_cmp_lt_f32_e64 s[4:5], |v2|, s4
	v_cndmask_b32_e64 v2, v2, v6, s[4:5]
	v_mov_b32_e32 v6, 0x41b17218
	v_cndmask_b32_e32 v6, 0, v6, vcc
	v_fmac_f32_e32 v5, 0.5, v8
	v_sub_f32_e32 v2, v2, v6
	v_add_f32_e32 v2, v2, v5
.LBB95_61:
	s_or_b64 exec, exec, s[12:13]
.LBB95_62:
	s_andn2_saveexec_b64 s[8:9], s[8:9]
	s_cbranch_execz .LBB95_80
; %bb.63:
	s_mov_b32 s4, 0x3f666666
	v_cmp_le_f32_e64 s[4:5], |v1|, s4
                                        ; implicit-def: $vgpr2
                                        ; implicit-def: $vgpr6
                                        ; implicit-def: $vgpr5
	s_and_saveexec_b64 s[12:13], s[4:5]
	s_xor_b64 s[12:13], exec, s[12:13]
	s_cbranch_execz .LBB95_65
; %bb.64:
	s_mov_b32 s4, 0x800000
	v_cmp_lt_f32_e64 vcc, |v1|, s4
	v_cndmask_b32_e64 v2, 0, 32, vcc
	v_ldexp_f32 v2, |v1|, v2
	v_log_f32_e32 v2, v2
	s_mov_b32 s4, 0x3f317217
	s_mov_b32 s5, 0x7f800000
	v_mul_f32_e32 v5, 0x3f317217, v2
	v_fma_f32 v6, v2, s4, -v5
	v_fmac_f32_e32 v6, 0x3377d1cf, v2
	v_add_f32_e32 v5, v5, v6
	v_cmp_lt_f32_e64 s[4:5], |v2|, s5
	v_cndmask_b32_e64 v2, v2, v5, s[4:5]
	v_mov_b32_e32 v5, 0x41b17218
	v_cndmask_b32_e32 v5, 0, v5, vcc
	s_mov_b32 s4, 0x3f3b4a23
	s_mov_b32 s5, 0xbeec5b0c
	v_sub_f32_e32 v2, v2, v5
	v_sub_f32_e64 v5, 1.0, |v1|
	v_add_f32_e64 v6, |v1|, s5
	v_cmp_lt_f32_e64 vcc, |v1|, s4
	s_mov_b32 s4, 0x3e6d3309
	v_cndmask_b32_e32 v5, v5, v6, vcc
	v_cndmask_b32_e64 v6, 0, 1, vcc
	v_cmp_lt_f32_e64 s[4:5], |v1|, s4
	v_xor_b32_e32 v2, 0x80000000, v2
	v_cndmask_b32_e64 v5, v5, |v1|, s[4:5]
	v_cndmask_b32_e64 v6, v6, 2, s[4:5]
.LBB95_65:
	s_andn2_saveexec_b64 s[4:5], s[12:13]
	s_cbranch_execz .LBB95_67
; %bb.66:
	s_mov_b32 s12, 0x3fdda512
	s_mov_b32 s13, 0xbfbb16c3
	v_sub_f32_e64 v2, 2.0, |v1|
	v_add_f32_e64 v5, |v1|, s13
	v_cmp_lt_f32_e64 vcc, |v1|, s12
	v_cndmask_b32_e32 v5, v2, v5, vcc
	v_cndmask_b32_e64 v2, v2, 1.0, vcc
	v_cvt_i32_f32_e32 v2, v2
	s_mov_b32 s12, 0x3f9d70a4
	v_add_f32_e64 v6, |v1|, -1.0
	v_cmp_lt_f32_e64 vcc, |v1|, s12
	v_cndmask_b32_e32 v5, v5, v6, vcc
	v_cndmask_b32_e64 v6, v2, 2, vcc
	v_mov_b32_e32 v2, 0
.LBB95_67:
	s_or_b64 exec, exec, s[4:5]
	v_cmp_lt_i32_e32 vcc, 0, v6
	s_and_saveexec_b64 s[4:5], vcc
	s_xor_b64 s[4:5], exec, s[4:5]
	s_cbranch_execz .LBB95_75
; %bb.68:
	v_cmp_lt_i32_e32 vcc, 1, v6
	s_and_saveexec_b64 s[12:13], vcc
	s_xor_b64 s[12:13], exec, s[12:13]
	s_cbranch_execz .LBB95_72
; %bb.69:
	v_cmp_eq_u32_e32 vcc, 2, v6
	s_and_saveexec_b64 s[14:15], vcc
	s_cbranch_execz .LBB95_71
; %bb.70:
	v_mov_b32_e32 v6, 0x3e6a7578
	v_fmac_f32_e32 v6, 0x3c5b3c5e, v5
	v_mov_b32_e32 v7, 0x3f7a4bb2
	v_fmac_f32_e32 v7, v5, v6
	;; [unrolled: 2-line block ×8, first 2 shown]
	v_fma_f32 v6, v5, v8, 1.0
	v_rcp_f32_e32 v6, v6
	v_mov_b32_e32 v8, 0xbd9e233f
	v_fmac_f32_e32 v8, v5, v7
	v_mul_f32_e32 v7, v5, v8
	v_mul_f32_e32 v6, v7, v6
	v_fmac_f32_e32 v6, -0.5, v5
	v_add_f32_e32 v2, v2, v6
.LBB95_71:
	s_or_b64 exec, exec, s[14:15]
                                        ; implicit-def: $vgpr5
.LBB95_72:
	s_andn2_saveexec_b64 s[12:13], s[12:13]
	s_cbranch_execz .LBB95_74
; %bb.73:
	v_mul_f32_e32 v6, v5, v5
	v_mul_f32_e32 v7, v5, v6
	v_mov_b32_e32 v8, 0xbab7f476
	v_fmac_f32_e32 v8, 0x39a57b6b, v7
	v_mov_b32_e32 v9, 0x3bc7e707
	v_fmac_f32_e32 v9, v7, v8
	;; [unrolled: 2-line block ×12, first 2 shown]
	v_fmac_f32_e32 v10, v5, v11
	s_mov_b32 s14, 0xa2863e55
	v_fma_f32 v5, v7, -v10, s14
	v_fma_f32 v5, v6, v9, -v5
	v_add_f32_e32 v5, 0xbdf8cdce, v5
	v_add_f32_e32 v2, v2, v5
.LBB95_74:
	s_or_b64 exec, exec, s[12:13]
                                        ; implicit-def: $vgpr6
                                        ; implicit-def: $vgpr5
.LBB95_75:
	s_andn2_saveexec_b64 s[4:5], s[4:5]
	s_cbranch_execz .LBB95_79
; %bb.76:
	v_cmp_eq_u32_e32 vcc, 0, v6
	s_and_saveexec_b64 s[12:13], vcc
	s_cbranch_execz .LBB95_78
; %bb.77:
	v_mul_f32_e32 v6, v5, v5
	v_mov_b32_e32 v7, 0x39679767
	v_fmac_f32_e32 v7, 0x37d383a2, v6
	v_mov_b32_e32 v8, 0x3a9c54a1
	v_fmac_f32_e32 v8, v6, v7
	;; [unrolled: 2-line block ×10, first 2 shown]
	v_mul_f32_e32 v6, v6, v8
	v_fmac_f32_e32 v6, v5, v7
	v_fmac_f32_e32 v6, -0.5, v5
	v_add_f32_e32 v2, v2, v6
.LBB95_78:
	s_or_b64 exec, exec, s[12:13]
.LBB95_79:
	s_or_b64 exec, exec, s[4:5]
.LBB95_80:
	s_or_b64 exec, exec, s[8:9]
.LBB95_81:
	s_andn2_saveexec_b64 s[6:7], s[6:7]
	s_cbranch_execz .LBB95_83
; %bb.82:
	s_mov_b32 s4, 0x3e8a8991
	v_mov_b32_e32 v2, 0xbecd26ab
	v_fma_f32 v2, |v1|, s4, v2
	s_mov_b32 s4, 0x3f528d33
	v_fma_f32 v2, |v1|, v2, s4
	s_mov_b32 s4, 0x800000
	v_cmp_lt_f32_e64 vcc, |v1|, s4
	v_cndmask_b32_e64 v5, 0, 32, vcc
	v_ldexp_f32 v5, |v1|, v5
	v_log_f32_e32 v5, v5
	s_mov_b32 s4, 0xbf13c468
	v_fma_f32 v2, |v1|, v2, s4
	s_mov_b32 s4, 0x3f317217
	v_mul_f32_e32 v6, 0x3f317217, v5
	v_fma_f32 v7, v5, s4, -v6
	v_fmac_f32_e32 v7, 0x3377d1cf, v5
	s_mov_b32 s4, 0x7f800000
	v_add_f32_e32 v6, v6, v7
	v_cmp_lt_f32_e64 s[4:5], |v5|, s4
	v_cndmask_b32_e64 v5, v5, v6, s[4:5]
	v_mov_b32_e32 v6, 0x41b17218
	v_cndmask_b32_e32 v6, 0, v6, vcc
	v_sub_f32_e32 v5, v5, v6
	v_fma_f32 v2, |v1|, v2, -v5
.LBB95_83:
	s_or_b64 exec, exec, s[6:7]
	v_cmp_le_f32_e64 s[4:5], 0, v1
	v_cmp_nle_f32_e32 vcc, 0, v1
	s_and_saveexec_b64 s[6:7], vcc
	s_xor_b64 s[8:9], exec, s[6:7]
	s_cbranch_execz .LBB95_87
; %bb.84:
	s_mov_b32 s6, 0x4b000000
	s_mov_b32 s12, 0x35000000
	v_cmp_lt_f32_e64 s[6:7], |v1|, s6
	v_cmp_gt_f32_e64 s[12:13], |v1|, s12
	s_and_b64 s[6:7], s[6:7], s[12:13]
	s_and_saveexec_b64 s[12:13], s[6:7]
	s_cbranch_execz .LBB95_86
; %bb.85:
	v_mul_f32_e64 v5, |v1|, 0.5
	v_fract_f32_e32 v6, v5
	s_mov_b32 s14, 0x7f800000
	v_add_f32_e32 v6, v6, v6
	v_cmp_neq_f32_e32 vcc, s14, v5
	v_cndmask_b32_e32 v5, 0, v6, vcc
	v_cmp_gt_f32_e64 s[6:7], |v1|, 1.0
	v_cndmask_b32_e64 v5, |v1|, v5, s[6:7]
	v_add_f32_e32 v6, v5, v5
	v_rndne_f32_e32 v6, v6
	v_fmac_f32_e32 v5, -0.5, v6
	v_mul_f32_e32 v7, v5, v5
	v_mov_b32_e32 v8, 0xbf1f24be
	v_fmac_f32_e32 v8, 0x3e75aa41, v7
	v_mov_b32_e32 v9, 0x40234736
	v_fmac_f32_e32 v9, v7, v8
	;; [unrolled: 2-line block ×3, first 2 shown]
	v_mul_f32_e32 v9, v5, v7
	v_mul_f32_e32 v8, v9, v8
	v_fmac_f32_e32 v8, 0x40490fdb, v5
	v_mov_b32_e32 v5, 0x3e642e9d
	v_cvt_i32_f32_e32 v6, v6
	v_fmac_f32_e32 v5, 0x3d4be544, v7
	v_mov_b32_e32 v9, 0xbfaad1da
	v_fmac_f32_e32 v9, v7, v5
	v_mov_b32_e32 v5, 0x4081e0d3
	;; [unrolled: 2-line block ×3, first 2 shown]
	v_fmac_f32_e32 v9, v7, v5
	v_fma_f32 v5, v7, v9, 1.0
	v_and_b32_e32 v7, 1, v6
	v_lshlrev_b32_e32 v6, 30, v6
	v_cmp_eq_u32_e32 vcc, 0, v7
	v_and_b32_e32 v6, 0x80000000, v6
	v_xor_b32_e32 v4, v4, v1
	v_cndmask_b32_e32 v5, v5, v8, vcc
	v_xor_b32_e32 v4, v4, v6
	v_xor_b32_e32 v4, v4, v5
	v_mul_f32_e32 v4, v1, v4
	v_frexp_mant_f32_e64 v5, |v4|
	v_rcp_f32_e32 v5, v5
	v_frexp_exp_i32_f32_e32 v4, v4
	v_sub_u32_e32 v4, 2, v4
	s_mov_b32 s6, 0x800000
	v_mul_f32_e32 v5, 0x3f490fdb, v5
	v_ldexp_f32 v4, v5, v4
	v_cmp_gt_f32_e32 vcc, s6, v4
	v_cndmask_b32_e64 v5, 0, 32, vcc
	v_ldexp_f32 v4, v4, v5
	v_log_f32_e32 v4, v4
	s_mov_b32 s6, 0x3f317217
	v_mul_f32_e32 v5, 0x3f317217, v4
	v_fma_f32 v6, v4, s6, -v5
	v_fmac_f32_e32 v6, 0x3377d1cf, v4
	v_add_f32_e32 v5, v5, v6
	v_cmp_lt_f32_e64 s[6:7], |v4|, s14
	v_cndmask_b32_e64 v4, v4, v5, s[6:7]
	v_mov_b32_e32 v5, 0x41b17218
	v_cndmask_b32_e32 v5, 0, v5, vcc
	v_sub_f32_e32 v4, v4, v5
	v_sub_f32_e32 v2, v4, v2
	v_fract_f32_e32 v4, v1
	v_mov_b32_e32 v5, 0x7f800000
	v_cmp_neq_f32_e32 vcc, 0, v4
	v_cndmask_b32_e32 v2, v5, v2, vcc
.LBB95_86:
	s_or_b64 exec, exec, s[12:13]
.LBB95_87:
	s_andn2_saveexec_b64 s[8:9], s[8:9]
; %bb.88:
	v_cmp_eq_f32_e32 vcc, 1.0, v1
	v_cmp_eq_f32_e64 s[6:7], 2.0, v1
	s_or_b64 s[6:7], vcc, s[6:7]
	v_cndmask_b32_e64 v2, v2, 0, s[6:7]
; %bb.89:
	s_or_b64 exec, exec, s[8:9]
	v_cmp_ne_u32_e32 vcc, 0, v0
	v_mov_b32_e32 v4, 0x7f800000
	v_mov_b32_e32 v6, 0x7f800000
	s_and_saveexec_b64 s[12:13], vcc
	s_cbranch_execz .LBB95_166
; %bb.90:
	v_cmp_lt_i32_e32 vcc, -1, v0
	v_mov_b32_e32 v6, 0x7fc00000
	s_and_saveexec_b64 s[14:15], vcc
	s_cbranch_execz .LBB95_165
; %bb.91:
	s_waitcnt vmcnt(0) lgkmcnt(0)
	v_floor_f32_e32 v5, v3
	v_cmp_nge_f32_e32 vcc, 0, v3
	v_cmp_neq_f32_e64 s[6:7], v3, v5
	s_mov_b32 s26, 0
	s_or_b64 s[6:7], vcc, s[6:7]
	v_mov_b32_e32 v6, 0x7f800000
	s_and_saveexec_b64 s[16:17], s[6:7]
	s_cbranch_execz .LBB95_164
; %bb.92:
	v_add_u32_e32 v5, 1, v0
	v_cvt_f32_i32_e32 v5, v5
	v_frexp_mant_f32_e64 v7, |v3|
	s_mov_b32 s27, 0x3f2aaaab
	v_cmp_neq_f32_e32 vcc, 1.0, v3
	v_cndmask_b32_e64 v6, 1.0, -v5, vcc
	v_cmp_gt_f32_e32 vcc, s27, v7
	v_cndmask_b32_e64 v8, 1.0, 2.0, vcc
	v_mul_f32_e32 v7, v7, v8
	v_add_f32_e32 v8, 1.0, v7
	v_rcp_f32_e32 v9, v8
	v_add_f32_e32 v10, -1.0, v7
	v_add_f32_e32 v11, -1.0, v8
	v_sub_f32_e32 v7, v7, v11
	v_mul_f32_e32 v11, v10, v9
	v_mul_f32_e32 v12, v8, v11
	v_fma_f32 v8, v11, v8, -v12
	v_fmac_f32_e32 v8, v11, v7
	v_add_f32_e32 v7, v12, v8
	v_sub_f32_e32 v13, v10, v7
	v_sub_f32_e32 v12, v7, v12
	;; [unrolled: 1-line block ×5, first 2 shown]
	v_add_f32_e32 v7, v8, v7
	v_add_f32_e32 v7, v13, v7
	v_mul_f32_e32 v7, v9, v7
	v_add_f32_e32 v10, v11, v7
	v_sub_f32_e32 v8, v10, v11
	v_sub_f32_e32 v11, v7, v8
	v_mul_f32_e32 v8, v10, v10
	v_fma_f32 v9, v10, v10, -v8
	v_add_f32_e32 v7, v11, v11
	v_fmac_f32_e32 v9, v10, v7
	v_add_f32_e32 v12, v8, v9
	v_sub_f32_e32 v8, v12, v8
	v_sub_f32_e32 v8, v9, v8
	v_mul_f32_e32 v9, v10, v12
	v_fma_f32 v14, v12, v10, -v9
	v_fmac_f32_e32 v14, v12, v11
	v_mov_b32_e32 v13, 0x3e91f4c4
	v_fmac_f32_e32 v14, v8, v10
	v_fmac_f32_e32 v13, 0x3e76c4e1, v12
	v_mov_b32_e32 v7, 0x3ecccdef
	v_add_f32_e32 v15, v9, v14
	v_fma_f32 v13, v12, v13, v7
	v_sub_f32_e32 v9, v15, v9
	v_sub_f32_e32 v14, v14, v9
	v_mul_f32_e32 v9, v12, v13
	v_fma_f32 v12, v12, v13, -v9
	v_fmac_f32_e32 v12, v8, v13
	v_add_f32_e32 v13, v9, v12
	v_sub_f32_e32 v8, v13, v9
	v_sub_f32_e32 v12, v12, v8
	v_cvt_f64_f32_e64 v[8:9], |v3|
	v_add_f32_e32 v16, 0x3f2aaaaa, v13
	v_add_f32_e32 v17, 0xbf2aaaaa, v16
	;; [unrolled: 1-line block ×3, first 2 shown]
	v_frexp_exp_i32_f64_e32 v8, v[8:9]
	v_sub_f32_e32 v13, v13, v17
	v_add_f32_e32 v9, v12, v13
	v_add_f32_e32 v12, v16, v9
	v_sub_f32_e32 v13, v16, v12
	v_add_f32_e32 v9, v9, v13
	v_mul_f32_e32 v13, v15, v12
	v_fma_f32 v16, v15, v12, -v13
	v_subbrev_co_u32_e32 v8, vcc, 0, v8, vcc
	v_cvt_f32_i32_e32 v8, v8
	v_fmac_f32_e32 v16, v15, v9
	s_mov_b32 s28, 0x3f317218
	v_fmac_f32_e32 v16, v14, v12
	v_mul_f32_e32 v9, 0x3f317218, v8
	v_fma_f32 v12, v8, s28, -v9
	v_fmac_f32_e32 v12, 0xb102e308, v8
	v_ldexp_f32 v8, v11, 1
	v_add_f32_e32 v11, v9, v12
	v_sub_f32_e32 v9, v11, v9
	v_ldexp_f32 v10, v10, 1
	v_sub_f32_e32 v9, v12, v9
	v_add_f32_e32 v12, v13, v16
	v_sub_f32_e32 v13, v12, v13
	v_add_f32_e32 v14, v10, v12
	v_sub_f32_e32 v13, v16, v13
	v_sub_f32_e32 v10, v14, v10
	;; [unrolled: 1-line block ×3, first 2 shown]
	v_add_f32_e32 v8, v8, v13
	v_add_f32_e32 v8, v8, v10
	;; [unrolled: 1-line block ×3, first 2 shown]
	v_sub_f32_e32 v12, v10, v14
	v_sub_f32_e32 v8, v8, v12
	v_add_f32_e32 v12, v11, v10
	v_sub_f32_e32 v13, v12, v11
	v_sub_f32_e32 v14, v12, v13
	v_sub_f32_e32 v11, v11, v14
	v_sub_f32_e32 v10, v10, v13
	v_add_f32_e32 v10, v10, v11
	v_add_f32_e32 v11, v9, v8
	v_sub_f32_e32 v13, v11, v9
	v_sub_f32_e32 v14, v11, v13
	;; [unrolled: 1-line block ×4, first 2 shown]
	v_add_f32_e32 v8, v8, v9
	v_add_f32_e32 v9, v11, v10
	;; [unrolled: 1-line block ×3, first 2 shown]
	v_sub_f32_e32 v11, v10, v12
	v_sub_f32_e32 v9, v9, v11
	v_add_f32_e32 v8, v8, v9
	v_add_f32_e32 v9, v10, v8
	v_sub_f32_e32 v10, v9, v10
	v_sub_f32_e32 v8, v8, v10
	v_mul_f32_e32 v10, v6, v9
	v_fma_f32 v9, v6, v9, -v10
	v_fmac_f32_e32 v9, v6, v8
	s_movk_i32 s29, 0x204
	v_add_f32_e32 v8, v10, v9
	v_cmp_class_f32_e64 vcc, v10, s29
	v_sub_f32_e32 v11, v8, v10
	v_cndmask_b32_e32 v10, v8, v10, vcc
	s_mov_b32 s41, 0x42b17218
	v_mov_b32_e32 v8, 0x37000000
	v_cmp_eq_f32_e32 vcc, s41, v10
	v_sub_f32_e32 v9, v9, v11
	v_cndmask_b32_e32 v11, 0, v8, vcc
	v_sub_f32_e32 v12, v10, v11
	s_mov_b32 s42, 0x3fb8aa3b
	v_mul_f32_e32 v13, 0x3fb8aa3b, v12
	v_fma_f32 v14, v12, s42, -v13
	v_rndne_f32_e32 v15, v13
	v_fmac_f32_e32 v14, 0x32a5705f, v12
	v_sub_f32_e32 v13, v13, v15
	v_add_f32_e32 v13, v13, v14
	v_exp_f32_e32 v13, v13
	v_cvt_i32_f32_e32 v14, v15
	s_mov_b32 s40, 0x7f800000
	v_cmp_neq_f32_e64 vcc, |v10|, s40
	v_cndmask_b32_e32 v9, 0, v9, vcc
	s_mov_b32 s43, 0xc2ce8ed0
	v_add_f32_e32 v10, v11, v9
	v_ldexp_f32 v9, v13, v14
	v_cmp_ngt_f32_e32 vcc, s43, v12
	v_cndmask_b32_e32 v11, 0, v9, vcc
	v_mov_b32_e32 v9, 0x7f800000
	v_cmp_nlt_f32_e32 vcc, s41, v12
	v_cndmask_b32_e32 v11, v9, v11, vcc
	v_fma_f32 v10, v11, v10, v11
	v_cmp_class_f32_e64 vcc, v11, s29
	v_trunc_f32_e32 v12, v6
	v_cndmask_b32_e32 v11, v10, v11, vcc
	v_cmp_eq_f32_e32 vcc, v12, v6
	v_mul_f32_e32 v12, 0.5, v6
	v_trunc_f32_e32 v13, v12
	v_cmp_neq_f32_e64 s[6:7], v13, v12
	s_and_b64 s[6:7], vcc, s[6:7]
	v_cndmask_b32_e64 v12, 1.0, v3, s[6:7]
	s_brev_b32 s44, -2
	v_mov_b32_e32 v10, 0x7fc00000
	v_bfi_b32 v11, s44, v11, v12
	v_cndmask_b32_e32 v12, v10, v11, vcc
	v_cmp_gt_f32_e32 vcc, 0, v3
	v_cndmask_b32_e32 v11, v11, v12, vcc
	v_cmp_eq_f32_e32 vcc, 0, v3
	v_cmp_gt_f32_e64 s[8:9], 0, v6
	s_xor_b64 s[8:9], vcc, s[8:9]
	v_cmp_class_f32_e64 s[18:19], v3, s29
	v_cndmask_b32_e64 v6, v9, 0, s[8:9]
	v_cndmask_b32_e64 v12, 0, v3, s[6:7]
	v_bfi_b32 v6, s44, v6, v12
	s_or_b64 vcc, vcc, s[18:19]
	v_cndmask_b32_e32 v6, v11, v6, vcc
	v_cmp_o_f32_e32 vcc, v3, v3
	v_cndmask_b32_e32 v6, v10, v6, vcc
	s_mov_b64 s[18:19], 0
	s_mov_b32 s45, 0x41100000
                                        ; implicit-def: $sgpr20_sgpr21
                                        ; implicit-def: $sgpr24_sgpr25
                                        ; implicit-def: $sgpr22_sgpr23
	s_branch .LBB95_94
.LBB95_93:                              ;   in Loop: Header=BB95_94 Depth=1
	s_or_b64 exec, exec, s[6:7]
	s_and_b64 s[6:7], exec, s[24:25]
	s_or_b64 s[18:19], s[6:7], s[18:19]
	s_andn2_b64 s[6:7], s[20:21], exec
	s_and_b64 s[8:9], s[22:23], exec
	s_or_b64 s[20:21], s[6:7], s[8:9]
	s_andn2_b64 exec, exec, s[18:19]
	s_cbranch_execz .LBB95_151
.LBB95_94:                              ; =>This Inner Loop Header: Depth=1
	v_add_f32_e32 v3, 1.0, v3
	v_cmp_neq_f32_e32 vcc, 1.0, v3
	v_frexp_mant_f32_e64 v12, |v3|
	v_cndmask_b32_e64 v11, 1.0, -v5, vcc
	v_cmp_gt_f32_e32 vcc, s27, v12
	v_cndmask_b32_e64 v13, 1.0, 2.0, vcc
	v_mul_f32_e32 v12, v12, v13
	v_add_f32_e32 v13, 1.0, v12
	v_rcp_f32_e32 v14, v13
	v_add_f32_e32 v15, -1.0, v12
	v_add_f32_e32 v16, -1.0, v13
	v_sub_f32_e32 v12, v12, v16
	v_mul_f32_e32 v16, v15, v14
	v_mul_f32_e32 v17, v13, v16
	v_fma_f32 v13, v16, v13, -v17
	v_fmac_f32_e32 v13, v16, v12
	v_add_f32_e32 v12, v17, v13
	v_sub_f32_e32 v18, v15, v12
	v_sub_f32_e32 v17, v12, v17
	;; [unrolled: 1-line block ×5, first 2 shown]
	v_add_f32_e32 v12, v13, v12
	v_add_f32_e32 v12, v18, v12
	v_mul_f32_e32 v12, v14, v12
	v_add_f32_e32 v14, v16, v12
	v_sub_f32_e32 v13, v14, v16
	v_sub_f32_e32 v15, v12, v13
	v_mul_f32_e32 v12, v14, v14
	v_fma_f32 v13, v14, v14, -v12
	v_add_f32_e32 v16, v15, v15
	v_fmac_f32_e32 v13, v14, v16
	v_add_f32_e32 v16, v12, v13
	v_sub_f32_e32 v12, v16, v12
	v_sub_f32_e32 v12, v13, v12
	v_mul_f32_e32 v13, v14, v16
	v_fma_f32 v18, v16, v14, -v13
	v_fmac_f32_e32 v18, v16, v15
	v_mov_b32_e32 v17, 0x3e91f4c4
	v_fmac_f32_e32 v18, v12, v14
	v_fmac_f32_e32 v17, 0x3e76c4e1, v16
	v_add_f32_e32 v19, v13, v18
	v_fma_f32 v17, v16, v17, v7
	v_sub_f32_e32 v13, v19, v13
	v_sub_f32_e32 v18, v18, v13
	v_mul_f32_e32 v13, v16, v17
	v_fma_f32 v16, v16, v17, -v13
	v_fmac_f32_e32 v16, v12, v17
	v_add_f32_e32 v17, v13, v16
	v_sub_f32_e32 v21, v17, v13
	v_cvt_f64_f32_e64 v[12:13], |v3|
	v_add_f32_e32 v20, 0x3f2aaaaa, v17
	v_sub_f32_e32 v16, v16, v21
	v_add_f32_e32 v21, 0xbf2aaaaa, v20
	v_frexp_exp_i32_f64_e32 v12, v[12:13]
	v_add_f32_e32 v16, 0x31739010, v16
	v_sub_f32_e32 v13, v17, v21
	v_add_f32_e32 v13, v16, v13
	v_add_f32_e32 v16, v20, v13
	v_sub_f32_e32 v17, v20, v16
	v_add_f32_e32 v13, v13, v17
	v_mul_f32_e32 v17, v19, v16
	v_subbrev_co_u32_e32 v12, vcc, 0, v12, vcc
	v_cvt_f32_i32_e32 v12, v12
	v_fma_f32 v20, v19, v16, -v17
	v_fmac_f32_e32 v20, v19, v13
	v_fmac_f32_e32 v20, v18, v16
	v_mul_f32_e32 v13, 0x3f317218, v12
	v_fma_f32 v16, v12, s28, -v13
	v_fmac_f32_e32 v16, 0xb102e308, v12
	v_ldexp_f32 v12, v15, 1
	v_add_f32_e32 v15, v13, v16
	v_sub_f32_e32 v13, v15, v13
	v_ldexp_f32 v14, v14, 1
	v_sub_f32_e32 v13, v16, v13
	v_add_f32_e32 v16, v17, v20
	v_sub_f32_e32 v17, v16, v17
	v_add_f32_e32 v18, v14, v16
	v_sub_f32_e32 v17, v20, v17
	v_sub_f32_e32 v14, v18, v14
	;; [unrolled: 1-line block ×3, first 2 shown]
	v_add_f32_e32 v12, v12, v17
	v_add_f32_e32 v12, v12, v14
	;; [unrolled: 1-line block ×3, first 2 shown]
	v_sub_f32_e32 v16, v14, v18
	v_sub_f32_e32 v12, v12, v16
	v_add_f32_e32 v16, v15, v14
	v_sub_f32_e32 v17, v16, v15
	v_sub_f32_e32 v18, v16, v17
	;; [unrolled: 1-line block ×4, first 2 shown]
	v_add_f32_e32 v14, v14, v15
	v_add_f32_e32 v15, v13, v12
	v_sub_f32_e32 v17, v15, v13
	v_sub_f32_e32 v18, v15, v17
	;; [unrolled: 1-line block ×4, first 2 shown]
	v_add_f32_e32 v12, v12, v13
	v_add_f32_e32 v13, v15, v14
	;; [unrolled: 1-line block ×3, first 2 shown]
	v_sub_f32_e32 v15, v14, v16
	v_sub_f32_e32 v13, v13, v15
	v_add_f32_e32 v12, v12, v13
	v_add_f32_e32 v13, v14, v12
	v_sub_f32_e32 v14, v13, v14
	v_sub_f32_e32 v12, v12, v14
	v_mul_f32_e32 v14, v11, v13
	v_fma_f32 v13, v11, v13, -v14
	v_fmac_f32_e32 v13, v11, v12
	v_add_f32_e32 v12, v14, v13
	v_cmp_class_f32_e64 vcc, v14, s29
	v_sub_f32_e32 v15, v12, v14
	v_cndmask_b32_e32 v12, v12, v14, vcc
	v_cmp_eq_f32_e32 vcc, s41, v12
	v_cndmask_b32_e32 v14, 0, v8, vcc
	v_sub_f32_e32 v13, v13, v15
	v_sub_f32_e32 v15, v12, v14
	v_mul_f32_e32 v16, 0x3fb8aa3b, v15
	v_fma_f32 v17, v15, s42, -v16
	v_rndne_f32_e32 v18, v16
	v_fmac_f32_e32 v17, 0x32a5705f, v15
	v_sub_f32_e32 v16, v16, v18
	v_add_f32_e32 v16, v16, v17
	v_exp_f32_e32 v16, v16
	v_cvt_i32_f32_e32 v17, v18
	v_cmp_neq_f32_e64 vcc, |v12|, s40
	v_cndmask_b32_e32 v12, 0, v13, vcc
	v_cmp_ngt_f32_e32 vcc, s43, v15
	v_ldexp_f32 v13, v16, v17
	v_cndmask_b32_e32 v13, 0, v13, vcc
	v_cmp_nlt_f32_e32 vcc, s41, v15
	v_add_f32_e32 v12, v14, v12
	v_cndmask_b32_e32 v13, v9, v13, vcc
	v_fma_f32 v12, v13, v12, v13
	v_cmp_class_f32_e64 vcc, v13, s29
	v_cndmask_b32_e32 v12, v12, v13, vcc
	v_trunc_f32_e32 v13, v11
	v_cmp_eq_f32_e32 vcc, v13, v11
	v_mul_f32_e32 v13, 0.5, v11
	v_trunc_f32_e32 v14, v13
	v_cmp_neq_f32_e64 s[6:7], v14, v13
	s_and_b64 s[6:7], vcc, s[6:7]
	v_cndmask_b32_e64 v13, 1.0, v3, s[6:7]
	v_bfi_b32 v12, s44, v12, v13
	v_cndmask_b32_e32 v13, v10, v12, vcc
	v_cmp_gt_f32_e32 vcc, 0, v3
	v_cndmask_b32_e32 v12, v12, v13, vcc
	v_cmp_eq_f32_e32 vcc, 0, v3
	v_cmp_gt_f32_e64 s[8:9], 0, v11
	s_xor_b64 s[8:9], vcc, s[8:9]
	v_cmp_class_f32_e64 s[46:47], v3, s29
	v_cndmask_b32_e64 v11, v9, 0, s[8:9]
	v_cndmask_b32_e64 v13, 0, v3, s[6:7]
	v_bfi_b32 v11, s44, v11, v13
	s_or_b64 vcc, vcc, s[46:47]
	v_cndmask_b32_e32 v11, v12, v11, vcc
	v_cmp_o_f32_e32 vcc, v3, v3
	v_cndmask_b32_e32 v11, v10, v11, vcc
	v_add_f32_e32 v6, v6, v11
	v_mul_f32_e32 v12, 0xa5000000, v6
	v_cmp_nlt_f32_e32 vcc, v12, v11
	v_mul_f32_e32 v12, 0x25000000, v6
	v_cmp_nlt_f32_e64 s[6:7], v11, v12
	s_or_b64 s[8:9], vcc, s[6:7]
	s_or_b64 s[22:23], s[22:23], exec
	s_or_b64 s[24:25], s[24:25], exec
	s_and_saveexec_b64 s[6:7], s[8:9]
	s_cbranch_execz .LBB95_93
; %bb.95:                               ;   in Loop: Header=BB95_94 Depth=1
	s_add_i32 s46, s26, 1
	s_cmp_gt_u32 s26, 7
	s_cselect_b64 s[8:9], -1, 0
	v_cmp_nge_f32_e32 vcc, s45, v3
	s_and_b64 s[8:9], s[8:9], vcc
	s_andn2_b64 s[24:25], s[24:25], exec
	s_and_b64 s[8:9], s[8:9], exec
	s_andn2_b64 s[22:23], s[22:23], exec
	s_or_b64 s[24:25], s[24:25], s[8:9]
	s_mov_b32 s26, s46
	s_branch .LBB95_93
.LBB95_96:
	v_mov_b32_e32 v3, 28
	v_cmp_gt_i16_sdwa s[8:9], v5, v3 src0_sel:BYTE_0 src1_sel:DWORD
	s_mov_b64 s[14:15], 0
                                        ; implicit-def: $vgpr3
	s_and_saveexec_b64 s[16:17], s[8:9]
	s_xor_b64 s[8:9], exec, s[16:17]
	s_cbranch_execz .LBB95_112
; %bb.97:
	v_mov_b32_e32 v3, 43
	v_cmp_gt_i16_sdwa s[12:13], v5, v3 src0_sel:BYTE_0 src1_sel:DWORD
	s_mov_b64 s[16:17], 0
	s_mov_b64 s[18:19], 0
                                        ; implicit-def: $vgpr3
	s_and_saveexec_b64 s[14:15], s[12:13]
	s_xor_b64 s[12:13], exec, s[14:15]
	s_cbranch_execz .LBB95_107
; %bb.98:
	v_mov_b32_e32 v3, 45
	v_cmp_gt_i16_sdwa s[18:19], v5, v3 src0_sel:BYTE_0 src1_sel:DWORD
	s_mov_b64 s[14:15], 0
                                        ; implicit-def: $vgpr3
	s_and_saveexec_b64 s[20:21], s[18:19]
	s_xor_b64 s[18:19], exec, s[20:21]
	s_cbranch_execz .LBB95_102
; %bb.99:
	v_mov_b32_e32 v3, 46
	v_cmp_eq_u16_sdwa s[22:23], v5, v3 src0_sel:BYTE_0 src1_sel:DWORD
	s_mov_b64 s[20:21], -1
                                        ; implicit-def: $vgpr3
	s_and_saveexec_b64 s[16:17], s[22:23]
	s_cbranch_execz .LBB95_101
; %bb.100:
	flat_load_dword v3, v[1:2]
	s_mov_b64 s[14:15], exec
	s_xor_b64 s[20:21], exec, -1
	s_waitcnt vmcnt(0) lgkmcnt(0)
	v_lshlrev_b32_e32 v3, 16, v3
.LBB95_101:
	s_or_b64 exec, exec, s[16:17]
	s_and_b64 s[16:17], s[14:15], exec
	s_and_b64 s[14:15], s[20:21], exec
                                        ; implicit-def: $vgpr5
.LBB95_102:
	s_andn2_saveexec_b64 s[18:19], s[18:19]
	s_cbranch_execz .LBB95_106
; %bb.103:
	v_mov_b32_e32 v3, 44
	v_cmp_eq_u16_sdwa s[26:27], v5, v3 src0_sel:BYTE_0 src1_sel:DWORD
	s_mov_b64 s[24:25], -1
	s_mov_b64 s[22:23], s[16:17]
                                        ; implicit-def: $vgpr3
	s_and_saveexec_b64 s[20:21], s[26:27]
	s_cbranch_execz .LBB95_105
; %bb.104:
	flat_load_ubyte v3, v[1:2]
	s_movk_i32 s24, 0xff
	v_mov_b32_e32 v4, 0x7f800001
	v_mov_b32_e32 v5, 0x400000
	s_or_b64 s[22:23], s[16:17], exec
	s_waitcnt vmcnt(0) lgkmcnt(0)
	v_lshlrev_b32_e32 v6, 23, v3
	v_cmp_ne_u32_e32 vcc, s24, v3
	v_cndmask_b32_e32 v4, v4, v6, vcc
	v_cmp_ne_u32_e32 vcc, 0, v3
	v_cndmask_b32_e32 v3, v5, v4, vcc
	s_xor_b64 s[24:25], exec, -1
.LBB95_105:
	s_or_b64 exec, exec, s[20:21]
	s_andn2_b64 s[16:17], s[16:17], exec
	s_and_b64 s[20:21], s[22:23], exec
	s_or_b64 s[16:17], s[16:17], s[20:21]
	s_andn2_b64 s[14:15], s[14:15], exec
	s_and_b64 s[20:21], s[24:25], exec
	s_or_b64 s[14:15], s[14:15], s[20:21]
.LBB95_106:
	s_or_b64 exec, exec, s[18:19]
	s_and_b64 s[18:19], s[16:17], exec
	s_and_b64 s[16:17], s[14:15], exec
                                        ; implicit-def: $vgpr5
.LBB95_107:
	s_andn2_saveexec_b64 s[12:13], s[12:13]
	s_cbranch_execz .LBB95_111
; %bb.108:
	v_mov_b32_e32 v3, 29
	v_cmp_eq_u16_sdwa s[24:25], v5, v3 src0_sel:BYTE_0 src1_sel:DWORD
	s_mov_b64 s[20:21], -1
	s_mov_b64 s[22:23], s[18:19]
                                        ; implicit-def: $vgpr3
	s_and_saveexec_b64 s[14:15], s[24:25]
	s_cbranch_execz .LBB95_110
; %bb.109:
	flat_load_dwordx2 v[3:4], v[1:2]
	s_or_b64 s[22:23], s[18:19], exec
	s_xor_b64 s[20:21], exec, -1
	s_waitcnt vmcnt(0) lgkmcnt(0)
	v_ffbh_u32_e32 v5, v4
	v_min_u32_e32 v5, 32, v5
	v_lshlrev_b64 v[3:4], v5, v[3:4]
	v_min_u32_e32 v3, 1, v3
	v_or_b32_e32 v3, v4, v3
	v_cvt_f32_u32_e32 v3, v3
	v_sub_u32_e32 v4, 32, v5
	v_ldexp_f32 v3, v3, v4
.LBB95_110:
	s_or_b64 exec, exec, s[14:15]
	s_andn2_b64 s[14:15], s[18:19], exec
	s_and_b64 s[18:19], s[22:23], exec
	s_or_b64 s[18:19], s[14:15], s[18:19]
	s_andn2_b64 s[14:15], s[16:17], exec
	s_and_b64 s[16:17], s[20:21], exec
	s_or_b64 s[16:17], s[14:15], s[16:17]
.LBB95_111:
	s_or_b64 exec, exec, s[12:13]
	s_and_b64 s[14:15], s[18:19], exec
	s_and_b64 s[12:13], s[16:17], exec
                                        ; implicit-def: $vgpr5
.LBB95_112:
	s_andn2_saveexec_b64 s[8:9], s[8:9]
	s_cbranch_execz .LBB95_126
; %bb.113:
	v_mov_b32_e32 v3, 26
	v_cmp_gt_i16_sdwa s[16:17], v5, v3 src0_sel:BYTE_0 src1_sel:DWORD
                                        ; implicit-def: $vgpr3
	s_and_saveexec_b64 s[18:19], s[16:17]
	s_xor_b64 s[16:17], exec, s[18:19]
	s_cbranch_execz .LBB95_119
; %bb.114:
	v_mov_b32_e32 v3, 27
	v_cmp_gt_i16_sdwa s[18:19], v5, v3 src0_sel:BYTE_0 src1_sel:DWORD
                                        ; implicit-def: $vgpr3
	s_and_saveexec_b64 s[20:21], s[18:19]
	s_xor_b64 s[18:19], exec, s[20:21]
	s_cbranch_execz .LBB95_116
; %bb.115:
	flat_load_dword v3, v[1:2]
	s_waitcnt vmcnt(0) lgkmcnt(0)
	v_cvt_f32_u32_e32 v3, v3
.LBB95_116:
	s_andn2_saveexec_b64 s[18:19], s[18:19]
	s_cbranch_execz .LBB95_118
; %bb.117:
	flat_load_ushort v3, v[1:2]
	s_waitcnt vmcnt(0) lgkmcnt(0)
	v_cvt_f32_u32_e32 v3, v3
.LBB95_118:
	s_or_b64 exec, exec, s[18:19]
.LBB95_119:
	s_andn2_saveexec_b64 s[16:17], s[16:17]
	s_cbranch_execz .LBB95_125
; %bb.120:
	flat_load_ubyte v4, v[1:2]
	s_movk_i32 s18, 0x7f
	s_waitcnt vmcnt(0) lgkmcnt(0)
	v_cmp_lt_i16_e32 vcc, s18, v4
	s_mov_b64 s[18:19], 0
	s_and_saveexec_b64 s[20:21], vcc
	s_xor_b64 s[20:21], exec, s[20:21]
	s_cbranch_execnz .LBB95_158
; %bb.121:
	s_or_saveexec_b64 s[20:21], s[20:21]
	v_mov_b32_e32 v3, 0x7f800001
	s_xor_b64 exec, exec, s[20:21]
	s_cbranch_execnz .LBB95_161
.LBB95_122:
	s_or_b64 exec, exec, s[20:21]
	s_and_saveexec_b64 s[20:21], s[18:19]
	s_cbranch_execz .LBB95_124
.LBB95_123:
	v_lshlrev_b32_e32 v3, 24, v4
	v_and_b32_e32 v4, 0xffff, v4
	v_and_b32_e32 v5, 7, v4
	v_ffbh_u32_e32 v7, v5
	v_min_u32_e32 v7, 32, v7
	v_subrev_u32_e32 v8, 28, v7
	v_bfe_u32 v6, v4, 3, 4
	v_lshlrev_b32_e32 v4, v8, v4
	v_sub_u32_e32 v7, 29, v7
	v_and_b32_e32 v4, 7, v4
	v_cmp_eq_u32_e32 vcc, 0, v6
	v_cndmask_b32_e32 v6, v6, v7, vcc
	v_cndmask_b32_e32 v4, v5, v4, vcc
	v_mov_b32_e32 v5, 0x3b800000
	v_lshlrev_b32_e32 v4, 20, v4
	v_and_b32_e32 v3, 0x80000000, v3
	v_lshl_add_u32 v5, v6, 23, v5
	v_or3_b32 v3, v3, v5, v4
.LBB95_124:
	s_or_b64 exec, exec, s[20:21]
.LBB95_125:
	s_or_b64 exec, exec, s[16:17]
	s_or_b64 s[14:15], s[14:15], exec
.LBB95_126:
	s_or_b64 exec, exec, s[8:9]
	s_and_b64 s[8:9], s[14:15], exec
	s_and_b64 s[12:13], s[12:13], exec
                                        ; implicit-def: $vgpr5
	s_andn2_saveexec_b64 s[10:11], s[10:11]
	s_cbranch_execz .LBB95_6
.LBB95_127:
	v_mov_b32_e32 v3, 22
	v_cmp_gt_i16_sdwa s[6:7], v5, v3 src0_sel:BYTE_0 src1_sel:DWORD
	s_mov_b64 s[14:15], s[8:9]
                                        ; implicit-def: $vgpr3
	s_and_saveexec_b64 s[16:17], s[6:7]
	s_xor_b64 s[6:7], exec, s[16:17]
	s_cbranch_execz .LBB95_141
; %bb.128:
	v_mov_b32_e32 v3, 23
	v_cmp_gt_i16_sdwa s[14:15], v5, v3 src0_sel:BYTE_0 src1_sel:DWORD
                                        ; implicit-def: $vgpr3
	s_and_saveexec_b64 s[16:17], s[14:15]
	s_xor_b64 s[14:15], exec, s[16:17]
	s_cbranch_execz .LBB95_138
; %bb.129:
	v_mov_b32_e32 v3, 24
	v_cmp_gt_i16_sdwa s[16:17], v5, v3 src0_sel:BYTE_0 src1_sel:DWORD
                                        ; implicit-def: $vgpr3
	s_and_saveexec_b64 s[18:19], s[16:17]
	s_xor_b64 s[16:17], exec, s[18:19]
	s_cbranch_execz .LBB95_135
; %bb.130:
	flat_load_ubyte v4, v[1:2]
	s_movk_i32 s18, 0x7f
	s_waitcnt vmcnt(0) lgkmcnt(0)
	v_cmp_lt_i16_e32 vcc, s18, v4
	s_mov_b64 s[18:19], 0
	s_and_saveexec_b64 s[20:21], vcc
	s_xor_b64 s[20:21], exec, s[20:21]
	s_cbranch_execnz .LBB95_167
; %bb.131:
	s_or_saveexec_b64 s[20:21], s[20:21]
	v_mov_b32_e32 v3, 0x7f800001
	s_xor_b64 exec, exec, s[20:21]
	s_cbranch_execnz .LBB95_170
.LBB95_132:
	s_or_b64 exec, exec, s[20:21]
	s_and_saveexec_b64 s[20:21], s[18:19]
	s_cbranch_execz .LBB95_134
.LBB95_133:
	v_lshlrev_b32_e32 v3, 24, v4
	v_and_b32_e32 v4, 0xffff, v4
	v_and_b32_e32 v5, 3, v4
	v_ffbh_u32_e32 v7, v5
	v_min_u32_e32 v7, 32, v7
	v_subrev_u32_e32 v8, 29, v7
	v_bfe_u32 v6, v4, 2, 5
	v_lshlrev_b32_e32 v4, v8, v4
	v_sub_u32_e32 v7, 30, v7
	v_and_b32_e32 v4, 3, v4
	v_cmp_eq_u32_e32 vcc, 0, v6
	v_cndmask_b32_e32 v6, v6, v7, vcc
	v_cndmask_b32_e32 v4, v5, v4, vcc
	v_mov_b32_e32 v5, 0x37800000
	v_lshlrev_b32_e32 v4, 21, v4
	v_and_b32_e32 v3, 0x80000000, v3
	v_lshl_add_u32 v5, v6, 23, v5
	v_or3_b32 v3, v3, v5, v4
.LBB95_134:
	s_or_b64 exec, exec, s[20:21]
.LBB95_135:
	s_andn2_saveexec_b64 s[16:17], s[16:17]
	s_cbranch_execz .LBB95_137
; %bb.136:
	flat_load_ubyte v3, v[1:2]
	s_mov_b32 s18, 0x7f800000
	s_waitcnt vmcnt(0) lgkmcnt(0)
	v_lshlrev_b32_e32 v3, 24, v3
	v_and_b32_e32 v4, 0x7f000000, v3
	v_ffbh_u32_e32 v5, v4
	v_min_u32_e32 v5, 32, v5
	v_sub_u32_e64 v5, v5, 4 clamp
	v_lshlrev_b32_e32 v7, v5, v4
	v_lshlrev_b32_e32 v5, 23, v5
	v_lshrrev_b32_e32 v7, 4, v7
	v_add_u32_e32 v6, 0x1000000, v4
	v_sub_u32_e32 v5, v7, v5
	v_ashrrev_i32_e32 v6, 8, v6
	v_add_u32_e32 v5, 0x3c000000, v5
	v_and_or_b32 v5, v6, s18, v5
	v_cmp_ne_u32_e32 vcc, 0, v4
	v_cndmask_b32_e32 v4, 0, v5, vcc
	s_brev_b32 s18, 1
	v_and_or_b32 v3, v3, s18, v4
.LBB95_137:
	s_or_b64 exec, exec, s[16:17]
.LBB95_138:
	s_andn2_saveexec_b64 s[14:15], s[14:15]
	s_cbranch_execz .LBB95_140
; %bb.139:
	flat_load_ubyte v3, v[1:2]
	s_movk_i32 s16, 0x7f00
	s_brev_b32 s17, 16
	s_waitcnt vmcnt(0) lgkmcnt(0)
	v_lshlrev_b16_e32 v4, 8, v3
	v_lshlrev_b32_e32 v3, 25, v3
	v_lshrrev_b32_e32 v5, 4, v3
	v_and_or_b32 v6, v4, s16, 0.5
	v_or_b32_e32 v5, 0x70000000, v5
	v_add_f32_e32 v6, -0.5, v6
	v_mul_f32_e32 v5, 0x7800000, v5
	v_cmp_gt_u32_e32 vcc, s17, v3
	v_bfe_i32 v4, v4, 0, 16
	v_cndmask_b32_e32 v3, v5, v6, vcc
	s_brev_b32 s16, 1
	v_and_or_b32 v3, v4, s16, v3
.LBB95_140:
	s_or_b64 exec, exec, s[14:15]
	s_or_b64 s[14:15], s[8:9], exec
                                        ; implicit-def: $vgpr5
.LBB95_141:
	s_or_saveexec_b64 s[6:7], s[6:7]
	s_mov_b64 s[18:19], 0
	s_mov_b64 s[16:17], s[12:13]
	s_xor_b64 exec, exec, s[6:7]
	s_cbranch_execz .LBB95_149
; %bb.142:
	v_mov_b32_e32 v3, 14
	v_cmp_gt_i16_sdwa s[20:21], v5, v3 src0_sel:BYTE_0 src1_sel:DWORD
	s_mov_b64 s[16:17], s[12:13]
	s_mov_b64 s[18:19], s[14:15]
                                        ; implicit-def: $vgpr3
	s_and_saveexec_b64 s[22:23], s[20:21]
	s_xor_b64 s[20:21], exec, s[22:23]
	s_cbranch_execz .LBB95_146
; %bb.143:
	v_mov_b32_e32 v3, 15
	v_cmp_eq_u16_sdwa s[24:25], v5, v3 src0_sel:BYTE_0 src1_sel:DWORD
	s_mov_b64 s[16:17], -1
	s_mov_b64 s[18:19], s[14:15]
                                        ; implicit-def: $vgpr3
	s_and_saveexec_b64 s[22:23], s[24:25]
	s_cbranch_execz .LBB95_145
; %bb.144:
	flat_load_ushort v3, v[1:2]
	s_or_b64 s[18:19], s[14:15], exec
	s_xor_b64 s[16:17], exec, -1
	s_waitcnt vmcnt(0) lgkmcnt(0)
	v_lshlrev_b32_e32 v3, 16, v3
.LBB95_145:
	s_or_b64 exec, exec, s[22:23]
	s_andn2_b64 s[22:23], s[14:15], exec
	s_and_b64 s[18:19], s[18:19], exec
	s_or_b64 s[18:19], s[22:23], s[18:19]
	s_andn2_b64 s[22:23], s[12:13], exec
	s_and_b64 s[16:17], s[16:17], exec
	s_or_b64 s[16:17], s[22:23], s[16:17]
                                        ; implicit-def: $vgpr5
.LBB95_146:
	s_or_saveexec_b64 s[20:21], s[20:21]
	s_mov_b64 s[22:23], 0
	s_xor_b64 exec, exec, s[20:21]
; %bb.147:
	v_mov_b32_e32 v4, 11
	v_cmp_ne_u16_sdwa s[24:25], v5, v4 src0_sel:BYTE_0 src1_sel:DWORD
	s_andn2_b64 s[16:17], s[16:17], exec
	s_and_b64 s[24:25], s[24:25], exec
	s_mov_b64 s[22:23], exec
	s_or_b64 s[16:17], s[16:17], s[24:25]
; %bb.148:
	s_or_b64 exec, exec, s[20:21]
	s_andn2_b64 s[14:15], s[14:15], exec
	s_and_b64 s[18:19], s[18:19], exec
	s_andn2_b64 s[20:21], s[12:13], exec
	s_and_b64 s[16:17], s[16:17], exec
	s_or_b64 s[14:15], s[14:15], s[18:19]
	s_and_b64 s[18:19], s[22:23], exec
	s_or_b64 s[16:17], s[20:21], s[16:17]
.LBB95_149:
	s_or_b64 exec, exec, s[6:7]
	s_andn2_b64 s[6:7], s[8:9], exec
	s_and_b64 s[8:9], s[14:15], exec
	s_andn2_b64 s[12:13], s[12:13], exec
	s_and_b64 s[14:15], s[16:17], exec
	s_or_b64 s[8:9], s[6:7], s[8:9]
	s_and_b64 s[6:7], s[18:19], exec
	s_or_b64 s[12:13], s[12:13], s[14:15]
	s_or_b64 exec, exec, s[10:11]
	s_and_saveexec_b64 s[10:11], s[12:13]
	s_cbranch_execz .LBB95_7
.LBB95_150:
	s_trap 2
	; divergent unreachable
	s_andn2_b64 s[6:7], s[6:7], exec
	s_or_b64 exec, exec, s[10:11]
	s_and_saveexec_b64 s[10:11], s[6:7]
	s_xor_b64 s[6:7], exec, s[10:11]
	s_cbranch_execnz .LBB95_8
	s_branch .LBB95_9
.LBB95_151:
	s_or_b64 exec, exec, s[18:19]
	s_xor_b64 s[6:7], s[20:21], -1
	s_and_saveexec_b64 s[8:9], s[6:7]
	s_xor_b64 s[6:7], exec, s[8:9]
	s_cbranch_execz .LBB95_163
; %bb.152:
	v_mul_f32_e32 v9, v3, v11
	v_add_f32_e32 v10, -1.0, v5
	v_div_scale_f32 v7, s[8:9], v10, v10, v9
	v_div_scale_f32 v8, vcc, v9, v10, v9
	s_mov_b64 s[8:9], 0
	s_mov_b32 s28, 0x25000000
	s_mov_b64 s[20:21], 0
                                        ; implicit-def: $sgpr18_sgpr19
	v_rcp_f32_e32 v12, v7
	v_fma_f32 v13, -v7, v12, 1.0
	v_fmac_f32_e32 v12, v13, v12
	v_mul_f32_e32 v13, v8, v12
	v_fma_f32 v14, -v7, v13, v8
	v_fmac_f32_e32 v13, v14, v12
	v_fma_f32 v7, -v7, v13, v8
	v_div_fmas_f32 v12, v7, v12, v13
	v_mov_b32_e32 v8, 1.0
	v_mov_b32_e32 v7, 0
	v_div_fixup_f32 v9, v12, v10, v9
	v_add_f32_e32 v6, v6, v9
	v_fmac_f32_e32 v6, -0.5, v11
	s_branch .LBB95_155
.LBB95_153:                             ;   in Loop: Header=BB95_155 Depth=1
	s_or_b64 exec, exec, s[24:25]
	s_andn2_b64 s[18:19], s[18:19], exec
	s_and_b64 s[24:25], s[26:27], exec
	s_or_b64 s[18:19], s[18:19], s[24:25]
.LBB95_154:                             ;   in Loop: Header=BB95_155 Depth=1
	s_or_b64 exec, exec, s[22:23]
	s_and_b64 s[22:23], exec, s[18:19]
	s_or_b64 s[8:9], s[22:23], s[8:9]
	s_andn2_b64 exec, exec, s[8:9]
	s_cbranch_execz .LBB95_162
.LBB95_155:                             ; =>This Inner Loop Header: Depth=1
	v_div_scale_f32 v9, s[22:23], v3, v3, v11
	v_div_scale_f32 v10, vcc, v11, v3, v11
	s_getpc_b64 s[22:23]
	s_add_u32 s22, s22, _ZZ4zetaIfLb1EET_S0_S0_E1A@rel32@lo+4
	s_addc_u32 s23, s23, _ZZ4zetaIfLb1EET_S0_S0_E1A@rel32@hi+12
	s_add_u32 s22, s22, s20
	s_addc_u32 s23, s23, s21
	s_load_dword s24, s[22:23], 0x0
	s_or_b64 s[18:19], s[18:19], exec
	v_rcp_f32_e32 v12, v9
	v_fma_f32 v13, -v9, v12, 1.0
	v_fmac_f32_e32 v12, v13, v12
	v_mul_f32_e32 v13, v10, v12
	v_fma_f32 v14, -v9, v13, v10
	v_fmac_f32_e32 v13, v14, v12
	v_fma_f32 v9, -v9, v13, v10
	v_div_fmas_f32 v10, v9, v12, v13
	v_add_f32_e32 v9, v7, v5
	v_mul_f32_e32 v9, v8, v9
	v_div_fixup_f32 v10, v10, v3, v11
	v_mul_f32_e32 v8, v10, v9
	s_waitcnt lgkmcnt(0)
	v_div_scale_f32 v11, s[22:23], s24, s24, v8
	v_div_scale_f32 v12, vcc, v8, s24, v8
	v_rcp_f32_e32 v13, v11
	v_fma_f32 v14, -v11, v13, 1.0
	v_fmac_f32_e32 v13, v14, v13
	v_mul_f32_e32 v14, v12, v13
	v_fma_f32 v15, -v11, v14, v12
	v_fmac_f32_e32 v14, v15, v13
	v_fma_f32 v11, -v11, v14, v12
	v_div_fmas_f32 v11, v11, v13, v14
	v_div_fixup_f32 v8, v11, s24, v8
	v_add_f32_e32 v6, v6, v8
	v_div_scale_f32 v11, s[22:23], v6, v6, v8
	v_div_scale_f32 v12, vcc, v8, v6, v8
	v_rcp_f32_e32 v13, v11
	v_fma_f32 v14, -v11, v13, 1.0
	v_fmac_f32_e32 v13, v14, v13
	v_mul_f32_e32 v14, v12, v13
	v_fma_f32 v15, -v11, v14, v12
	v_fmac_f32_e32 v14, v15, v13
	v_fma_f32 v11, -v11, v14, v12
	v_div_fmas_f32 v11, v11, v13, v14
	v_div_fixup_f32 v8, v11, v6, v8
	v_cmp_nlt_f32_e64 s[24:25], |v8|, s28
                                        ; implicit-def: $vgpr11
                                        ; implicit-def: $vgpr8
	s_and_saveexec_b64 s[22:23], s[24:25]
	s_cbranch_execz .LBB95_154
; %bb.156:                              ;   in Loop: Header=BB95_155 Depth=1
	v_div_scale_f32 v8, s[24:25], v3, v3, v10
	v_div_scale_f32 v11, vcc, v10, v3, v10
	v_add_f32_e32 v7, 1.0, v7
	v_rcp_f32_e32 v12, v8
	v_fma_f32 v13, -v8, v12, 1.0
	v_fmac_f32_e32 v12, v13, v12
	v_mul_f32_e32 v13, v11, v12
	v_fma_f32 v14, -v8, v13, v11
	v_fmac_f32_e32 v13, v14, v12
	v_fma_f32 v8, -v8, v13, v11
	v_div_fmas_f32 v8, v8, v12, v13
	v_div_fixup_f32 v8, v8, v3, v10
	v_div_scale_f32 v10, s[24:25], v3, v3, v8
	v_div_scale_f32 v11, vcc, v8, v3, v8
	s_getpc_b64 s[24:25]
	s_add_u32 s24, s24, _ZZ4zetaIfLb1EET_S0_S0_E1A@rel32@lo+8
	s_addc_u32 s25, s25, _ZZ4zetaIfLb1EET_S0_S0_E1A@rel32@hi+16
	s_add_u32 s24, s24, s20
	s_addc_u32 s25, s25, s21
	s_load_dword s26, s[24:25], 0x0
	v_rcp_f32_e32 v12, v10
	v_fma_f32 v13, -v10, v12, 1.0
	v_fmac_f32_e32 v12, v13, v12
	v_mul_f32_e32 v13, v11, v12
	v_fma_f32 v14, -v10, v13, v11
	v_fmac_f32_e32 v13, v14, v12
	v_fma_f32 v10, -v10, v13, v11
	v_div_fmas_f32 v11, v10, v12, v13
	v_add_f32_e32 v12, v7, v5
	v_add_f32_e32 v10, 1.0, v7
	v_mul_f32_e32 v7, v12, v9
	v_add_f32_e32 v9, v10, v5
	v_mul_f32_e32 v12, v7, v9
	v_div_fixup_f32 v9, v11, v3, v8
	v_mul_f32_e32 v7, v9, v12
	s_waitcnt lgkmcnt(0)
	v_div_scale_f32 v8, s[24:25], s26, s26, v7
	v_div_scale_f32 v11, vcc, v7, s26, v7
	v_rcp_f32_e32 v13, v8
	v_fma_f32 v14, -v8, v13, 1.0
	v_fmac_f32_e32 v13, v14, v13
	v_mul_f32_e32 v14, v11, v13
	v_fma_f32 v15, -v8, v14, v11
	v_fmac_f32_e32 v14, v15, v13
	v_fma_f32 v8, -v8, v14, v11
	v_div_fmas_f32 v8, v8, v13, v14
	v_div_fixup_f32 v7, v8, s26, v7
	v_add_f32_e32 v6, v6, v7
	v_div_scale_f32 v8, s[24:25], v6, v6, v7
	v_div_scale_f32 v11, vcc, v7, v6, v7
	s_mov_b64 s[26:27], -1
	v_rcp_f32_e32 v13, v8
	v_fma_f32 v14, -v8, v13, 1.0
	v_fmac_f32_e32 v13, v14, v13
	v_mul_f32_e32 v14, v11, v13
	v_fma_f32 v15, -v8, v14, v11
	v_fmac_f32_e32 v14, v15, v13
	v_fma_f32 v8, -v8, v14, v11
	v_div_fmas_f32 v8, v8, v13, v14
                                        ; implicit-def: $vgpr11
	v_div_fixup_f32 v7, v8, v6, v7
	v_cmp_nlt_f32_e64 s[40:41], |v7|, s28
                                        ; implicit-def: $vgpr7
                                        ; implicit-def: $vgpr8
	s_and_saveexec_b64 s[24:25], s[40:41]
	s_cbranch_execz .LBB95_153
; %bb.157:                              ;   in Loop: Header=BB95_155 Depth=1
	v_div_scale_f32 v7, s[26:27], v3, v3, v9
	v_div_scale_f32 v8, vcc, v9, v3, v9
	s_add_u32 s20, s20, 8
	s_addc_u32 s21, s21, 0
	s_cmp_eq_u32 s20, 48
	s_cselect_b64 s[26:27], -1, 0
	s_orn2_b64 s[26:27], s[26:27], exec
	v_rcp_f32_e32 v11, v7
	v_fma_f32 v13, -v7, v11, 1.0
	v_fmac_f32_e32 v11, v13, v11
	v_mul_f32_e32 v13, v8, v11
	v_fma_f32 v14, -v7, v13, v8
	v_fmac_f32_e32 v13, v14, v11
	v_fma_f32 v7, -v7, v13, v8
	v_div_fmas_f32 v11, v7, v11, v13
	v_add_f32_e32 v7, 1.0, v10
	v_add_f32_e32 v8, v7, v5
	v_add_f32_e32 v7, 1.0, v7
	v_mul_f32_e32 v8, v8, v12
	v_div_fixup_f32 v11, v11, v3, v9
	s_branch .LBB95_153
.LBB95_158:
	s_movk_i32 s18, 0x80
	v_cmp_eq_u16_e32 vcc, s18, v4
	s_mov_b64 s[18:19], -1
	s_and_saveexec_b64 s[22:23], vcc
; %bb.159:
	s_xor_b64 s[18:19], exec, -1
; %bb.160:
	s_or_b64 exec, exec, s[22:23]
	s_and_b64 s[18:19], s[18:19], exec
	s_or_saveexec_b64 s[20:21], s[20:21]
	v_mov_b32_e32 v3, 0x7f800001
	s_xor_b64 exec, exec, s[20:21]
	s_cbranch_execz .LBB95_122
.LBB95_161:
	v_cmp_ne_u16_e32 vcc, 0, v4
	s_andn2_b64 s[18:19], s[18:19], exec
	s_and_b64 s[22:23], vcc, exec
	v_mov_b32_e32 v3, 0
	s_or_b64 s[18:19], s[18:19], s[22:23]
	s_or_b64 exec, exec, s[20:21]
	s_and_saveexec_b64 s[20:21], s[18:19]
	s_cbranch_execnz .LBB95_123
	s_branch .LBB95_124
.LBB95_162:
	s_or_b64 exec, exec, s[8:9]
.LBB95_163:
	s_or_b64 exec, exec, s[6:7]
.LBB95_164:
	s_or_b64 exec, exec, s[16:17]
.LBB95_165:
	s_or_b64 exec, exec, s[14:15]
.LBB95_166:
	s_or_b64 exec, exec, s[12:13]
	s_mov_b32 s6, 0x4b000000
	v_cmp_lt_f32_e64 s[6:7], |v1|, s6
	s_waitcnt vmcnt(0) lgkmcnt(0)
	v_mov_b32_e32 v3, 0x244
	s_or_b64 vcc, s[4:5], s[6:7]
	v_cndmask_b32_e32 v2, v4, v2, vcc
	v_cmp_class_f32_e32 vcc, v1, v3
	v_cndmask_b32_e32 v1, v2, v4, vcc
	s_mov_b32 s4, 0x3fb8aa3b
	v_mul_f32_e32 v2, 0x3fb8aa3b, v1
	v_fma_f32 v3, v1, s4, -v2
	v_rndne_f32_e32 v5, v2
	v_fmac_f32_e32 v3, 0x32a5705f, v1
	v_sub_f32_e32 v2, v2, v5
	v_add_f32_e32 v2, v2, v3
	v_exp_f32_e32 v2, v2
	v_cvt_i32_f32_e32 v3, v5
	s_mov_b32 s4, 0xc2ce8ed0
	v_cmp_ngt_f32_e32 vcc, s4, v1
	s_mov_b32 s4, 0x42b17218
	v_ldexp_f32 v2, v2, v3
	v_and_b32_e32 v0, 1, v0
	v_cndmask_b32_e32 v2, 0, v2, vcc
	v_cmp_nlt_f32_e32 vcc, s4, v1
	v_cndmask_b32_e32 v1, v4, v2, vcc
	v_cmp_eq_u32_e32 vcc, 0, v0
	v_cndmask_b32_e64 v0, v1, -v1, vcc
	v_mul_f32_e32 v1, v0, v6
	s_or_b64 exec, exec, s[10:11]
	v_mov_b32_e32 v0, v1
	s_setpc_b64 s[30:31]
.LBB95_167:
	s_movk_i32 s18, 0x80
	v_cmp_eq_u16_e32 vcc, s18, v4
	s_mov_b64 s[18:19], -1
	s_and_saveexec_b64 s[22:23], vcc
; %bb.168:
	s_xor_b64 s[18:19], exec, -1
; %bb.169:
	s_or_b64 exec, exec, s[22:23]
	s_and_b64 s[18:19], s[18:19], exec
	s_or_saveexec_b64 s[20:21], s[20:21]
	v_mov_b32_e32 v3, 0x7f800001
	s_xor_b64 exec, exec, s[20:21]
	s_cbranch_execz .LBB95_132
.LBB95_170:
	v_cmp_ne_u16_e32 vcc, 0, v4
	s_andn2_b64 s[18:19], s[18:19], exec
	s_and_b64 s[22:23], vcc, exec
	v_mov_b32_e32 v3, 0
	s_or_b64 s[18:19], s[18:19], s[22:23]
	s_or_b64 exec, exec, s[20:21]
	s_and_saveexec_b64 s[20:21], s[18:19]
	s_cbranch_execnz .LBB95_133
	s_branch .LBB95_134
.Lfunc_end95:
	.size	_ZN2at6native6invokeIZZZNS0_21polygamma_kernel_cudaERNS_18TensorIteratorBaseElENKUlvE_clEvENKUlvE0_clEvEUlfE_i15function_traitsIS6_EEENT1_11result_typeERKT_PrKPcPKT0_PKN3c1010ScalarTypeEi, .Lfunc_end95-_ZN2at6native6invokeIZZZNS0_21polygamma_kernel_cudaERNS_18TensorIteratorBaseElENKUlvE_clEvENKUlvE0_clEvEUlfE_i15function_traitsIS6_EEENT1_11result_typeERKT_PrKPcPKT0_PKN3c1010ScalarTypeEi
                                        ; -- End function
	.set .L_ZN2at6native6invokeIZZZNS0_21polygamma_kernel_cudaERNS_18TensorIteratorBaseElENKUlvE_clEvENKUlvE0_clEvEUlfE_i15function_traitsIS6_EEENT1_11result_typeERKT_PrKPcPKT0_PKN3c1010ScalarTypeEi.num_vgpr, 22
	.set .L_ZN2at6native6invokeIZZZNS0_21polygamma_kernel_cudaERNS_18TensorIteratorBaseElENKUlvE_clEvENKUlvE0_clEvEUlfE_i15function_traitsIS6_EEENT1_11result_typeERKT_PrKPcPKT0_PKN3c1010ScalarTypeEi.num_agpr, 0
	.set .L_ZN2at6native6invokeIZZZNS0_21polygamma_kernel_cudaERNS_18TensorIteratorBaseElENKUlvE_clEvENKUlvE0_clEvEUlfE_i15function_traitsIS6_EEENT1_11result_typeERKT_PrKPcPKT0_PKN3c1010ScalarTypeEi.numbered_sgpr, 48
	.set .L_ZN2at6native6invokeIZZZNS0_21polygamma_kernel_cudaERNS_18TensorIteratorBaseElENKUlvE_clEvENKUlvE0_clEvEUlfE_i15function_traitsIS6_EEENT1_11result_typeERKT_PrKPcPKT0_PKN3c1010ScalarTypeEi.num_named_barrier, 0
	.set .L_ZN2at6native6invokeIZZZNS0_21polygamma_kernel_cudaERNS_18TensorIteratorBaseElENKUlvE_clEvENKUlvE0_clEvEUlfE_i15function_traitsIS6_EEENT1_11result_typeERKT_PrKPcPKT0_PKN3c1010ScalarTypeEi.private_seg_size, 0
	.set .L_ZN2at6native6invokeIZZZNS0_21polygamma_kernel_cudaERNS_18TensorIteratorBaseElENKUlvE_clEvENKUlvE0_clEvEUlfE_i15function_traitsIS6_EEENT1_11result_typeERKT_PrKPcPKT0_PKN3c1010ScalarTypeEi.uses_vcc, 1
	.set .L_ZN2at6native6invokeIZZZNS0_21polygamma_kernel_cudaERNS_18TensorIteratorBaseElENKUlvE_clEvENKUlvE0_clEvEUlfE_i15function_traitsIS6_EEENT1_11result_typeERKT_PrKPcPKT0_PKN3c1010ScalarTypeEi.uses_flat_scratch, 0
	.set .L_ZN2at6native6invokeIZZZNS0_21polygamma_kernel_cudaERNS_18TensorIteratorBaseElENKUlvE_clEvENKUlvE0_clEvEUlfE_i15function_traitsIS6_EEENT1_11result_typeERKT_PrKPcPKT0_PKN3c1010ScalarTypeEi.has_dyn_sized_stack, 0
	.set .L_ZN2at6native6invokeIZZZNS0_21polygamma_kernel_cudaERNS_18TensorIteratorBaseElENKUlvE_clEvENKUlvE0_clEvEUlfE_i15function_traitsIS6_EEENT1_11result_typeERKT_PrKPcPKT0_PKN3c1010ScalarTypeEi.has_recursion, 0
	.set .L_ZN2at6native6invokeIZZZNS0_21polygamma_kernel_cudaERNS_18TensorIteratorBaseElENKUlvE_clEvENKUlvE0_clEvEUlfE_i15function_traitsIS6_EEENT1_11result_typeERKT_PrKPcPKT0_PKN3c1010ScalarTypeEi.has_indirect_call, 0
	.section	.AMDGPU.csdata,"",@progbits
; Function info:
; codeLenInByte = 7940
; TotalNumSgprs: 52
; NumVgprs: 22
; ScratchSize: 0
; MemoryBound: 1
	.section	.text._ZN2at6native32elementwise_kernel_manual_unrollILi128ELi4EZNS0_15gpu_kernel_implIZZZNS0_21polygamma_kernel_cudaERNS_18TensorIteratorBaseElENKUlvE_clEvENKUlvE0_clEvEUlfE_EEvS4_RKT_EUlibE_EEviT1_,"axG",@progbits,_ZN2at6native32elementwise_kernel_manual_unrollILi128ELi4EZNS0_15gpu_kernel_implIZZZNS0_21polygamma_kernel_cudaERNS_18TensorIteratorBaseElENKUlvE_clEvENKUlvE0_clEvEUlfE_EEvS4_RKT_EUlibE_EEviT1_,comdat
	.globl	_ZN2at6native32elementwise_kernel_manual_unrollILi128ELi4EZNS0_15gpu_kernel_implIZZZNS0_21polygamma_kernel_cudaERNS_18TensorIteratorBaseElENKUlvE_clEvENKUlvE0_clEvEUlfE_EEvS4_RKT_EUlibE_EEviT1_ ; -- Begin function _ZN2at6native32elementwise_kernel_manual_unrollILi128ELi4EZNS0_15gpu_kernel_implIZZZNS0_21polygamma_kernel_cudaERNS_18TensorIteratorBaseElENKUlvE_clEvENKUlvE0_clEvEUlfE_EEvS4_RKT_EUlibE_EEviT1_
	.p2align	8
	.type	_ZN2at6native32elementwise_kernel_manual_unrollILi128ELi4EZNS0_15gpu_kernel_implIZZZNS0_21polygamma_kernel_cudaERNS_18TensorIteratorBaseElENKUlvE_clEvENKUlvE0_clEvEUlfE_EEvS4_RKT_EUlibE_EEviT1_,@function
_ZN2at6native32elementwise_kernel_manual_unrollILi128ELi4EZNS0_15gpu_kernel_implIZZZNS0_21polygamma_kernel_cudaERNS_18TensorIteratorBaseElENKUlvE_clEvENKUlvE0_clEvEUlfE_EEvS4_RKT_EUlibE_EEviT1_: ; @_ZN2at6native32elementwise_kernel_manual_unrollILi128ELi4EZNS0_15gpu_kernel_implIZZZNS0_21polygamma_kernel_cudaERNS_18TensorIteratorBaseElENKUlvE_clEvENKUlvE0_clEvEUlfE_EEvS4_RKT_EUlibE_EEviT1_
; %bb.0:
	s_load_dword s33, s[4:5], 0x28
	s_load_dword s66, s[4:5], 0x0
	s_load_dwordx8 s[48:55], s[4:5], 0x8
	v_lshl_or_b32 v25, s6, 9, v0
	s_add_u32 s0, s0, s7
	v_or_b32_e32 v26, 0x180, v25
	s_addc_u32 s1, s1, 0
	s_waitcnt lgkmcnt(0)
	s_bfe_u32 s68, s33, 0x80008
	v_cmp_le_i32_e32 vcc, s66, v26
	s_mov_b64 s[34:35], 0
	s_mov_b64 s[38:39], 0
	s_mov_b32 s32, 0
	s_and_saveexec_b64 s[4:5], vcc
	s_xor_b64 s[36:37], exec, s[4:5]
	s_cbranch_execz .LBB96_508
; %bb.1:
	v_cmp_gt_i32_e32 vcc, s66, v25
	s_mov_b64 s[4:5], -1
	s_mov_b64 s[60:61], 0
	s_and_saveexec_b64 s[56:57], vcc
	s_cbranch_execz .LBB96_124
; %bb.2:
	s_getpc_b64 s[4:5]
	s_add_u32 s4, s4, _ZN2at6native6invokeIZZZNS0_21polygamma_kernel_cudaERNS_18TensorIteratorBaseElENKUlvE_clEvENKUlvE0_clEvEUlfE_i15function_traitsIS6_EEENT1_11result_typeERKT_PrKPcPKT0_PKN3c1010ScalarTypeEi@rel32@lo+4
	s_addc_u32 s5, s5, _ZN2at6native6invokeIZZZNS0_21polygamma_kernel_cudaERNS_18TensorIteratorBaseElENKUlvE_clEvENKUlvE0_clEvEUlfE_i15function_traitsIS6_EEENT1_11result_typeERKT_PrKPcPKT0_PKN3c1010ScalarTypeEi@rel32@hi+12
	v_mov_b32_e32 v0, s54
	v_mov_b32_e32 v1, s55
	v_mov_b32_e32 v2, s50
	v_mov_b32_e32 v3, s51
	v_mov_b32_e32 v4, s53
	v_mov_b32_e32 v5, s68
	v_mov_b32_e32 v6, v25
	s_swappc_b64 s[30:31], s[4:5]
	v_mul_lo_u32 v1, v25, s52
	v_mov_b32_e32 v3, s49
	s_and_b32 s12, s33, 0xff
	s_cmp_lt_i32 s12, 11
	v_ashrrev_i32_e32 v4, 31, v1
	v_add_co_u32_e32 v2, vcc, s48, v1
	v_addc_co_u32_e32 v3, vcc, v3, v4, vcc
	s_cbranch_scc1 .LBB96_9
; %bb.3:
	s_and_b32 s13, 0xffff, s12
	s_cmp_gt_i32 s13, 25
	s_cbranch_scc0 .LBB96_12
; %bb.4:
	s_cmp_gt_i32 s13, 28
	s_cbranch_scc0 .LBB96_13
; %bb.5:
	;; [unrolled: 3-line block ×4, first 2 shown]
	s_mov_b64 s[8:9], 0
	s_mov_b64 s[4:5], -1
	s_cmp_eq_u32 s13, 46
	s_mov_b64 s[6:7], 0
	s_cbranch_scc0 .LBB96_16
; %bb.8:
	v_bfe_u32 v1, v0, 16, 1
	s_movk_i32 s4, 0x7fff
	v_add3_u32 v1, v0, v1, s4
	v_cmp_o_f32_e32 vcc, v0, v0
	v_mov_b32_e32 v4, 0x7fc0
	v_cndmask_b32_sdwa v1, v4, v1, vcc dst_sel:DWORD dst_unused:UNUSED_PAD src0_sel:DWORD src1_sel:WORD_1
	global_store_dword v[2:3], v1, off
	s_mov_b64 s[6:7], -1
	s_mov_b64 s[4:5], 0
	s_branch .LBB96_16
.LBB96_9:
	s_mov_b64 s[4:5], 0
	s_mov_b64 s[6:7], 0
	s_cbranch_execnz .LBB96_84
.LBB96_10:
	s_andn2_b64 vcc, exec, s[6:7]
	s_cbranch_vccnz .LBB96_122
.LBB96_11:
	v_add_u32_e32 v25, 0x80, v25
	s_mov_b64 s[6:7], -1
	s_branch .LBB96_123
.LBB96_12:
	s_mov_b64 s[4:5], 0
	s_mov_b64 s[6:7], 0
	s_cbranch_execnz .LBB96_43
	s_branch .LBB96_83
.LBB96_13:
	s_mov_b64 s[8:9], -1
	s_mov_b64 s[4:5], 0
	s_mov_b64 s[6:7], 0
	s_branch .LBB96_26
.LBB96_14:
	s_mov_b64 s[8:9], -1
	s_mov_b64 s[4:5], 0
	s_mov_b64 s[6:7], 0
	s_branch .LBB96_22
.LBB96_15:
	s_mov_b64 s[8:9], -1
	s_mov_b64 s[4:5], 0
	s_mov_b64 s[6:7], 0
.LBB96_16:
	s_and_b64 vcc, exec, s[8:9]
	s_cbranch_vccz .LBB96_21
; %bb.17:
	s_cmp_eq_u32 s13, 44
	s_mov_b64 s[4:5], -1
	s_cbranch_scc0 .LBB96_21
; %bb.18:
	v_bfe_u32 v1, v0, 23, 8
	s_movk_i32 s4, 0xff
	v_cmp_ne_u32_e32 vcc, s4, v1
	v_mov_b32_e32 v4, 0xff
	s_and_saveexec_b64 s[6:7], vcc
; %bb.19:
	s_mov_b32 s4, 0x3fffff
	v_and_b32_e32 v5, 0x400000, v0
	v_and_or_b32 v1, v0, s4, v1
	v_cmp_ne_u32_e32 vcc, 0, v5
	v_cmp_ne_u32_e64 s[4:5], 0, v1
	s_and_b64 s[4:5], vcc, s[4:5]
	v_lshrrev_b32_e32 v4, 23, v0
	v_cndmask_b32_e64 v1, 0, 1, s[4:5]
	v_add_u32_e32 v4, v4, v1
; %bb.20:
	s_or_b64 exec, exec, s[6:7]
	s_mov_b64 s[6:7], -1
	s_mov_b64 s[4:5], 0
	global_store_byte v[2:3], v4, off
.LBB96_21:
	s_mov_b64 s[8:9], 0
.LBB96_22:
	s_and_b64 vcc, exec, s[8:9]
	s_cbranch_vccz .LBB96_25
; %bb.23:
	s_cmp_eq_u32 s13, 29
	s_mov_b64 s[4:5], -1
	s_cbranch_scc0 .LBB96_25
; %bb.24:
	v_trunc_f32_e32 v1, v0
	v_mul_f32_e32 v4, 0x2f800000, v1
	v_floor_f32_e32 v4, v4
	v_fmac_f32_e32 v1, 0xcf800000, v4
	v_cvt_u32_f32_e32 v5, v4
	v_cvt_u32_f32_e32 v4, v1
	s_mov_b64 s[6:7], -1
	s_mov_b64 s[4:5], 0
	s_mov_b64 s[8:9], 0
	global_store_dwordx2 v[2:3], v[4:5], off
	s_branch .LBB96_26
.LBB96_25:
	s_mov_b64 s[8:9], 0
.LBB96_26:
	s_and_b64 vcc, exec, s[8:9]
	s_cbranch_vccz .LBB96_42
; %bb.27:
	s_cmp_lt_i32 s13, 27
	s_mov_b64 s[6:7], -1
	s_cbranch_scc1 .LBB96_33
; %bb.28:
	v_cvt_u32_f32_e32 v1, v0
	s_cmp_gt_i32 s13, 27
	s_cbranch_scc0 .LBB96_30
; %bb.29:
	s_mov_b64 s[6:7], 0
	global_store_dword v[2:3], v1, off
.LBB96_30:
	s_andn2_b64 vcc, exec, s[6:7]
	s_cbranch_vccnz .LBB96_32
; %bb.31:
	global_store_short v[2:3], v1, off
.LBB96_32:
	s_mov_b64 s[6:7], 0
.LBB96_33:
	s_andn2_b64 vcc, exec, s[6:7]
	s_cbranch_vccnz .LBB96_41
; %bb.34:
	v_and_b32_e32 v1, 0x7fffffff, v0
	s_mov_b32 s6, 0x43800000
	v_cmp_gt_u32_e32 vcc, s6, v1
	v_mov_b32_e32 v4, 0x80
	s_and_saveexec_b64 s[6:7], vcc
	s_cbranch_execz .LBB96_40
; %bb.35:
	s_mov_b32 s8, 0x3bffffff
	v_cmp_lt_u32_e32 vcc, s8, v1
	s_mov_b64 s[8:9], 0
                                        ; implicit-def: $vgpr1
	s_and_saveexec_b64 s[10:11], vcc
	s_xor_b64 s[10:11], exec, s[10:11]
	s_cbranch_execz .LBB96_141
; %bb.36:
	v_bfe_u32 v1, v0, 20, 1
	s_mov_b32 s14, 0x487ffff
	v_add3_u32 v1, v0, v1, s14
	s_mov_b64 s[8:9], exec
	v_lshrrev_b32_e32 v1, 20, v1
	s_andn2_saveexec_b64 s[10:11], s[10:11]
	s_cbranch_execnz .LBB96_142
.LBB96_37:
	s_or_b64 exec, exec, s[10:11]
	v_mov_b32_e32 v4, 0
	s_and_saveexec_b64 s[10:11], s[8:9]
.LBB96_38:
	v_lshrrev_b32_e32 v4, 24, v0
	s_movk_i32 s8, 0x80
	v_and_or_b32 v4, v4, s8, v1
.LBB96_39:
	s_or_b64 exec, exec, s[10:11]
.LBB96_40:
	s_or_b64 exec, exec, s[6:7]
	global_store_byte v[2:3], v4, off
.LBB96_41:
	s_mov_b64 s[6:7], -1
.LBB96_42:
	s_branch .LBB96_83
.LBB96_43:
	s_cmp_gt_i32 s13, 22
	s_mov_b64 s[8:9], -1
	s_cbranch_scc0 .LBB96_75
; %bb.44:
	s_cmp_lt_i32 s13, 24
	s_mov_b64 s[6:7], -1
	s_cbranch_scc1 .LBB96_64
; %bb.45:
	s_cmp_gt_i32 s13, 24
	s_cbranch_scc0 .LBB96_53
; %bb.46:
	v_and_b32_e32 v1, 0x7fffffff, v0
	s_mov_b32 s6, 0x47800000
	v_cmp_gt_u32_e32 vcc, s6, v1
	v_mov_b32_e32 v4, 0x80
	s_and_saveexec_b64 s[6:7], vcc
	s_cbranch_execz .LBB96_52
; %bb.47:
	s_mov_b32 s8, 0x37ffffff
	v_cmp_lt_u32_e32 vcc, s8, v1
	s_mov_b64 s[8:9], 0
                                        ; implicit-def: $vgpr1
	s_and_saveexec_b64 s[10:11], vcc
	s_xor_b64 s[10:11], exec, s[10:11]
	s_cbranch_execz .LBB96_144
; %bb.48:
	v_bfe_u32 v1, v0, 21, 1
	s_mov_b32 s14, 0x88fffff
	v_add3_u32 v1, v0, v1, s14
	s_mov_b64 s[8:9], exec
	v_lshrrev_b32_e32 v1, 21, v1
	s_andn2_saveexec_b64 s[10:11], s[10:11]
	s_cbranch_execnz .LBB96_145
.LBB96_49:
	s_or_b64 exec, exec, s[10:11]
	v_mov_b32_e32 v4, 0
	s_and_saveexec_b64 s[10:11], s[8:9]
.LBB96_50:
	v_lshrrev_b32_e32 v4, 24, v0
	s_movk_i32 s8, 0x80
	v_and_or_b32 v4, v4, s8, v1
.LBB96_51:
	s_or_b64 exec, exec, s[10:11]
.LBB96_52:
	s_or_b64 exec, exec, s[6:7]
	s_mov_b64 s[6:7], 0
	global_store_byte v[2:3], v4, off
.LBB96_53:
	s_and_b64 vcc, exec, s[6:7]
	s_cbranch_vccz .LBB96_63
; %bb.54:
	v_and_b32_e32 v4, 0x7fffffff, v0
	s_mov_b32 s6, 0x43f00000
	v_cmp_gt_u32_e32 vcc, s6, v4
                                        ; implicit-def: $vgpr1
	s_and_saveexec_b64 s[6:7], vcc
	s_xor_b64 s[6:7], exec, s[6:7]
	s_cbranch_execz .LBB96_60
; %bb.55:
	s_mov_b32 s8, 0x3c7fffff
	v_cmp_lt_u32_e32 vcc, s8, v4
                                        ; implicit-def: $vgpr1
	s_and_saveexec_b64 s[8:9], vcc
	s_xor_b64 s[8:9], exec, s[8:9]
; %bb.56:
	v_bfe_u32 v1, v0, 20, 1
	s_mov_b32 s10, 0x407ffff
	v_add3_u32 v1, v0, v1, s10
	v_lshrrev_b32_e32 v4, 20, v1
	v_and_b32_e32 v1, 0xff00000, v1
	s_mov_b32 s10, 0x7f00000
	v_mov_b32_e32 v5, 0x7e
	v_cmp_ne_u32_e32 vcc, s10, v1
	v_cndmask_b32_e32 v1, v5, v4, vcc
; %bb.57:
	s_andn2_saveexec_b64 s[8:9], s[8:9]
; %bb.58:
	s_mov_b32 s10, 0x46800000
	v_add_f32_e64 v1, |v0|, s10
; %bb.59:
	s_or_b64 exec, exec, s[8:9]
                                        ; implicit-def: $vgpr4
.LBB96_60:
	s_andn2_saveexec_b64 s[6:7], s[6:7]
; %bb.61:
	s_mov_b32 s8, 0x7f800000
	v_mov_b32_e32 v1, 0x7e
	v_mov_b32_e32 v5, 0x7f
	v_cmp_lt_u32_e32 vcc, s8, v4
	v_cndmask_b32_e32 v1, v1, v5, vcc
; %bb.62:
	s_or_b64 exec, exec, s[6:7]
	v_lshrrev_b32_e32 v4, 24, v0
	s_movk_i32 s6, 0x80
	v_and_or_b32 v1, v4, s6, v1
	global_store_byte v[2:3], v1, off
.LBB96_63:
	s_mov_b64 s[6:7], 0
.LBB96_64:
	s_andn2_b64 vcc, exec, s[6:7]
	s_cbranch_vccnz .LBB96_74
; %bb.65:
	v_and_b32_e32 v4, 0x7fffffff, v0
	s_mov_b32 s6, 0x47800000
	v_cmp_gt_u32_e32 vcc, s6, v4
                                        ; implicit-def: $vgpr1
	s_and_saveexec_b64 s[6:7], vcc
	s_xor_b64 s[6:7], exec, s[6:7]
	s_cbranch_execz .LBB96_71
; %bb.66:
	s_mov_b32 s8, 0x387fffff
	v_cmp_lt_u32_e32 vcc, s8, v4
                                        ; implicit-def: $vgpr1
	s_and_saveexec_b64 s[8:9], vcc
	s_xor_b64 s[8:9], exec, s[8:9]
; %bb.67:
	v_bfe_u32 v1, v0, 21, 1
	s_mov_b32 s10, 0x80fffff
	v_add3_u32 v1, v0, v1, s10
	v_lshrrev_b32_e32 v1, 21, v1
; %bb.68:
	s_andn2_saveexec_b64 s[8:9], s[8:9]
; %bb.69:
	s_mov_b32 s10, 0x43000000
	v_add_f32_e64 v1, |v0|, s10
; %bb.70:
	s_or_b64 exec, exec, s[8:9]
                                        ; implicit-def: $vgpr4
.LBB96_71:
	s_andn2_saveexec_b64 s[6:7], s[6:7]
; %bb.72:
	s_mov_b32 s8, 0x7f800000
	v_mov_b32_e32 v1, 0x7c
	v_mov_b32_e32 v5, 0x7f
	v_cmp_lt_u32_e32 vcc, s8, v4
	v_cndmask_b32_e32 v1, v1, v5, vcc
; %bb.73:
	s_or_b64 exec, exec, s[6:7]
	v_lshrrev_b32_e32 v4, 24, v0
	s_movk_i32 s6, 0x80
	v_and_or_b32 v1, v4, s6, v1
	global_store_byte v[2:3], v1, off
.LBB96_74:
	s_mov_b64 s[8:9], 0
	s_mov_b64 s[6:7], -1
.LBB96_75:
	s_andn2_b64 vcc, exec, s[8:9]
	s_cbranch_vccnz .LBB96_83
; %bb.76:
	s_cmp_gt_i32 s13, 14
	s_mov_b64 s[8:9], -1
	s_cbranch_scc0 .LBB96_80
; %bb.77:
	s_cmp_eq_u32 s13, 15
	s_mov_b64 s[4:5], -1
	s_cbranch_scc0 .LBB96_79
; %bb.78:
	v_bfe_u32 v1, v0, 16, 1
	s_movk_i32 s4, 0x7fff
	v_add3_u32 v1, v0, v1, s4
	v_cmp_o_f32_e32 vcc, v0, v0
	v_mov_b32_e32 v4, 0x7fc0
	v_cndmask_b32_sdwa v1, v4, v1, vcc dst_sel:DWORD dst_unused:UNUSED_PAD src0_sel:DWORD src1_sel:WORD_1
	global_store_short v[2:3], v1, off
	s_mov_b64 s[6:7], -1
	s_mov_b64 s[4:5], 0
.LBB96_79:
	s_mov_b64 s[8:9], 0
.LBB96_80:
	s_and_b64 vcc, exec, s[8:9]
	s_cbranch_vccz .LBB96_83
; %bb.81:
	s_cmp_eq_u32 s13, 11
	s_mov_b64 s[4:5], -1
	s_cbranch_scc0 .LBB96_83
; %bb.82:
	v_cmp_neq_f32_e32 vcc, 0, v0
	v_cndmask_b32_e64 v1, 0, 1, vcc
	s_mov_b64 s[6:7], -1
	s_mov_b64 s[4:5], 0
	global_store_byte v[2:3], v1, off
.LBB96_83:
	s_branch .LBB96_10
.LBB96_84:
	s_and_b32 s8, 0xffff, s12
	s_cmp_lt_i32 s8, 5
	s_mov_b64 s[6:7], -1
	s_cbranch_scc1 .LBB96_105
; %bb.85:
	s_cmp_lt_i32 s8, 8
	s_cbranch_scc1 .LBB96_95
; %bb.86:
	s_cmp_lt_i32 s8, 9
	s_cbranch_scc1 .LBB96_92
; %bb.87:
	s_cmp_gt_i32 s8, 9
	s_cbranch_scc0 .LBB96_89
; %bb.88:
	v_cvt_f64_f32_e32 v[4:5], v0
	v_mov_b32_e32 v6, 0
	v_mov_b32_e32 v7, v6
	s_mov_b64 s[6:7], 0
	global_store_dwordx4 v[2:3], v[4:7], off
.LBB96_89:
	s_andn2_b64 vcc, exec, s[6:7]
	s_cbranch_vccnz .LBB96_91
; %bb.90:
	v_mov_b32_e32 v1, 0
	global_store_dwordx2 v[2:3], v[0:1], off
.LBB96_91:
	s_mov_b64 s[6:7], 0
.LBB96_92:
	s_andn2_b64 vcc, exec, s[6:7]
	s_cbranch_vccnz .LBB96_94
; %bb.93:
	v_cvt_f16_f32_e32 v1, v0
	global_store_dword v[2:3], v1, off
.LBB96_94:
	s_mov_b64 s[6:7], 0
.LBB96_95:
	s_andn2_b64 vcc, exec, s[6:7]
	s_cbranch_vccnz .LBB96_104
; %bb.96:
	s_cmp_lt_i32 s8, 6
	s_mov_b64 s[6:7], -1
	s_cbranch_scc1 .LBB96_102
; %bb.97:
	s_cmp_gt_i32 s8, 6
	s_cbranch_scc0 .LBB96_99
; %bb.98:
	v_cvt_f64_f32_e32 v[4:5], v0
	s_mov_b64 s[6:7], 0
	global_store_dwordx2 v[2:3], v[4:5], off
.LBB96_99:
	s_andn2_b64 vcc, exec, s[6:7]
	s_cbranch_vccnz .LBB96_101
; %bb.100:
	global_store_dword v[2:3], v0, off
.LBB96_101:
	s_mov_b64 s[6:7], 0
.LBB96_102:
	s_andn2_b64 vcc, exec, s[6:7]
	s_cbranch_vccnz .LBB96_104
; %bb.103:
	v_cvt_f16_f32_e32 v1, v0
	global_store_short v[2:3], v1, off
.LBB96_104:
	s_mov_b64 s[6:7], 0
.LBB96_105:
	s_andn2_b64 vcc, exec, s[6:7]
	s_cbranch_vccnz .LBB96_121
; %bb.106:
	s_cmp_lt_i32 s8, 2
	s_mov_b64 s[6:7], -1
	s_cbranch_scc1 .LBB96_116
; %bb.107:
	s_cmp_lt_i32 s8, 3
	s_cbranch_scc1 .LBB96_113
; %bb.108:
	s_cmp_gt_i32 s8, 3
	s_cbranch_scc0 .LBB96_110
; %bb.109:
	v_trunc_f32_e32 v1, v0
	s_mov_b32 s6, 0x2f800000
	v_mul_f32_e64 v4, |v1|, s6
	v_floor_f32_e32 v4, v4
	s_mov_b32 s6, 0xcf800000
	v_cvt_u32_f32_e32 v5, v4
	v_fma_f32 v4, v4, s6, |v1|
	v_cvt_u32_f32_e32 v4, v4
	v_ashrrev_i32_e32 v1, 31, v1
	v_xor_b32_e32 v5, v5, v1
	s_mov_b64 s[6:7], 0
	v_xor_b32_e32 v4, v4, v1
	v_sub_co_u32_e32 v4, vcc, v4, v1
	v_subb_co_u32_e32 v5, vcc, v5, v1, vcc
	global_store_dwordx2 v[2:3], v[4:5], off
.LBB96_110:
	s_andn2_b64 vcc, exec, s[6:7]
	s_cbranch_vccnz .LBB96_112
; %bb.111:
	v_cvt_i32_f32_e32 v1, v0
	global_store_dword v[2:3], v1, off
.LBB96_112:
	s_mov_b64 s[6:7], 0
.LBB96_113:
	s_andn2_b64 vcc, exec, s[6:7]
	s_cbranch_vccnz .LBB96_115
; %bb.114:
	v_cvt_i32_f32_e32 v1, v0
	global_store_short v[2:3], v1, off
.LBB96_115:
	s_mov_b64 s[6:7], 0
.LBB96_116:
	s_andn2_b64 vcc, exec, s[6:7]
	s_cbranch_vccnz .LBB96_121
; %bb.117:
	s_cmp_gt_i32 s8, 0
	s_mov_b64 s[6:7], -1
	s_cbranch_scc0 .LBB96_119
; %bb.118:
	v_cvt_i32_f32_e32 v1, v0
	s_mov_b64 s[6:7], 0
	global_store_byte v[2:3], v1, off
.LBB96_119:
	s_andn2_b64 vcc, exec, s[6:7]
	s_cbranch_vccnz .LBB96_121
; %bb.120:
	v_trunc_f32_e32 v0, v0
	s_mov_b32 s6, 0x2f800000
	v_mul_f32_e64 v1, |v0|, s6
	v_floor_f32_e32 v1, v1
	s_mov_b32 s6, 0xcf800000
	v_fma_f32 v1, v1, s6, |v0|
	v_cvt_u32_f32_e32 v1, v1
	v_ashrrev_i32_e32 v0, 31, v0
	v_xor_b32_e32 v1, v1, v0
	v_sub_u32_e32 v0, v1, v0
	global_store_byte v[2:3], v0, off
.LBB96_121:
	s_branch .LBB96_11
.LBB96_122:
	s_mov_b64 s[6:7], 0
                                        ; implicit-def: $vgpr25
.LBB96_123:
	s_and_b64 s[38:39], s[4:5], exec
	s_orn2_b64 s[4:5], s[6:7], exec
.LBB96_124:
	s_or_b64 exec, exec, s[56:57]
	s_mov_b64 s[6:7], 0
                                        ; implicit-def: $sgpr14
                                        ; implicit-def: $vgpr2_vgpr3
                                        ; implicit-def: $vgpr0
	s_and_saveexec_b64 s[56:57], s[4:5]
	s_cbranch_execz .LBB96_133
; %bb.125:
	v_cmp_gt_i32_e32 vcc, s66, v25
	s_mov_b64 s[8:9], -1
	s_mov_b64 s[58:59], s[38:39]
	s_and_saveexec_b64 s[60:61], vcc
	s_cbranch_execz .LBB96_256
; %bb.126:
	s_getpc_b64 s[4:5]
	s_add_u32 s4, s4, _ZN2at6native6invokeIZZZNS0_21polygamma_kernel_cudaERNS_18TensorIteratorBaseElENKUlvE_clEvENKUlvE0_clEvEUlfE_i15function_traitsIS6_EEENT1_11result_typeERKT_PrKPcPKT0_PKN3c1010ScalarTypeEi@rel32@lo+4
	s_addc_u32 s5, s5, _ZN2at6native6invokeIZZZNS0_21polygamma_kernel_cudaERNS_18TensorIteratorBaseElENKUlvE_clEvENKUlvE0_clEvEUlfE_i15function_traitsIS6_EEENT1_11result_typeERKT_PrKPcPKT0_PKN3c1010ScalarTypeEi@rel32@hi+12
	v_mov_b32_e32 v0, s54
	v_mov_b32_e32 v1, s55
	;; [unrolled: 1-line block ×7, first 2 shown]
	s_swappc_b64 s[30:31], s[4:5]
	v_mul_lo_u32 v1, v25, s52
	v_mov_b32_e32 v3, s49
	s_and_b32 s12, s33, 0xff
	s_cmp_lt_i32 s12, 11
	v_ashrrev_i32_e32 v4, 31, v1
	v_add_co_u32_e32 v2, vcc, s48, v1
	v_addc_co_u32_e32 v3, vcc, v3, v4, vcc
	s_cbranch_scc1 .LBB96_136
; %bb.127:
	s_and_b32 s13, 0xffff, s12
	s_cmp_gt_i32 s13, 25
	s_cbranch_scc0 .LBB96_139
; %bb.128:
	s_cmp_gt_i32 s13, 28
	s_cbranch_scc0 .LBB96_140
; %bb.129:
	;; [unrolled: 3-line block ×4, first 2 shown]
	s_mov_b64 s[8:9], 0
	s_mov_b64 s[4:5], -1
	s_cmp_eq_u32 s13, 46
	s_mov_b64 s[6:7], 0
	s_cbranch_scc0 .LBB96_147
; %bb.132:
	v_bfe_u32 v1, v0, 16, 1
	s_movk_i32 s4, 0x7fff
	v_add3_u32 v1, v0, v1, s4
	v_cmp_o_f32_e32 vcc, v0, v0
	v_mov_b32_e32 v4, 0x7fc0
	v_cndmask_b32_sdwa v1, v4, v1, vcc dst_sel:DWORD dst_unused:UNUSED_PAD src0_sel:DWORD src1_sel:WORD_1
	global_store_dword v[2:3], v1, off
	s_mov_b64 s[6:7], -1
	s_mov_b64 s[4:5], 0
	s_branch .LBB96_147
.LBB96_133:
	s_or_b64 exec, exec, s[56:57]
	s_mov_b64 s[4:5], 0
	s_and_saveexec_b64 s[8:9], s[38:39]
	s_cbranch_execnz .LBB96_468
.LBB96_134:
	s_or_b64 exec, exec, s[8:9]
	s_and_saveexec_b64 s[8:9], s[60:61]
	s_xor_b64 s[8:9], exec, s[8:9]
	s_cbranch_execz .LBB96_469
.LBB96_135:
	v_cmp_neq_f32_e32 vcc, 0, v0
	v_cndmask_b32_e64 v1, 0, 1, vcc
	global_store_byte v[2:3], v1, off
	s_or_b64 exec, exec, s[8:9]
	s_and_saveexec_b64 s[8:9], s[6:7]
	s_xor_b64 s[6:7], exec, s[8:9]
	s_cbranch_execz .LBB96_507
	s_branch .LBB96_470
.LBB96_136:
	s_mov_b64 s[6:7], 0
	s_mov_b64 s[4:5], s[38:39]
	s_cbranch_execnz .LBB96_216
.LBB96_137:
	s_andn2_b64 vcc, exec, s[6:7]
	s_cbranch_vccnz .LBB96_254
.LBB96_138:
	v_add_u32_e32 v25, 0x80, v25
	s_mov_b64 s[6:7], -1
	s_branch .LBB96_255
.LBB96_139:
	s_mov_b64 s[8:9], -1
	s_mov_b64 s[6:7], 0
	s_mov_b64 s[4:5], s[38:39]
	s_branch .LBB96_174
.LBB96_140:
	s_mov_b64 s[8:9], -1
	s_mov_b64 s[6:7], 0
	s_mov_b64 s[4:5], s[38:39]
	s_branch .LBB96_157
.LBB96_141:
	s_andn2_saveexec_b64 s[10:11], s[10:11]
	s_cbranch_execz .LBB96_37
.LBB96_142:
	s_mov_b32 s14, 0x46000000
	v_add_f32_e64 v1, |v0|, s14
	v_and_b32_e32 v1, 0xff, v1
	v_cmp_ne_u32_e32 vcc, 0, v1
	s_andn2_b64 s[8:9], s[8:9], exec
	s_and_b64 s[14:15], vcc, exec
	s_or_b64 s[8:9], s[8:9], s[14:15]
	s_or_b64 exec, exec, s[10:11]
	v_mov_b32_e32 v4, 0
	s_and_saveexec_b64 s[10:11], s[8:9]
	s_cbranch_execnz .LBB96_38
	s_branch .LBB96_39
.LBB96_143:
	s_mov_b64 s[8:9], -1
	s_mov_b64 s[6:7], 0
	s_mov_b64 s[4:5], s[38:39]
	s_branch .LBB96_153
.LBB96_144:
	s_andn2_saveexec_b64 s[10:11], s[10:11]
	s_cbranch_execz .LBB96_49
.LBB96_145:
	s_mov_b32 s14, 0x42800000
	v_add_f32_e64 v1, |v0|, s14
	v_and_b32_e32 v1, 0xff, v1
	v_cmp_ne_u32_e32 vcc, 0, v1
	s_andn2_b64 s[8:9], s[8:9], exec
	s_and_b64 s[14:15], vcc, exec
	s_or_b64 s[8:9], s[8:9], s[14:15]
	s_or_b64 exec, exec, s[10:11]
	v_mov_b32_e32 v4, 0
	s_and_saveexec_b64 s[10:11], s[8:9]
	s_cbranch_execnz .LBB96_50
	s_branch .LBB96_51
.LBB96_146:
	s_mov_b64 s[8:9], -1
	s_mov_b64 s[6:7], 0
	s_mov_b64 s[4:5], s[38:39]
.LBB96_147:
	s_and_b64 vcc, exec, s[8:9]
	s_cbranch_vccz .LBB96_152
; %bb.148:
	s_cmp_eq_u32 s13, 44
	s_mov_b64 s[4:5], -1
	s_cbranch_scc0 .LBB96_152
; %bb.149:
	v_bfe_u32 v1, v0, 23, 8
	s_movk_i32 s4, 0xff
	v_cmp_ne_u32_e32 vcc, s4, v1
	v_mov_b32_e32 v4, 0xff
	s_and_saveexec_b64 s[6:7], vcc
; %bb.150:
	s_mov_b32 s4, 0x3fffff
	v_and_b32_e32 v5, 0x400000, v0
	v_and_or_b32 v1, v0, s4, v1
	v_cmp_ne_u32_e32 vcc, 0, v5
	v_cmp_ne_u32_e64 s[4:5], 0, v1
	s_and_b64 s[4:5], vcc, s[4:5]
	v_lshrrev_b32_e32 v4, 23, v0
	v_cndmask_b32_e64 v1, 0, 1, s[4:5]
	v_add_u32_e32 v4, v4, v1
; %bb.151:
	s_or_b64 exec, exec, s[6:7]
	s_mov_b64 s[6:7], -1
	s_mov_b64 s[4:5], 0
	global_store_byte v[2:3], v4, off
.LBB96_152:
	s_mov_b64 s[8:9], 0
.LBB96_153:
	s_and_b64 vcc, exec, s[8:9]
	s_cbranch_vccz .LBB96_156
; %bb.154:
	s_cmp_eq_u32 s13, 29
	s_mov_b64 s[4:5], -1
	s_cbranch_scc0 .LBB96_156
; %bb.155:
	v_trunc_f32_e32 v1, v0
	v_mul_f32_e32 v4, 0x2f800000, v1
	v_floor_f32_e32 v4, v4
	v_fmac_f32_e32 v1, 0xcf800000, v4
	v_cvt_u32_f32_e32 v5, v4
	v_cvt_u32_f32_e32 v4, v1
	s_mov_b64 s[6:7], -1
	s_mov_b64 s[4:5], 0
	s_mov_b64 s[8:9], 0
	global_store_dwordx2 v[2:3], v[4:5], off
	s_branch .LBB96_157
.LBB96_156:
	s_mov_b64 s[8:9], 0
.LBB96_157:
	s_and_b64 vcc, exec, s[8:9]
	s_cbranch_vccz .LBB96_173
; %bb.158:
	s_cmp_lt_i32 s13, 27
	s_mov_b64 s[6:7], -1
	s_cbranch_scc1 .LBB96_164
; %bb.159:
	v_cvt_u32_f32_e32 v1, v0
	s_cmp_gt_i32 s13, 27
	s_cbranch_scc0 .LBB96_161
; %bb.160:
	s_mov_b64 s[6:7], 0
	global_store_dword v[2:3], v1, off
.LBB96_161:
	s_andn2_b64 vcc, exec, s[6:7]
	s_cbranch_vccnz .LBB96_163
; %bb.162:
	global_store_short v[2:3], v1, off
.LBB96_163:
	s_mov_b64 s[6:7], 0
.LBB96_164:
	s_andn2_b64 vcc, exec, s[6:7]
	s_cbranch_vccnz .LBB96_172
; %bb.165:
	v_and_b32_e32 v1, 0x7fffffff, v0
	s_mov_b32 s6, 0x43800000
	v_cmp_gt_u32_e32 vcc, s6, v1
	v_mov_b32_e32 v4, 0x80
	s_and_saveexec_b64 s[6:7], vcc
	s_cbranch_execz .LBB96_171
; %bb.166:
	s_mov_b32 s8, 0x3bffffff
	v_cmp_lt_u32_e32 vcc, s8, v1
	s_mov_b64 s[8:9], 0
                                        ; implicit-def: $vgpr1
	s_and_saveexec_b64 s[10:11], vcc
	s_xor_b64 s[10:11], exec, s[10:11]
	s_cbranch_execz .LBB96_268
; %bb.167:
	v_bfe_u32 v1, v0, 20, 1
	s_mov_b32 s14, 0x487ffff
	v_add3_u32 v1, v0, v1, s14
	s_mov_b64 s[8:9], exec
	v_lshrrev_b32_e32 v1, 20, v1
	s_andn2_saveexec_b64 s[10:11], s[10:11]
	s_cbranch_execnz .LBB96_269
.LBB96_168:
	s_or_b64 exec, exec, s[10:11]
	v_mov_b32_e32 v4, 0
	s_and_saveexec_b64 s[10:11], s[8:9]
.LBB96_169:
	v_lshrrev_b32_e32 v4, 24, v0
	s_movk_i32 s8, 0x80
	v_and_or_b32 v4, v4, s8, v1
.LBB96_170:
	s_or_b64 exec, exec, s[10:11]
.LBB96_171:
	s_or_b64 exec, exec, s[6:7]
	global_store_byte v[2:3], v4, off
.LBB96_172:
	s_mov_b64 s[6:7], -1
.LBB96_173:
	s_mov_b64 s[8:9], 0
.LBB96_174:
	s_and_b64 vcc, exec, s[8:9]
	s_cbranch_vccz .LBB96_215
; %bb.175:
	s_cmp_gt_i32 s13, 22
	s_mov_b64 s[8:9], -1
	s_cbranch_scc0 .LBB96_207
; %bb.176:
	s_cmp_lt_i32 s13, 24
	s_mov_b64 s[6:7], -1
	s_cbranch_scc1 .LBB96_196
; %bb.177:
	s_cmp_gt_i32 s13, 24
	s_cbranch_scc0 .LBB96_185
; %bb.178:
	v_and_b32_e32 v1, 0x7fffffff, v0
	s_mov_b32 s6, 0x47800000
	v_cmp_gt_u32_e32 vcc, s6, v1
	v_mov_b32_e32 v4, 0x80
	s_and_saveexec_b64 s[6:7], vcc
	s_cbranch_execz .LBB96_184
; %bb.179:
	s_mov_b32 s8, 0x37ffffff
	v_cmp_lt_u32_e32 vcc, s8, v1
	s_mov_b64 s[8:9], 0
                                        ; implicit-def: $vgpr1
	s_and_saveexec_b64 s[10:11], vcc
	s_xor_b64 s[10:11], exec, s[10:11]
	s_cbranch_execz .LBB96_271
; %bb.180:
	v_bfe_u32 v1, v0, 21, 1
	s_mov_b32 s14, 0x88fffff
	v_add3_u32 v1, v0, v1, s14
	s_mov_b64 s[8:9], exec
	v_lshrrev_b32_e32 v1, 21, v1
	s_andn2_saveexec_b64 s[10:11], s[10:11]
	s_cbranch_execnz .LBB96_272
.LBB96_181:
	s_or_b64 exec, exec, s[10:11]
	v_mov_b32_e32 v4, 0
	s_and_saveexec_b64 s[10:11], s[8:9]
.LBB96_182:
	v_lshrrev_b32_e32 v4, 24, v0
	s_movk_i32 s8, 0x80
	v_and_or_b32 v4, v4, s8, v1
.LBB96_183:
	s_or_b64 exec, exec, s[10:11]
.LBB96_184:
	s_or_b64 exec, exec, s[6:7]
	s_mov_b64 s[6:7], 0
	global_store_byte v[2:3], v4, off
.LBB96_185:
	s_and_b64 vcc, exec, s[6:7]
	s_cbranch_vccz .LBB96_195
; %bb.186:
	v_and_b32_e32 v4, 0x7fffffff, v0
	s_mov_b32 s6, 0x43f00000
	v_cmp_gt_u32_e32 vcc, s6, v4
                                        ; implicit-def: $vgpr1
	s_and_saveexec_b64 s[6:7], vcc
	s_xor_b64 s[6:7], exec, s[6:7]
	s_cbranch_execz .LBB96_192
; %bb.187:
	s_mov_b32 s8, 0x3c7fffff
	v_cmp_lt_u32_e32 vcc, s8, v4
                                        ; implicit-def: $vgpr1
	s_and_saveexec_b64 s[8:9], vcc
	s_xor_b64 s[8:9], exec, s[8:9]
; %bb.188:
	v_bfe_u32 v1, v0, 20, 1
	s_mov_b32 s10, 0x407ffff
	v_add3_u32 v1, v0, v1, s10
	v_lshrrev_b32_e32 v4, 20, v1
	v_and_b32_e32 v1, 0xff00000, v1
	s_mov_b32 s10, 0x7f00000
	v_mov_b32_e32 v5, 0x7e
	v_cmp_ne_u32_e32 vcc, s10, v1
	v_cndmask_b32_e32 v1, v5, v4, vcc
; %bb.189:
	s_andn2_saveexec_b64 s[8:9], s[8:9]
; %bb.190:
	s_mov_b32 s10, 0x46800000
	v_add_f32_e64 v1, |v0|, s10
; %bb.191:
	s_or_b64 exec, exec, s[8:9]
                                        ; implicit-def: $vgpr4
.LBB96_192:
	s_andn2_saveexec_b64 s[6:7], s[6:7]
; %bb.193:
	s_mov_b32 s8, 0x7f800000
	v_mov_b32_e32 v1, 0x7e
	v_mov_b32_e32 v5, 0x7f
	v_cmp_lt_u32_e32 vcc, s8, v4
	v_cndmask_b32_e32 v1, v1, v5, vcc
; %bb.194:
	s_or_b64 exec, exec, s[6:7]
	v_lshrrev_b32_e32 v4, 24, v0
	s_movk_i32 s6, 0x80
	v_and_or_b32 v1, v4, s6, v1
	global_store_byte v[2:3], v1, off
.LBB96_195:
	s_mov_b64 s[6:7], 0
.LBB96_196:
	s_andn2_b64 vcc, exec, s[6:7]
	s_cbranch_vccnz .LBB96_206
; %bb.197:
	v_and_b32_e32 v4, 0x7fffffff, v0
	s_mov_b32 s6, 0x47800000
	v_cmp_gt_u32_e32 vcc, s6, v4
                                        ; implicit-def: $vgpr1
	s_and_saveexec_b64 s[6:7], vcc
	s_xor_b64 s[6:7], exec, s[6:7]
	s_cbranch_execz .LBB96_203
; %bb.198:
	s_mov_b32 s8, 0x387fffff
	v_cmp_lt_u32_e32 vcc, s8, v4
                                        ; implicit-def: $vgpr1
	s_and_saveexec_b64 s[8:9], vcc
	s_xor_b64 s[8:9], exec, s[8:9]
; %bb.199:
	v_bfe_u32 v1, v0, 21, 1
	s_mov_b32 s10, 0x80fffff
	v_add3_u32 v1, v0, v1, s10
	v_lshrrev_b32_e32 v1, 21, v1
; %bb.200:
	s_andn2_saveexec_b64 s[8:9], s[8:9]
; %bb.201:
	s_mov_b32 s10, 0x43000000
	v_add_f32_e64 v1, |v0|, s10
; %bb.202:
	s_or_b64 exec, exec, s[8:9]
                                        ; implicit-def: $vgpr4
.LBB96_203:
	s_andn2_saveexec_b64 s[6:7], s[6:7]
; %bb.204:
	s_mov_b32 s8, 0x7f800000
	v_mov_b32_e32 v1, 0x7c
	v_mov_b32_e32 v5, 0x7f
	v_cmp_lt_u32_e32 vcc, s8, v4
	v_cndmask_b32_e32 v1, v1, v5, vcc
; %bb.205:
	s_or_b64 exec, exec, s[6:7]
	v_lshrrev_b32_e32 v4, 24, v0
	s_movk_i32 s6, 0x80
	v_and_or_b32 v1, v4, s6, v1
	global_store_byte v[2:3], v1, off
.LBB96_206:
	s_mov_b64 s[8:9], 0
	s_mov_b64 s[6:7], -1
.LBB96_207:
	s_andn2_b64 vcc, exec, s[8:9]
	s_cbranch_vccnz .LBB96_215
; %bb.208:
	s_cmp_gt_i32 s13, 14
	s_mov_b64 s[8:9], -1
	s_cbranch_scc0 .LBB96_212
; %bb.209:
	s_cmp_eq_u32 s13, 15
	s_mov_b64 s[4:5], -1
	s_cbranch_scc0 .LBB96_211
; %bb.210:
	v_bfe_u32 v1, v0, 16, 1
	s_movk_i32 s4, 0x7fff
	v_add3_u32 v1, v0, v1, s4
	v_cmp_o_f32_e32 vcc, v0, v0
	v_mov_b32_e32 v4, 0x7fc0
	v_cndmask_b32_sdwa v1, v4, v1, vcc dst_sel:DWORD dst_unused:UNUSED_PAD src0_sel:DWORD src1_sel:WORD_1
	global_store_short v[2:3], v1, off
	s_mov_b64 s[6:7], -1
	s_mov_b64 s[4:5], 0
.LBB96_211:
	s_mov_b64 s[8:9], 0
.LBB96_212:
	s_and_b64 vcc, exec, s[8:9]
	s_cbranch_vccz .LBB96_215
; %bb.213:
	s_cmp_eq_u32 s13, 11
	s_mov_b64 s[4:5], -1
	s_cbranch_scc0 .LBB96_215
; %bb.214:
	v_cmp_neq_f32_e32 vcc, 0, v0
	v_cndmask_b32_e64 v1, 0, 1, vcc
	s_mov_b64 s[6:7], -1
	s_mov_b64 s[4:5], 0
	global_store_byte v[2:3], v1, off
.LBB96_215:
	s_branch .LBB96_137
.LBB96_216:
	s_and_b32 s8, 0xffff, s12
	s_cmp_lt_i32 s8, 5
	s_mov_b64 s[6:7], -1
	s_cbranch_scc1 .LBB96_237
; %bb.217:
	s_cmp_lt_i32 s8, 8
	s_cbranch_scc1 .LBB96_227
; %bb.218:
	s_cmp_lt_i32 s8, 9
	s_cbranch_scc1 .LBB96_224
; %bb.219:
	s_cmp_gt_i32 s8, 9
	s_cbranch_scc0 .LBB96_221
; %bb.220:
	v_cvt_f64_f32_e32 v[4:5], v0
	v_mov_b32_e32 v6, 0
	v_mov_b32_e32 v7, v6
	s_mov_b64 s[6:7], 0
	global_store_dwordx4 v[2:3], v[4:7], off
.LBB96_221:
	s_andn2_b64 vcc, exec, s[6:7]
	s_cbranch_vccnz .LBB96_223
; %bb.222:
	v_mov_b32_e32 v1, 0
	global_store_dwordx2 v[2:3], v[0:1], off
.LBB96_223:
	s_mov_b64 s[6:7], 0
.LBB96_224:
	s_andn2_b64 vcc, exec, s[6:7]
	s_cbranch_vccnz .LBB96_226
; %bb.225:
	v_cvt_f16_f32_e32 v1, v0
	global_store_dword v[2:3], v1, off
.LBB96_226:
	s_mov_b64 s[6:7], 0
.LBB96_227:
	s_andn2_b64 vcc, exec, s[6:7]
	s_cbranch_vccnz .LBB96_236
; %bb.228:
	s_cmp_lt_i32 s8, 6
	s_mov_b64 s[6:7], -1
	s_cbranch_scc1 .LBB96_234
; %bb.229:
	s_cmp_gt_i32 s8, 6
	s_cbranch_scc0 .LBB96_231
; %bb.230:
	v_cvt_f64_f32_e32 v[4:5], v0
	s_mov_b64 s[6:7], 0
	global_store_dwordx2 v[2:3], v[4:5], off
.LBB96_231:
	s_andn2_b64 vcc, exec, s[6:7]
	s_cbranch_vccnz .LBB96_233
; %bb.232:
	global_store_dword v[2:3], v0, off
.LBB96_233:
	s_mov_b64 s[6:7], 0
.LBB96_234:
	s_andn2_b64 vcc, exec, s[6:7]
	s_cbranch_vccnz .LBB96_236
; %bb.235:
	v_cvt_f16_f32_e32 v1, v0
	global_store_short v[2:3], v1, off
.LBB96_236:
	s_mov_b64 s[6:7], 0
.LBB96_237:
	s_andn2_b64 vcc, exec, s[6:7]
	s_cbranch_vccnz .LBB96_253
; %bb.238:
	s_cmp_lt_i32 s8, 2
	s_mov_b64 s[6:7], -1
	s_cbranch_scc1 .LBB96_248
; %bb.239:
	s_cmp_lt_i32 s8, 3
	s_cbranch_scc1 .LBB96_245
; %bb.240:
	s_cmp_gt_i32 s8, 3
	s_cbranch_scc0 .LBB96_242
; %bb.241:
	v_trunc_f32_e32 v1, v0
	s_mov_b32 s6, 0x2f800000
	v_mul_f32_e64 v4, |v1|, s6
	v_floor_f32_e32 v4, v4
	s_mov_b32 s6, 0xcf800000
	v_cvt_u32_f32_e32 v5, v4
	v_fma_f32 v4, v4, s6, |v1|
	v_cvt_u32_f32_e32 v4, v4
	v_ashrrev_i32_e32 v1, 31, v1
	v_xor_b32_e32 v5, v5, v1
	s_mov_b64 s[6:7], 0
	v_xor_b32_e32 v4, v4, v1
	v_sub_co_u32_e32 v4, vcc, v4, v1
	v_subb_co_u32_e32 v5, vcc, v5, v1, vcc
	global_store_dwordx2 v[2:3], v[4:5], off
.LBB96_242:
	s_andn2_b64 vcc, exec, s[6:7]
	s_cbranch_vccnz .LBB96_244
; %bb.243:
	v_cvt_i32_f32_e32 v1, v0
	global_store_dword v[2:3], v1, off
.LBB96_244:
	s_mov_b64 s[6:7], 0
.LBB96_245:
	s_andn2_b64 vcc, exec, s[6:7]
	s_cbranch_vccnz .LBB96_247
; %bb.246:
	v_cvt_i32_f32_e32 v1, v0
	global_store_short v[2:3], v1, off
.LBB96_247:
	s_mov_b64 s[6:7], 0
.LBB96_248:
	s_andn2_b64 vcc, exec, s[6:7]
	s_cbranch_vccnz .LBB96_253
; %bb.249:
	s_cmp_gt_i32 s8, 0
	s_mov_b64 s[6:7], -1
	s_cbranch_scc0 .LBB96_251
; %bb.250:
	v_cvt_i32_f32_e32 v1, v0
	s_mov_b64 s[6:7], 0
	global_store_byte v[2:3], v1, off
.LBB96_251:
	s_andn2_b64 vcc, exec, s[6:7]
	s_cbranch_vccnz .LBB96_253
; %bb.252:
	v_trunc_f32_e32 v0, v0
	s_mov_b32 s6, 0x2f800000
	v_mul_f32_e64 v1, |v0|, s6
	v_floor_f32_e32 v1, v1
	s_mov_b32 s6, 0xcf800000
	v_fma_f32 v1, v1, s6, |v0|
	v_cvt_u32_f32_e32 v1, v1
	v_ashrrev_i32_e32 v0, 31, v0
	v_xor_b32_e32 v1, v1, v0
	v_sub_u32_e32 v0, v1, v0
	global_store_byte v[2:3], v0, off
.LBB96_253:
	s_branch .LBB96_138
.LBB96_254:
	s_mov_b64 s[6:7], 0
                                        ; implicit-def: $vgpr25
.LBB96_255:
	s_andn2_b64 s[8:9], s[38:39], exec
	s_and_b64 s[4:5], s[4:5], exec
	s_or_b64 s[58:59], s[8:9], s[4:5]
	s_orn2_b64 s[8:9], s[6:7], exec
.LBB96_256:
	s_or_b64 exec, exec, s[60:61]
	s_mov_b64 s[4:5], 0
	s_mov_b64 s[6:7], 0
                                        ; implicit-def: $sgpr14
                                        ; implicit-def: $vgpr2_vgpr3
                                        ; implicit-def: $vgpr0
	s_and_saveexec_b64 s[60:61], s[8:9]
	s_cbranch_execz .LBB96_467
; %bb.257:
	v_cmp_gt_i32_e32 vcc, s66, v25
	s_mov_b64 s[6:7], -1
	s_mov_b64 s[64:65], s[58:59]
	s_and_saveexec_b64 s[62:63], vcc
	s_cbranch_execz .LBB96_386
; %bb.258:
	s_getpc_b64 s[4:5]
	s_add_u32 s4, s4, _ZN2at6native6invokeIZZZNS0_21polygamma_kernel_cudaERNS_18TensorIteratorBaseElENKUlvE_clEvENKUlvE0_clEvEUlfE_i15function_traitsIS6_EEENT1_11result_typeERKT_PrKPcPKT0_PKN3c1010ScalarTypeEi@rel32@lo+4
	s_addc_u32 s5, s5, _ZN2at6native6invokeIZZZNS0_21polygamma_kernel_cudaERNS_18TensorIteratorBaseElENKUlvE_clEvENKUlvE0_clEvEUlfE_i15function_traitsIS6_EEENT1_11result_typeERKT_PrKPcPKT0_PKN3c1010ScalarTypeEi@rel32@hi+12
	v_mov_b32_e32 v0, s54
	v_mov_b32_e32 v1, s55
	;; [unrolled: 1-line block ×7, first 2 shown]
	s_swappc_b64 s[30:31], s[4:5]
	v_mul_lo_u32 v1, v25, s52
	v_mov_b32_e32 v3, s49
	s_and_b32 s12, s33, 0xff
	s_cmp_lt_i32 s12, 11
	v_ashrrev_i32_e32 v4, 31, v1
	v_add_co_u32_e32 v2, vcc, s48, v1
	v_addc_co_u32_e32 v3, vcc, v3, v4, vcc
	s_cbranch_scc1 .LBB96_265
; %bb.259:
	s_and_b32 s13, 0xffff, s12
	s_cmp_gt_i32 s13, 25
	s_cbranch_scc0 .LBB96_266
; %bb.260:
	s_cmp_gt_i32 s13, 28
	s_cbranch_scc0 .LBB96_267
; %bb.261:
	;; [unrolled: 3-line block ×4, first 2 shown]
	s_mov_b64 s[8:9], 0
	s_mov_b64 s[4:5], -1
	s_cmp_eq_u32 s13, 46
	s_mov_b64 s[6:7], 0
	s_cbranch_scc0 .LBB96_274
; %bb.264:
	v_bfe_u32 v1, v0, 16, 1
	s_movk_i32 s4, 0x7fff
	v_add3_u32 v1, v0, v1, s4
	v_cmp_o_f32_e32 vcc, v0, v0
	v_mov_b32_e32 v4, 0x7fc0
	v_cndmask_b32_sdwa v1, v4, v1, vcc dst_sel:DWORD dst_unused:UNUSED_PAD src0_sel:DWORD src1_sel:WORD_1
	global_store_dword v[2:3], v1, off
	s_mov_b64 s[6:7], -1
	s_mov_b64 s[4:5], 0
	s_branch .LBB96_274
.LBB96_265:
	s_mov_b64 s[8:9], -1
	s_mov_b64 s[6:7], 0
	s_mov_b64 s[4:5], s[58:59]
	s_branch .LBB96_343
.LBB96_266:
	s_mov_b64 s[8:9], -1
	s_mov_b64 s[6:7], 0
	s_mov_b64 s[4:5], s[58:59]
	s_branch .LBB96_301
.LBB96_267:
	s_mov_b64 s[8:9], -1
	s_mov_b64 s[6:7], 0
	s_mov_b64 s[4:5], s[58:59]
	s_branch .LBB96_284
.LBB96_268:
	s_andn2_saveexec_b64 s[10:11], s[10:11]
	s_cbranch_execz .LBB96_168
.LBB96_269:
	s_mov_b32 s14, 0x46000000
	v_add_f32_e64 v1, |v0|, s14
	v_and_b32_e32 v1, 0xff, v1
	v_cmp_ne_u32_e32 vcc, 0, v1
	s_andn2_b64 s[8:9], s[8:9], exec
	s_and_b64 s[14:15], vcc, exec
	s_or_b64 s[8:9], s[8:9], s[14:15]
	s_or_b64 exec, exec, s[10:11]
	v_mov_b32_e32 v4, 0
	s_and_saveexec_b64 s[10:11], s[8:9]
	s_cbranch_execnz .LBB96_169
	s_branch .LBB96_170
.LBB96_270:
	s_mov_b64 s[8:9], -1
	s_mov_b64 s[6:7], 0
	s_mov_b64 s[4:5], s[58:59]
	s_branch .LBB96_280
.LBB96_271:
	s_andn2_saveexec_b64 s[10:11], s[10:11]
	s_cbranch_execz .LBB96_181
.LBB96_272:
	s_mov_b32 s14, 0x42800000
	v_add_f32_e64 v1, |v0|, s14
	v_and_b32_e32 v1, 0xff, v1
	v_cmp_ne_u32_e32 vcc, 0, v1
	s_andn2_b64 s[8:9], s[8:9], exec
	s_and_b64 s[14:15], vcc, exec
	s_or_b64 s[8:9], s[8:9], s[14:15]
	s_or_b64 exec, exec, s[10:11]
	v_mov_b32_e32 v4, 0
	s_and_saveexec_b64 s[10:11], s[8:9]
	s_cbranch_execnz .LBB96_182
	s_branch .LBB96_183
.LBB96_273:
	s_mov_b64 s[8:9], -1
	s_mov_b64 s[6:7], 0
	s_mov_b64 s[4:5], s[58:59]
.LBB96_274:
	s_and_b64 vcc, exec, s[8:9]
	s_cbranch_vccz .LBB96_279
; %bb.275:
	s_cmp_eq_u32 s13, 44
	s_mov_b64 s[4:5], -1
	s_cbranch_scc0 .LBB96_279
; %bb.276:
	v_bfe_u32 v1, v0, 23, 8
	s_movk_i32 s4, 0xff
	v_cmp_ne_u32_e32 vcc, s4, v1
	v_mov_b32_e32 v4, 0xff
	s_and_saveexec_b64 s[6:7], vcc
; %bb.277:
	s_mov_b32 s4, 0x3fffff
	v_and_b32_e32 v5, 0x400000, v0
	v_and_or_b32 v1, v0, s4, v1
	v_cmp_ne_u32_e32 vcc, 0, v5
	v_cmp_ne_u32_e64 s[4:5], 0, v1
	s_and_b64 s[4:5], vcc, s[4:5]
	v_lshrrev_b32_e32 v4, 23, v0
	v_cndmask_b32_e64 v1, 0, 1, s[4:5]
	v_add_u32_e32 v4, v4, v1
; %bb.278:
	s_or_b64 exec, exec, s[6:7]
	s_mov_b64 s[6:7], -1
	s_mov_b64 s[4:5], 0
	global_store_byte v[2:3], v4, off
.LBB96_279:
	s_mov_b64 s[8:9], 0
.LBB96_280:
	s_and_b64 vcc, exec, s[8:9]
	s_cbranch_vccz .LBB96_283
; %bb.281:
	s_cmp_eq_u32 s13, 29
	s_mov_b64 s[4:5], -1
	s_cbranch_scc0 .LBB96_283
; %bb.282:
	v_trunc_f32_e32 v1, v0
	v_mul_f32_e32 v4, 0x2f800000, v1
	v_floor_f32_e32 v4, v4
	v_fmac_f32_e32 v1, 0xcf800000, v4
	v_cvt_u32_f32_e32 v5, v4
	v_cvt_u32_f32_e32 v4, v1
	s_mov_b64 s[6:7], -1
	s_mov_b64 s[4:5], 0
	s_mov_b64 s[8:9], 0
	global_store_dwordx2 v[2:3], v[4:5], off
	s_branch .LBB96_284
.LBB96_283:
	s_mov_b64 s[8:9], 0
.LBB96_284:
	s_and_b64 vcc, exec, s[8:9]
	s_cbranch_vccz .LBB96_300
; %bb.285:
	s_cmp_lt_i32 s13, 27
	s_mov_b64 s[6:7], -1
	s_cbranch_scc1 .LBB96_291
; %bb.286:
	v_cvt_u32_f32_e32 v1, v0
	s_cmp_gt_i32 s13, 27
	s_cbranch_scc0 .LBB96_288
; %bb.287:
	s_mov_b64 s[6:7], 0
	global_store_dword v[2:3], v1, off
.LBB96_288:
	s_andn2_b64 vcc, exec, s[6:7]
	s_cbranch_vccnz .LBB96_290
; %bb.289:
	global_store_short v[2:3], v1, off
.LBB96_290:
	s_mov_b64 s[6:7], 0
.LBB96_291:
	s_andn2_b64 vcc, exec, s[6:7]
	s_cbranch_vccnz .LBB96_299
; %bb.292:
	v_and_b32_e32 v1, 0x7fffffff, v0
	s_mov_b32 s6, 0x43800000
	v_cmp_gt_u32_e32 vcc, s6, v1
	v_mov_b32_e32 v4, 0x80
	s_and_saveexec_b64 s[6:7], vcc
	s_cbranch_execz .LBB96_298
; %bb.293:
	s_mov_b32 s8, 0x3bffffff
	v_cmp_lt_u32_e32 vcc, s8, v1
	s_mov_b64 s[8:9], 0
                                        ; implicit-def: $vgpr1
	s_and_saveexec_b64 s[10:11], vcc
	s_xor_b64 s[10:11], exec, s[10:11]
	s_cbranch_execz .LBB96_998
; %bb.294:
	v_bfe_u32 v1, v0, 20, 1
	s_mov_b32 s14, 0x487ffff
	v_add3_u32 v1, v0, v1, s14
	s_mov_b64 s[8:9], exec
	v_lshrrev_b32_e32 v1, 20, v1
	s_andn2_saveexec_b64 s[10:11], s[10:11]
	s_cbranch_execnz .LBB96_999
.LBB96_295:
	s_or_b64 exec, exec, s[10:11]
	v_mov_b32_e32 v4, 0
	s_and_saveexec_b64 s[10:11], s[8:9]
.LBB96_296:
	v_lshrrev_b32_e32 v4, 24, v0
	s_movk_i32 s8, 0x80
	v_and_or_b32 v4, v4, s8, v1
.LBB96_297:
	s_or_b64 exec, exec, s[10:11]
.LBB96_298:
	s_or_b64 exec, exec, s[6:7]
	global_store_byte v[2:3], v4, off
.LBB96_299:
	s_mov_b64 s[6:7], -1
.LBB96_300:
	s_mov_b64 s[8:9], 0
.LBB96_301:
	s_and_b64 vcc, exec, s[8:9]
	s_cbranch_vccz .LBB96_342
; %bb.302:
	s_cmp_gt_i32 s13, 22
	s_mov_b64 s[8:9], -1
	s_cbranch_scc0 .LBB96_334
; %bb.303:
	s_cmp_lt_i32 s13, 24
	s_mov_b64 s[6:7], -1
	s_cbranch_scc1 .LBB96_323
; %bb.304:
	s_cmp_gt_i32 s13, 24
	s_cbranch_scc0 .LBB96_312
; %bb.305:
	v_and_b32_e32 v1, 0x7fffffff, v0
	s_mov_b32 s6, 0x47800000
	v_cmp_gt_u32_e32 vcc, s6, v1
	v_mov_b32_e32 v4, 0x80
	s_and_saveexec_b64 s[6:7], vcc
	s_cbranch_execz .LBB96_311
; %bb.306:
	s_mov_b32 s8, 0x37ffffff
	v_cmp_lt_u32_e32 vcc, s8, v1
	s_mov_b64 s[8:9], 0
                                        ; implicit-def: $vgpr1
	s_and_saveexec_b64 s[10:11], vcc
	s_xor_b64 s[10:11], exec, s[10:11]
	s_cbranch_execz .LBB96_1005
; %bb.307:
	v_bfe_u32 v1, v0, 21, 1
	s_mov_b32 s14, 0x88fffff
	v_add3_u32 v1, v0, v1, s14
	s_mov_b64 s[8:9], exec
	v_lshrrev_b32_e32 v1, 21, v1
	s_andn2_saveexec_b64 s[10:11], s[10:11]
	s_cbranch_execnz .LBB96_1006
.LBB96_308:
	s_or_b64 exec, exec, s[10:11]
	v_mov_b32_e32 v4, 0
	s_and_saveexec_b64 s[10:11], s[8:9]
.LBB96_309:
	v_lshrrev_b32_e32 v4, 24, v0
	s_movk_i32 s8, 0x80
	v_and_or_b32 v4, v4, s8, v1
.LBB96_310:
	s_or_b64 exec, exec, s[10:11]
.LBB96_311:
	s_or_b64 exec, exec, s[6:7]
	s_mov_b64 s[6:7], 0
	global_store_byte v[2:3], v4, off
.LBB96_312:
	s_and_b64 vcc, exec, s[6:7]
	s_cbranch_vccz .LBB96_322
; %bb.313:
	v_and_b32_e32 v4, 0x7fffffff, v0
	s_mov_b32 s6, 0x43f00000
	v_cmp_gt_u32_e32 vcc, s6, v4
                                        ; implicit-def: $vgpr1
	s_and_saveexec_b64 s[6:7], vcc
	s_xor_b64 s[6:7], exec, s[6:7]
	s_cbranch_execz .LBB96_319
; %bb.314:
	s_mov_b32 s8, 0x3c7fffff
	v_cmp_lt_u32_e32 vcc, s8, v4
                                        ; implicit-def: $vgpr1
	s_and_saveexec_b64 s[8:9], vcc
	s_xor_b64 s[8:9], exec, s[8:9]
; %bb.315:
	v_bfe_u32 v1, v0, 20, 1
	s_mov_b32 s10, 0x407ffff
	v_add3_u32 v1, v0, v1, s10
	v_lshrrev_b32_e32 v4, 20, v1
	v_and_b32_e32 v1, 0xff00000, v1
	s_mov_b32 s10, 0x7f00000
	v_mov_b32_e32 v5, 0x7e
	v_cmp_ne_u32_e32 vcc, s10, v1
	v_cndmask_b32_e32 v1, v5, v4, vcc
; %bb.316:
	s_andn2_saveexec_b64 s[8:9], s[8:9]
; %bb.317:
	s_mov_b32 s10, 0x46800000
	v_add_f32_e64 v1, |v0|, s10
; %bb.318:
	s_or_b64 exec, exec, s[8:9]
                                        ; implicit-def: $vgpr4
.LBB96_319:
	s_andn2_saveexec_b64 s[6:7], s[6:7]
; %bb.320:
	s_mov_b32 s8, 0x7f800000
	v_mov_b32_e32 v1, 0x7e
	v_mov_b32_e32 v5, 0x7f
	v_cmp_lt_u32_e32 vcc, s8, v4
	v_cndmask_b32_e32 v1, v1, v5, vcc
; %bb.321:
	s_or_b64 exec, exec, s[6:7]
	v_lshrrev_b32_e32 v4, 24, v0
	s_movk_i32 s6, 0x80
	v_and_or_b32 v1, v4, s6, v1
	global_store_byte v[2:3], v1, off
.LBB96_322:
	s_mov_b64 s[6:7], 0
.LBB96_323:
	s_andn2_b64 vcc, exec, s[6:7]
	s_cbranch_vccnz .LBB96_333
; %bb.324:
	v_and_b32_e32 v4, 0x7fffffff, v0
	s_mov_b32 s6, 0x47800000
	v_cmp_gt_u32_e32 vcc, s6, v4
                                        ; implicit-def: $vgpr1
	s_and_saveexec_b64 s[6:7], vcc
	s_xor_b64 s[6:7], exec, s[6:7]
	s_cbranch_execz .LBB96_330
; %bb.325:
	s_mov_b32 s8, 0x387fffff
	v_cmp_lt_u32_e32 vcc, s8, v4
                                        ; implicit-def: $vgpr1
	s_and_saveexec_b64 s[8:9], vcc
	s_xor_b64 s[8:9], exec, s[8:9]
; %bb.326:
	v_bfe_u32 v1, v0, 21, 1
	s_mov_b32 s10, 0x80fffff
	v_add3_u32 v1, v0, v1, s10
	v_lshrrev_b32_e32 v1, 21, v1
; %bb.327:
	s_andn2_saveexec_b64 s[8:9], s[8:9]
; %bb.328:
	s_mov_b32 s10, 0x43000000
	v_add_f32_e64 v1, |v0|, s10
; %bb.329:
	s_or_b64 exec, exec, s[8:9]
                                        ; implicit-def: $vgpr4
.LBB96_330:
	s_andn2_saveexec_b64 s[6:7], s[6:7]
; %bb.331:
	s_mov_b32 s8, 0x7f800000
	v_mov_b32_e32 v1, 0x7c
	v_mov_b32_e32 v5, 0x7f
	v_cmp_lt_u32_e32 vcc, s8, v4
	v_cndmask_b32_e32 v1, v1, v5, vcc
; %bb.332:
	s_or_b64 exec, exec, s[6:7]
	v_lshrrev_b32_e32 v4, 24, v0
	s_movk_i32 s6, 0x80
	v_and_or_b32 v1, v4, s6, v1
	global_store_byte v[2:3], v1, off
.LBB96_333:
	s_mov_b64 s[8:9], 0
	s_mov_b64 s[6:7], -1
.LBB96_334:
	s_andn2_b64 vcc, exec, s[8:9]
	s_cbranch_vccnz .LBB96_342
; %bb.335:
	s_cmp_gt_i32 s13, 14
	s_mov_b64 s[8:9], -1
	s_cbranch_scc0 .LBB96_339
; %bb.336:
	s_cmp_eq_u32 s13, 15
	s_mov_b64 s[4:5], -1
	s_cbranch_scc0 .LBB96_338
; %bb.337:
	v_bfe_u32 v1, v0, 16, 1
	s_movk_i32 s4, 0x7fff
	v_add3_u32 v1, v0, v1, s4
	v_cmp_o_f32_e32 vcc, v0, v0
	v_mov_b32_e32 v4, 0x7fc0
	v_cndmask_b32_sdwa v1, v4, v1, vcc dst_sel:DWORD dst_unused:UNUSED_PAD src0_sel:DWORD src1_sel:WORD_1
	global_store_short v[2:3], v1, off
	s_mov_b64 s[6:7], -1
	s_mov_b64 s[4:5], 0
.LBB96_338:
	s_mov_b64 s[8:9], 0
.LBB96_339:
	s_and_b64 vcc, exec, s[8:9]
	s_cbranch_vccz .LBB96_342
; %bb.340:
	s_cmp_eq_u32 s13, 11
	s_mov_b64 s[4:5], -1
	s_cbranch_scc0 .LBB96_342
; %bb.341:
	v_cmp_neq_f32_e32 vcc, 0, v0
	v_cndmask_b32_e64 v1, 0, 1, vcc
	s_mov_b64 s[6:7], -1
	s_mov_b64 s[4:5], 0
	global_store_byte v[2:3], v1, off
.LBB96_342:
	s_mov_b64 s[8:9], 0
.LBB96_343:
	s_and_b64 vcc, exec, s[8:9]
	s_cbranch_vccz .LBB96_382
; %bb.344:
	s_and_b32 s8, 0xffff, s12
	s_cmp_lt_i32 s8, 5
	s_mov_b64 s[6:7], -1
	s_cbranch_scc1 .LBB96_365
; %bb.345:
	s_cmp_lt_i32 s8, 8
	s_cbranch_scc1 .LBB96_355
; %bb.346:
	s_cmp_lt_i32 s8, 9
	s_cbranch_scc1 .LBB96_352
; %bb.347:
	s_cmp_gt_i32 s8, 9
	s_cbranch_scc0 .LBB96_349
; %bb.348:
	v_cvt_f64_f32_e32 v[4:5], v0
	v_mov_b32_e32 v6, 0
	v_mov_b32_e32 v7, v6
	s_mov_b64 s[6:7], 0
	global_store_dwordx4 v[2:3], v[4:7], off
.LBB96_349:
	s_andn2_b64 vcc, exec, s[6:7]
	s_cbranch_vccnz .LBB96_351
; %bb.350:
	v_mov_b32_e32 v1, 0
	global_store_dwordx2 v[2:3], v[0:1], off
.LBB96_351:
	s_mov_b64 s[6:7], 0
.LBB96_352:
	s_andn2_b64 vcc, exec, s[6:7]
	s_cbranch_vccnz .LBB96_354
; %bb.353:
	v_cvt_f16_f32_e32 v1, v0
	global_store_dword v[2:3], v1, off
.LBB96_354:
	s_mov_b64 s[6:7], 0
.LBB96_355:
	s_andn2_b64 vcc, exec, s[6:7]
	s_cbranch_vccnz .LBB96_364
; %bb.356:
	s_cmp_lt_i32 s8, 6
	s_mov_b64 s[6:7], -1
	s_cbranch_scc1 .LBB96_362
; %bb.357:
	s_cmp_gt_i32 s8, 6
	s_cbranch_scc0 .LBB96_359
; %bb.358:
	v_cvt_f64_f32_e32 v[4:5], v0
	s_mov_b64 s[6:7], 0
	global_store_dwordx2 v[2:3], v[4:5], off
.LBB96_359:
	s_andn2_b64 vcc, exec, s[6:7]
	s_cbranch_vccnz .LBB96_361
; %bb.360:
	global_store_dword v[2:3], v0, off
.LBB96_361:
	s_mov_b64 s[6:7], 0
.LBB96_362:
	s_andn2_b64 vcc, exec, s[6:7]
	s_cbranch_vccnz .LBB96_364
; %bb.363:
	v_cvt_f16_f32_e32 v1, v0
	global_store_short v[2:3], v1, off
.LBB96_364:
	s_mov_b64 s[6:7], 0
.LBB96_365:
	s_andn2_b64 vcc, exec, s[6:7]
	s_cbranch_vccnz .LBB96_381
; %bb.366:
	s_cmp_lt_i32 s8, 2
	s_mov_b64 s[6:7], -1
	s_cbranch_scc1 .LBB96_376
; %bb.367:
	s_cmp_lt_i32 s8, 3
	s_cbranch_scc1 .LBB96_373
; %bb.368:
	s_cmp_gt_i32 s8, 3
	s_cbranch_scc0 .LBB96_370
; %bb.369:
	v_trunc_f32_e32 v1, v0
	s_mov_b32 s6, 0x2f800000
	v_mul_f32_e64 v4, |v1|, s6
	v_floor_f32_e32 v4, v4
	s_mov_b32 s6, 0xcf800000
	v_cvt_u32_f32_e32 v5, v4
	v_fma_f32 v4, v4, s6, |v1|
	v_cvt_u32_f32_e32 v4, v4
	v_ashrrev_i32_e32 v1, 31, v1
	v_xor_b32_e32 v5, v5, v1
	s_mov_b64 s[6:7], 0
	v_xor_b32_e32 v4, v4, v1
	v_sub_co_u32_e32 v4, vcc, v4, v1
	v_subb_co_u32_e32 v5, vcc, v5, v1, vcc
	global_store_dwordx2 v[2:3], v[4:5], off
.LBB96_370:
	s_andn2_b64 vcc, exec, s[6:7]
	s_cbranch_vccnz .LBB96_372
; %bb.371:
	v_cvt_i32_f32_e32 v1, v0
	global_store_dword v[2:3], v1, off
.LBB96_372:
	s_mov_b64 s[6:7], 0
.LBB96_373:
	s_andn2_b64 vcc, exec, s[6:7]
	s_cbranch_vccnz .LBB96_375
; %bb.374:
	v_cvt_i32_f32_e32 v1, v0
	global_store_short v[2:3], v1, off
.LBB96_375:
	s_mov_b64 s[6:7], 0
.LBB96_376:
	s_andn2_b64 vcc, exec, s[6:7]
	s_cbranch_vccnz .LBB96_381
; %bb.377:
	s_cmp_gt_i32 s8, 0
	s_mov_b64 s[6:7], -1
	s_cbranch_scc0 .LBB96_379
; %bb.378:
	v_cvt_i32_f32_e32 v1, v0
	s_mov_b64 s[6:7], 0
	global_store_byte v[2:3], v1, off
.LBB96_379:
	s_andn2_b64 vcc, exec, s[6:7]
	s_cbranch_vccnz .LBB96_381
; %bb.380:
	v_trunc_f32_e32 v0, v0
	s_mov_b32 s6, 0x2f800000
	v_mul_f32_e64 v1, |v0|, s6
	v_floor_f32_e32 v1, v1
	s_mov_b32 s6, 0xcf800000
	v_fma_f32 v1, v1, s6, |v0|
	v_cvt_u32_f32_e32 v1, v1
	v_ashrrev_i32_e32 v0, 31, v0
	v_xor_b32_e32 v1, v1, v0
	v_sub_u32_e32 v0, v1, v0
	global_store_byte v[2:3], v0, off
.LBB96_381:
	s_mov_b64 s[6:7], -1
.LBB96_382:
	s_andn2_b64 vcc, exec, s[6:7]
	s_cbranch_vccnz .LBB96_384
; %bb.383:
	v_add_u32_e32 v25, 0x80, v25
	s_mov_b64 s[6:7], -1
	s_branch .LBB96_385
.LBB96_384:
	s_mov_b64 s[6:7], 0
                                        ; implicit-def: $vgpr25
.LBB96_385:
	s_andn2_b64 s[8:9], s[58:59], exec
	s_and_b64 s[4:5], s[4:5], exec
	s_or_b64 s[64:65], s[8:9], s[4:5]
	s_orn2_b64 s[6:7], s[6:7], exec
.LBB96_386:
	s_or_b64 exec, exec, s[62:63]
	s_mov_b64 s[4:5], 0
	s_mov_b64 s[10:11], 0
                                        ; implicit-def: $sgpr14
                                        ; implicit-def: $vgpr2_vgpr3
                                        ; implicit-def: $vgpr0
	s_and_saveexec_b64 s[62:63], s[6:7]
	s_cbranch_execz .LBB96_466
; %bb.387:
	v_cmp_gt_i32_e32 vcc, s66, v25
	s_mov_b64 s[6:7], 0
	s_mov_b64 s[8:9], s[64:65]
                                        ; implicit-def: $sgpr14
                                        ; implicit-def: $vgpr2_vgpr3
                                        ; implicit-def: $vgpr0
	s_and_saveexec_b64 s[66:67], vcc
	s_cbranch_execz .LBB96_465
; %bb.388:
	s_getpc_b64 s[4:5]
	s_add_u32 s4, s4, _ZN2at6native6invokeIZZZNS0_21polygamma_kernel_cudaERNS_18TensorIteratorBaseElENKUlvE_clEvENKUlvE0_clEvEUlfE_i15function_traitsIS6_EEENT1_11result_typeERKT_PrKPcPKT0_PKN3c1010ScalarTypeEi@rel32@lo+4
	s_addc_u32 s5, s5, _ZN2at6native6invokeIZZZNS0_21polygamma_kernel_cudaERNS_18TensorIteratorBaseElENKUlvE_clEvENKUlvE0_clEvEUlfE_i15function_traitsIS6_EEENT1_11result_typeERKT_PrKPcPKT0_PKN3c1010ScalarTypeEi@rel32@hi+12
	v_mov_b32_e32 v0, s54
	v_mov_b32_e32 v1, s55
	;; [unrolled: 1-line block ×7, first 2 shown]
	s_swappc_b64 s[30:31], s[4:5]
	v_mul_lo_u32 v1, v25, s52
	v_mov_b32_e32 v3, s49
	s_and_b32 s14, s33, 0xff
	s_cmp_lt_i32 s14, 11
	v_ashrrev_i32_e32 v4, 31, v1
	v_add_co_u32_e32 v2, vcc, s48, v1
	v_addc_co_u32_e32 v3, vcc, v3, v4, vcc
	s_cbranch_scc1 .LBB96_405
; %bb.389:
	s_and_b32 s15, 0xffff, s14
	s_mov_b64 s[8:9], -1
	s_cmp_gt_i32 s15, 25
	s_mov_b64 s[4:5], s[64:65]
	s_cbranch_scc0 .LBB96_423
; %bb.390:
	s_mov_b64 s[6:7], -1
	s_cmp_gt_i32 s15, 28
	s_mov_b64 s[4:5], s[64:65]
	s_cbranch_scc0 .LBB96_407
; %bb.391:
	s_cmp_gt_i32 s15, 43
	s_mov_b64 s[4:5], s[64:65]
	s_cbranch_scc0 .LBB96_402
; %bb.392:
	;; [unrolled: 4-line block ×3, first 2 shown]
	s_cmp_eq_u32 s15, 46
	s_mov_b64 s[4:5], -1
	s_cbranch_scc0 .LBB96_395
; %bb.394:
	v_bfe_u32 v1, v0, 16, 1
	s_movk_i32 s4, 0x7fff
	v_add3_u32 v1, v0, v1, s4
	v_cmp_o_f32_e32 vcc, v0, v0
	v_mov_b32_e32 v4, 0x7fc0
	v_cndmask_b32_sdwa v1, v4, v1, vcc dst_sel:DWORD dst_unused:UNUSED_PAD src0_sel:DWORD src1_sel:WORD_1
	global_store_dword v[2:3], v1, off
	s_mov_b64 s[4:5], 0
.LBB96_395:
	s_mov_b64 s[6:7], 0
.LBB96_396:
	s_and_b64 vcc, exec, s[6:7]
	s_cbranch_vccz .LBB96_401
; %bb.397:
	s_cmp_eq_u32 s15, 44
	s_mov_b64 s[4:5], -1
	s_cbranch_scc0 .LBB96_401
; %bb.398:
	v_bfe_u32 v1, v0, 23, 8
	s_movk_i32 s4, 0xff
	v_cmp_ne_u32_e32 vcc, s4, v1
	v_mov_b32_e32 v4, 0xff
	s_and_saveexec_b64 s[6:7], vcc
; %bb.399:
	s_mov_b32 s4, 0x3fffff
	v_and_b32_e32 v5, 0x400000, v0
	v_and_or_b32 v1, v0, s4, v1
	v_cmp_ne_u32_e32 vcc, 0, v5
	v_cmp_ne_u32_e64 s[4:5], 0, v1
	s_and_b64 s[4:5], vcc, s[4:5]
	v_lshrrev_b32_e32 v4, 23, v0
	v_cndmask_b32_e64 v1, 0, 1, s[4:5]
	v_add_u32_e32 v4, v4, v1
; %bb.400:
	s_or_b64 exec, exec, s[6:7]
	s_mov_b64 s[4:5], 0
	global_store_byte v[2:3], v4, off
.LBB96_401:
	s_mov_b64 s[6:7], 0
.LBB96_402:
	s_and_b64 vcc, exec, s[6:7]
	s_cbranch_vccz .LBB96_406
; %bb.403:
	s_cmp_eq_u32 s15, 29
	s_mov_b64 s[4:5], -1
	s_cbranch_scc0 .LBB96_406
; %bb.404:
	v_trunc_f32_e32 v1, v0
	v_mul_f32_e32 v4, 0x2f800000, v1
	v_floor_f32_e32 v4, v4
	v_fmac_f32_e32 v1, 0xcf800000, v4
	v_cvt_u32_f32_e32 v5, v4
	v_cvt_u32_f32_e32 v4, v1
	s_mov_b64 s[4:5], 0
	s_mov_b64 s[6:7], 0
	global_store_dwordx2 v[2:3], v[4:5], off
	s_branch .LBB96_407
.LBB96_405:
	s_mov_b64 s[8:9], 0
	s_mov_b64 s[6:7], -1
	s_mov_b64 s[4:5], s[64:65]
	s_branch .LBB96_464
.LBB96_406:
	s_mov_b64 s[6:7], 0
.LBB96_407:
	s_and_b64 vcc, exec, s[6:7]
	s_cbranch_vccz .LBB96_422
; %bb.408:
	s_cmp_lt_i32 s15, 27
	s_mov_b64 s[6:7], -1
	s_cbranch_scc1 .LBB96_414
; %bb.409:
	v_cvt_u32_f32_e32 v1, v0
	s_cmp_gt_i32 s15, 27
	s_cbranch_scc0 .LBB96_411
; %bb.410:
	s_mov_b64 s[6:7], 0
	global_store_dword v[2:3], v1, off
.LBB96_411:
	s_andn2_b64 vcc, exec, s[6:7]
	s_cbranch_vccnz .LBB96_413
; %bb.412:
	global_store_short v[2:3], v1, off
.LBB96_413:
	s_mov_b64 s[6:7], 0
.LBB96_414:
	s_andn2_b64 vcc, exec, s[6:7]
	s_cbranch_vccnz .LBB96_422
; %bb.415:
	v_and_b32_e32 v1, 0x7fffffff, v0
	s_mov_b32 s6, 0x43800000
	v_cmp_gt_u32_e32 vcc, s6, v1
	v_mov_b32_e32 v4, 0x80
	s_and_saveexec_b64 s[6:7], vcc
	s_cbranch_execz .LBB96_421
; %bb.416:
	s_mov_b32 s8, 0x3bffffff
	v_cmp_lt_u32_e32 vcc, s8, v1
	s_mov_b64 s[8:9], 0
                                        ; implicit-def: $vgpr1
	s_and_saveexec_b64 s[10:11], vcc
	s_xor_b64 s[10:11], exec, s[10:11]
	s_cbranch_execz .LBB96_1007
; %bb.417:
	v_bfe_u32 v1, v0, 20, 1
	s_mov_b32 s12, 0x487ffff
	v_add3_u32 v1, v0, v1, s12
	s_mov_b64 s[8:9], exec
	v_lshrrev_b32_e32 v1, 20, v1
	s_andn2_saveexec_b64 s[10:11], s[10:11]
	s_cbranch_execnz .LBB96_1008
.LBB96_418:
	s_or_b64 exec, exec, s[10:11]
	v_mov_b32_e32 v4, 0
	s_and_saveexec_b64 s[10:11], s[8:9]
.LBB96_419:
	v_lshrrev_b32_e32 v4, 24, v0
	s_movk_i32 s8, 0x80
	v_and_or_b32 v4, v4, s8, v1
.LBB96_420:
	s_or_b64 exec, exec, s[10:11]
.LBB96_421:
	s_or_b64 exec, exec, s[6:7]
	global_store_byte v[2:3], v4, off
.LBB96_422:
	s_mov_b64 s[8:9], 0
.LBB96_423:
	s_mov_b64 s[6:7], 0
	s_and_b64 vcc, exec, s[8:9]
	s_cbranch_vccz .LBB96_463
; %bb.424:
	s_cmp_gt_i32 s15, 22
	s_mov_b64 s[8:9], -1
	s_cbranch_scc0 .LBB96_456
; %bb.425:
	s_cmp_lt_i32 s15, 24
	s_cbranch_scc1 .LBB96_445
; %bb.426:
	s_cmp_gt_i32 s15, 24
	s_cbranch_scc0 .LBB96_434
; %bb.427:
	v_and_b32_e32 v1, 0x7fffffff, v0
	s_mov_b32 s8, 0x47800000
	v_cmp_gt_u32_e32 vcc, s8, v1
	v_mov_b32_e32 v4, 0x80
	s_and_saveexec_b64 s[8:9], vcc
	s_cbranch_execz .LBB96_433
; %bb.428:
	s_mov_b32 s10, 0x37ffffff
	v_cmp_lt_u32_e32 vcc, s10, v1
	s_mov_b64 s[10:11], 0
                                        ; implicit-def: $vgpr1
	s_and_saveexec_b64 s[12:13], vcc
	s_xor_b64 s[12:13], exec, s[12:13]
	s_cbranch_execz .LBB96_1011
; %bb.429:
	v_bfe_u32 v1, v0, 21, 1
	s_mov_b32 s16, 0x88fffff
	v_add3_u32 v1, v0, v1, s16
	s_mov_b64 s[10:11], exec
	v_lshrrev_b32_e32 v1, 21, v1
	s_andn2_saveexec_b64 s[12:13], s[12:13]
	s_cbranch_execnz .LBB96_1012
.LBB96_430:
	s_or_b64 exec, exec, s[12:13]
	v_mov_b32_e32 v4, 0
	s_and_saveexec_b64 s[12:13], s[10:11]
.LBB96_431:
	v_lshrrev_b32_e32 v4, 24, v0
	s_movk_i32 s10, 0x80
	v_and_or_b32 v4, v4, s10, v1
.LBB96_432:
	s_or_b64 exec, exec, s[12:13]
.LBB96_433:
	s_or_b64 exec, exec, s[8:9]
	s_mov_b64 s[8:9], 0
	global_store_byte v[2:3], v4, off
.LBB96_434:
	s_and_b64 vcc, exec, s[8:9]
	s_cbranch_vccz .LBB96_444
; %bb.435:
	v_and_b32_e32 v4, 0x7fffffff, v0
	s_mov_b32 s8, 0x43f00000
	v_cmp_gt_u32_e32 vcc, s8, v4
                                        ; implicit-def: $vgpr1
	s_and_saveexec_b64 s[8:9], vcc
	s_xor_b64 s[8:9], exec, s[8:9]
	s_cbranch_execz .LBB96_441
; %bb.436:
	s_mov_b32 s10, 0x3c7fffff
	v_cmp_lt_u32_e32 vcc, s10, v4
                                        ; implicit-def: $vgpr1
	s_and_saveexec_b64 s[10:11], vcc
	s_xor_b64 s[10:11], exec, s[10:11]
; %bb.437:
	v_bfe_u32 v1, v0, 20, 1
	s_mov_b32 s12, 0x407ffff
	v_add3_u32 v1, v0, v1, s12
	v_lshrrev_b32_e32 v4, 20, v1
	v_and_b32_e32 v1, 0xff00000, v1
	s_mov_b32 s12, 0x7f00000
	v_mov_b32_e32 v5, 0x7e
	v_cmp_ne_u32_e32 vcc, s12, v1
	v_cndmask_b32_e32 v1, v5, v4, vcc
; %bb.438:
	s_andn2_saveexec_b64 s[10:11], s[10:11]
; %bb.439:
	s_mov_b32 s12, 0x46800000
	v_add_f32_e64 v1, |v0|, s12
; %bb.440:
	s_or_b64 exec, exec, s[10:11]
                                        ; implicit-def: $vgpr4
.LBB96_441:
	s_andn2_saveexec_b64 s[8:9], s[8:9]
; %bb.442:
	s_mov_b32 s10, 0x7f800000
	v_mov_b32_e32 v1, 0x7e
	v_mov_b32_e32 v5, 0x7f
	v_cmp_lt_u32_e32 vcc, s10, v4
	v_cndmask_b32_e32 v1, v1, v5, vcc
; %bb.443:
	s_or_b64 exec, exec, s[8:9]
	v_lshrrev_b32_e32 v4, 24, v0
	s_movk_i32 s8, 0x80
	v_and_or_b32 v1, v4, s8, v1
	global_store_byte v[2:3], v1, off
.LBB96_444:
	s_mov_b64 s[8:9], 0
.LBB96_445:
	s_andn2_b64 vcc, exec, s[8:9]
	s_cbranch_vccnz .LBB96_455
; %bb.446:
	v_and_b32_e32 v4, 0x7fffffff, v0
	s_mov_b32 s8, 0x47800000
	v_cmp_gt_u32_e32 vcc, s8, v4
                                        ; implicit-def: $vgpr1
	s_and_saveexec_b64 s[8:9], vcc
	s_xor_b64 s[8:9], exec, s[8:9]
	s_cbranch_execz .LBB96_452
; %bb.447:
	s_mov_b32 s10, 0x387fffff
	v_cmp_lt_u32_e32 vcc, s10, v4
                                        ; implicit-def: $vgpr1
	s_and_saveexec_b64 s[10:11], vcc
	s_xor_b64 s[10:11], exec, s[10:11]
; %bb.448:
	v_bfe_u32 v1, v0, 21, 1
	s_mov_b32 s12, 0x80fffff
	v_add3_u32 v1, v0, v1, s12
	v_lshrrev_b32_e32 v1, 21, v1
; %bb.449:
	s_andn2_saveexec_b64 s[10:11], s[10:11]
; %bb.450:
	s_mov_b32 s12, 0x43000000
	v_add_f32_e64 v1, |v0|, s12
; %bb.451:
	s_or_b64 exec, exec, s[10:11]
                                        ; implicit-def: $vgpr4
.LBB96_452:
	s_andn2_saveexec_b64 s[8:9], s[8:9]
; %bb.453:
	s_mov_b32 s10, 0x7f800000
	v_mov_b32_e32 v1, 0x7c
	v_mov_b32_e32 v5, 0x7f
	v_cmp_lt_u32_e32 vcc, s10, v4
	v_cndmask_b32_e32 v1, v1, v5, vcc
; %bb.454:
	s_or_b64 exec, exec, s[8:9]
	v_lshrrev_b32_e32 v4, 24, v0
	s_movk_i32 s8, 0x80
	v_and_or_b32 v1, v4, s8, v1
	global_store_byte v[2:3], v1, off
.LBB96_455:
	s_mov_b64 s[8:9], 0
.LBB96_456:
	s_andn2_b64 vcc, exec, s[8:9]
	s_mov_b64 s[8:9], 0
	s_cbranch_vccnz .LBB96_464
; %bb.457:
	s_cmp_gt_i32 s15, 14
	s_mov_b64 s[10:11], -1
	s_cbranch_scc0 .LBB96_461
; %bb.458:
	s_cmp_eq_u32 s15, 15
	s_mov_b64 s[4:5], -1
	s_cbranch_scc0 .LBB96_460
; %bb.459:
	v_bfe_u32 v1, v0, 16, 1
	s_movk_i32 s4, 0x7fff
	v_add3_u32 v1, v0, v1, s4
	v_cmp_o_f32_e32 vcc, v0, v0
	v_mov_b32_e32 v4, 0x7fc0
	v_cndmask_b32_sdwa v1, v4, v1, vcc dst_sel:DWORD dst_unused:UNUSED_PAD src0_sel:DWORD src1_sel:WORD_1
	global_store_short v[2:3], v1, off
	s_mov_b64 s[4:5], 0
.LBB96_460:
	s_mov_b64 s[10:11], 0
.LBB96_461:
	s_and_b64 vcc, exec, s[10:11]
	s_cbranch_vccz .LBB96_464
; %bb.462:
	s_cmp_lg_u32 s15, 11
	s_cselect_b64 s[10:11], -1, 0
	s_andn2_b64 s[4:5], s[4:5], exec
	s_and_b64 s[10:11], s[10:11], exec
	s_mov_b64 s[8:9], -1
	s_or_b64 s[4:5], s[4:5], s[10:11]
	s_branch .LBB96_464
.LBB96_463:
	s_mov_b64 s[8:9], 0
.LBB96_464:
	s_and_b64 s[10:11], s[6:7], exec
	s_and_b64 s[6:7], s[8:9], exec
	s_andn2_b64 s[8:9], s[64:65], exec
	s_and_b64 s[4:5], s[4:5], exec
	s_or_b64 s[8:9], s[8:9], s[4:5]
.LBB96_465:
	s_or_b64 exec, exec, s[66:67]
	s_and_b64 s[4:5], s[6:7], exec
	s_andn2_b64 s[6:7], s[64:65], exec
	s_and_b64 s[8:9], s[8:9], exec
	s_and_b64 s[10:11], s[10:11], exec
	s_or_b64 s[64:65], s[6:7], s[8:9]
.LBB96_466:
	s_or_b64 exec, exec, s[62:63]
	s_and_b64 s[6:7], s[10:11], exec
	s_andn2_b64 s[8:9], s[58:59], exec
	s_and_b64 s[10:11], s[64:65], exec
	s_and_b64 s[4:5], s[4:5], exec
	s_or_b64 s[58:59], s[8:9], s[10:11]
.LBB96_467:
	s_or_b64 exec, exec, s[60:61]
	s_and_b64 s[60:61], s[4:5], exec
	s_andn2_b64 s[4:5], s[38:39], exec
	s_and_b64 s[8:9], s[58:59], exec
	s_and_b64 s[6:7], s[6:7], exec
	s_or_b64 s[38:39], s[4:5], s[8:9]
	s_or_b64 exec, exec, s[56:57]
	s_mov_b64 s[4:5], 0
	s_and_saveexec_b64 s[8:9], s[38:39]
	s_cbranch_execz .LBB96_134
.LBB96_468:
	s_mov_b64 s[4:5], exec
	s_andn2_b64 s[60:61], s[60:61], exec
	s_trap 2
	s_or_b64 exec, exec, s[8:9]
	s_and_saveexec_b64 s[8:9], s[60:61]
	s_xor_b64 s[8:9], exec, s[8:9]
	s_cbranch_execnz .LBB96_135
.LBB96_469:
	s_or_b64 exec, exec, s[8:9]
	s_and_saveexec_b64 s[8:9], s[6:7]
	s_xor_b64 s[6:7], exec, s[8:9]
	s_cbranch_execz .LBB96_507
.LBB96_470:
	s_sext_i32_i16 s10, s14
	s_cmp_lt_i32 s10, 5
	s_mov_b64 s[8:9], -1
	s_cbranch_scc1 .LBB96_491
; %bb.471:
	s_cmp_lt_i32 s10, 8
	s_cbranch_scc1 .LBB96_481
; %bb.472:
	s_cmp_lt_i32 s10, 9
	s_cbranch_scc1 .LBB96_478
; %bb.473:
	s_cmp_gt_i32 s10, 9
	s_cbranch_scc0 .LBB96_475
; %bb.474:
	v_cvt_f64_f32_e32 v[4:5], v0
	v_mov_b32_e32 v6, 0
	v_mov_b32_e32 v7, v6
	s_mov_b64 s[8:9], 0
	global_store_dwordx4 v[2:3], v[4:7], off
.LBB96_475:
	s_andn2_b64 vcc, exec, s[8:9]
	s_cbranch_vccnz .LBB96_477
; %bb.476:
	v_mov_b32_e32 v1, 0
	global_store_dwordx2 v[2:3], v[0:1], off
.LBB96_477:
	s_mov_b64 s[8:9], 0
.LBB96_478:
	s_andn2_b64 vcc, exec, s[8:9]
	s_cbranch_vccnz .LBB96_480
; %bb.479:
	v_cvt_f16_f32_e32 v1, v0
	global_store_dword v[2:3], v1, off
.LBB96_480:
	s_mov_b64 s[8:9], 0
.LBB96_481:
	s_andn2_b64 vcc, exec, s[8:9]
	s_cbranch_vccnz .LBB96_490
; %bb.482:
	s_sext_i32_i16 s10, s14
	s_cmp_lt_i32 s10, 6
	s_mov_b64 s[8:9], -1
	s_cbranch_scc1 .LBB96_488
; %bb.483:
	s_cmp_gt_i32 s10, 6
	s_cbranch_scc0 .LBB96_485
; %bb.484:
	v_cvt_f64_f32_e32 v[4:5], v0
	s_mov_b64 s[8:9], 0
	global_store_dwordx2 v[2:3], v[4:5], off
.LBB96_485:
	s_andn2_b64 vcc, exec, s[8:9]
	s_cbranch_vccnz .LBB96_487
; %bb.486:
	global_store_dword v[2:3], v0, off
.LBB96_487:
	s_mov_b64 s[8:9], 0
.LBB96_488:
	s_andn2_b64 vcc, exec, s[8:9]
	s_cbranch_vccnz .LBB96_490
; %bb.489:
	v_cvt_f16_f32_e32 v1, v0
	global_store_short v[2:3], v1, off
.LBB96_490:
	s_mov_b64 s[8:9], 0
.LBB96_491:
	s_andn2_b64 vcc, exec, s[8:9]
	s_cbranch_vccnz .LBB96_507
; %bb.492:
	s_sext_i32_i16 s10, s14
	s_cmp_lt_i32 s10, 2
	s_mov_b64 s[8:9], -1
	s_cbranch_scc1 .LBB96_502
; %bb.493:
	s_cmp_lt_i32 s10, 3
	s_cbranch_scc1 .LBB96_499
; %bb.494:
	s_cmp_gt_i32 s10, 3
	s_cbranch_scc0 .LBB96_496
; %bb.495:
	v_trunc_f32_e32 v1, v0
	s_mov_b32 s8, 0x2f800000
	v_mul_f32_e64 v4, |v1|, s8
	v_floor_f32_e32 v4, v4
	s_mov_b32 s8, 0xcf800000
	v_cvt_u32_f32_e32 v5, v4
	v_fma_f32 v4, v4, s8, |v1|
	v_cvt_u32_f32_e32 v4, v4
	v_ashrrev_i32_e32 v1, 31, v1
	v_xor_b32_e32 v5, v5, v1
	s_mov_b64 s[8:9], 0
	v_xor_b32_e32 v4, v4, v1
	v_sub_co_u32_e32 v4, vcc, v4, v1
	v_subb_co_u32_e32 v5, vcc, v5, v1, vcc
	global_store_dwordx2 v[2:3], v[4:5], off
.LBB96_496:
	s_andn2_b64 vcc, exec, s[8:9]
	s_cbranch_vccnz .LBB96_498
; %bb.497:
	v_cvt_i32_f32_e32 v1, v0
	global_store_dword v[2:3], v1, off
.LBB96_498:
	s_mov_b64 s[8:9], 0
.LBB96_499:
	s_andn2_b64 vcc, exec, s[8:9]
	s_cbranch_vccnz .LBB96_501
; %bb.500:
	v_cvt_i32_f32_e32 v1, v0
	global_store_short v[2:3], v1, off
.LBB96_501:
	s_mov_b64 s[8:9], 0
.LBB96_502:
	s_andn2_b64 vcc, exec, s[8:9]
	s_cbranch_vccnz .LBB96_507
; %bb.503:
	s_sext_i32_i16 s8, s14
	s_cmp_gt_i32 s8, 0
	s_mov_b64 s[8:9], -1
	s_cbranch_scc0 .LBB96_505
; %bb.504:
	v_cvt_i32_f32_e32 v1, v0
	s_mov_b64 s[8:9], 0
	global_store_byte v[2:3], v1, off
.LBB96_505:
	s_andn2_b64 vcc, exec, s[8:9]
	s_cbranch_vccnz .LBB96_507
; %bb.506:
	v_trunc_f32_e32 v0, v0
	s_mov_b32 s8, 0x2f800000
	v_mul_f32_e64 v1, |v0|, s8
	v_floor_f32_e32 v1, v1
	s_mov_b32 s8, 0xcf800000
	v_fma_f32 v1, v1, s8, |v0|
	v_cvt_u32_f32_e32 v1, v1
	v_ashrrev_i32_e32 v0, 31, v0
	v_xor_b32_e32 v1, v1, v0
	v_sub_u32_e32 v0, v1, v0
	global_store_byte v[2:3], v0, off
.LBB96_507:
	s_or_b64 exec, exec, s[6:7]
	s_and_b64 s[38:39], s[4:5], exec
                                        ; implicit-def: $vgpr25
                                        ; implicit-def: $vgpr26
.LBB96_508:
	s_or_saveexec_b64 s[36:37], s[36:37]
	s_mov_b64 s[4:5], 0
                                        ; implicit-def: $sgpr16
                                        ; implicit-def: $vgpr2_vgpr3
                                        ; implicit-def: $vgpr0
	s_xor_b64 exec, exec, s[36:37]
	s_cbranch_execz .LBB96_941
; %bb.509:
	s_getpc_b64 s[34:35]
	s_add_u32 s34, s34, _ZN2at6native6invokeIZZZNS0_21polygamma_kernel_cudaERNS_18TensorIteratorBaseElENKUlvE_clEvENKUlvE0_clEvEUlfE_i15function_traitsIS6_EEENT1_11result_typeERKT_PrKPcPKT0_PKN3c1010ScalarTypeEi@rel32@lo+4
	s_addc_u32 s35, s35, _ZN2at6native6invokeIZZZNS0_21polygamma_kernel_cudaERNS_18TensorIteratorBaseElENKUlvE_clEvENKUlvE0_clEvEUlfE_i15function_traitsIS6_EEENT1_11result_typeERKT_PrKPcPKT0_PKN3c1010ScalarTypeEi@rel32@hi+12
	v_mov_b32_e32 v0, s54
	v_mov_b32_e32 v1, s55
	;; [unrolled: 1-line block ×7, first 2 shown]
	v_add_u32_e32 v22, 0x80, v25
	v_add_u32_e32 v27, 0x100, v25
	s_swappc_b64 s[30:31], s[34:35]
	v_mov_b32_e32 v24, v0
	v_mov_b32_e32 v0, s54
	v_mov_b32_e32 v1, s55
	v_mov_b32_e32 v2, s50
	v_mov_b32_e32 v3, s51
	v_mov_b32_e32 v4, s53
	v_mov_b32_e32 v5, s68
	v_mov_b32_e32 v6, v22
	s_swappc_b64 s[30:31], s[34:35]
	v_mov_b32_e32 v23, v0
	v_mov_b32_e32 v0, s54
	v_mov_b32_e32 v1, s55
	v_mov_b32_e32 v2, s50
	v_mov_b32_e32 v3, s51
	v_mov_b32_e32 v4, s53
	v_mov_b32_e32 v5, s68
	v_mov_b32_e32 v6, v27
	s_swappc_b64 s[30:31], s[34:35]
	v_mov_b32_e32 v22, v0
	v_mov_b32_e32 v0, s54
	v_mov_b32_e32 v1, s55
	v_mov_b32_e32 v2, s50
	v_mov_b32_e32 v3, s51
	v_mov_b32_e32 v4, s53
	v_mov_b32_e32 v5, s68
	v_mov_b32_e32 v6, v26
	s_swappc_b64 s[30:31], s[34:35]
	v_mul_lo_u32 v3, s52, v25
	v_mov_b32_e32 v2, s49
	s_and_b32 s16, s33, 0xff
	s_cmp_lt_i32 s16, 11
	v_ashrrev_i32_e32 v4, 31, v3
	v_add_co_u32_e32 v1, vcc, s48, v3
	v_addc_co_u32_e32 v2, vcc, v2, v4, vcc
	s_cbranch_scc1 .LBB96_588
; %bb.510:
	s_and_b32 s14, 0xffff, s16
	s_mov_b64 s[6:7], -1
	s_mov_b64 s[8:9], 0
	s_cmp_gt_i32 s14, 25
	s_mov_b64 s[10:11], 0
	s_mov_b64 s[4:5], 0
	s_cbranch_scc0 .LBB96_543
; %bb.511:
	s_cmp_gt_i32 s14, 28
	s_cbranch_scc0 .LBB96_526
; %bb.512:
	s_cmp_gt_i32 s14, 43
	;; [unrolled: 3-line block ×3, first 2 shown]
	s_cbranch_scc0 .LBB96_516
; %bb.514:
	s_mov_b64 s[4:5], -1
	s_mov_b64 s[6:7], 0
	s_cmp_eq_u32 s14, 46
	s_cbranch_scc0 .LBB96_516
; %bb.515:
	v_bfe_u32 v4, v24, 16, 1
	s_movk_i32 s4, 0x7fff
	v_add3_u32 v4, v24, v4, s4
	v_cmp_o_f32_e32 vcc, v24, v24
	v_mov_b32_e32 v5, 0x7fc0
	v_cndmask_b32_sdwa v4, v5, v4, vcc dst_sel:DWORD dst_unused:UNUSED_PAD src0_sel:DWORD src1_sel:WORD_1
	global_store_dword v[1:2], v4, off
	s_mov_b64 s[4:5], 0
	s_mov_b64 s[10:11], -1
.LBB96_516:
	s_and_b64 vcc, exec, s[6:7]
	s_cbranch_vccz .LBB96_521
; %bb.517:
	s_cmp_eq_u32 s14, 44
	s_mov_b64 s[4:5], -1
	s_cbranch_scc0 .LBB96_521
; %bb.518:
	v_bfe_u32 v4, v24, 23, 8
	s_movk_i32 s4, 0xff
	v_cmp_ne_u32_e32 vcc, s4, v4
	v_mov_b32_e32 v5, 0xff
	s_and_saveexec_b64 s[6:7], vcc
; %bb.519:
	s_mov_b32 s4, 0x3fffff
	v_and_b32_e32 v6, 0x400000, v24
	v_and_or_b32 v4, v24, s4, v4
	v_cmp_ne_u32_e32 vcc, 0, v6
	v_cmp_ne_u32_e64 s[4:5], 0, v4
	s_and_b64 s[4:5], vcc, s[4:5]
	v_lshrrev_b32_e32 v5, 23, v24
	v_cndmask_b32_e64 v4, 0, 1, s[4:5]
	v_add_u32_e32 v5, v5, v4
; %bb.520:
	s_or_b64 exec, exec, s[6:7]
	s_mov_b64 s[4:5], 0
	s_mov_b64 s[10:11], -1
	global_store_byte v[1:2], v5, off
.LBB96_521:
	s_mov_b64 s[6:7], 0
.LBB96_522:
	s_and_b64 vcc, exec, s[6:7]
	s_cbranch_vccz .LBB96_525
; %bb.523:
	s_cmp_eq_u32 s14, 29
	s_mov_b64 s[4:5], -1
	s_cbranch_scc0 .LBB96_525
; %bb.524:
	v_trunc_f32_e32 v4, v24
	v_mul_f32_e32 v5, 0x2f800000, v4
	v_floor_f32_e32 v6, v5
	v_fmac_f32_e32 v4, 0xcf800000, v6
	v_cvt_u32_f32_e32 v5, v6
	v_cvt_u32_f32_e32 v4, v4
	s_mov_b64 s[4:5], 0
	s_mov_b64 s[10:11], -1
	global_store_dwordx2 v[1:2], v[4:5], off
.LBB96_525:
	s_mov_b64 s[6:7], 0
.LBB96_526:
	s_and_b64 vcc, exec, s[6:7]
	s_cbranch_vccz .LBB96_542
; %bb.527:
	s_cmp_lt_i32 s14, 27
	s_mov_b64 s[6:7], -1
	s_cbranch_scc1 .LBB96_533
; %bb.528:
	v_cvt_u32_f32_e32 v4, v24
	s_cmp_gt_i32 s14, 27
	s_cbranch_scc0 .LBB96_530
; %bb.529:
	s_mov_b64 s[6:7], 0
	global_store_dword v[1:2], v4, off
.LBB96_530:
	s_andn2_b64 vcc, exec, s[6:7]
	s_cbranch_vccnz .LBB96_532
; %bb.531:
	global_store_short v[1:2], v4, off
.LBB96_532:
	s_mov_b64 s[6:7], 0
.LBB96_533:
	s_andn2_b64 vcc, exec, s[6:7]
	s_cbranch_vccnz .LBB96_541
; %bb.534:
	v_and_b32_e32 v4, 0x7fffffff, v24
	s_mov_b32 s6, 0x43800000
	v_cmp_gt_u32_e32 vcc, s6, v4
	v_mov_b32_e32 v5, 0x80
	s_and_saveexec_b64 s[6:7], vcc
	s_cbranch_execz .LBB96_540
; %bb.535:
	s_mov_b32 s10, 0x3bffffff
	v_cmp_lt_u32_e32 vcc, s10, v4
	s_mov_b64 s[10:11], 0
                                        ; implicit-def: $vgpr4
	s_and_saveexec_b64 s[12:13], vcc
	s_xor_b64 s[12:13], exec, s[12:13]
	s_cbranch_execz .LBB96_985
; %bb.536:
	v_bfe_u32 v4, v24, 20, 1
	s_mov_b32 s15, 0x487ffff
	v_add3_u32 v4, v24, v4, s15
	s_mov_b64 s[10:11], exec
	v_lshrrev_b32_e32 v4, 20, v4
	s_andn2_saveexec_b64 s[12:13], s[12:13]
	s_cbranch_execnz .LBB96_986
.LBB96_537:
	s_or_b64 exec, exec, s[12:13]
	v_mov_b32_e32 v5, 0
	s_and_saveexec_b64 s[12:13], s[10:11]
.LBB96_538:
	v_lshrrev_b32_e32 v5, 24, v24
	s_movk_i32 s10, 0x80
	v_and_or_b32 v5, v5, s10, v4
.LBB96_539:
	s_or_b64 exec, exec, s[12:13]
.LBB96_540:
	s_or_b64 exec, exec, s[6:7]
	global_store_byte v[1:2], v5, off
.LBB96_541:
	s_mov_b64 s[10:11], -1
.LBB96_542:
	s_mov_b64 s[6:7], 0
.LBB96_543:
	s_and_b64 vcc, exec, s[6:7]
	s_cbranch_vccz .LBB96_583
; %bb.544:
	s_cmp_gt_i32 s14, 22
	s_mov_b64 s[6:7], -1
	s_cbranch_scc0 .LBB96_576
; %bb.545:
	s_cmp_lt_i32 s14, 24
	s_cbranch_scc1 .LBB96_565
; %bb.546:
	s_cmp_gt_i32 s14, 24
	s_cbranch_scc0 .LBB96_554
; %bb.547:
	v_and_b32_e32 v4, 0x7fffffff, v24
	s_mov_b32 s6, 0x47800000
	v_cmp_gt_u32_e32 vcc, s6, v4
	v_mov_b32_e32 v5, 0x80
	s_and_saveexec_b64 s[6:7], vcc
	s_cbranch_execz .LBB96_553
; %bb.548:
	s_mov_b32 s8, 0x37ffffff
	v_cmp_lt_u32_e32 vcc, s8, v4
	s_mov_b64 s[8:9], 0
                                        ; implicit-def: $vgpr4
	s_and_saveexec_b64 s[10:11], vcc
	s_xor_b64 s[10:11], exec, s[10:11]
	s_cbranch_execz .LBB96_988
; %bb.549:
	v_bfe_u32 v4, v24, 21, 1
	s_mov_b32 s12, 0x88fffff
	v_add3_u32 v4, v24, v4, s12
	s_mov_b64 s[8:9], exec
	v_lshrrev_b32_e32 v4, 21, v4
	s_andn2_saveexec_b64 s[10:11], s[10:11]
	s_cbranch_execnz .LBB96_989
.LBB96_550:
	s_or_b64 exec, exec, s[10:11]
	v_mov_b32_e32 v5, 0
	s_and_saveexec_b64 s[10:11], s[8:9]
.LBB96_551:
	v_lshrrev_b32_e32 v5, 24, v24
	s_movk_i32 s8, 0x80
	v_and_or_b32 v5, v5, s8, v4
.LBB96_552:
	s_or_b64 exec, exec, s[10:11]
.LBB96_553:
	s_or_b64 exec, exec, s[6:7]
	s_mov_b64 s[6:7], 0
	global_store_byte v[1:2], v5, off
.LBB96_554:
	s_and_b64 vcc, exec, s[6:7]
	s_cbranch_vccz .LBB96_564
; %bb.555:
	v_and_b32_e32 v5, 0x7fffffff, v24
	s_mov_b32 s6, 0x43f00000
	v_cmp_gt_u32_e32 vcc, s6, v5
                                        ; implicit-def: $vgpr4
	s_and_saveexec_b64 s[6:7], vcc
	s_xor_b64 s[6:7], exec, s[6:7]
	s_cbranch_execz .LBB96_561
; %bb.556:
	s_mov_b32 s8, 0x3c7fffff
	v_cmp_lt_u32_e32 vcc, s8, v5
                                        ; implicit-def: $vgpr4
	s_and_saveexec_b64 s[8:9], vcc
	s_xor_b64 s[8:9], exec, s[8:9]
; %bb.557:
	v_bfe_u32 v4, v24, 20, 1
	s_mov_b32 s10, 0x407ffff
	v_add3_u32 v4, v24, v4, s10
	v_lshrrev_b32_e32 v5, 20, v4
	v_and_b32_e32 v4, 0xff00000, v4
	s_mov_b32 s10, 0x7f00000
	v_mov_b32_e32 v6, 0x7e
	v_cmp_ne_u32_e32 vcc, s10, v4
	v_cndmask_b32_e32 v4, v6, v5, vcc
; %bb.558:
	s_andn2_saveexec_b64 s[8:9], s[8:9]
; %bb.559:
	s_mov_b32 s10, 0x46800000
	v_add_f32_e64 v4, |v24|, s10
; %bb.560:
	s_or_b64 exec, exec, s[8:9]
                                        ; implicit-def: $vgpr5
.LBB96_561:
	s_andn2_saveexec_b64 s[6:7], s[6:7]
; %bb.562:
	s_mov_b32 s8, 0x7f800000
	v_mov_b32_e32 v4, 0x7e
	v_mov_b32_e32 v6, 0x7f
	v_cmp_lt_u32_e32 vcc, s8, v5
	v_cndmask_b32_e32 v4, v4, v6, vcc
; %bb.563:
	s_or_b64 exec, exec, s[6:7]
	v_lshrrev_b32_e32 v5, 24, v24
	s_movk_i32 s6, 0x80
	v_and_or_b32 v4, v5, s6, v4
	global_store_byte v[1:2], v4, off
.LBB96_564:
	s_mov_b64 s[6:7], 0
.LBB96_565:
	s_andn2_b64 vcc, exec, s[6:7]
	s_cbranch_vccnz .LBB96_575
; %bb.566:
	v_and_b32_e32 v5, 0x7fffffff, v24
	s_mov_b32 s6, 0x47800000
	v_cmp_gt_u32_e32 vcc, s6, v5
                                        ; implicit-def: $vgpr4
	s_and_saveexec_b64 s[6:7], vcc
	s_xor_b64 s[6:7], exec, s[6:7]
	s_cbranch_execz .LBB96_572
; %bb.567:
	s_mov_b32 s8, 0x387fffff
	v_cmp_lt_u32_e32 vcc, s8, v5
                                        ; implicit-def: $vgpr4
	s_and_saveexec_b64 s[8:9], vcc
	s_xor_b64 s[8:9], exec, s[8:9]
; %bb.568:
	v_bfe_u32 v4, v24, 21, 1
	s_mov_b32 s10, 0x80fffff
	v_add3_u32 v4, v24, v4, s10
	v_lshrrev_b32_e32 v4, 21, v4
; %bb.569:
	s_andn2_saveexec_b64 s[8:9], s[8:9]
; %bb.570:
	s_mov_b32 s10, 0x43000000
	v_add_f32_e64 v4, |v24|, s10
; %bb.571:
	s_or_b64 exec, exec, s[8:9]
                                        ; implicit-def: $vgpr5
.LBB96_572:
	s_andn2_saveexec_b64 s[6:7], s[6:7]
; %bb.573:
	s_mov_b32 s8, 0x7f800000
	v_mov_b32_e32 v4, 0x7c
	v_mov_b32_e32 v6, 0x7f
	v_cmp_lt_u32_e32 vcc, s8, v5
	v_cndmask_b32_e32 v4, v4, v6, vcc
; %bb.574:
	s_or_b64 exec, exec, s[6:7]
	v_lshrrev_b32_e32 v5, 24, v24
	s_movk_i32 s6, 0x80
	v_and_or_b32 v4, v5, s6, v4
	global_store_byte v[1:2], v4, off
.LBB96_575:
	s_mov_b64 s[6:7], 0
	s_mov_b64 s[10:11], -1
.LBB96_576:
	s_andn2_b64 vcc, exec, s[6:7]
	s_mov_b64 s[8:9], 0
	s_cbranch_vccnz .LBB96_583
; %bb.577:
	s_cmp_gt_i32 s14, 14
	s_mov_b64 s[6:7], -1
	s_cbranch_scc0 .LBB96_581
; %bb.578:
	s_cmp_eq_u32 s14, 15
	s_mov_b64 s[4:5], -1
	s_cbranch_scc0 .LBB96_580
; %bb.579:
	v_bfe_u32 v4, v24, 16, 1
	s_movk_i32 s4, 0x7fff
	v_add3_u32 v4, v24, v4, s4
	v_cmp_o_f32_e32 vcc, v24, v24
	v_mov_b32_e32 v5, 0x7fc0
	v_cndmask_b32_sdwa v4, v5, v4, vcc dst_sel:DWORD dst_unused:UNUSED_PAD src0_sel:DWORD src1_sel:WORD_1
	global_store_short v[1:2], v4, off
	s_mov_b64 s[4:5], 0
	s_mov_b64 s[10:11], -1
.LBB96_580:
	s_mov_b64 s[6:7], 0
.LBB96_581:
	s_and_b64 vcc, exec, s[6:7]
	s_cbranch_vccz .LBB96_583
; %bb.582:
	s_cmp_lg_u32 s14, 11
	s_mov_b64 s[8:9], -1
	s_cselect_b64 s[4:5], -1, 0
.LBB96_583:
	s_and_b64 vcc, exec, s[4:5]
	s_mov_b64 s[6:7], s[38:39]
	s_cbranch_vccnz .LBB96_987
; %bb.584:
	s_andn2_b64 vcc, exec, s[8:9]
	s_cbranch_vccnz .LBB96_586
.LBB96_585:
	v_cmp_neq_f32_e32 vcc, 0, v24
	v_cndmask_b32_e64 v4, 0, 1, vcc
	global_store_byte v[1:2], v4, off
	s_mov_b64 s[10:11], -1
.LBB96_586:
.LBB96_587:
	s_andn2_b64 vcc, exec, s[10:11]
	s_cbranch_vccz .LBB96_627
	s_branch .LBB96_939
.LBB96_588:
	s_mov_b64 s[10:11], 0
	s_mov_b64 s[6:7], s[38:39]
	s_cbranch_execz .LBB96_587
; %bb.589:
	s_and_b32 s8, 0xffff, s16
	s_cmp_lt_i32 s8, 5
	s_mov_b64 s[4:5], -1
	s_cbranch_scc1 .LBB96_610
; %bb.590:
	s_cmp_lt_i32 s8, 8
	s_cbranch_scc1 .LBB96_600
; %bb.591:
	s_cmp_lt_i32 s8, 9
	s_cbranch_scc1 .LBB96_597
; %bb.592:
	s_cmp_gt_i32 s8, 9
	s_cbranch_scc0 .LBB96_594
; %bb.593:
	v_cvt_f64_f32_e32 v[4:5], v24
	v_mov_b32_e32 v6, 0
	v_mov_b32_e32 v7, v6
	s_mov_b64 s[4:5], 0
	global_store_dwordx4 v[1:2], v[4:7], off
.LBB96_594:
	s_andn2_b64 vcc, exec, s[4:5]
	s_cbranch_vccnz .LBB96_596
; %bb.595:
	v_mov_b32_e32 v25, 0
	global_store_dwordx2 v[1:2], v[24:25], off
.LBB96_596:
	s_mov_b64 s[4:5], 0
.LBB96_597:
	s_andn2_b64 vcc, exec, s[4:5]
	s_cbranch_vccnz .LBB96_599
; %bb.598:
	v_cvt_f16_f32_e32 v4, v24
	global_store_dword v[1:2], v4, off
.LBB96_599:
	s_mov_b64 s[4:5], 0
.LBB96_600:
	s_andn2_b64 vcc, exec, s[4:5]
	s_cbranch_vccnz .LBB96_609
; %bb.601:
	s_cmp_lt_i32 s8, 6
	s_mov_b64 s[4:5], -1
	s_cbranch_scc1 .LBB96_607
; %bb.602:
	s_cmp_gt_i32 s8, 6
	s_cbranch_scc0 .LBB96_604
; %bb.603:
	v_cvt_f64_f32_e32 v[4:5], v24
	s_mov_b64 s[4:5], 0
	global_store_dwordx2 v[1:2], v[4:5], off
.LBB96_604:
	s_andn2_b64 vcc, exec, s[4:5]
	s_cbranch_vccnz .LBB96_606
; %bb.605:
	global_store_dword v[1:2], v24, off
.LBB96_606:
	s_mov_b64 s[4:5], 0
.LBB96_607:
	s_andn2_b64 vcc, exec, s[4:5]
	s_cbranch_vccnz .LBB96_609
; %bb.608:
	v_cvt_f16_f32_e32 v4, v24
	global_store_short v[1:2], v4, off
.LBB96_609:
	s_mov_b64 s[4:5], 0
.LBB96_610:
	s_andn2_b64 vcc, exec, s[4:5]
	s_cbranch_vccnz .LBB96_626
; %bb.611:
	s_cmp_lt_i32 s8, 2
	s_mov_b64 s[4:5], -1
	s_cbranch_scc1 .LBB96_621
; %bb.612:
	s_cmp_lt_i32 s8, 3
	s_cbranch_scc1 .LBB96_618
; %bb.613:
	s_cmp_gt_i32 s8, 3
	s_cbranch_scc0 .LBB96_615
; %bb.614:
	v_trunc_f32_e32 v4, v24
	s_mov_b32 s4, 0x2f800000
	v_mul_f32_e64 v5, |v4|, s4
	v_floor_f32_e32 v5, v5
	s_mov_b32 s4, 0xcf800000
	v_cvt_u32_f32_e32 v6, v5
	v_fma_f32 v5, v5, s4, |v4|
	v_cvt_u32_f32_e32 v5, v5
	v_ashrrev_i32_e32 v7, 31, v4
	v_xor_b32_e32 v6, v6, v7
	s_mov_b64 s[4:5], 0
	v_xor_b32_e32 v4, v5, v7
	v_sub_co_u32_e32 v4, vcc, v4, v7
	v_subb_co_u32_e32 v5, vcc, v6, v7, vcc
	global_store_dwordx2 v[1:2], v[4:5], off
.LBB96_615:
	s_andn2_b64 vcc, exec, s[4:5]
	s_cbranch_vccnz .LBB96_617
; %bb.616:
	v_cvt_i32_f32_e32 v4, v24
	global_store_dword v[1:2], v4, off
.LBB96_617:
	s_mov_b64 s[4:5], 0
.LBB96_618:
	s_andn2_b64 vcc, exec, s[4:5]
	s_cbranch_vccnz .LBB96_620
; %bb.619:
	v_cvt_i32_f32_e32 v4, v24
	global_store_short v[1:2], v4, off
.LBB96_620:
	s_mov_b64 s[4:5], 0
.LBB96_621:
	s_andn2_b64 vcc, exec, s[4:5]
	s_cbranch_vccnz .LBB96_626
; %bb.622:
	s_cmp_gt_i32 s8, 0
	s_mov_b64 s[4:5], -1
	s_cbranch_scc0 .LBB96_624
; %bb.623:
	v_cvt_i32_f32_e32 v4, v24
	s_mov_b64 s[4:5], 0
	global_store_byte v[1:2], v4, off
.LBB96_624:
	s_andn2_b64 vcc, exec, s[4:5]
	s_cbranch_vccnz .LBB96_626
; %bb.625:
	v_trunc_f32_e32 v4, v24
	s_mov_b32 s4, 0x2f800000
	v_mul_f32_e64 v5, |v4|, s4
	v_floor_f32_e32 v5, v5
	s_mov_b32 s4, 0xcf800000
	v_fma_f32 v5, v5, s4, |v4|
	v_cvt_u32_f32_e32 v5, v5
	v_ashrrev_i32_e32 v4, 31, v4
	v_xor_b32_e32 v5, v5, v4
	v_sub_u32_e32 v4, v5, v4
	global_store_byte v[1:2], v4, off
.LBB96_626:
.LBB96_627:
	s_lshl_b32 s17, s52, 7
	v_add_u32_e32 v3, s17, v3
	v_ashrrev_i32_e32 v2, 31, v3
	v_mov_b32_e32 v4, s49
	v_add_co_u32_e32 v1, vcc, s48, v3
	s_cmp_lt_i32 s16, 11
	v_addc_co_u32_e32 v2, vcc, v4, v2, vcc
	s_cbranch_scc1 .LBB96_706
; %bb.628:
	s_and_b32 s18, 0xffff, s16
	s_mov_b64 s[12:13], -1
	s_mov_b64 s[8:9], 0
	s_cmp_gt_i32 s18, 25
	s_mov_b64 s[10:11], 0
	s_mov_b64 s[4:5], 0
	s_cbranch_scc0 .LBB96_661
; %bb.629:
	s_cmp_gt_i32 s18, 28
	s_cbranch_scc0 .LBB96_644
; %bb.630:
	s_cmp_gt_i32 s18, 43
	;; [unrolled: 3-line block ×3, first 2 shown]
	s_cbranch_scc0 .LBB96_634
; %bb.632:
	s_mov_b64 s[4:5], -1
	s_mov_b64 s[12:13], 0
	s_cmp_eq_u32 s18, 46
	s_cbranch_scc0 .LBB96_634
; %bb.633:
	v_bfe_u32 v4, v23, 16, 1
	s_movk_i32 s4, 0x7fff
	v_add3_u32 v4, v23, v4, s4
	v_cmp_o_f32_e32 vcc, v23, v23
	v_mov_b32_e32 v5, 0x7fc0
	v_cndmask_b32_sdwa v4, v5, v4, vcc dst_sel:DWORD dst_unused:UNUSED_PAD src0_sel:DWORD src1_sel:WORD_1
	global_store_dword v[1:2], v4, off
	s_mov_b64 s[4:5], 0
	s_mov_b64 s[10:11], -1
.LBB96_634:
	s_and_b64 vcc, exec, s[12:13]
	s_cbranch_vccz .LBB96_639
; %bb.635:
	s_cmp_eq_u32 s18, 44
	s_mov_b64 s[4:5], -1
	s_cbranch_scc0 .LBB96_639
; %bb.636:
	v_bfe_u32 v4, v23, 23, 8
	s_movk_i32 s4, 0xff
	v_cmp_ne_u32_e32 vcc, s4, v4
	v_mov_b32_e32 v5, 0xff
	s_and_saveexec_b64 s[10:11], vcc
; %bb.637:
	s_mov_b32 s4, 0x3fffff
	v_and_b32_e32 v6, 0x400000, v23
	v_and_or_b32 v4, v23, s4, v4
	v_cmp_ne_u32_e32 vcc, 0, v6
	v_cmp_ne_u32_e64 s[4:5], 0, v4
	s_and_b64 s[4:5], vcc, s[4:5]
	v_lshrrev_b32_e32 v5, 23, v23
	v_cndmask_b32_e64 v4, 0, 1, s[4:5]
	v_add_u32_e32 v5, v5, v4
; %bb.638:
	s_or_b64 exec, exec, s[10:11]
	s_mov_b64 s[4:5], 0
	s_mov_b64 s[10:11], -1
	global_store_byte v[1:2], v5, off
.LBB96_639:
	s_mov_b64 s[12:13], 0
.LBB96_640:
	s_and_b64 vcc, exec, s[12:13]
	s_cbranch_vccz .LBB96_643
; %bb.641:
	s_cmp_eq_u32 s18, 29
	s_mov_b64 s[4:5], -1
	s_cbranch_scc0 .LBB96_643
; %bb.642:
	v_trunc_f32_e32 v4, v23
	v_mul_f32_e32 v5, 0x2f800000, v4
	v_floor_f32_e32 v6, v5
	v_fmac_f32_e32 v4, 0xcf800000, v6
	v_cvt_u32_f32_e32 v5, v6
	v_cvt_u32_f32_e32 v4, v4
	s_mov_b64 s[4:5], 0
	s_mov_b64 s[10:11], -1
	global_store_dwordx2 v[1:2], v[4:5], off
.LBB96_643:
	s_mov_b64 s[12:13], 0
.LBB96_644:
	s_and_b64 vcc, exec, s[12:13]
	s_cbranch_vccz .LBB96_660
; %bb.645:
	s_cmp_lt_i32 s18, 27
	s_mov_b64 s[10:11], -1
	s_cbranch_scc1 .LBB96_651
; %bb.646:
	v_cvt_u32_f32_e32 v4, v23
	s_cmp_gt_i32 s18, 27
	s_cbranch_scc0 .LBB96_648
; %bb.647:
	s_mov_b64 s[10:11], 0
	global_store_dword v[1:2], v4, off
.LBB96_648:
	s_andn2_b64 vcc, exec, s[10:11]
	s_cbranch_vccnz .LBB96_650
; %bb.649:
	global_store_short v[1:2], v4, off
.LBB96_650:
	s_mov_b64 s[10:11], 0
.LBB96_651:
	s_andn2_b64 vcc, exec, s[10:11]
	s_cbranch_vccnz .LBB96_659
; %bb.652:
	v_and_b32_e32 v4, 0x7fffffff, v23
	s_mov_b32 s10, 0x43800000
	v_cmp_gt_u32_e32 vcc, s10, v4
	v_mov_b32_e32 v5, 0x80
	s_and_saveexec_b64 s[10:11], vcc
	s_cbranch_execz .LBB96_658
; %bb.653:
	s_mov_b32 s12, 0x3bffffff
	v_cmp_lt_u32_e32 vcc, s12, v4
	s_mov_b64 s[12:13], 0
                                        ; implicit-def: $vgpr4
	s_and_saveexec_b64 s[14:15], vcc
	s_xor_b64 s[14:15], exec, s[14:15]
	s_cbranch_execz .LBB96_990
; %bb.654:
	v_bfe_u32 v4, v23, 20, 1
	s_mov_b32 s19, 0x487ffff
	v_add3_u32 v4, v23, v4, s19
	s_mov_b64 s[12:13], exec
	v_lshrrev_b32_e32 v4, 20, v4
	s_andn2_saveexec_b64 s[14:15], s[14:15]
	s_cbranch_execnz .LBB96_991
.LBB96_655:
	s_or_b64 exec, exec, s[14:15]
	v_mov_b32_e32 v5, 0
	s_and_saveexec_b64 s[14:15], s[12:13]
.LBB96_656:
	v_lshrrev_b32_e32 v5, 24, v23
	s_movk_i32 s12, 0x80
	v_and_or_b32 v5, v5, s12, v4
.LBB96_657:
	s_or_b64 exec, exec, s[14:15]
.LBB96_658:
	s_or_b64 exec, exec, s[10:11]
	global_store_byte v[1:2], v5, off
.LBB96_659:
	s_mov_b64 s[10:11], -1
.LBB96_660:
	s_mov_b64 s[12:13], 0
.LBB96_661:
	s_and_b64 vcc, exec, s[12:13]
	s_cbranch_vccz .LBB96_701
; %bb.662:
	s_cmp_gt_i32 s18, 22
	s_mov_b64 s[8:9], -1
	s_cbranch_scc0 .LBB96_694
; %bb.663:
	s_cmp_lt_i32 s18, 24
	s_cbranch_scc1 .LBB96_683
; %bb.664:
	s_cmp_gt_i32 s18, 24
	s_cbranch_scc0 .LBB96_672
; %bb.665:
	v_and_b32_e32 v4, 0x7fffffff, v23
	s_mov_b32 s8, 0x47800000
	v_cmp_gt_u32_e32 vcc, s8, v4
	v_mov_b32_e32 v5, 0x80
	s_and_saveexec_b64 s[8:9], vcc
	s_cbranch_execz .LBB96_671
; %bb.666:
	s_mov_b32 s10, 0x37ffffff
	v_cmp_lt_u32_e32 vcc, s10, v4
	s_mov_b64 s[10:11], 0
                                        ; implicit-def: $vgpr4
	s_and_saveexec_b64 s[12:13], vcc
	s_xor_b64 s[12:13], exec, s[12:13]
	s_cbranch_execz .LBB96_993
; %bb.667:
	v_bfe_u32 v4, v23, 21, 1
	s_mov_b32 s14, 0x88fffff
	v_add3_u32 v4, v23, v4, s14
	s_mov_b64 s[10:11], exec
	v_lshrrev_b32_e32 v4, 21, v4
	s_andn2_saveexec_b64 s[12:13], s[12:13]
	s_cbranch_execnz .LBB96_994
.LBB96_668:
	s_or_b64 exec, exec, s[12:13]
	v_mov_b32_e32 v5, 0
	s_and_saveexec_b64 s[12:13], s[10:11]
.LBB96_669:
	v_lshrrev_b32_e32 v5, 24, v23
	s_movk_i32 s10, 0x80
	v_and_or_b32 v5, v5, s10, v4
.LBB96_670:
	s_or_b64 exec, exec, s[12:13]
.LBB96_671:
	s_or_b64 exec, exec, s[8:9]
	s_mov_b64 s[8:9], 0
	global_store_byte v[1:2], v5, off
.LBB96_672:
	s_and_b64 vcc, exec, s[8:9]
	s_cbranch_vccz .LBB96_682
; %bb.673:
	v_and_b32_e32 v5, 0x7fffffff, v23
	s_mov_b32 s8, 0x43f00000
	v_cmp_gt_u32_e32 vcc, s8, v5
                                        ; implicit-def: $vgpr4
	s_and_saveexec_b64 s[8:9], vcc
	s_xor_b64 s[8:9], exec, s[8:9]
	s_cbranch_execz .LBB96_679
; %bb.674:
	s_mov_b32 s10, 0x3c7fffff
	v_cmp_lt_u32_e32 vcc, s10, v5
                                        ; implicit-def: $vgpr4
	s_and_saveexec_b64 s[10:11], vcc
	s_xor_b64 s[10:11], exec, s[10:11]
; %bb.675:
	v_bfe_u32 v4, v23, 20, 1
	s_mov_b32 s12, 0x407ffff
	v_add3_u32 v4, v23, v4, s12
	v_lshrrev_b32_e32 v5, 20, v4
	v_and_b32_e32 v4, 0xff00000, v4
	s_mov_b32 s12, 0x7f00000
	v_mov_b32_e32 v6, 0x7e
	v_cmp_ne_u32_e32 vcc, s12, v4
	v_cndmask_b32_e32 v4, v6, v5, vcc
; %bb.676:
	s_andn2_saveexec_b64 s[10:11], s[10:11]
; %bb.677:
	s_mov_b32 s12, 0x46800000
	v_add_f32_e64 v4, |v23|, s12
; %bb.678:
	s_or_b64 exec, exec, s[10:11]
                                        ; implicit-def: $vgpr5
.LBB96_679:
	s_andn2_saveexec_b64 s[8:9], s[8:9]
; %bb.680:
	s_mov_b32 s10, 0x7f800000
	v_mov_b32_e32 v4, 0x7e
	v_mov_b32_e32 v6, 0x7f
	v_cmp_lt_u32_e32 vcc, s10, v5
	v_cndmask_b32_e32 v4, v4, v6, vcc
; %bb.681:
	s_or_b64 exec, exec, s[8:9]
	v_lshrrev_b32_e32 v5, 24, v23
	s_movk_i32 s8, 0x80
	v_and_or_b32 v4, v5, s8, v4
	global_store_byte v[1:2], v4, off
.LBB96_682:
	s_mov_b64 s[8:9], 0
.LBB96_683:
	s_andn2_b64 vcc, exec, s[8:9]
	s_cbranch_vccnz .LBB96_693
; %bb.684:
	v_and_b32_e32 v5, 0x7fffffff, v23
	s_mov_b32 s8, 0x47800000
	v_cmp_gt_u32_e32 vcc, s8, v5
                                        ; implicit-def: $vgpr4
	s_and_saveexec_b64 s[8:9], vcc
	s_xor_b64 s[8:9], exec, s[8:9]
	s_cbranch_execz .LBB96_690
; %bb.685:
	s_mov_b32 s10, 0x387fffff
	v_cmp_lt_u32_e32 vcc, s10, v5
                                        ; implicit-def: $vgpr4
	s_and_saveexec_b64 s[10:11], vcc
	s_xor_b64 s[10:11], exec, s[10:11]
; %bb.686:
	v_bfe_u32 v4, v23, 21, 1
	s_mov_b32 s12, 0x80fffff
	v_add3_u32 v4, v23, v4, s12
	v_lshrrev_b32_e32 v4, 21, v4
; %bb.687:
	s_andn2_saveexec_b64 s[10:11], s[10:11]
; %bb.688:
	s_mov_b32 s12, 0x43000000
	v_add_f32_e64 v4, |v23|, s12
; %bb.689:
	s_or_b64 exec, exec, s[10:11]
                                        ; implicit-def: $vgpr5
.LBB96_690:
	s_andn2_saveexec_b64 s[8:9], s[8:9]
; %bb.691:
	s_mov_b32 s10, 0x7f800000
	v_mov_b32_e32 v4, 0x7c
	v_mov_b32_e32 v6, 0x7f
	v_cmp_lt_u32_e32 vcc, s10, v5
	v_cndmask_b32_e32 v4, v4, v6, vcc
; %bb.692:
	s_or_b64 exec, exec, s[8:9]
	v_lshrrev_b32_e32 v5, 24, v23
	s_movk_i32 s8, 0x80
	v_and_or_b32 v4, v5, s8, v4
	global_store_byte v[1:2], v4, off
.LBB96_693:
	s_mov_b64 s[8:9], 0
	s_mov_b64 s[10:11], -1
.LBB96_694:
	s_andn2_b64 vcc, exec, s[8:9]
	s_mov_b64 s[8:9], 0
	s_cbranch_vccnz .LBB96_701
; %bb.695:
	s_cmp_gt_i32 s18, 14
	s_mov_b64 s[12:13], -1
	s_cbranch_scc0 .LBB96_699
; %bb.696:
	s_cmp_eq_u32 s18, 15
	s_mov_b64 s[4:5], -1
	s_cbranch_scc0 .LBB96_698
; %bb.697:
	v_bfe_u32 v4, v23, 16, 1
	s_movk_i32 s4, 0x7fff
	v_add3_u32 v4, v23, v4, s4
	v_cmp_o_f32_e32 vcc, v23, v23
	v_mov_b32_e32 v5, 0x7fc0
	v_cndmask_b32_sdwa v4, v5, v4, vcc dst_sel:DWORD dst_unused:UNUSED_PAD src0_sel:DWORD src1_sel:WORD_1
	global_store_short v[1:2], v4, off
	s_mov_b64 s[4:5], 0
	s_mov_b64 s[10:11], -1
.LBB96_698:
	s_mov_b64 s[12:13], 0
.LBB96_699:
	s_and_b64 vcc, exec, s[12:13]
	s_cbranch_vccz .LBB96_701
; %bb.700:
	s_cmp_lg_u32 s18, 11
	s_mov_b64 s[8:9], -1
	s_cselect_b64 s[4:5], -1, 0
.LBB96_701:
	s_and_b64 vcc, exec, s[4:5]
	s_cbranch_vccnz .LBB96_992
; %bb.702:
	s_andn2_b64 vcc, exec, s[8:9]
	s_cbranch_vccnz .LBB96_704
.LBB96_703:
	v_cmp_neq_f32_e32 vcc, 0, v23
	v_cndmask_b32_e64 v4, 0, 1, vcc
	s_mov_b64 s[10:11], -1
	global_store_byte v[1:2], v4, off
.LBB96_704:
.LBB96_705:
	s_andn2_b64 vcc, exec, s[10:11]
	s_cbranch_vccz .LBB96_745
	s_branch .LBB96_939
.LBB96_706:
	s_mov_b64 s[10:11], 0
	s_cbranch_execz .LBB96_705
; %bb.707:
	s_and_b32 s8, 0xffff, s16
	s_cmp_lt_i32 s8, 5
	s_mov_b64 s[4:5], -1
	s_cbranch_scc1 .LBB96_728
; %bb.708:
	s_cmp_lt_i32 s8, 8
	s_cbranch_scc1 .LBB96_718
; %bb.709:
	s_cmp_lt_i32 s8, 9
	s_cbranch_scc1 .LBB96_715
; %bb.710:
	s_cmp_gt_i32 s8, 9
	s_cbranch_scc0 .LBB96_712
; %bb.711:
	v_cvt_f64_f32_e32 v[4:5], v23
	v_mov_b32_e32 v6, 0
	v_mov_b32_e32 v7, v6
	s_mov_b64 s[4:5], 0
	global_store_dwordx4 v[1:2], v[4:7], off
.LBB96_712:
	s_andn2_b64 vcc, exec, s[4:5]
	s_cbranch_vccnz .LBB96_714
; %bb.713:
	v_mov_b32_e32 v24, 0
	global_store_dwordx2 v[1:2], v[23:24], off
.LBB96_714:
	s_mov_b64 s[4:5], 0
.LBB96_715:
	s_andn2_b64 vcc, exec, s[4:5]
	s_cbranch_vccnz .LBB96_717
; %bb.716:
	v_cvt_f16_f32_e32 v4, v23
	global_store_dword v[1:2], v4, off
.LBB96_717:
	s_mov_b64 s[4:5], 0
.LBB96_718:
	s_andn2_b64 vcc, exec, s[4:5]
	s_cbranch_vccnz .LBB96_727
; %bb.719:
	s_cmp_lt_i32 s8, 6
	s_mov_b64 s[4:5], -1
	s_cbranch_scc1 .LBB96_725
; %bb.720:
	s_cmp_gt_i32 s8, 6
	s_cbranch_scc0 .LBB96_722
; %bb.721:
	v_cvt_f64_f32_e32 v[4:5], v23
	s_mov_b64 s[4:5], 0
	global_store_dwordx2 v[1:2], v[4:5], off
.LBB96_722:
	s_andn2_b64 vcc, exec, s[4:5]
	s_cbranch_vccnz .LBB96_724
; %bb.723:
	global_store_dword v[1:2], v23, off
.LBB96_724:
	s_mov_b64 s[4:5], 0
.LBB96_725:
	s_andn2_b64 vcc, exec, s[4:5]
	s_cbranch_vccnz .LBB96_727
; %bb.726:
	v_cvt_f16_f32_e32 v4, v23
	global_store_short v[1:2], v4, off
.LBB96_727:
	s_mov_b64 s[4:5], 0
.LBB96_728:
	s_andn2_b64 vcc, exec, s[4:5]
	s_cbranch_vccnz .LBB96_744
; %bb.729:
	s_cmp_lt_i32 s8, 2
	s_mov_b64 s[4:5], -1
	s_cbranch_scc1 .LBB96_739
; %bb.730:
	s_cmp_lt_i32 s8, 3
	s_cbranch_scc1 .LBB96_736
; %bb.731:
	s_cmp_gt_i32 s8, 3
	s_cbranch_scc0 .LBB96_733
; %bb.732:
	v_trunc_f32_e32 v4, v23
	s_mov_b32 s4, 0x2f800000
	v_mul_f32_e64 v5, |v4|, s4
	v_floor_f32_e32 v5, v5
	s_mov_b32 s4, 0xcf800000
	v_cvt_u32_f32_e32 v6, v5
	v_fma_f32 v5, v5, s4, |v4|
	v_cvt_u32_f32_e32 v5, v5
	v_ashrrev_i32_e32 v7, 31, v4
	v_xor_b32_e32 v6, v6, v7
	s_mov_b64 s[4:5], 0
	v_xor_b32_e32 v4, v5, v7
	v_sub_co_u32_e32 v4, vcc, v4, v7
	v_subb_co_u32_e32 v5, vcc, v6, v7, vcc
	global_store_dwordx2 v[1:2], v[4:5], off
.LBB96_733:
	s_andn2_b64 vcc, exec, s[4:5]
	s_cbranch_vccnz .LBB96_735
; %bb.734:
	v_cvt_i32_f32_e32 v4, v23
	global_store_dword v[1:2], v4, off
.LBB96_735:
	s_mov_b64 s[4:5], 0
.LBB96_736:
	s_andn2_b64 vcc, exec, s[4:5]
	s_cbranch_vccnz .LBB96_738
; %bb.737:
	v_cvt_i32_f32_e32 v4, v23
	global_store_short v[1:2], v4, off
.LBB96_738:
	s_mov_b64 s[4:5], 0
.LBB96_739:
	s_andn2_b64 vcc, exec, s[4:5]
	s_cbranch_vccnz .LBB96_744
; %bb.740:
	s_cmp_gt_i32 s8, 0
	s_mov_b64 s[4:5], -1
	s_cbranch_scc0 .LBB96_742
; %bb.741:
	v_cvt_i32_f32_e32 v4, v23
	s_mov_b64 s[4:5], 0
	global_store_byte v[1:2], v4, off
.LBB96_742:
	s_andn2_b64 vcc, exec, s[4:5]
	s_cbranch_vccnz .LBB96_744
; %bb.743:
	v_trunc_f32_e32 v4, v23
	s_mov_b32 s4, 0x2f800000
	v_mul_f32_e64 v5, |v4|, s4
	v_floor_f32_e32 v5, v5
	s_mov_b32 s4, 0xcf800000
	v_fma_f32 v5, v5, s4, |v4|
	v_cvt_u32_f32_e32 v5, v5
	v_ashrrev_i32_e32 v4, 31, v4
	v_xor_b32_e32 v5, v5, v4
	v_sub_u32_e32 v4, v5, v4
	global_store_byte v[1:2], v4, off
.LBB96_744:
.LBB96_745:
	v_add_u32_e32 v3, s17, v3
	v_ashrrev_i32_e32 v2, 31, v3
	v_mov_b32_e32 v4, s49
	v_add_co_u32_e32 v1, vcc, s48, v3
	s_cmp_lt_i32 s16, 11
	v_addc_co_u32_e32 v2, vcc, v4, v2, vcc
	s_cbranch_scc1 .LBB96_900
; %bb.746:
	s_and_b32 s18, 0xffff, s16
	s_mov_b64 s[12:13], -1
	s_mov_b64 s[8:9], 0
	s_cmp_gt_i32 s18, 25
	s_mov_b64 s[10:11], 0
	s_mov_b64 s[4:5], 0
	s_cbranch_scc0 .LBB96_779
; %bb.747:
	s_cmp_gt_i32 s18, 28
	s_cbranch_scc0 .LBB96_762
; %bb.748:
	s_cmp_gt_i32 s18, 43
	;; [unrolled: 3-line block ×3, first 2 shown]
	s_cbranch_scc0 .LBB96_752
; %bb.750:
	s_mov_b64 s[4:5], -1
	s_mov_b64 s[12:13], 0
	s_cmp_eq_u32 s18, 46
	s_cbranch_scc0 .LBB96_752
; %bb.751:
	v_bfe_u32 v4, v22, 16, 1
	s_movk_i32 s4, 0x7fff
	v_add3_u32 v4, v22, v4, s4
	v_cmp_o_f32_e32 vcc, v22, v22
	v_mov_b32_e32 v5, 0x7fc0
	v_cndmask_b32_sdwa v4, v5, v4, vcc dst_sel:DWORD dst_unused:UNUSED_PAD src0_sel:DWORD src1_sel:WORD_1
	global_store_dword v[1:2], v4, off
	s_mov_b64 s[4:5], 0
	s_mov_b64 s[10:11], -1
.LBB96_752:
	s_and_b64 vcc, exec, s[12:13]
	s_cbranch_vccz .LBB96_757
; %bb.753:
	s_cmp_eq_u32 s18, 44
	s_mov_b64 s[4:5], -1
	s_cbranch_scc0 .LBB96_757
; %bb.754:
	v_bfe_u32 v4, v22, 23, 8
	s_movk_i32 s4, 0xff
	v_cmp_ne_u32_e32 vcc, s4, v4
	v_mov_b32_e32 v5, 0xff
	s_and_saveexec_b64 s[10:11], vcc
; %bb.755:
	s_mov_b32 s4, 0x3fffff
	v_and_b32_e32 v6, 0x400000, v22
	v_and_or_b32 v4, v22, s4, v4
	v_cmp_ne_u32_e32 vcc, 0, v6
	v_cmp_ne_u32_e64 s[4:5], 0, v4
	s_and_b64 s[4:5], vcc, s[4:5]
	v_lshrrev_b32_e32 v5, 23, v22
	v_cndmask_b32_e64 v4, 0, 1, s[4:5]
	v_add_u32_e32 v5, v5, v4
; %bb.756:
	s_or_b64 exec, exec, s[10:11]
	s_mov_b64 s[4:5], 0
	s_mov_b64 s[10:11], -1
	global_store_byte v[1:2], v5, off
.LBB96_757:
	s_mov_b64 s[12:13], 0
.LBB96_758:
	s_and_b64 vcc, exec, s[12:13]
	s_cbranch_vccz .LBB96_761
; %bb.759:
	s_cmp_eq_u32 s18, 29
	s_mov_b64 s[4:5], -1
	s_cbranch_scc0 .LBB96_761
; %bb.760:
	v_trunc_f32_e32 v4, v22
	v_mul_f32_e32 v5, 0x2f800000, v4
	v_floor_f32_e32 v6, v5
	v_fmac_f32_e32 v4, 0xcf800000, v6
	v_cvt_u32_f32_e32 v5, v6
	v_cvt_u32_f32_e32 v4, v4
	s_mov_b64 s[4:5], 0
	s_mov_b64 s[10:11], -1
	global_store_dwordx2 v[1:2], v[4:5], off
.LBB96_761:
	s_mov_b64 s[12:13], 0
.LBB96_762:
	s_and_b64 vcc, exec, s[12:13]
	s_cbranch_vccz .LBB96_778
; %bb.763:
	s_cmp_lt_i32 s18, 27
	s_mov_b64 s[10:11], -1
	s_cbranch_scc1 .LBB96_769
; %bb.764:
	v_cvt_u32_f32_e32 v4, v22
	s_cmp_gt_i32 s18, 27
	s_cbranch_scc0 .LBB96_766
; %bb.765:
	s_mov_b64 s[10:11], 0
	global_store_dword v[1:2], v4, off
.LBB96_766:
	s_andn2_b64 vcc, exec, s[10:11]
	s_cbranch_vccnz .LBB96_768
; %bb.767:
	global_store_short v[1:2], v4, off
.LBB96_768:
	s_mov_b64 s[10:11], 0
.LBB96_769:
	s_andn2_b64 vcc, exec, s[10:11]
	s_cbranch_vccnz .LBB96_777
; %bb.770:
	v_and_b32_e32 v4, 0x7fffffff, v22
	s_mov_b32 s10, 0x43800000
	v_cmp_gt_u32_e32 vcc, s10, v4
	v_mov_b32_e32 v5, 0x80
	s_and_saveexec_b64 s[10:11], vcc
	s_cbranch_execz .LBB96_776
; %bb.771:
	s_mov_b32 s12, 0x3bffffff
	v_cmp_lt_u32_e32 vcc, s12, v4
	s_mov_b64 s[12:13], 0
                                        ; implicit-def: $vgpr4
	s_and_saveexec_b64 s[14:15], vcc
	s_xor_b64 s[14:15], exec, s[14:15]
	s_cbranch_execz .LBB96_995
; %bb.772:
	v_bfe_u32 v4, v22, 20, 1
	s_mov_b32 s19, 0x487ffff
	v_add3_u32 v4, v22, v4, s19
	s_mov_b64 s[12:13], exec
	v_lshrrev_b32_e32 v4, 20, v4
	s_andn2_saveexec_b64 s[14:15], s[14:15]
	s_cbranch_execnz .LBB96_996
.LBB96_773:
	s_or_b64 exec, exec, s[14:15]
	v_mov_b32_e32 v5, 0
	s_and_saveexec_b64 s[14:15], s[12:13]
.LBB96_774:
	v_lshrrev_b32_e32 v5, 24, v22
	s_movk_i32 s12, 0x80
	v_and_or_b32 v5, v5, s12, v4
.LBB96_775:
	s_or_b64 exec, exec, s[14:15]
.LBB96_776:
	s_or_b64 exec, exec, s[10:11]
	global_store_byte v[1:2], v5, off
.LBB96_777:
	s_mov_b64 s[10:11], -1
.LBB96_778:
	s_mov_b64 s[12:13], 0
.LBB96_779:
	s_and_b64 vcc, exec, s[12:13]
	s_cbranch_vccz .LBB96_819
; %bb.780:
	s_cmp_gt_i32 s18, 22
	s_mov_b64 s[8:9], -1
	s_cbranch_scc0 .LBB96_812
; %bb.781:
	s_cmp_lt_i32 s18, 24
	s_cbranch_scc1 .LBB96_801
; %bb.782:
	s_cmp_gt_i32 s18, 24
	s_cbranch_scc0 .LBB96_790
; %bb.783:
	v_and_b32_e32 v4, 0x7fffffff, v22
	s_mov_b32 s8, 0x47800000
	v_cmp_gt_u32_e32 vcc, s8, v4
	v_mov_b32_e32 v5, 0x80
	s_and_saveexec_b64 s[8:9], vcc
	s_cbranch_execz .LBB96_789
; %bb.784:
	s_mov_b32 s10, 0x37ffffff
	v_cmp_lt_u32_e32 vcc, s10, v4
	s_mov_b64 s[10:11], 0
                                        ; implicit-def: $vgpr4
	s_and_saveexec_b64 s[12:13], vcc
	s_xor_b64 s[12:13], exec, s[12:13]
	s_cbranch_execz .LBB96_1000
; %bb.785:
	v_bfe_u32 v4, v22, 21, 1
	s_mov_b32 s14, 0x88fffff
	v_add3_u32 v4, v22, v4, s14
	s_mov_b64 s[10:11], exec
	v_lshrrev_b32_e32 v4, 21, v4
	s_andn2_saveexec_b64 s[12:13], s[12:13]
	s_cbranch_execnz .LBB96_1001
.LBB96_786:
	s_or_b64 exec, exec, s[12:13]
	v_mov_b32_e32 v5, 0
	s_and_saveexec_b64 s[12:13], s[10:11]
.LBB96_787:
	v_lshrrev_b32_e32 v5, 24, v22
	s_movk_i32 s10, 0x80
	v_and_or_b32 v5, v5, s10, v4
.LBB96_788:
	s_or_b64 exec, exec, s[12:13]
.LBB96_789:
	s_or_b64 exec, exec, s[8:9]
	s_mov_b64 s[8:9], 0
	global_store_byte v[1:2], v5, off
.LBB96_790:
	s_and_b64 vcc, exec, s[8:9]
	s_cbranch_vccz .LBB96_800
; %bb.791:
	v_and_b32_e32 v5, 0x7fffffff, v22
	s_mov_b32 s8, 0x43f00000
	v_cmp_gt_u32_e32 vcc, s8, v5
                                        ; implicit-def: $vgpr4
	s_and_saveexec_b64 s[8:9], vcc
	s_xor_b64 s[8:9], exec, s[8:9]
	s_cbranch_execz .LBB96_797
; %bb.792:
	s_mov_b32 s10, 0x3c7fffff
	v_cmp_lt_u32_e32 vcc, s10, v5
                                        ; implicit-def: $vgpr4
	s_and_saveexec_b64 s[10:11], vcc
	s_xor_b64 s[10:11], exec, s[10:11]
; %bb.793:
	v_bfe_u32 v4, v22, 20, 1
	s_mov_b32 s12, 0x407ffff
	v_add3_u32 v4, v22, v4, s12
	v_lshrrev_b32_e32 v5, 20, v4
	v_and_b32_e32 v4, 0xff00000, v4
	s_mov_b32 s12, 0x7f00000
	v_mov_b32_e32 v6, 0x7e
	v_cmp_ne_u32_e32 vcc, s12, v4
	v_cndmask_b32_e32 v4, v6, v5, vcc
; %bb.794:
	s_andn2_saveexec_b64 s[10:11], s[10:11]
; %bb.795:
	s_mov_b32 s12, 0x46800000
	v_add_f32_e64 v4, |v22|, s12
; %bb.796:
	s_or_b64 exec, exec, s[10:11]
                                        ; implicit-def: $vgpr5
.LBB96_797:
	s_andn2_saveexec_b64 s[8:9], s[8:9]
; %bb.798:
	s_mov_b32 s10, 0x7f800000
	v_mov_b32_e32 v4, 0x7e
	v_mov_b32_e32 v6, 0x7f
	v_cmp_lt_u32_e32 vcc, s10, v5
	v_cndmask_b32_e32 v4, v4, v6, vcc
; %bb.799:
	s_or_b64 exec, exec, s[8:9]
	v_lshrrev_b32_e32 v5, 24, v22
	s_movk_i32 s8, 0x80
	v_and_or_b32 v4, v5, s8, v4
	global_store_byte v[1:2], v4, off
.LBB96_800:
	s_mov_b64 s[8:9], 0
.LBB96_801:
	s_andn2_b64 vcc, exec, s[8:9]
	s_cbranch_vccnz .LBB96_811
; %bb.802:
	v_and_b32_e32 v5, 0x7fffffff, v22
	s_mov_b32 s8, 0x47800000
	v_cmp_gt_u32_e32 vcc, s8, v5
                                        ; implicit-def: $vgpr4
	s_and_saveexec_b64 s[8:9], vcc
	s_xor_b64 s[8:9], exec, s[8:9]
	s_cbranch_execz .LBB96_808
; %bb.803:
	s_mov_b32 s10, 0x387fffff
	v_cmp_lt_u32_e32 vcc, s10, v5
                                        ; implicit-def: $vgpr4
	s_and_saveexec_b64 s[10:11], vcc
	s_xor_b64 s[10:11], exec, s[10:11]
; %bb.804:
	v_bfe_u32 v4, v22, 21, 1
	s_mov_b32 s12, 0x80fffff
	v_add3_u32 v4, v22, v4, s12
	v_lshrrev_b32_e32 v4, 21, v4
; %bb.805:
	s_andn2_saveexec_b64 s[10:11], s[10:11]
; %bb.806:
	s_mov_b32 s12, 0x43000000
	v_add_f32_e64 v4, |v22|, s12
; %bb.807:
	s_or_b64 exec, exec, s[10:11]
                                        ; implicit-def: $vgpr5
.LBB96_808:
	s_andn2_saveexec_b64 s[8:9], s[8:9]
; %bb.809:
	s_mov_b32 s10, 0x7f800000
	v_mov_b32_e32 v4, 0x7c
	v_mov_b32_e32 v6, 0x7f
	v_cmp_lt_u32_e32 vcc, s10, v5
	v_cndmask_b32_e32 v4, v4, v6, vcc
; %bb.810:
	s_or_b64 exec, exec, s[8:9]
	v_lshrrev_b32_e32 v5, 24, v22
	s_movk_i32 s8, 0x80
	v_and_or_b32 v4, v5, s8, v4
	global_store_byte v[1:2], v4, off
.LBB96_811:
	s_mov_b64 s[8:9], 0
	s_mov_b64 s[10:11], -1
.LBB96_812:
	s_andn2_b64 vcc, exec, s[8:9]
	s_mov_b64 s[8:9], 0
	s_cbranch_vccnz .LBB96_819
; %bb.813:
	s_cmp_gt_i32 s18, 14
	s_mov_b64 s[12:13], -1
	s_cbranch_scc0 .LBB96_817
; %bb.814:
	s_cmp_eq_u32 s18, 15
	s_mov_b64 s[4:5], -1
	s_cbranch_scc0 .LBB96_816
; %bb.815:
	v_bfe_u32 v4, v22, 16, 1
	s_movk_i32 s4, 0x7fff
	v_add3_u32 v4, v22, v4, s4
	v_cmp_o_f32_e32 vcc, v22, v22
	v_mov_b32_e32 v5, 0x7fc0
	v_cndmask_b32_sdwa v4, v5, v4, vcc dst_sel:DWORD dst_unused:UNUSED_PAD src0_sel:DWORD src1_sel:WORD_1
	global_store_short v[1:2], v4, off
	s_mov_b64 s[4:5], 0
	s_mov_b64 s[10:11], -1
.LBB96_816:
	s_mov_b64 s[12:13], 0
.LBB96_817:
	s_and_b64 vcc, exec, s[12:13]
	s_cbranch_vccz .LBB96_819
; %bb.818:
	s_cmp_lg_u32 s18, 11
	s_mov_b64 s[8:9], -1
	s_cselect_b64 s[4:5], -1, 0
.LBB96_819:
	s_and_b64 vcc, exec, s[4:5]
	s_cbranch_vccnz .LBB96_997
; %bb.820:
	s_andn2_b64 vcc, exec, s[8:9]
	s_cbranch_vccnz .LBB96_822
.LBB96_821:
	v_cmp_neq_f32_e32 vcc, 0, v22
	v_cndmask_b32_e64 v4, 0, 1, vcc
	s_mov_b64 s[10:11], -1
	global_store_byte v[1:2], v4, off
.LBB96_822:
.LBB96_823:
	s_andn2_b64 vcc, exec, s[10:11]
	s_cbranch_vccnz .LBB96_939
.LBB96_824:
	v_add_u32_e32 v1, s17, v3
	v_ashrrev_i32_e32 v3, 31, v1
	v_mov_b32_e32 v4, s49
	v_add_co_u32_e32 v2, vcc, s48, v1
	s_cmp_lt_i32 s16, 11
	v_addc_co_u32_e32 v3, vcc, v4, v3, vcc
	s_cbranch_scc1 .LBB96_984
; %bb.825:
	s_and_b32 s17, 0xffff, s16
	s_mov_b64 s[10:11], -1
	s_mov_b64 s[8:9], 0
	s_cmp_gt_i32 s17, 25
	s_mov_b64 s[4:5], 0
	s_cbranch_scc0 .LBB96_858
; %bb.826:
	s_cmp_gt_i32 s17, 28
	s_cbranch_scc0 .LBB96_842
; %bb.827:
	s_cmp_gt_i32 s17, 43
	;; [unrolled: 3-line block ×3, first 2 shown]
	s_cbranch_scc0 .LBB96_832
; %bb.829:
	s_cmp_eq_u32 s17, 46
	s_mov_b64 s[4:5], -1
	s_cbranch_scc0 .LBB96_831
; %bb.830:
	v_bfe_u32 v1, v0, 16, 1
	s_movk_i32 s4, 0x7fff
	v_add3_u32 v1, v0, v1, s4
	v_cmp_o_f32_e32 vcc, v0, v0
	v_mov_b32_e32 v4, 0x7fc0
	v_cndmask_b32_sdwa v1, v4, v1, vcc dst_sel:DWORD dst_unused:UNUSED_PAD src0_sel:DWORD src1_sel:WORD_1
	global_store_dword v[2:3], v1, off
	s_mov_b64 s[4:5], 0
.LBB96_831:
	s_mov_b64 s[10:11], 0
.LBB96_832:
	s_and_b64 vcc, exec, s[10:11]
	s_cbranch_vccz .LBB96_837
; %bb.833:
	s_cmp_eq_u32 s17, 44
	s_mov_b64 s[4:5], -1
	s_cbranch_scc0 .LBB96_837
; %bb.834:
	v_bfe_u32 v1, v0, 23, 8
	s_movk_i32 s4, 0xff
	v_cmp_ne_u32_e32 vcc, s4, v1
	v_mov_b32_e32 v4, 0xff
	s_and_saveexec_b64 s[10:11], vcc
; %bb.835:
	s_mov_b32 s4, 0x3fffff
	v_and_b32_e32 v5, 0x400000, v0
	v_and_or_b32 v1, v0, s4, v1
	v_cmp_ne_u32_e32 vcc, 0, v5
	v_cmp_ne_u32_e64 s[4:5], 0, v1
	s_and_b64 s[4:5], vcc, s[4:5]
	v_lshrrev_b32_e32 v4, 23, v0
	v_cndmask_b32_e64 v1, 0, 1, s[4:5]
	v_add_u32_e32 v4, v4, v1
; %bb.836:
	s_or_b64 exec, exec, s[10:11]
	s_mov_b64 s[4:5], 0
	global_store_byte v[2:3], v4, off
.LBB96_837:
	s_mov_b64 s[10:11], 0
.LBB96_838:
	s_and_b64 vcc, exec, s[10:11]
	s_cbranch_vccz .LBB96_841
; %bb.839:
	s_cmp_eq_u32 s17, 29
	s_mov_b64 s[4:5], -1
	s_cbranch_scc0 .LBB96_841
; %bb.840:
	v_trunc_f32_e32 v1, v0
	v_mul_f32_e32 v4, 0x2f800000, v1
	v_floor_f32_e32 v4, v4
	v_fmac_f32_e32 v1, 0xcf800000, v4
	v_cvt_u32_f32_e32 v5, v4
	v_cvt_u32_f32_e32 v4, v1
	s_mov_b64 s[4:5], 0
	global_store_dwordx2 v[2:3], v[4:5], off
.LBB96_841:
	s_mov_b64 s[10:11], 0
.LBB96_842:
	s_and_b64 vcc, exec, s[10:11]
	s_cbranch_vccz .LBB96_857
; %bb.843:
	s_cmp_lt_i32 s17, 27
	s_mov_b64 s[10:11], -1
	s_cbranch_scc1 .LBB96_849
; %bb.844:
	v_cvt_u32_f32_e32 v1, v0
	s_cmp_gt_i32 s17, 27
	s_cbranch_scc0 .LBB96_846
; %bb.845:
	global_store_dword v[2:3], v1, off
	s_mov_b64 s[10:11], 0
.LBB96_846:
	s_andn2_b64 vcc, exec, s[10:11]
	s_cbranch_vccnz .LBB96_848
; %bb.847:
	global_store_short v[2:3], v1, off
.LBB96_848:
	s_mov_b64 s[10:11], 0
.LBB96_849:
	s_andn2_b64 vcc, exec, s[10:11]
	s_cbranch_vccnz .LBB96_857
; %bb.850:
	v_and_b32_e32 v1, 0x7fffffff, v0
	s_mov_b32 s10, 0x43800000
	v_cmp_gt_u32_e32 vcc, s10, v1
	v_mov_b32_e32 v4, 0x80
	s_and_saveexec_b64 s[10:11], vcc
	s_cbranch_execz .LBB96_856
; %bb.851:
	s_mov_b32 s12, 0x3bffffff
	v_cmp_lt_u32_e32 vcc, s12, v1
	s_mov_b64 s[12:13], 0
                                        ; implicit-def: $vgpr1
	s_and_saveexec_b64 s[14:15], vcc
	s_xor_b64 s[14:15], exec, s[14:15]
	s_cbranch_execz .LBB96_1002
; %bb.852:
	v_bfe_u32 v1, v0, 20, 1
	s_mov_b32 s18, 0x487ffff
	v_add3_u32 v1, v0, v1, s18
	s_mov_b64 s[12:13], exec
	v_lshrrev_b32_e32 v1, 20, v1
	s_andn2_saveexec_b64 s[14:15], s[14:15]
	s_cbranch_execnz .LBB96_1003
.LBB96_853:
	s_or_b64 exec, exec, s[14:15]
	v_mov_b32_e32 v4, 0
	s_and_saveexec_b64 s[14:15], s[12:13]
.LBB96_854:
	v_lshrrev_b32_e32 v4, 24, v0
	s_movk_i32 s12, 0x80
	v_and_or_b32 v4, v4, s12, v1
.LBB96_855:
	s_or_b64 exec, exec, s[14:15]
.LBB96_856:
	s_or_b64 exec, exec, s[10:11]
	global_store_byte v[2:3], v4, off
.LBB96_857:
	s_mov_b64 s[10:11], 0
.LBB96_858:
	s_and_b64 vcc, exec, s[10:11]
	s_cbranch_vccz .LBB96_898
; %bb.859:
	s_cmp_gt_i32 s17, 22
	s_mov_b64 s[8:9], -1
	s_cbranch_scc0 .LBB96_891
; %bb.860:
	s_cmp_lt_i32 s17, 24
	s_cbranch_scc1 .LBB96_880
; %bb.861:
	s_cmp_gt_i32 s17, 24
	s_cbranch_scc0 .LBB96_869
; %bb.862:
	v_and_b32_e32 v1, 0x7fffffff, v0
	s_mov_b32 s8, 0x47800000
	v_cmp_gt_u32_e32 vcc, s8, v1
	v_mov_b32_e32 v4, 0x80
	s_and_saveexec_b64 s[8:9], vcc
	s_cbranch_execz .LBB96_868
; %bb.863:
	s_mov_b32 s10, 0x37ffffff
	v_cmp_lt_u32_e32 vcc, s10, v1
	s_mov_b64 s[10:11], 0
                                        ; implicit-def: $vgpr1
	s_and_saveexec_b64 s[12:13], vcc
	s_xor_b64 s[12:13], exec, s[12:13]
	s_cbranch_execz .LBB96_1009
; %bb.864:
	v_bfe_u32 v1, v0, 21, 1
	s_mov_b32 s14, 0x88fffff
	v_add3_u32 v1, v0, v1, s14
	s_mov_b64 s[10:11], exec
	v_lshrrev_b32_e32 v1, 21, v1
	s_andn2_saveexec_b64 s[12:13], s[12:13]
	s_cbranch_execnz .LBB96_1010
.LBB96_865:
	s_or_b64 exec, exec, s[12:13]
	v_mov_b32_e32 v4, 0
	s_and_saveexec_b64 s[12:13], s[10:11]
.LBB96_866:
	v_lshrrev_b32_e32 v4, 24, v0
	s_movk_i32 s10, 0x80
	v_and_or_b32 v4, v4, s10, v1
.LBB96_867:
	s_or_b64 exec, exec, s[12:13]
.LBB96_868:
	s_or_b64 exec, exec, s[8:9]
	s_mov_b64 s[8:9], 0
	global_store_byte v[2:3], v4, off
.LBB96_869:
	s_and_b64 vcc, exec, s[8:9]
	s_cbranch_vccz .LBB96_879
; %bb.870:
	v_and_b32_e32 v4, 0x7fffffff, v0
	s_mov_b32 s8, 0x43f00000
	v_cmp_gt_u32_e32 vcc, s8, v4
                                        ; implicit-def: $vgpr1
	s_and_saveexec_b64 s[8:9], vcc
	s_xor_b64 s[8:9], exec, s[8:9]
	s_cbranch_execz .LBB96_876
; %bb.871:
	s_mov_b32 s10, 0x3c7fffff
	v_cmp_lt_u32_e32 vcc, s10, v4
                                        ; implicit-def: $vgpr1
	s_and_saveexec_b64 s[10:11], vcc
	s_xor_b64 s[10:11], exec, s[10:11]
; %bb.872:
	v_bfe_u32 v1, v0, 20, 1
	s_mov_b32 s12, 0x407ffff
	v_add3_u32 v1, v0, v1, s12
	v_lshrrev_b32_e32 v4, 20, v1
	v_and_b32_e32 v1, 0xff00000, v1
	s_mov_b32 s12, 0x7f00000
	v_mov_b32_e32 v5, 0x7e
	v_cmp_ne_u32_e32 vcc, s12, v1
	v_cndmask_b32_e32 v1, v5, v4, vcc
; %bb.873:
	s_andn2_saveexec_b64 s[10:11], s[10:11]
; %bb.874:
	s_mov_b32 s12, 0x46800000
	v_add_f32_e64 v1, |v0|, s12
; %bb.875:
	s_or_b64 exec, exec, s[10:11]
                                        ; implicit-def: $vgpr4
.LBB96_876:
	s_andn2_saveexec_b64 s[8:9], s[8:9]
; %bb.877:
	s_mov_b32 s10, 0x7f800000
	v_mov_b32_e32 v1, 0x7e
	v_mov_b32_e32 v5, 0x7f
	v_cmp_lt_u32_e32 vcc, s10, v4
	v_cndmask_b32_e32 v1, v1, v5, vcc
; %bb.878:
	s_or_b64 exec, exec, s[8:9]
	v_lshrrev_b32_e32 v4, 24, v0
	s_movk_i32 s8, 0x80
	v_and_or_b32 v1, v4, s8, v1
	global_store_byte v[2:3], v1, off
.LBB96_879:
	s_mov_b64 s[8:9], 0
.LBB96_880:
	s_andn2_b64 vcc, exec, s[8:9]
	s_cbranch_vccnz .LBB96_890
; %bb.881:
	v_and_b32_e32 v4, 0x7fffffff, v0
	s_mov_b32 s8, 0x47800000
	v_cmp_gt_u32_e32 vcc, s8, v4
                                        ; implicit-def: $vgpr1
	s_and_saveexec_b64 s[8:9], vcc
	s_xor_b64 s[8:9], exec, s[8:9]
	s_cbranch_execz .LBB96_887
; %bb.882:
	s_mov_b32 s10, 0x387fffff
	v_cmp_lt_u32_e32 vcc, s10, v4
                                        ; implicit-def: $vgpr1
	s_and_saveexec_b64 s[10:11], vcc
	s_xor_b64 s[10:11], exec, s[10:11]
; %bb.883:
	v_bfe_u32 v1, v0, 21, 1
	s_mov_b32 s12, 0x80fffff
	v_add3_u32 v1, v0, v1, s12
	v_lshrrev_b32_e32 v1, 21, v1
; %bb.884:
	s_andn2_saveexec_b64 s[10:11], s[10:11]
; %bb.885:
	s_mov_b32 s12, 0x43000000
	v_add_f32_e64 v1, |v0|, s12
; %bb.886:
	s_or_b64 exec, exec, s[10:11]
                                        ; implicit-def: $vgpr4
.LBB96_887:
	s_andn2_saveexec_b64 s[8:9], s[8:9]
; %bb.888:
	s_mov_b32 s10, 0x7f800000
	v_mov_b32_e32 v1, 0x7c
	v_mov_b32_e32 v5, 0x7f
	v_cmp_lt_u32_e32 vcc, s10, v4
	v_cndmask_b32_e32 v1, v1, v5, vcc
; %bb.889:
	s_or_b64 exec, exec, s[8:9]
	v_lshrrev_b32_e32 v4, 24, v0
	s_movk_i32 s8, 0x80
	v_and_or_b32 v1, v4, s8, v1
	global_store_byte v[2:3], v1, off
.LBB96_890:
	s_mov_b64 s[8:9], 0
.LBB96_891:
	s_andn2_b64 vcc, exec, s[8:9]
	s_mov_b64 s[8:9], 0
	s_cbranch_vccnz .LBB96_898
; %bb.892:
	s_cmp_gt_i32 s17, 14
	s_mov_b64 s[10:11], -1
	s_cbranch_scc0 .LBB96_896
; %bb.893:
	s_cmp_eq_u32 s17, 15
	s_mov_b64 s[4:5], -1
	s_cbranch_scc0 .LBB96_895
; %bb.894:
	v_bfe_u32 v1, v0, 16, 1
	s_movk_i32 s4, 0x7fff
	v_add3_u32 v1, v0, v1, s4
	v_cmp_o_f32_e32 vcc, v0, v0
	v_mov_b32_e32 v4, 0x7fc0
	v_cndmask_b32_sdwa v1, v4, v1, vcc dst_sel:DWORD dst_unused:UNUSED_PAD src0_sel:DWORD src1_sel:WORD_1
	global_store_short v[2:3], v1, off
	s_mov_b64 s[4:5], 0
.LBB96_895:
	s_mov_b64 s[10:11], 0
.LBB96_896:
	s_and_b64 vcc, exec, s[10:11]
	s_cbranch_vccz .LBB96_898
; %bb.897:
	s_cmp_lg_u32 s17, 11
	s_mov_b64 s[8:9], -1
	s_cselect_b64 s[4:5], -1, 0
.LBB96_898:
	s_and_b64 vcc, exec, s[4:5]
	s_cbranch_vccnz .LBB96_1004
.LBB96_899:
	s_mov_b64 s[4:5], 0
	s_branch .LBB96_940
.LBB96_900:
	s_mov_b64 s[10:11], 0
	s_cbranch_execz .LBB96_823
; %bb.901:
	s_and_b32 s8, 0xffff, s16
	s_cmp_lt_i32 s8, 5
	s_mov_b64 s[4:5], -1
	s_cbranch_scc1 .LBB96_922
; %bb.902:
	s_cmp_lt_i32 s8, 8
	s_cbranch_scc1 .LBB96_912
; %bb.903:
	s_cmp_lt_i32 s8, 9
	s_cbranch_scc1 .LBB96_909
; %bb.904:
	s_cmp_gt_i32 s8, 9
	s_cbranch_scc0 .LBB96_906
; %bb.905:
	v_cvt_f64_f32_e32 v[4:5], v22
	v_mov_b32_e32 v6, 0
	v_mov_b32_e32 v7, v6
	s_mov_b64 s[4:5], 0
	global_store_dwordx4 v[1:2], v[4:7], off
.LBB96_906:
	s_andn2_b64 vcc, exec, s[4:5]
	s_cbranch_vccnz .LBB96_908
; %bb.907:
	v_mov_b32_e32 v23, 0
	global_store_dwordx2 v[1:2], v[22:23], off
.LBB96_908:
	s_mov_b64 s[4:5], 0
.LBB96_909:
	s_andn2_b64 vcc, exec, s[4:5]
	s_cbranch_vccnz .LBB96_911
; %bb.910:
	v_cvt_f16_f32_e32 v4, v22
	global_store_dword v[1:2], v4, off
.LBB96_911:
	s_mov_b64 s[4:5], 0
.LBB96_912:
	s_andn2_b64 vcc, exec, s[4:5]
	s_cbranch_vccnz .LBB96_921
; %bb.913:
	s_cmp_lt_i32 s8, 6
	s_mov_b64 s[4:5], -1
	s_cbranch_scc1 .LBB96_919
; %bb.914:
	s_cmp_gt_i32 s8, 6
	s_cbranch_scc0 .LBB96_916
; %bb.915:
	v_cvt_f64_f32_e32 v[4:5], v22
	s_mov_b64 s[4:5], 0
	global_store_dwordx2 v[1:2], v[4:5], off
.LBB96_916:
	s_andn2_b64 vcc, exec, s[4:5]
	s_cbranch_vccnz .LBB96_918
; %bb.917:
	global_store_dword v[1:2], v22, off
.LBB96_918:
	s_mov_b64 s[4:5], 0
.LBB96_919:
	s_andn2_b64 vcc, exec, s[4:5]
	s_cbranch_vccnz .LBB96_921
; %bb.920:
	v_cvt_f16_f32_e32 v4, v22
	global_store_short v[1:2], v4, off
.LBB96_921:
	s_mov_b64 s[4:5], 0
.LBB96_922:
	s_andn2_b64 vcc, exec, s[4:5]
	s_cbranch_vccnz .LBB96_938
; %bb.923:
	s_cmp_lt_i32 s8, 2
	s_mov_b64 s[4:5], -1
	s_cbranch_scc1 .LBB96_933
; %bb.924:
	s_cmp_lt_i32 s8, 3
	s_cbranch_scc1 .LBB96_930
; %bb.925:
	s_cmp_gt_i32 s8, 3
	s_cbranch_scc0 .LBB96_927
; %bb.926:
	v_trunc_f32_e32 v4, v22
	s_mov_b32 s4, 0x2f800000
	v_mul_f32_e64 v5, |v4|, s4
	v_floor_f32_e32 v5, v5
	s_mov_b32 s4, 0xcf800000
	v_cvt_u32_f32_e32 v6, v5
	v_fma_f32 v5, v5, s4, |v4|
	v_cvt_u32_f32_e32 v5, v5
	v_ashrrev_i32_e32 v7, 31, v4
	v_xor_b32_e32 v6, v6, v7
	s_mov_b64 s[4:5], 0
	v_xor_b32_e32 v4, v5, v7
	v_sub_co_u32_e32 v4, vcc, v4, v7
	v_subb_co_u32_e32 v5, vcc, v6, v7, vcc
	global_store_dwordx2 v[1:2], v[4:5], off
.LBB96_927:
	s_andn2_b64 vcc, exec, s[4:5]
	s_cbranch_vccnz .LBB96_929
; %bb.928:
	v_cvt_i32_f32_e32 v4, v22
	global_store_dword v[1:2], v4, off
.LBB96_929:
	s_mov_b64 s[4:5], 0
.LBB96_930:
	s_andn2_b64 vcc, exec, s[4:5]
	s_cbranch_vccnz .LBB96_932
; %bb.931:
	v_cvt_i32_f32_e32 v4, v22
	global_store_short v[1:2], v4, off
.LBB96_932:
	s_mov_b64 s[4:5], 0
.LBB96_933:
	s_andn2_b64 vcc, exec, s[4:5]
	s_cbranch_vccnz .LBB96_938
; %bb.934:
	s_cmp_gt_i32 s8, 0
	s_mov_b64 s[4:5], -1
	s_cbranch_scc0 .LBB96_936
; %bb.935:
	v_cvt_i32_f32_e32 v4, v22
	s_mov_b64 s[4:5], 0
	global_store_byte v[1:2], v4, off
.LBB96_936:
	s_andn2_b64 vcc, exec, s[4:5]
	s_cbranch_vccnz .LBB96_938
; %bb.937:
	v_trunc_f32_e32 v4, v22
	s_mov_b32 s4, 0x2f800000
	v_mul_f32_e64 v5, |v4|, s4
	v_floor_f32_e32 v5, v5
	s_mov_b32 s4, 0xcf800000
	v_fma_f32 v5, v5, s4, |v4|
	v_cvt_u32_f32_e32 v5, v5
	v_ashrrev_i32_e32 v4, 31, v4
	v_xor_b32_e32 v5, v5, v4
	v_sub_u32_e32 v4, v5, v4
	global_store_byte v[1:2], v4, off
.LBB96_938:
	s_branch .LBB96_824
.LBB96_939:
	s_mov_b64 s[4:5], 0
	s_mov_b64 s[8:9], 0
                                        ; implicit-def: $sgpr16
                                        ; implicit-def: $vgpr2_vgpr3
.LBB96_940:
	s_and_b64 s[34:35], s[8:9], exec
	s_andn2_b64 s[8:9], s[38:39], exec
	s_and_b64 s[6:7], s[6:7], exec
	s_and_b64 s[4:5], s[4:5], exec
	s_or_b64 s[38:39], s[8:9], s[6:7]
.LBB96_941:
	s_or_b64 exec, exec, s[36:37]
	s_and_saveexec_b64 s[6:7], s[38:39]
	s_cbranch_execz .LBB96_944
; %bb.942:
	; divergent unreachable
	s_or_b64 exec, exec, s[6:7]
	s_and_saveexec_b64 s[6:7], s[34:35]
	s_xor_b64 s[6:7], exec, s[6:7]
	s_cbranch_execnz .LBB96_945
.LBB96_943:
	s_or_b64 exec, exec, s[6:7]
	s_and_saveexec_b64 s[6:7], s[4:5]
	s_cbranch_execnz .LBB96_946
	s_branch .LBB96_983
.LBB96_944:
	s_or_b64 exec, exec, s[6:7]
	s_and_saveexec_b64 s[6:7], s[34:35]
	s_xor_b64 s[6:7], exec, s[6:7]
	s_cbranch_execz .LBB96_943
.LBB96_945:
	v_cmp_neq_f32_e32 vcc, 0, v0
	v_cndmask_b32_e64 v1, 0, 1, vcc
	global_store_byte v[2:3], v1, off
	s_or_b64 exec, exec, s[6:7]
	s_and_saveexec_b64 s[6:7], s[4:5]
	s_cbranch_execz .LBB96_983
.LBB96_946:
	s_sext_i32_i16 s6, s16
	s_cmp_lt_i32 s6, 5
	s_mov_b64 s[4:5], -1
	s_cbranch_scc1 .LBB96_967
; %bb.947:
	s_cmp_lt_i32 s6, 8
	s_cbranch_scc1 .LBB96_957
; %bb.948:
	s_cmp_lt_i32 s6, 9
	s_cbranch_scc1 .LBB96_954
; %bb.949:
	s_cmp_gt_i32 s6, 9
	s_cbranch_scc0 .LBB96_951
; %bb.950:
	v_cvt_f64_f32_e32 v[4:5], v0
	v_mov_b32_e32 v6, 0
	v_mov_b32_e32 v7, v6
	s_mov_b64 s[4:5], 0
	global_store_dwordx4 v[2:3], v[4:7], off
.LBB96_951:
	s_andn2_b64 vcc, exec, s[4:5]
	s_cbranch_vccnz .LBB96_953
; %bb.952:
	v_mov_b32_e32 v1, 0
	global_store_dwordx2 v[2:3], v[0:1], off
.LBB96_953:
	s_mov_b64 s[4:5], 0
.LBB96_954:
	s_andn2_b64 vcc, exec, s[4:5]
	s_cbranch_vccnz .LBB96_956
; %bb.955:
	v_cvt_f16_f32_e32 v1, v0
	global_store_dword v[2:3], v1, off
.LBB96_956:
	s_mov_b64 s[4:5], 0
.LBB96_957:
	s_andn2_b64 vcc, exec, s[4:5]
	s_cbranch_vccnz .LBB96_966
; %bb.958:
	s_sext_i32_i16 s6, s16
	s_cmp_lt_i32 s6, 6
	s_mov_b64 s[4:5], -1
	s_cbranch_scc1 .LBB96_964
; %bb.959:
	s_cmp_gt_i32 s6, 6
	s_cbranch_scc0 .LBB96_961
; %bb.960:
	v_cvt_f64_f32_e32 v[4:5], v0
	s_mov_b64 s[4:5], 0
	global_store_dwordx2 v[2:3], v[4:5], off
.LBB96_961:
	s_andn2_b64 vcc, exec, s[4:5]
	s_cbranch_vccnz .LBB96_963
; %bb.962:
	global_store_dword v[2:3], v0, off
.LBB96_963:
	s_mov_b64 s[4:5], 0
.LBB96_964:
	s_andn2_b64 vcc, exec, s[4:5]
	s_cbranch_vccnz .LBB96_966
; %bb.965:
	v_cvt_f16_f32_e32 v1, v0
	global_store_short v[2:3], v1, off
.LBB96_966:
	s_mov_b64 s[4:5], 0
.LBB96_967:
	s_andn2_b64 vcc, exec, s[4:5]
	s_cbranch_vccnz .LBB96_983
; %bb.968:
	s_sext_i32_i16 s6, s16
	s_cmp_lt_i32 s6, 2
	s_mov_b64 s[4:5], -1
	s_cbranch_scc1 .LBB96_978
; %bb.969:
	s_cmp_lt_i32 s6, 3
	s_cbranch_scc1 .LBB96_975
; %bb.970:
	s_cmp_gt_i32 s6, 3
	s_cbranch_scc0 .LBB96_972
; %bb.971:
	v_trunc_f32_e32 v1, v0
	s_mov_b32 s4, 0x2f800000
	v_mul_f32_e64 v4, |v1|, s4
	v_floor_f32_e32 v4, v4
	s_mov_b32 s4, 0xcf800000
	v_cvt_u32_f32_e32 v5, v4
	v_fma_f32 v4, v4, s4, |v1|
	v_cvt_u32_f32_e32 v4, v4
	v_ashrrev_i32_e32 v1, 31, v1
	v_xor_b32_e32 v5, v5, v1
	s_mov_b64 s[4:5], 0
	v_xor_b32_e32 v4, v4, v1
	v_sub_co_u32_e32 v4, vcc, v4, v1
	v_subb_co_u32_e32 v5, vcc, v5, v1, vcc
	global_store_dwordx2 v[2:3], v[4:5], off
.LBB96_972:
	s_andn2_b64 vcc, exec, s[4:5]
	s_cbranch_vccnz .LBB96_974
; %bb.973:
	v_cvt_i32_f32_e32 v1, v0
	global_store_dword v[2:3], v1, off
.LBB96_974:
	s_mov_b64 s[4:5], 0
.LBB96_975:
	s_andn2_b64 vcc, exec, s[4:5]
	s_cbranch_vccnz .LBB96_977
; %bb.976:
	v_cvt_i32_f32_e32 v1, v0
	global_store_short v[2:3], v1, off
.LBB96_977:
	s_mov_b64 s[4:5], 0
.LBB96_978:
	s_andn2_b64 vcc, exec, s[4:5]
	s_cbranch_vccnz .LBB96_983
; %bb.979:
	s_sext_i32_i16 s4, s16
	s_cmp_gt_i32 s4, 0
	s_mov_b64 s[4:5], -1
	s_cbranch_scc0 .LBB96_981
; %bb.980:
	v_cvt_i32_f32_e32 v1, v0
	s_mov_b64 s[4:5], 0
	global_store_byte v[2:3], v1, off
.LBB96_981:
	s_andn2_b64 vcc, exec, s[4:5]
	s_cbranch_vccnz .LBB96_983
; %bb.982:
	v_trunc_f32_e32 v0, v0
	s_mov_b32 s4, 0x2f800000
	v_mul_f32_e64 v1, |v0|, s4
	v_floor_f32_e32 v1, v1
	s_mov_b32 s4, 0xcf800000
	v_fma_f32 v1, v1, s4, |v0|
	v_cvt_u32_f32_e32 v1, v1
	v_ashrrev_i32_e32 v0, 31, v0
	v_xor_b32_e32 v1, v1, v0
	v_sub_u32_e32 v0, v1, v0
	global_store_byte v[2:3], v0, off
	s_endpgm
.LBB96_983:
	s_endpgm
.LBB96_984:
	s_mov_b64 s[8:9], 0
	s_mov_b64 s[4:5], -1
	s_branch .LBB96_940
.LBB96_985:
	s_andn2_saveexec_b64 s[12:13], s[12:13]
	s_cbranch_execz .LBB96_537
.LBB96_986:
	s_mov_b32 s15, 0x46000000
	v_add_f32_e64 v4, |v24|, s15
	v_and_b32_e32 v4, 0xff, v4
	v_cmp_ne_u32_e32 vcc, 0, v4
	s_andn2_b64 s[10:11], s[10:11], exec
	s_and_b64 s[18:19], vcc, exec
	s_or_b64 s[10:11], s[10:11], s[18:19]
	s_or_b64 exec, exec, s[12:13]
	v_mov_b32_e32 v5, 0
	s_and_saveexec_b64 s[12:13], s[10:11]
	s_cbranch_execnz .LBB96_538
	s_branch .LBB96_539
.LBB96_987:
	s_or_b64 s[6:7], s[38:39], exec
	s_trap 2
	s_cbranch_execz .LBB96_585
	s_branch .LBB96_586
.LBB96_988:
	s_andn2_saveexec_b64 s[10:11], s[10:11]
	s_cbranch_execz .LBB96_550
.LBB96_989:
	s_mov_b32 s12, 0x42800000
	v_add_f32_e64 v4, |v24|, s12
	v_and_b32_e32 v4, 0xff, v4
	v_cmp_ne_u32_e32 vcc, 0, v4
	s_andn2_b64 s[8:9], s[8:9], exec
	s_and_b64 s[12:13], vcc, exec
	s_or_b64 s[8:9], s[8:9], s[12:13]
	s_or_b64 exec, exec, s[10:11]
	v_mov_b32_e32 v5, 0
	s_and_saveexec_b64 s[10:11], s[8:9]
	s_cbranch_execnz .LBB96_551
	s_branch .LBB96_552
.LBB96_990:
	s_andn2_saveexec_b64 s[14:15], s[14:15]
	s_cbranch_execz .LBB96_655
.LBB96_991:
	s_mov_b32 s19, 0x46000000
	v_add_f32_e64 v4, |v23|, s19
	v_and_b32_e32 v4, 0xff, v4
	v_cmp_ne_u32_e32 vcc, 0, v4
	s_andn2_b64 s[12:13], s[12:13], exec
	s_and_b64 s[20:21], vcc, exec
	s_or_b64 s[12:13], s[12:13], s[20:21]
	s_or_b64 exec, exec, s[14:15]
	v_mov_b32_e32 v5, 0
	s_and_saveexec_b64 s[14:15], s[12:13]
	s_cbranch_execnz .LBB96_656
	s_branch .LBB96_657
.LBB96_992:
	s_trap 2
	s_or_b64 s[6:7], s[6:7], exec
	s_cbranch_execz .LBB96_703
	s_branch .LBB96_704
.LBB96_993:
	s_andn2_saveexec_b64 s[12:13], s[12:13]
	s_cbranch_execz .LBB96_668
.LBB96_994:
	s_mov_b32 s14, 0x42800000
	v_add_f32_e64 v4, |v23|, s14
	v_and_b32_e32 v4, 0xff, v4
	v_cmp_ne_u32_e32 vcc, 0, v4
	s_andn2_b64 s[10:11], s[10:11], exec
	s_and_b64 s[14:15], vcc, exec
	s_or_b64 s[10:11], s[10:11], s[14:15]
	s_or_b64 exec, exec, s[12:13]
	v_mov_b32_e32 v5, 0
	s_and_saveexec_b64 s[12:13], s[10:11]
	s_cbranch_execnz .LBB96_669
	s_branch .LBB96_670
.LBB96_995:
	s_andn2_saveexec_b64 s[14:15], s[14:15]
	s_cbranch_execz .LBB96_773
.LBB96_996:
	s_mov_b32 s19, 0x46000000
	v_add_f32_e64 v4, |v22|, s19
	v_and_b32_e32 v4, 0xff, v4
	v_cmp_ne_u32_e32 vcc, 0, v4
	s_andn2_b64 s[12:13], s[12:13], exec
	s_and_b64 s[20:21], vcc, exec
	s_or_b64 s[12:13], s[12:13], s[20:21]
	s_or_b64 exec, exec, s[14:15]
	v_mov_b32_e32 v5, 0
	s_and_saveexec_b64 s[14:15], s[12:13]
	s_cbranch_execnz .LBB96_774
	s_branch .LBB96_775
.LBB96_997:
	s_trap 2
	s_or_b64 s[6:7], s[6:7], exec
	s_cbranch_execz .LBB96_821
	s_branch .LBB96_822
.LBB96_998:
	s_andn2_saveexec_b64 s[10:11], s[10:11]
	s_cbranch_execz .LBB96_295
.LBB96_999:
	s_mov_b32 s14, 0x46000000
	v_add_f32_e64 v1, |v0|, s14
	v_and_b32_e32 v1, 0xff, v1
	v_cmp_ne_u32_e32 vcc, 0, v1
	s_andn2_b64 s[8:9], s[8:9], exec
	s_and_b64 s[14:15], vcc, exec
	s_or_b64 s[8:9], s[8:9], s[14:15]
	s_or_b64 exec, exec, s[10:11]
	v_mov_b32_e32 v4, 0
	s_and_saveexec_b64 s[10:11], s[8:9]
	s_cbranch_execnz .LBB96_296
	s_branch .LBB96_297
.LBB96_1000:
	s_andn2_saveexec_b64 s[12:13], s[12:13]
	s_cbranch_execz .LBB96_786
.LBB96_1001:
	s_mov_b32 s14, 0x42800000
	v_add_f32_e64 v4, |v22|, s14
	v_and_b32_e32 v4, 0xff, v4
	v_cmp_ne_u32_e32 vcc, 0, v4
	s_andn2_b64 s[10:11], s[10:11], exec
	s_and_b64 s[14:15], vcc, exec
	s_or_b64 s[10:11], s[10:11], s[14:15]
	s_or_b64 exec, exec, s[12:13]
	v_mov_b32_e32 v5, 0
	s_and_saveexec_b64 s[12:13], s[10:11]
	s_cbranch_execnz .LBB96_787
	s_branch .LBB96_788
.LBB96_1002:
	s_andn2_saveexec_b64 s[14:15], s[14:15]
	s_cbranch_execz .LBB96_853
.LBB96_1003:
	s_mov_b32 s18, 0x46000000
	v_add_f32_e64 v1, |v0|, s18
	v_and_b32_e32 v1, 0xff, v1
	v_cmp_ne_u32_e32 vcc, 0, v1
	s_andn2_b64 s[12:13], s[12:13], exec
	s_and_b64 s[18:19], vcc, exec
	s_or_b64 s[12:13], s[12:13], s[18:19]
	s_or_b64 exec, exec, s[14:15]
	v_mov_b32_e32 v4, 0
	s_and_saveexec_b64 s[14:15], s[12:13]
	s_cbranch_execnz .LBB96_854
	s_branch .LBB96_855
.LBB96_1004:
	s_mov_b64 s[8:9], 0
	s_or_b64 s[6:7], s[6:7], exec
	s_trap 2
	s_branch .LBB96_899
.LBB96_1005:
	s_andn2_saveexec_b64 s[10:11], s[10:11]
	s_cbranch_execz .LBB96_308
.LBB96_1006:
	s_mov_b32 s14, 0x42800000
	v_add_f32_e64 v1, |v0|, s14
	v_and_b32_e32 v1, 0xff, v1
	v_cmp_ne_u32_e32 vcc, 0, v1
	s_andn2_b64 s[8:9], s[8:9], exec
	s_and_b64 s[14:15], vcc, exec
	s_or_b64 s[8:9], s[8:9], s[14:15]
	s_or_b64 exec, exec, s[10:11]
	v_mov_b32_e32 v4, 0
	s_and_saveexec_b64 s[10:11], s[8:9]
	s_cbranch_execnz .LBB96_309
	s_branch .LBB96_310
.LBB96_1007:
	s_andn2_saveexec_b64 s[10:11], s[10:11]
	s_cbranch_execz .LBB96_418
.LBB96_1008:
	s_mov_b32 s12, 0x46000000
	v_add_f32_e64 v1, |v0|, s12
	v_and_b32_e32 v1, 0xff, v1
	v_cmp_ne_u32_e32 vcc, 0, v1
	s_andn2_b64 s[8:9], s[8:9], exec
	s_and_b64 s[12:13], vcc, exec
	s_or_b64 s[8:9], s[8:9], s[12:13]
	s_or_b64 exec, exec, s[10:11]
	v_mov_b32_e32 v4, 0
	s_and_saveexec_b64 s[10:11], s[8:9]
	s_cbranch_execnz .LBB96_419
	s_branch .LBB96_420
.LBB96_1009:
	s_andn2_saveexec_b64 s[12:13], s[12:13]
	s_cbranch_execz .LBB96_865
.LBB96_1010:
	s_mov_b32 s14, 0x42800000
	v_add_f32_e64 v1, |v0|, s14
	v_and_b32_e32 v1, 0xff, v1
	v_cmp_ne_u32_e32 vcc, 0, v1
	s_andn2_b64 s[10:11], s[10:11], exec
	s_and_b64 s[14:15], vcc, exec
	s_or_b64 s[10:11], s[10:11], s[14:15]
	s_or_b64 exec, exec, s[12:13]
	v_mov_b32_e32 v4, 0
	s_and_saveexec_b64 s[12:13], s[10:11]
	s_cbranch_execnz .LBB96_866
	s_branch .LBB96_867
.LBB96_1011:
	s_andn2_saveexec_b64 s[12:13], s[12:13]
	s_cbranch_execz .LBB96_430
.LBB96_1012:
	s_mov_b32 s16, 0x42800000
	v_add_f32_e64 v1, |v0|, s16
	v_and_b32_e32 v1, 0xff, v1
	v_cmp_ne_u32_e32 vcc, 0, v1
	s_andn2_b64 s[10:11], s[10:11], exec
	s_and_b64 s[16:17], vcc, exec
	s_or_b64 s[10:11], s[10:11], s[16:17]
	s_or_b64 exec, exec, s[12:13]
	v_mov_b32_e32 v4, 0
	s_and_saveexec_b64 s[12:13], s[10:11]
	s_cbranch_execnz .LBB96_431
	s_branch .LBB96_432
	.section	.rodata,"a",@progbits
	.p2align	6, 0x0
	.amdhsa_kernel _ZN2at6native32elementwise_kernel_manual_unrollILi128ELi4EZNS0_15gpu_kernel_implIZZZNS0_21polygamma_kernel_cudaERNS_18TensorIteratorBaseElENKUlvE_clEvENKUlvE0_clEvEUlfE_EEvS4_RKT_EUlibE_EEviT1_
		.amdhsa_group_segment_fixed_size 0
		.amdhsa_private_segment_fixed_size 0
		.amdhsa_kernarg_size 48
		.amdhsa_user_sgpr_count 6
		.amdhsa_user_sgpr_private_segment_buffer 1
		.amdhsa_user_sgpr_dispatch_ptr 0
		.amdhsa_user_sgpr_queue_ptr 0
		.amdhsa_user_sgpr_kernarg_segment_ptr 1
		.amdhsa_user_sgpr_dispatch_id 0
		.amdhsa_user_sgpr_flat_scratch_init 0
		.amdhsa_user_sgpr_private_segment_size 0
		.amdhsa_uses_dynamic_stack 0
		.amdhsa_system_sgpr_private_segment_wavefront_offset 0
		.amdhsa_system_sgpr_workgroup_id_x 1
		.amdhsa_system_sgpr_workgroup_id_y 0
		.amdhsa_system_sgpr_workgroup_id_z 0
		.amdhsa_system_sgpr_workgroup_info 0
		.amdhsa_system_vgpr_workitem_id 0
		.amdhsa_next_free_vgpr 28
		.amdhsa_next_free_sgpr 69
		.amdhsa_reserve_vcc 1
		.amdhsa_reserve_flat_scratch 0
		.amdhsa_float_round_mode_32 0
		.amdhsa_float_round_mode_16_64 0
		.amdhsa_float_denorm_mode_32 3
		.amdhsa_float_denorm_mode_16_64 3
		.amdhsa_dx10_clamp 1
		.amdhsa_ieee_mode 1
		.amdhsa_fp16_overflow 0
		.amdhsa_exception_fp_ieee_invalid_op 0
		.amdhsa_exception_fp_denorm_src 0
		.amdhsa_exception_fp_ieee_div_zero 0
		.amdhsa_exception_fp_ieee_overflow 0
		.amdhsa_exception_fp_ieee_underflow 0
		.amdhsa_exception_fp_ieee_inexact 0
		.amdhsa_exception_int_div_zero 0
	.end_amdhsa_kernel
	.section	.text._ZN2at6native32elementwise_kernel_manual_unrollILi128ELi4EZNS0_15gpu_kernel_implIZZZNS0_21polygamma_kernel_cudaERNS_18TensorIteratorBaseElENKUlvE_clEvENKUlvE0_clEvEUlfE_EEvS4_RKT_EUlibE_EEviT1_,"axG",@progbits,_ZN2at6native32elementwise_kernel_manual_unrollILi128ELi4EZNS0_15gpu_kernel_implIZZZNS0_21polygamma_kernel_cudaERNS_18TensorIteratorBaseElENKUlvE_clEvENKUlvE0_clEvEUlfE_EEvS4_RKT_EUlibE_EEviT1_,comdat
.Lfunc_end96:
	.size	_ZN2at6native32elementwise_kernel_manual_unrollILi128ELi4EZNS0_15gpu_kernel_implIZZZNS0_21polygamma_kernel_cudaERNS_18TensorIteratorBaseElENKUlvE_clEvENKUlvE0_clEvEUlfE_EEvS4_RKT_EUlibE_EEviT1_, .Lfunc_end96-_ZN2at6native32elementwise_kernel_manual_unrollILi128ELi4EZNS0_15gpu_kernel_implIZZZNS0_21polygamma_kernel_cudaERNS_18TensorIteratorBaseElENKUlvE_clEvENKUlvE0_clEvEUlfE_EEvS4_RKT_EUlibE_EEviT1_
                                        ; -- End function
	.set _ZN2at6native32elementwise_kernel_manual_unrollILi128ELi4EZNS0_15gpu_kernel_implIZZZNS0_21polygamma_kernel_cudaERNS_18TensorIteratorBaseElENKUlvE_clEvENKUlvE0_clEvEUlfE_EEvS4_RKT_EUlibE_EEviT1_.num_vgpr, max(28, .L_ZN2at6native6invokeIZZZNS0_21polygamma_kernel_cudaERNS_18TensorIteratorBaseElENKUlvE_clEvENKUlvE0_clEvEUlfE_i15function_traitsIS6_EEENT1_11result_typeERKT_PrKPcPKT0_PKN3c1010ScalarTypeEi.num_vgpr)
	.set _ZN2at6native32elementwise_kernel_manual_unrollILi128ELi4EZNS0_15gpu_kernel_implIZZZNS0_21polygamma_kernel_cudaERNS_18TensorIteratorBaseElENKUlvE_clEvENKUlvE0_clEvEUlfE_EEvS4_RKT_EUlibE_EEviT1_.num_agpr, max(0, .L_ZN2at6native6invokeIZZZNS0_21polygamma_kernel_cudaERNS_18TensorIteratorBaseElENKUlvE_clEvENKUlvE0_clEvEUlfE_i15function_traitsIS6_EEENT1_11result_typeERKT_PrKPcPKT0_PKN3c1010ScalarTypeEi.num_agpr)
	.set _ZN2at6native32elementwise_kernel_manual_unrollILi128ELi4EZNS0_15gpu_kernel_implIZZZNS0_21polygamma_kernel_cudaERNS_18TensorIteratorBaseElENKUlvE_clEvENKUlvE0_clEvEUlfE_EEvS4_RKT_EUlibE_EEviT1_.numbered_sgpr, max(69, .L_ZN2at6native6invokeIZZZNS0_21polygamma_kernel_cudaERNS_18TensorIteratorBaseElENKUlvE_clEvENKUlvE0_clEvEUlfE_i15function_traitsIS6_EEENT1_11result_typeERKT_PrKPcPKT0_PKN3c1010ScalarTypeEi.numbered_sgpr)
	.set _ZN2at6native32elementwise_kernel_manual_unrollILi128ELi4EZNS0_15gpu_kernel_implIZZZNS0_21polygamma_kernel_cudaERNS_18TensorIteratorBaseElENKUlvE_clEvENKUlvE0_clEvEUlfE_EEvS4_RKT_EUlibE_EEviT1_.num_named_barrier, max(0, .L_ZN2at6native6invokeIZZZNS0_21polygamma_kernel_cudaERNS_18TensorIteratorBaseElENKUlvE_clEvENKUlvE0_clEvEUlfE_i15function_traitsIS6_EEENT1_11result_typeERKT_PrKPcPKT0_PKN3c1010ScalarTypeEi.num_named_barrier)
	.set _ZN2at6native32elementwise_kernel_manual_unrollILi128ELi4EZNS0_15gpu_kernel_implIZZZNS0_21polygamma_kernel_cudaERNS_18TensorIteratorBaseElENKUlvE_clEvENKUlvE0_clEvEUlfE_EEvS4_RKT_EUlibE_EEviT1_.private_seg_size, 0+max(.L_ZN2at6native6invokeIZZZNS0_21polygamma_kernel_cudaERNS_18TensorIteratorBaseElENKUlvE_clEvENKUlvE0_clEvEUlfE_i15function_traitsIS6_EEENT1_11result_typeERKT_PrKPcPKT0_PKN3c1010ScalarTypeEi.private_seg_size)
	.set _ZN2at6native32elementwise_kernel_manual_unrollILi128ELi4EZNS0_15gpu_kernel_implIZZZNS0_21polygamma_kernel_cudaERNS_18TensorIteratorBaseElENKUlvE_clEvENKUlvE0_clEvEUlfE_EEvS4_RKT_EUlibE_EEviT1_.uses_vcc, or(1, .L_ZN2at6native6invokeIZZZNS0_21polygamma_kernel_cudaERNS_18TensorIteratorBaseElENKUlvE_clEvENKUlvE0_clEvEUlfE_i15function_traitsIS6_EEENT1_11result_typeERKT_PrKPcPKT0_PKN3c1010ScalarTypeEi.uses_vcc)
	.set _ZN2at6native32elementwise_kernel_manual_unrollILi128ELi4EZNS0_15gpu_kernel_implIZZZNS0_21polygamma_kernel_cudaERNS_18TensorIteratorBaseElENKUlvE_clEvENKUlvE0_clEvEUlfE_EEvS4_RKT_EUlibE_EEviT1_.uses_flat_scratch, or(0, .L_ZN2at6native6invokeIZZZNS0_21polygamma_kernel_cudaERNS_18TensorIteratorBaseElENKUlvE_clEvENKUlvE0_clEvEUlfE_i15function_traitsIS6_EEENT1_11result_typeERKT_PrKPcPKT0_PKN3c1010ScalarTypeEi.uses_flat_scratch)
	.set _ZN2at6native32elementwise_kernel_manual_unrollILi128ELi4EZNS0_15gpu_kernel_implIZZZNS0_21polygamma_kernel_cudaERNS_18TensorIteratorBaseElENKUlvE_clEvENKUlvE0_clEvEUlfE_EEvS4_RKT_EUlibE_EEviT1_.has_dyn_sized_stack, or(0, .L_ZN2at6native6invokeIZZZNS0_21polygamma_kernel_cudaERNS_18TensorIteratorBaseElENKUlvE_clEvENKUlvE0_clEvEUlfE_i15function_traitsIS6_EEENT1_11result_typeERKT_PrKPcPKT0_PKN3c1010ScalarTypeEi.has_dyn_sized_stack)
	.set _ZN2at6native32elementwise_kernel_manual_unrollILi128ELi4EZNS0_15gpu_kernel_implIZZZNS0_21polygamma_kernel_cudaERNS_18TensorIteratorBaseElENKUlvE_clEvENKUlvE0_clEvEUlfE_EEvS4_RKT_EUlibE_EEviT1_.has_recursion, or(0, .L_ZN2at6native6invokeIZZZNS0_21polygamma_kernel_cudaERNS_18TensorIteratorBaseElENKUlvE_clEvENKUlvE0_clEvEUlfE_i15function_traitsIS6_EEENT1_11result_typeERKT_PrKPcPKT0_PKN3c1010ScalarTypeEi.has_recursion)
	.set _ZN2at6native32elementwise_kernel_manual_unrollILi128ELi4EZNS0_15gpu_kernel_implIZZZNS0_21polygamma_kernel_cudaERNS_18TensorIteratorBaseElENKUlvE_clEvENKUlvE0_clEvEUlfE_EEvS4_RKT_EUlibE_EEviT1_.has_indirect_call, or(0, .L_ZN2at6native6invokeIZZZNS0_21polygamma_kernel_cudaERNS_18TensorIteratorBaseElENKUlvE_clEvENKUlvE0_clEvEUlfE_i15function_traitsIS6_EEENT1_11result_typeERKT_PrKPcPKT0_PKN3c1010ScalarTypeEi.has_indirect_call)
	.section	.AMDGPU.csdata,"",@progbits
; Kernel info:
; codeLenInByte = 16968
; TotalNumSgprs: 73
; NumVgprs: 28
; ScratchSize: 0
; MemoryBound: 0
; FloatMode: 240
; IeeeMode: 1
; LDSByteSize: 0 bytes/workgroup (compile time only)
; SGPRBlocks: 9
; VGPRBlocks: 6
; NumSGPRsForWavesPerEU: 73
; NumVGPRsForWavesPerEU: 28
; Occupancy: 9
; WaveLimiterHint : 0
; COMPUTE_PGM_RSRC2:SCRATCH_EN: 0
; COMPUTE_PGM_RSRC2:USER_SGPR: 6
; COMPUTE_PGM_RSRC2:TRAP_HANDLER: 0
; COMPUTE_PGM_RSRC2:TGID_X_EN: 1
; COMPUTE_PGM_RSRC2:TGID_Y_EN: 0
; COMPUTE_PGM_RSRC2:TGID_Z_EN: 0
; COMPUTE_PGM_RSRC2:TIDIG_COMP_CNT: 0
	.text
	.p2align	2                               ; -- Begin function _ZN2at6native6invokeIZZZNS0_21polygamma_kernel_cudaERNS_18TensorIteratorBaseElENKUlvE_clEvENKUlvE0_clEvEUlfE_j15function_traitsIS6_EEENT1_11result_typeERKT_PrKPcPKT0_PKN3c1010ScalarTypeEi
	.type	_ZN2at6native6invokeIZZZNS0_21polygamma_kernel_cudaERNS_18TensorIteratorBaseElENKUlvE_clEvENKUlvE0_clEvEUlfE_j15function_traitsIS6_EEENT1_11result_typeERKT_PrKPcPKT0_PKN3c1010ScalarTypeEi,@function
_ZN2at6native6invokeIZZZNS0_21polygamma_kernel_cudaERNS_18TensorIteratorBaseElENKUlvE_clEvENKUlvE0_clEvEUlfE_j15function_traitsIS6_EEENT1_11result_typeERKT_PrKPcPKT0_PKN3c1010ScalarTypeEi: ; @_ZN2at6native6invokeIZZZNS0_21polygamma_kernel_cudaERNS_18TensorIteratorBaseElENKUlvE_clEvENKUlvE0_clEvEUlfE_j15function_traitsIS6_EEENT1_11result_typeERKT_PrKPcPKT0_PKN3c1010ScalarTypeEi
; %bb.0:
	s_waitcnt vmcnt(0) expcnt(0) lgkmcnt(0)
	v_add_co_u32_e32 v1, vcc, v2, v4
	v_addc_co_u32_e32 v2, vcc, 0, v3, vcc
	v_mov_b32_e32 v3, 10
	v_cmp_gt_i16_sdwa s[4:5], v5, v3 src0_sel:BYTE_0 src1_sel:DWORD
	s_mov_b64 s[6:7], 0
                                        ; implicit-def: $vgpr3
	s_and_saveexec_b64 s[8:9], s[4:5]
	s_xor_b64 s[4:5], exec, s[8:9]
	s_cbranch_execnz .LBB97_4
; %bb.1:
	s_andn2_saveexec_b64 s[4:5], s[4:5]
	s_cbranch_execnz .LBB97_10
.LBB97_2:
	s_or_b64 exec, exec, s[4:5]
                                        ; implicit-def: $vgpr1
	s_and_saveexec_b64 s[10:11], s[6:7]
	s_cbranch_execnz .LBB97_51
.LBB97_3:
	s_or_b64 exec, exec, s[10:11]
	v_mov_b32_e32 v0, v1
	s_waitcnt vmcnt(0) lgkmcnt(0)
	s_setpc_b64 s[30:31]
.LBB97_4:
	v_mov_b32_e32 v3, 25
	v_cmp_gt_i16_sdwa s[10:11], v5, v3 src0_sel:BYTE_0 src1_sel:DWORD
	s_mov_b64 s[12:13], 0
	s_mov_b64 s[8:9], 0
                                        ; implicit-def: $vgpr3
	s_and_saveexec_b64 s[14:15], s[10:11]
	s_xor_b64 s[10:11], exec, s[14:15]
	s_cbranch_execnz .LBB97_96
; %bb.5:
	s_andn2_saveexec_b64 s[10:11], s[10:11]
	s_cbranch_execnz .LBB97_127
.LBB97_6:
	s_or_b64 exec, exec, s[10:11]
	s_and_saveexec_b64 s[10:11], s[12:13]
	s_cbranch_execnz .LBB97_150
.LBB97_7:
	s_or_b64 exec, exec, s[10:11]
	s_and_saveexec_b64 s[10:11], s[6:7]
	s_xor_b64 s[6:7], exec, s[10:11]
	s_cbranch_execz .LBB97_9
.LBB97_8:
	flat_load_ubyte v1, v[1:2]
	s_or_b64 s[8:9], s[8:9], exec
	s_waitcnt vmcnt(0) lgkmcnt(0)
	v_cmp_ne_u16_e32 vcc, 0, v1
	v_cndmask_b32_e64 v3, 0, 1.0, vcc
.LBB97_9:
	s_or_b64 exec, exec, s[6:7]
	s_and_b64 s[6:7], s[8:9], exec
                                        ; implicit-def: $vgpr5
                                        ; implicit-def: $vgpr1_vgpr2
	s_andn2_saveexec_b64 s[4:5], s[4:5]
	s_cbranch_execz .LBB97_2
.LBB97_10:
	v_mov_b32_e32 v3, 4
	v_cmp_gt_i16_sdwa s[8:9], v5, v3 src0_sel:BYTE_0 src1_sel:DWORD
                                        ; implicit-def: $vgpr3
	s_and_saveexec_b64 s[10:11], s[8:9]
	s_xor_b64 s[8:9], exec, s[10:11]
	s_cbranch_execz .LBB97_32
; %bb.11:
	v_mov_b32_e32 v3, 7
	v_cmp_gt_i16_sdwa s[10:11], v5, v3 src0_sel:BYTE_0 src1_sel:DWORD
                                        ; implicit-def: $vgpr3
	s_and_saveexec_b64 s[12:13], s[10:11]
	s_xor_b64 s[10:11], exec, s[12:13]
	s_cbranch_execz .LBB97_21
; %bb.12:
	v_mov_b32_e32 v3, 8
	v_cmp_gt_i16_sdwa s[12:13], v5, v3 src0_sel:BYTE_0 src1_sel:DWORD
                                        ; implicit-def: $vgpr3
	s_and_saveexec_b64 s[14:15], s[12:13]
	s_xor_b64 s[12:13], exec, s[14:15]
	s_cbranch_execz .LBB97_18
; %bb.13:
	v_mov_b32_e32 v3, 9
	v_cmp_gt_i16_sdwa s[14:15], v5, v3 src0_sel:BYTE_0 src1_sel:DWORD
                                        ; implicit-def: $vgpr3
	s_and_saveexec_b64 s[16:17], s[14:15]
	s_xor_b64 s[14:15], exec, s[16:17]
	s_cbranch_execz .LBB97_15
; %bb.14:
	flat_load_dwordx2 v[1:2], v[1:2]
	s_waitcnt vmcnt(0) lgkmcnt(0)
	v_cvt_f32_f64_e32 v3, v[1:2]
                                        ; implicit-def: $vgpr1_vgpr2
.LBB97_15:
	s_andn2_saveexec_b64 s[14:15], s[14:15]
	s_cbranch_execz .LBB97_17
; %bb.16:
	flat_load_dword v3, v[1:2]
.LBB97_17:
	s_or_b64 exec, exec, s[14:15]
                                        ; implicit-def: $vgpr1_vgpr2
.LBB97_18:
	s_andn2_saveexec_b64 s[12:13], s[12:13]
	s_cbranch_execz .LBB97_20
; %bb.19:
	flat_load_dword v1, v[1:2]
	s_waitcnt vmcnt(0) lgkmcnt(0)
	v_cvt_f32_f16_e32 v3, v1
.LBB97_20:
	s_or_b64 exec, exec, s[12:13]
                                        ; implicit-def: $vgpr1_vgpr2
                                        ; implicit-def: $vgpr5
.LBB97_21:
	s_andn2_saveexec_b64 s[10:11], s[10:11]
	s_cbranch_execz .LBB97_31
; %bb.22:
	s_waitcnt vmcnt(0) lgkmcnt(0)
	v_mov_b32_e32 v3, 5
	v_cmp_gt_i16_sdwa s[12:13], v5, v3 src0_sel:BYTE_0 src1_sel:DWORD
                                        ; implicit-def: $vgpr3
	s_and_saveexec_b64 s[14:15], s[12:13]
	s_xor_b64 s[12:13], exec, s[14:15]
	s_cbranch_execz .LBB97_28
; %bb.23:
	v_mov_b32_e32 v3, 6
	v_cmp_gt_i16_sdwa s[14:15], v5, v3 src0_sel:BYTE_0 src1_sel:DWORD
                                        ; implicit-def: $vgpr3
	s_and_saveexec_b64 s[16:17], s[14:15]
	s_xor_b64 s[14:15], exec, s[16:17]
	s_cbranch_execz .LBB97_25
; %bb.24:
	flat_load_dwordx2 v[1:2], v[1:2]
	s_waitcnt vmcnt(0) lgkmcnt(0)
	v_cvt_f32_f64_e32 v3, v[1:2]
                                        ; implicit-def: $vgpr1_vgpr2
.LBB97_25:
	s_andn2_saveexec_b64 s[14:15], s[14:15]
	s_cbranch_execz .LBB97_27
; %bb.26:
	flat_load_dword v3, v[1:2]
.LBB97_27:
	s_or_b64 exec, exec, s[14:15]
                                        ; implicit-def: $vgpr1_vgpr2
.LBB97_28:
	s_andn2_saveexec_b64 s[12:13], s[12:13]
	s_cbranch_execz .LBB97_30
; %bb.29:
	flat_load_ushort v1, v[1:2]
	s_waitcnt vmcnt(0) lgkmcnt(0)
	v_cvt_f32_f16_e32 v3, v1
.LBB97_30:
	s_or_b64 exec, exec, s[12:13]
.LBB97_31:
	s_or_b64 exec, exec, s[10:11]
                                        ; implicit-def: $vgpr5
                                        ; implicit-def: $vgpr1_vgpr2
.LBB97_32:
	s_andn2_saveexec_b64 s[8:9], s[8:9]
	s_cbranch_execz .LBB97_50
; %bb.33:
	s_waitcnt vmcnt(0) lgkmcnt(0)
	v_mov_b32_e32 v3, 1
	v_cmp_gt_i16_sdwa s[10:11], v5, v3 src0_sel:BYTE_0 src1_sel:DWORD
                                        ; implicit-def: $vgpr3
	s_and_saveexec_b64 s[12:13], s[10:11]
	s_xor_b64 s[10:11], exec, s[12:13]
	s_cbranch_execz .LBB97_43
; %bb.34:
	v_mov_b32_e32 v3, 2
	v_cmp_gt_i16_sdwa s[12:13], v5, v3 src0_sel:BYTE_0 src1_sel:DWORD
                                        ; implicit-def: $vgpr3
	s_and_saveexec_b64 s[14:15], s[12:13]
	s_xor_b64 s[12:13], exec, s[14:15]
	s_cbranch_execz .LBB97_40
; %bb.35:
	;; [unrolled: 7-line block ×3, first 2 shown]
	flat_load_dwordx2 v[1:2], v[1:2]
	s_waitcnt vmcnt(0) lgkmcnt(0)
	v_xor_b32_e32 v4, v1, v2
	v_ffbh_i32_e32 v3, v2
	v_ashrrev_i32_e32 v4, 31, v4
	v_add_u32_e32 v3, -1, v3
	v_add_u32_e32 v4, 32, v4
	v_min_u32_e32 v3, v3, v4
	v_lshlrev_b64 v[1:2], v3, v[1:2]
	v_min_u32_e32 v1, 1, v1
	v_or_b32_e32 v1, v2, v1
	v_cvt_f32_i32_e32 v1, v1
	v_sub_u32_e32 v2, 32, v3
	v_ldexp_f32 v3, v1, v2
                                        ; implicit-def: $vgpr1_vgpr2
.LBB97_37:
	s_andn2_saveexec_b64 s[14:15], s[14:15]
	s_cbranch_execz .LBB97_39
; %bb.38:
	flat_load_dword v1, v[1:2]
	s_waitcnt vmcnt(0) lgkmcnt(0)
	v_cvt_f32_i32_e32 v3, v1
.LBB97_39:
	s_or_b64 exec, exec, s[14:15]
                                        ; implicit-def: $vgpr1_vgpr2
.LBB97_40:
	s_andn2_saveexec_b64 s[12:13], s[12:13]
	s_cbranch_execz .LBB97_42
; %bb.41:
	flat_load_sshort v1, v[1:2]
	s_waitcnt vmcnt(0) lgkmcnt(0)
	v_cvt_f32_i32_e32 v3, v1
.LBB97_42:
	s_or_b64 exec, exec, s[12:13]
                                        ; implicit-def: $vgpr1_vgpr2
                                        ; implicit-def: $vgpr5
.LBB97_43:
	s_andn2_saveexec_b64 s[10:11], s[10:11]
	s_cbranch_execz .LBB97_49
; %bb.44:
	v_mov_b32_e32 v3, 0
	v_cmp_gt_i16_sdwa s[12:13], v5, v3 src0_sel:BYTE_0 src1_sel:DWORD
                                        ; implicit-def: $vgpr3
	s_and_saveexec_b64 s[14:15], s[12:13]
	s_xor_b64 s[12:13], exec, s[14:15]
	s_cbranch_execz .LBB97_46
; %bb.45:
	flat_load_sbyte v1, v[1:2]
	s_waitcnt vmcnt(0) lgkmcnt(0)
	v_cvt_f32_i32_e32 v3, v1
                                        ; implicit-def: $vgpr1_vgpr2
.LBB97_46:
	s_andn2_saveexec_b64 s[12:13], s[12:13]
	s_cbranch_execz .LBB97_48
; %bb.47:
	flat_load_ubyte v1, v[1:2]
	s_waitcnt vmcnt(0) lgkmcnt(0)
	v_cvt_f32_ubyte0_e32 v3, v1
.LBB97_48:
	s_or_b64 exec, exec, s[12:13]
.LBB97_49:
	s_or_b64 exec, exec, s[10:11]
.LBB97_50:
	s_or_b64 exec, exec, s[8:9]
	s_or_b64 s[6:7], s[6:7], exec
	s_or_b64 exec, exec, s[4:5]
                                        ; implicit-def: $vgpr1
	s_and_saveexec_b64 s[10:11], s[6:7]
	s_cbranch_execz .LBB97_3
.LBB97_51:
	v_cvt_f32_i32_e32 v1, v0
	s_mov_b32 s4, 0x3c800000
                                        ; implicit-def: $vgpr2
	v_add_f32_e32 v1, 1.0, v1
	v_and_b32_e32 v4, 0x7fffffff, v1
	v_cmp_nlt_f32_e64 s[4:5], |v1|, s4
	s_and_saveexec_b64 s[6:7], s[4:5]
	s_xor_b64 s[6:7], exec, s[6:7]
	s_cbranch_execz .LBB97_81
; %bb.52:
	v_cmp_nlt_f32_e64 s[4:5], |v1|, 2.0
                                        ; implicit-def: $vgpr2
	s_and_saveexec_b64 s[8:9], s[4:5]
	s_xor_b64 s[8:9], exec, s[8:9]
	s_cbranch_execz .LBB97_62
; %bb.53:
	s_mov_b32 s4, 0x41000000
	v_cmp_nlt_f32_e64 s[4:5], |v1|, s4
                                        ; implicit-def: $vgpr2
	s_and_saveexec_b64 s[12:13], s[4:5]
	s_xor_b64 s[12:13], exec, s[12:13]
	s_cbranch_execz .LBB97_59
; %bb.54:
	s_mov_b32 s4, 0x5c800000
	v_cmp_nlt_f32_e64 s[4:5], |v1|, s4
                                        ; implicit-def: $vgpr2
	s_and_saveexec_b64 s[14:15], s[4:5]
	s_xor_b64 s[14:15], exec, s[14:15]
	s_cbranch_execz .LBB97_56
; %bb.55:
	s_mov_b32 s4, 0x800000
	v_cmp_lt_f32_e64 vcc, |v1|, s4
	v_cndmask_b32_e64 v2, 0, 32, vcc
	v_ldexp_f32 v2, |v1|, v2
	v_log_f32_e32 v2, v2
	s_mov_b32 s4, 0x3f317217
	s_mov_b32 s5, 0x7f800000
	v_mul_f32_e32 v5, 0x3f317217, v2
	v_fma_f32 v6, v2, s4, -v5
	v_fmac_f32_e32 v6, 0x3377d1cf, v2
	v_add_f32_e32 v5, v5, v6
	v_cmp_lt_f32_e64 s[4:5], |v2|, s5
	v_cndmask_b32_e64 v2, v2, v5, s[4:5]
	v_mov_b32_e32 v5, 0x41b17218
	v_cndmask_b32_e32 v5, 0, v5, vcc
	v_sub_f32_e32 v2, v2, v5
	v_fma_f32 v2, |v1|, v2, -|v1|
.LBB97_56:
	s_andn2_saveexec_b64 s[14:15], s[14:15]
	s_cbranch_execz .LBB97_58
; %bb.57:
	v_rcp_f32_e64 v5, |v1|
	v_mov_b32_e32 v2, 0x3a5b3dd2
	v_mov_b32_e32 v6, 0xba1c065c
	;; [unrolled: 1-line block ×3, first 2 shown]
	v_mul_f32_e32 v8, v5, v5
	v_fmac_f32_e32 v2, 0xbad5c4e8, v8
	v_fmac_f32_e32 v6, v8, v2
	s_mov_b32 s4, 0x800000
	v_fmac_f32_e32 v7, v8, v6
	v_mov_b32_e32 v2, 0xbb360b61
	v_cmp_lt_f32_e64 vcc, |v1|, s4
	v_fmac_f32_e32 v2, v8, v7
	v_cndmask_b32_e64 v7, 0, 32, vcc
	v_ldexp_f32 v7, |v1|, v7
	v_log_f32_e32 v7, v7
	v_mov_b32_e32 v6, 0x3daaaaab
	v_fmac_f32_e32 v6, v8, v2
	v_mov_b32_e32 v2, 0x3ed67f1d
	v_fmac_f32_e32 v2, v5, v6
	s_mov_b32 s4, 0x3f317217
	v_mul_f32_e32 v6, 0x3f317217, v7
	v_fma_f32 v8, v7, s4, -v6
	v_fmac_f32_e32 v8, 0x3377d1cf, v7
	s_mov_b32 s4, 0x7f800000
	v_add_f32_e32 v6, v6, v8
	v_cmp_lt_f32_e64 s[4:5], |v7|, s4
	v_cndmask_b32_e64 v6, v7, v6, s[4:5]
	v_mov_b32_e32 v7, 0x41b17218
	v_cndmask_b32_e32 v7, 0, v7, vcc
	v_sub_f32_e32 v6, v6, v7
	v_add_f32_e64 v5, |v1|, -0.5
	v_add_f32_e32 v6, -1.0, v6
	v_fmac_f32_e32 v2, v5, v6
.LBB97_58:
	s_or_b64 exec, exec, s[14:15]
.LBB97_59:
	s_andn2_saveexec_b64 s[12:13], s[12:13]
	s_cbranch_execz .LBB97_61
; %bb.60:
	v_cvt_i32_f32_e32 v2, v4
	v_mov_b32_e32 v5, 0x3af135b4
	v_mov_b32_e32 v6, 0x3cda40e4
	;; [unrolled: 1-line block ×3, first 2 shown]
	v_cvt_f32_i32_e32 v8, v2
	v_mov_b32_e32 v9, 0x3ea6cc7a
	v_mov_b32_e32 v10, 0x3e5c245a
	v_cmp_lt_i32_e32 vcc, 2, v2
	v_sub_f32_e64 v8, |v1|, v8
	v_fmac_f32_e32 v5, 0x3805ff67, v8
	v_fmac_f32_e32 v6, v8, v5
	;; [unrolled: 1-line block ×3, first 2 shown]
	v_mov_b32_e32 v6, 0x3a4beed6
	v_fmac_f32_e32 v9, v8, v7
	v_fmac_f32_e32 v6, 0x36f5d7bd, v8
	v_mov_b32_e32 v7, 0x3c98bf54
	v_fmac_f32_e32 v7, v8, v6
	v_mov_b32_e32 v6, 0x3e300f6e
	;; [unrolled: 2-line block ×4, first 2 shown]
	v_fmac_f32_e32 v6, v8, v7
	v_add_f32_e32 v7, 2.0, v8
	v_mov_b32_e32 v11, 0xbd9e233f
	v_fmac_f32_e32 v10, v8, v9
	v_add_f32_e32 v9, 0x40400000, v8
	v_cndmask_b32_e32 v7, 1.0, v7, vcc
	v_cmp_lt_i32_e32 vcc, 3, v2
	v_fmac_f32_e32 v11, v8, v10
	v_add_f32_e32 v10, 4.0, v8
	v_cndmask_b32_e32 v9, 1.0, v9, vcc
	v_cmp_lt_i32_e32 vcc, 4, v2
	v_mul_f32_e32 v5, v8, v11
	v_add_f32_e32 v11, 0x40a00000, v8
	v_mul_f32_e32 v7, v7, v9
	v_cndmask_b32_e32 v9, 1.0, v10, vcc
	v_cmp_lt_i32_e32 vcc, 5, v2
	v_add_f32_e32 v12, 0x40c00000, v8
	v_mul_f32_e32 v7, v9, v7
	v_cndmask_b32_e32 v9, 1.0, v11, vcc
	v_cmp_lt_i32_e32 vcc, 6, v2
	v_mul_f32_e32 v7, v9, v7
	v_cndmask_b32_e32 v2, 1.0, v12, vcc
	v_mul_f32_e32 v2, v2, v7
	s_mov_b32 s4, 0x800000
	v_cmp_gt_f32_e32 vcc, s4, v2
	v_cndmask_b32_e64 v7, 0, 32, vcc
	v_fma_f32 v6, v8, v6, 1.0
	v_ldexp_f32 v2, v2, v7
	v_rcp_f32_e32 v6, v6
	v_log_f32_e32 v2, v2
	s_mov_b32 s4, 0x3f317217
	v_mul_f32_e32 v5, v5, v6
	v_mul_f32_e32 v6, 0x3f317217, v2
	v_fma_f32 v7, v2, s4, -v6
	v_fmac_f32_e32 v7, 0x3377d1cf, v2
	s_mov_b32 s4, 0x7f800000
	v_add_f32_e32 v6, v6, v7
	v_cmp_lt_f32_e64 s[4:5], |v2|, s4
	v_cndmask_b32_e64 v2, v2, v6, s[4:5]
	v_mov_b32_e32 v6, 0x41b17218
	v_cndmask_b32_e32 v6, 0, v6, vcc
	v_fmac_f32_e32 v5, 0.5, v8
	v_sub_f32_e32 v2, v2, v6
	v_add_f32_e32 v2, v2, v5
.LBB97_61:
	s_or_b64 exec, exec, s[12:13]
.LBB97_62:
	s_andn2_saveexec_b64 s[8:9], s[8:9]
	s_cbranch_execz .LBB97_80
; %bb.63:
	s_mov_b32 s4, 0x3f666666
	v_cmp_le_f32_e64 s[4:5], |v1|, s4
                                        ; implicit-def: $vgpr2
                                        ; implicit-def: $vgpr6
                                        ; implicit-def: $vgpr5
	s_and_saveexec_b64 s[12:13], s[4:5]
	s_xor_b64 s[12:13], exec, s[12:13]
	s_cbranch_execz .LBB97_65
; %bb.64:
	s_mov_b32 s4, 0x800000
	v_cmp_lt_f32_e64 vcc, |v1|, s4
	v_cndmask_b32_e64 v2, 0, 32, vcc
	v_ldexp_f32 v2, |v1|, v2
	v_log_f32_e32 v2, v2
	s_mov_b32 s4, 0x3f317217
	s_mov_b32 s5, 0x7f800000
	v_mul_f32_e32 v5, 0x3f317217, v2
	v_fma_f32 v6, v2, s4, -v5
	v_fmac_f32_e32 v6, 0x3377d1cf, v2
	v_add_f32_e32 v5, v5, v6
	v_cmp_lt_f32_e64 s[4:5], |v2|, s5
	v_cndmask_b32_e64 v2, v2, v5, s[4:5]
	v_mov_b32_e32 v5, 0x41b17218
	v_cndmask_b32_e32 v5, 0, v5, vcc
	s_mov_b32 s4, 0x3f3b4a23
	s_mov_b32 s5, 0xbeec5b0c
	v_sub_f32_e32 v2, v2, v5
	v_sub_f32_e64 v5, 1.0, |v1|
	v_add_f32_e64 v6, |v1|, s5
	v_cmp_lt_f32_e64 vcc, |v1|, s4
	s_mov_b32 s4, 0x3e6d3309
	v_cndmask_b32_e32 v5, v5, v6, vcc
	v_cndmask_b32_e64 v6, 0, 1, vcc
	v_cmp_lt_f32_e64 s[4:5], |v1|, s4
	v_xor_b32_e32 v2, 0x80000000, v2
	v_cndmask_b32_e64 v5, v5, |v1|, s[4:5]
	v_cndmask_b32_e64 v6, v6, 2, s[4:5]
.LBB97_65:
	s_andn2_saveexec_b64 s[4:5], s[12:13]
	s_cbranch_execz .LBB97_67
; %bb.66:
	s_mov_b32 s12, 0x3fdda512
	s_mov_b32 s13, 0xbfbb16c3
	v_sub_f32_e64 v2, 2.0, |v1|
	v_add_f32_e64 v5, |v1|, s13
	v_cmp_lt_f32_e64 vcc, |v1|, s12
	v_cndmask_b32_e32 v5, v2, v5, vcc
	v_cndmask_b32_e64 v2, v2, 1.0, vcc
	v_cvt_i32_f32_e32 v2, v2
	s_mov_b32 s12, 0x3f9d70a4
	v_add_f32_e64 v6, |v1|, -1.0
	v_cmp_lt_f32_e64 vcc, |v1|, s12
	v_cndmask_b32_e32 v5, v5, v6, vcc
	v_cndmask_b32_e64 v6, v2, 2, vcc
	v_mov_b32_e32 v2, 0
.LBB97_67:
	s_or_b64 exec, exec, s[4:5]
	v_cmp_lt_i32_e32 vcc, 0, v6
	s_and_saveexec_b64 s[4:5], vcc
	s_xor_b64 s[4:5], exec, s[4:5]
	s_cbranch_execz .LBB97_75
; %bb.68:
	v_cmp_lt_i32_e32 vcc, 1, v6
	s_and_saveexec_b64 s[12:13], vcc
	s_xor_b64 s[12:13], exec, s[12:13]
	s_cbranch_execz .LBB97_72
; %bb.69:
	v_cmp_eq_u32_e32 vcc, 2, v6
	s_and_saveexec_b64 s[14:15], vcc
	s_cbranch_execz .LBB97_71
; %bb.70:
	v_mov_b32_e32 v6, 0x3e6a7578
	v_fmac_f32_e32 v6, 0x3c5b3c5e, v5
	v_mov_b32_e32 v7, 0x3f7a4bb2
	v_fmac_f32_e32 v7, v5, v6
	;; [unrolled: 2-line block ×8, first 2 shown]
	v_fma_f32 v6, v5, v8, 1.0
	v_rcp_f32_e32 v6, v6
	v_mov_b32_e32 v8, 0xbd9e233f
	v_fmac_f32_e32 v8, v5, v7
	v_mul_f32_e32 v7, v5, v8
	v_mul_f32_e32 v6, v7, v6
	v_fmac_f32_e32 v6, -0.5, v5
	v_add_f32_e32 v2, v2, v6
.LBB97_71:
	s_or_b64 exec, exec, s[14:15]
                                        ; implicit-def: $vgpr5
.LBB97_72:
	s_andn2_saveexec_b64 s[12:13], s[12:13]
	s_cbranch_execz .LBB97_74
; %bb.73:
	v_mul_f32_e32 v6, v5, v5
	v_mul_f32_e32 v7, v5, v6
	v_mov_b32_e32 v8, 0xbab7f476
	v_fmac_f32_e32 v8, 0x39a57b6b, v7
	v_mov_b32_e32 v9, 0x3bc7e707
	v_fmac_f32_e32 v9, v7, v8
	;; [unrolled: 2-line block ×12, first 2 shown]
	v_fmac_f32_e32 v10, v5, v11
	s_mov_b32 s14, 0xa2863e55
	v_fma_f32 v5, v7, -v10, s14
	v_fma_f32 v5, v6, v9, -v5
	v_add_f32_e32 v5, 0xbdf8cdce, v5
	v_add_f32_e32 v2, v2, v5
.LBB97_74:
	s_or_b64 exec, exec, s[12:13]
                                        ; implicit-def: $vgpr6
                                        ; implicit-def: $vgpr5
.LBB97_75:
	s_andn2_saveexec_b64 s[4:5], s[4:5]
	s_cbranch_execz .LBB97_79
; %bb.76:
	v_cmp_eq_u32_e32 vcc, 0, v6
	s_and_saveexec_b64 s[12:13], vcc
	s_cbranch_execz .LBB97_78
; %bb.77:
	v_mul_f32_e32 v6, v5, v5
	v_mov_b32_e32 v7, 0x39679767
	v_fmac_f32_e32 v7, 0x37d383a2, v6
	v_mov_b32_e32 v8, 0x3a9c54a1
	v_fmac_f32_e32 v8, v6, v7
	;; [unrolled: 2-line block ×10, first 2 shown]
	v_mul_f32_e32 v6, v6, v8
	v_fmac_f32_e32 v6, v5, v7
	v_fmac_f32_e32 v6, -0.5, v5
	v_add_f32_e32 v2, v2, v6
.LBB97_78:
	s_or_b64 exec, exec, s[12:13]
.LBB97_79:
	s_or_b64 exec, exec, s[4:5]
.LBB97_80:
	s_or_b64 exec, exec, s[8:9]
.LBB97_81:
	s_andn2_saveexec_b64 s[6:7], s[6:7]
	s_cbranch_execz .LBB97_83
; %bb.82:
	s_mov_b32 s4, 0x3e8a8991
	v_mov_b32_e32 v2, 0xbecd26ab
	v_fma_f32 v2, |v1|, s4, v2
	s_mov_b32 s4, 0x3f528d33
	v_fma_f32 v2, |v1|, v2, s4
	s_mov_b32 s4, 0x800000
	v_cmp_lt_f32_e64 vcc, |v1|, s4
	v_cndmask_b32_e64 v5, 0, 32, vcc
	v_ldexp_f32 v5, |v1|, v5
	v_log_f32_e32 v5, v5
	s_mov_b32 s4, 0xbf13c468
	v_fma_f32 v2, |v1|, v2, s4
	s_mov_b32 s4, 0x3f317217
	v_mul_f32_e32 v6, 0x3f317217, v5
	v_fma_f32 v7, v5, s4, -v6
	v_fmac_f32_e32 v7, 0x3377d1cf, v5
	s_mov_b32 s4, 0x7f800000
	v_add_f32_e32 v6, v6, v7
	v_cmp_lt_f32_e64 s[4:5], |v5|, s4
	v_cndmask_b32_e64 v5, v5, v6, s[4:5]
	v_mov_b32_e32 v6, 0x41b17218
	v_cndmask_b32_e32 v6, 0, v6, vcc
	v_sub_f32_e32 v5, v5, v6
	v_fma_f32 v2, |v1|, v2, -v5
.LBB97_83:
	s_or_b64 exec, exec, s[6:7]
	v_cmp_le_f32_e64 s[4:5], 0, v1
	v_cmp_nle_f32_e32 vcc, 0, v1
	s_and_saveexec_b64 s[6:7], vcc
	s_xor_b64 s[8:9], exec, s[6:7]
	s_cbranch_execz .LBB97_87
; %bb.84:
	s_mov_b32 s6, 0x4b000000
	s_mov_b32 s12, 0x35000000
	v_cmp_lt_f32_e64 s[6:7], |v1|, s6
	v_cmp_gt_f32_e64 s[12:13], |v1|, s12
	s_and_b64 s[6:7], s[6:7], s[12:13]
	s_and_saveexec_b64 s[12:13], s[6:7]
	s_cbranch_execz .LBB97_86
; %bb.85:
	v_mul_f32_e64 v5, |v1|, 0.5
	v_fract_f32_e32 v6, v5
	s_mov_b32 s14, 0x7f800000
	v_add_f32_e32 v6, v6, v6
	v_cmp_neq_f32_e32 vcc, s14, v5
	v_cndmask_b32_e32 v5, 0, v6, vcc
	v_cmp_gt_f32_e64 s[6:7], |v1|, 1.0
	v_cndmask_b32_e64 v5, |v1|, v5, s[6:7]
	v_add_f32_e32 v6, v5, v5
	v_rndne_f32_e32 v6, v6
	v_fmac_f32_e32 v5, -0.5, v6
	v_mul_f32_e32 v7, v5, v5
	v_mov_b32_e32 v8, 0xbf1f24be
	v_fmac_f32_e32 v8, 0x3e75aa41, v7
	v_mov_b32_e32 v9, 0x40234736
	v_fmac_f32_e32 v9, v7, v8
	;; [unrolled: 2-line block ×3, first 2 shown]
	v_mul_f32_e32 v9, v5, v7
	v_mul_f32_e32 v8, v9, v8
	v_fmac_f32_e32 v8, 0x40490fdb, v5
	v_mov_b32_e32 v5, 0x3e642e9d
	v_cvt_i32_f32_e32 v6, v6
	v_fmac_f32_e32 v5, 0x3d4be544, v7
	v_mov_b32_e32 v9, 0xbfaad1da
	v_fmac_f32_e32 v9, v7, v5
	v_mov_b32_e32 v5, 0x4081e0d3
	;; [unrolled: 2-line block ×3, first 2 shown]
	v_fmac_f32_e32 v9, v7, v5
	v_fma_f32 v5, v7, v9, 1.0
	v_and_b32_e32 v7, 1, v6
	v_lshlrev_b32_e32 v6, 30, v6
	v_cmp_eq_u32_e32 vcc, 0, v7
	v_and_b32_e32 v6, 0x80000000, v6
	v_xor_b32_e32 v4, v4, v1
	v_cndmask_b32_e32 v5, v5, v8, vcc
	v_xor_b32_e32 v4, v4, v6
	v_xor_b32_e32 v4, v4, v5
	v_mul_f32_e32 v4, v1, v4
	v_frexp_mant_f32_e64 v5, |v4|
	v_rcp_f32_e32 v5, v5
	v_frexp_exp_i32_f32_e32 v4, v4
	v_sub_u32_e32 v4, 2, v4
	s_mov_b32 s6, 0x800000
	v_mul_f32_e32 v5, 0x3f490fdb, v5
	v_ldexp_f32 v4, v5, v4
	v_cmp_gt_f32_e32 vcc, s6, v4
	v_cndmask_b32_e64 v5, 0, 32, vcc
	v_ldexp_f32 v4, v4, v5
	v_log_f32_e32 v4, v4
	s_mov_b32 s6, 0x3f317217
	v_mul_f32_e32 v5, 0x3f317217, v4
	v_fma_f32 v6, v4, s6, -v5
	v_fmac_f32_e32 v6, 0x3377d1cf, v4
	v_add_f32_e32 v5, v5, v6
	v_cmp_lt_f32_e64 s[6:7], |v4|, s14
	v_cndmask_b32_e64 v4, v4, v5, s[6:7]
	v_mov_b32_e32 v5, 0x41b17218
	v_cndmask_b32_e32 v5, 0, v5, vcc
	v_sub_f32_e32 v4, v4, v5
	v_sub_f32_e32 v2, v4, v2
	v_fract_f32_e32 v4, v1
	v_mov_b32_e32 v5, 0x7f800000
	v_cmp_neq_f32_e32 vcc, 0, v4
	v_cndmask_b32_e32 v2, v5, v2, vcc
.LBB97_86:
	s_or_b64 exec, exec, s[12:13]
.LBB97_87:
	s_andn2_saveexec_b64 s[8:9], s[8:9]
; %bb.88:
	v_cmp_eq_f32_e32 vcc, 1.0, v1
	v_cmp_eq_f32_e64 s[6:7], 2.0, v1
	s_or_b64 s[6:7], vcc, s[6:7]
	v_cndmask_b32_e64 v2, v2, 0, s[6:7]
; %bb.89:
	s_or_b64 exec, exec, s[8:9]
	v_cmp_ne_u32_e32 vcc, 0, v0
	v_mov_b32_e32 v4, 0x7f800000
	v_mov_b32_e32 v6, 0x7f800000
	s_and_saveexec_b64 s[12:13], vcc
	s_cbranch_execz .LBB97_166
; %bb.90:
	v_cmp_lt_i32_e32 vcc, -1, v0
	v_mov_b32_e32 v6, 0x7fc00000
	s_and_saveexec_b64 s[14:15], vcc
	s_cbranch_execz .LBB97_165
; %bb.91:
	s_waitcnt vmcnt(0) lgkmcnt(0)
	v_floor_f32_e32 v5, v3
	v_cmp_nge_f32_e32 vcc, 0, v3
	v_cmp_neq_f32_e64 s[6:7], v3, v5
	s_mov_b32 s26, 0
	s_or_b64 s[6:7], vcc, s[6:7]
	v_mov_b32_e32 v6, 0x7f800000
	s_and_saveexec_b64 s[16:17], s[6:7]
	s_cbranch_execz .LBB97_164
; %bb.92:
	v_add_u32_e32 v5, 1, v0
	v_cvt_f32_i32_e32 v5, v5
	v_frexp_mant_f32_e64 v7, |v3|
	s_mov_b32 s27, 0x3f2aaaab
	v_cmp_neq_f32_e32 vcc, 1.0, v3
	v_cndmask_b32_e64 v6, 1.0, -v5, vcc
	v_cmp_gt_f32_e32 vcc, s27, v7
	v_cndmask_b32_e64 v8, 1.0, 2.0, vcc
	v_mul_f32_e32 v7, v7, v8
	v_add_f32_e32 v8, 1.0, v7
	v_rcp_f32_e32 v9, v8
	v_add_f32_e32 v10, -1.0, v7
	v_add_f32_e32 v11, -1.0, v8
	v_sub_f32_e32 v7, v7, v11
	v_mul_f32_e32 v11, v10, v9
	v_mul_f32_e32 v12, v8, v11
	v_fma_f32 v8, v11, v8, -v12
	v_fmac_f32_e32 v8, v11, v7
	v_add_f32_e32 v7, v12, v8
	v_sub_f32_e32 v13, v10, v7
	v_sub_f32_e32 v12, v7, v12
	;; [unrolled: 1-line block ×5, first 2 shown]
	v_add_f32_e32 v7, v8, v7
	v_add_f32_e32 v7, v13, v7
	v_mul_f32_e32 v7, v9, v7
	v_add_f32_e32 v10, v11, v7
	v_sub_f32_e32 v8, v10, v11
	v_sub_f32_e32 v11, v7, v8
	v_mul_f32_e32 v8, v10, v10
	v_fma_f32 v9, v10, v10, -v8
	v_add_f32_e32 v7, v11, v11
	v_fmac_f32_e32 v9, v10, v7
	v_add_f32_e32 v12, v8, v9
	v_sub_f32_e32 v8, v12, v8
	v_sub_f32_e32 v8, v9, v8
	v_mul_f32_e32 v9, v10, v12
	v_fma_f32 v14, v12, v10, -v9
	v_fmac_f32_e32 v14, v12, v11
	v_mov_b32_e32 v13, 0x3e91f4c4
	v_fmac_f32_e32 v14, v8, v10
	v_fmac_f32_e32 v13, 0x3e76c4e1, v12
	v_mov_b32_e32 v7, 0x3ecccdef
	v_add_f32_e32 v15, v9, v14
	v_fma_f32 v13, v12, v13, v7
	v_sub_f32_e32 v9, v15, v9
	v_sub_f32_e32 v14, v14, v9
	v_mul_f32_e32 v9, v12, v13
	v_fma_f32 v12, v12, v13, -v9
	v_fmac_f32_e32 v12, v8, v13
	v_add_f32_e32 v13, v9, v12
	v_sub_f32_e32 v8, v13, v9
	v_sub_f32_e32 v12, v12, v8
	v_cvt_f64_f32_e64 v[8:9], |v3|
	v_add_f32_e32 v16, 0x3f2aaaaa, v13
	v_add_f32_e32 v17, 0xbf2aaaaa, v16
	v_add_f32_e32 v12, 0x31739010, v12
	v_frexp_exp_i32_f64_e32 v8, v[8:9]
	v_sub_f32_e32 v13, v13, v17
	v_add_f32_e32 v9, v12, v13
	v_add_f32_e32 v12, v16, v9
	v_sub_f32_e32 v13, v16, v12
	v_add_f32_e32 v9, v9, v13
	v_mul_f32_e32 v13, v15, v12
	v_fma_f32 v16, v15, v12, -v13
	v_subbrev_co_u32_e32 v8, vcc, 0, v8, vcc
	v_cvt_f32_i32_e32 v8, v8
	v_fmac_f32_e32 v16, v15, v9
	s_mov_b32 s28, 0x3f317218
	v_fmac_f32_e32 v16, v14, v12
	v_mul_f32_e32 v9, 0x3f317218, v8
	v_fma_f32 v12, v8, s28, -v9
	v_fmac_f32_e32 v12, 0xb102e308, v8
	v_ldexp_f32 v8, v11, 1
	v_add_f32_e32 v11, v9, v12
	v_sub_f32_e32 v9, v11, v9
	v_ldexp_f32 v10, v10, 1
	v_sub_f32_e32 v9, v12, v9
	v_add_f32_e32 v12, v13, v16
	v_sub_f32_e32 v13, v12, v13
	v_add_f32_e32 v14, v10, v12
	v_sub_f32_e32 v13, v16, v13
	v_sub_f32_e32 v10, v14, v10
	;; [unrolled: 1-line block ×3, first 2 shown]
	v_add_f32_e32 v8, v8, v13
	v_add_f32_e32 v8, v8, v10
	;; [unrolled: 1-line block ×3, first 2 shown]
	v_sub_f32_e32 v12, v10, v14
	v_sub_f32_e32 v8, v8, v12
	v_add_f32_e32 v12, v11, v10
	v_sub_f32_e32 v13, v12, v11
	v_sub_f32_e32 v14, v12, v13
	;; [unrolled: 1-line block ×4, first 2 shown]
	v_add_f32_e32 v10, v10, v11
	v_add_f32_e32 v11, v9, v8
	v_sub_f32_e32 v13, v11, v9
	v_sub_f32_e32 v14, v11, v13
	;; [unrolled: 1-line block ×4, first 2 shown]
	v_add_f32_e32 v8, v8, v9
	v_add_f32_e32 v9, v11, v10
	;; [unrolled: 1-line block ×3, first 2 shown]
	v_sub_f32_e32 v11, v10, v12
	v_sub_f32_e32 v9, v9, v11
	v_add_f32_e32 v8, v8, v9
	v_add_f32_e32 v9, v10, v8
	v_sub_f32_e32 v10, v9, v10
	v_sub_f32_e32 v8, v8, v10
	v_mul_f32_e32 v10, v6, v9
	v_fma_f32 v9, v6, v9, -v10
	v_fmac_f32_e32 v9, v6, v8
	s_movk_i32 s29, 0x204
	v_add_f32_e32 v8, v10, v9
	v_cmp_class_f32_e64 vcc, v10, s29
	v_sub_f32_e32 v11, v8, v10
	v_cndmask_b32_e32 v10, v8, v10, vcc
	s_mov_b32 s41, 0x42b17218
	v_mov_b32_e32 v8, 0x37000000
	v_cmp_eq_f32_e32 vcc, s41, v10
	v_sub_f32_e32 v9, v9, v11
	v_cndmask_b32_e32 v11, 0, v8, vcc
	v_sub_f32_e32 v12, v10, v11
	s_mov_b32 s42, 0x3fb8aa3b
	v_mul_f32_e32 v13, 0x3fb8aa3b, v12
	v_fma_f32 v14, v12, s42, -v13
	v_rndne_f32_e32 v15, v13
	v_fmac_f32_e32 v14, 0x32a5705f, v12
	v_sub_f32_e32 v13, v13, v15
	v_add_f32_e32 v13, v13, v14
	v_exp_f32_e32 v13, v13
	v_cvt_i32_f32_e32 v14, v15
	s_mov_b32 s40, 0x7f800000
	v_cmp_neq_f32_e64 vcc, |v10|, s40
	v_cndmask_b32_e32 v9, 0, v9, vcc
	s_mov_b32 s43, 0xc2ce8ed0
	v_add_f32_e32 v10, v11, v9
	v_ldexp_f32 v9, v13, v14
	v_cmp_ngt_f32_e32 vcc, s43, v12
	v_cndmask_b32_e32 v11, 0, v9, vcc
	v_mov_b32_e32 v9, 0x7f800000
	v_cmp_nlt_f32_e32 vcc, s41, v12
	v_cndmask_b32_e32 v11, v9, v11, vcc
	v_fma_f32 v10, v11, v10, v11
	v_cmp_class_f32_e64 vcc, v11, s29
	v_trunc_f32_e32 v12, v6
	v_cndmask_b32_e32 v11, v10, v11, vcc
	v_cmp_eq_f32_e32 vcc, v12, v6
	v_mul_f32_e32 v12, 0.5, v6
	v_trunc_f32_e32 v13, v12
	v_cmp_neq_f32_e64 s[6:7], v13, v12
	s_and_b64 s[6:7], vcc, s[6:7]
	v_cndmask_b32_e64 v12, 1.0, v3, s[6:7]
	s_brev_b32 s44, -2
	v_mov_b32_e32 v10, 0x7fc00000
	v_bfi_b32 v11, s44, v11, v12
	v_cndmask_b32_e32 v12, v10, v11, vcc
	v_cmp_gt_f32_e32 vcc, 0, v3
	v_cndmask_b32_e32 v11, v11, v12, vcc
	v_cmp_eq_f32_e32 vcc, 0, v3
	v_cmp_gt_f32_e64 s[8:9], 0, v6
	s_xor_b64 s[8:9], vcc, s[8:9]
	v_cmp_class_f32_e64 s[18:19], v3, s29
	v_cndmask_b32_e64 v6, v9, 0, s[8:9]
	v_cndmask_b32_e64 v12, 0, v3, s[6:7]
	v_bfi_b32 v6, s44, v6, v12
	s_or_b64 vcc, vcc, s[18:19]
	v_cndmask_b32_e32 v6, v11, v6, vcc
	v_cmp_o_f32_e32 vcc, v3, v3
	v_cndmask_b32_e32 v6, v10, v6, vcc
	s_mov_b64 s[18:19], 0
	s_mov_b32 s45, 0x41100000
                                        ; implicit-def: $sgpr20_sgpr21
                                        ; implicit-def: $sgpr24_sgpr25
                                        ; implicit-def: $sgpr22_sgpr23
	s_branch .LBB97_94
.LBB97_93:                              ;   in Loop: Header=BB97_94 Depth=1
	s_or_b64 exec, exec, s[6:7]
	s_and_b64 s[6:7], exec, s[24:25]
	s_or_b64 s[18:19], s[6:7], s[18:19]
	s_andn2_b64 s[6:7], s[20:21], exec
	s_and_b64 s[8:9], s[22:23], exec
	s_or_b64 s[20:21], s[6:7], s[8:9]
	s_andn2_b64 exec, exec, s[18:19]
	s_cbranch_execz .LBB97_151
.LBB97_94:                              ; =>This Inner Loop Header: Depth=1
	v_add_f32_e32 v3, 1.0, v3
	v_cmp_neq_f32_e32 vcc, 1.0, v3
	v_frexp_mant_f32_e64 v12, |v3|
	v_cndmask_b32_e64 v11, 1.0, -v5, vcc
	v_cmp_gt_f32_e32 vcc, s27, v12
	v_cndmask_b32_e64 v13, 1.0, 2.0, vcc
	v_mul_f32_e32 v12, v12, v13
	v_add_f32_e32 v13, 1.0, v12
	v_rcp_f32_e32 v14, v13
	v_add_f32_e32 v15, -1.0, v12
	v_add_f32_e32 v16, -1.0, v13
	v_sub_f32_e32 v12, v12, v16
	v_mul_f32_e32 v16, v15, v14
	v_mul_f32_e32 v17, v13, v16
	v_fma_f32 v13, v16, v13, -v17
	v_fmac_f32_e32 v13, v16, v12
	v_add_f32_e32 v12, v17, v13
	v_sub_f32_e32 v18, v15, v12
	v_sub_f32_e32 v17, v12, v17
	;; [unrolled: 1-line block ×5, first 2 shown]
	v_add_f32_e32 v12, v13, v12
	v_add_f32_e32 v12, v18, v12
	v_mul_f32_e32 v12, v14, v12
	v_add_f32_e32 v14, v16, v12
	v_sub_f32_e32 v13, v14, v16
	v_sub_f32_e32 v15, v12, v13
	v_mul_f32_e32 v12, v14, v14
	v_fma_f32 v13, v14, v14, -v12
	v_add_f32_e32 v16, v15, v15
	v_fmac_f32_e32 v13, v14, v16
	v_add_f32_e32 v16, v12, v13
	v_sub_f32_e32 v12, v16, v12
	v_sub_f32_e32 v12, v13, v12
	v_mul_f32_e32 v13, v14, v16
	v_fma_f32 v18, v16, v14, -v13
	v_fmac_f32_e32 v18, v16, v15
	v_mov_b32_e32 v17, 0x3e91f4c4
	v_fmac_f32_e32 v18, v12, v14
	v_fmac_f32_e32 v17, 0x3e76c4e1, v16
	v_add_f32_e32 v19, v13, v18
	v_fma_f32 v17, v16, v17, v7
	v_sub_f32_e32 v13, v19, v13
	v_sub_f32_e32 v18, v18, v13
	v_mul_f32_e32 v13, v16, v17
	v_fma_f32 v16, v16, v17, -v13
	v_fmac_f32_e32 v16, v12, v17
	v_add_f32_e32 v17, v13, v16
	v_sub_f32_e32 v21, v17, v13
	v_cvt_f64_f32_e64 v[12:13], |v3|
	v_add_f32_e32 v20, 0x3f2aaaaa, v17
	v_sub_f32_e32 v16, v16, v21
	v_add_f32_e32 v21, 0xbf2aaaaa, v20
	v_frexp_exp_i32_f64_e32 v12, v[12:13]
	v_add_f32_e32 v16, 0x31739010, v16
	v_sub_f32_e32 v13, v17, v21
	v_add_f32_e32 v13, v16, v13
	v_add_f32_e32 v16, v20, v13
	v_sub_f32_e32 v17, v20, v16
	v_add_f32_e32 v13, v13, v17
	v_mul_f32_e32 v17, v19, v16
	v_subbrev_co_u32_e32 v12, vcc, 0, v12, vcc
	v_cvt_f32_i32_e32 v12, v12
	v_fma_f32 v20, v19, v16, -v17
	v_fmac_f32_e32 v20, v19, v13
	v_fmac_f32_e32 v20, v18, v16
	v_mul_f32_e32 v13, 0x3f317218, v12
	v_fma_f32 v16, v12, s28, -v13
	v_fmac_f32_e32 v16, 0xb102e308, v12
	v_ldexp_f32 v12, v15, 1
	v_add_f32_e32 v15, v13, v16
	v_sub_f32_e32 v13, v15, v13
	v_ldexp_f32 v14, v14, 1
	v_sub_f32_e32 v13, v16, v13
	v_add_f32_e32 v16, v17, v20
	v_sub_f32_e32 v17, v16, v17
	v_add_f32_e32 v18, v14, v16
	v_sub_f32_e32 v17, v20, v17
	v_sub_f32_e32 v14, v18, v14
	;; [unrolled: 1-line block ×3, first 2 shown]
	v_add_f32_e32 v12, v12, v17
	v_add_f32_e32 v12, v12, v14
	;; [unrolled: 1-line block ×3, first 2 shown]
	v_sub_f32_e32 v16, v14, v18
	v_sub_f32_e32 v12, v12, v16
	v_add_f32_e32 v16, v15, v14
	v_sub_f32_e32 v17, v16, v15
	v_sub_f32_e32 v18, v16, v17
	;; [unrolled: 1-line block ×4, first 2 shown]
	v_add_f32_e32 v14, v14, v15
	v_add_f32_e32 v15, v13, v12
	v_sub_f32_e32 v17, v15, v13
	v_sub_f32_e32 v18, v15, v17
	;; [unrolled: 1-line block ×4, first 2 shown]
	v_add_f32_e32 v12, v12, v13
	v_add_f32_e32 v13, v15, v14
	;; [unrolled: 1-line block ×3, first 2 shown]
	v_sub_f32_e32 v15, v14, v16
	v_sub_f32_e32 v13, v13, v15
	v_add_f32_e32 v12, v12, v13
	v_add_f32_e32 v13, v14, v12
	v_sub_f32_e32 v14, v13, v14
	v_sub_f32_e32 v12, v12, v14
	v_mul_f32_e32 v14, v11, v13
	v_fma_f32 v13, v11, v13, -v14
	v_fmac_f32_e32 v13, v11, v12
	v_add_f32_e32 v12, v14, v13
	v_cmp_class_f32_e64 vcc, v14, s29
	v_sub_f32_e32 v15, v12, v14
	v_cndmask_b32_e32 v12, v12, v14, vcc
	v_cmp_eq_f32_e32 vcc, s41, v12
	v_cndmask_b32_e32 v14, 0, v8, vcc
	v_sub_f32_e32 v13, v13, v15
	v_sub_f32_e32 v15, v12, v14
	v_mul_f32_e32 v16, 0x3fb8aa3b, v15
	v_fma_f32 v17, v15, s42, -v16
	v_rndne_f32_e32 v18, v16
	v_fmac_f32_e32 v17, 0x32a5705f, v15
	v_sub_f32_e32 v16, v16, v18
	v_add_f32_e32 v16, v16, v17
	v_exp_f32_e32 v16, v16
	v_cvt_i32_f32_e32 v17, v18
	v_cmp_neq_f32_e64 vcc, |v12|, s40
	v_cndmask_b32_e32 v12, 0, v13, vcc
	v_cmp_ngt_f32_e32 vcc, s43, v15
	v_ldexp_f32 v13, v16, v17
	v_cndmask_b32_e32 v13, 0, v13, vcc
	v_cmp_nlt_f32_e32 vcc, s41, v15
	v_add_f32_e32 v12, v14, v12
	v_cndmask_b32_e32 v13, v9, v13, vcc
	v_fma_f32 v12, v13, v12, v13
	v_cmp_class_f32_e64 vcc, v13, s29
	v_cndmask_b32_e32 v12, v12, v13, vcc
	v_trunc_f32_e32 v13, v11
	v_cmp_eq_f32_e32 vcc, v13, v11
	v_mul_f32_e32 v13, 0.5, v11
	v_trunc_f32_e32 v14, v13
	v_cmp_neq_f32_e64 s[6:7], v14, v13
	s_and_b64 s[6:7], vcc, s[6:7]
	v_cndmask_b32_e64 v13, 1.0, v3, s[6:7]
	v_bfi_b32 v12, s44, v12, v13
	v_cndmask_b32_e32 v13, v10, v12, vcc
	v_cmp_gt_f32_e32 vcc, 0, v3
	v_cndmask_b32_e32 v12, v12, v13, vcc
	v_cmp_eq_f32_e32 vcc, 0, v3
	v_cmp_gt_f32_e64 s[8:9], 0, v11
	s_xor_b64 s[8:9], vcc, s[8:9]
	v_cmp_class_f32_e64 s[46:47], v3, s29
	v_cndmask_b32_e64 v11, v9, 0, s[8:9]
	v_cndmask_b32_e64 v13, 0, v3, s[6:7]
	v_bfi_b32 v11, s44, v11, v13
	s_or_b64 vcc, vcc, s[46:47]
	v_cndmask_b32_e32 v11, v12, v11, vcc
	v_cmp_o_f32_e32 vcc, v3, v3
	v_cndmask_b32_e32 v11, v10, v11, vcc
	v_add_f32_e32 v6, v6, v11
	v_mul_f32_e32 v12, 0xa5000000, v6
	v_cmp_nlt_f32_e32 vcc, v12, v11
	v_mul_f32_e32 v12, 0x25000000, v6
	v_cmp_nlt_f32_e64 s[6:7], v11, v12
	s_or_b64 s[8:9], vcc, s[6:7]
	s_or_b64 s[22:23], s[22:23], exec
	s_or_b64 s[24:25], s[24:25], exec
	s_and_saveexec_b64 s[6:7], s[8:9]
	s_cbranch_execz .LBB97_93
; %bb.95:                               ;   in Loop: Header=BB97_94 Depth=1
	s_add_i32 s46, s26, 1
	s_cmp_gt_u32 s26, 7
	s_cselect_b64 s[8:9], -1, 0
	v_cmp_nge_f32_e32 vcc, s45, v3
	s_and_b64 s[8:9], s[8:9], vcc
	s_andn2_b64 s[24:25], s[24:25], exec
	s_and_b64 s[8:9], s[8:9], exec
	s_andn2_b64 s[22:23], s[22:23], exec
	s_or_b64 s[24:25], s[24:25], s[8:9]
	s_mov_b32 s26, s46
	s_branch .LBB97_93
.LBB97_96:
	v_mov_b32_e32 v3, 28
	v_cmp_gt_i16_sdwa s[8:9], v5, v3 src0_sel:BYTE_0 src1_sel:DWORD
	s_mov_b64 s[14:15], 0
                                        ; implicit-def: $vgpr3
	s_and_saveexec_b64 s[16:17], s[8:9]
	s_xor_b64 s[8:9], exec, s[16:17]
	s_cbranch_execz .LBB97_112
; %bb.97:
	v_mov_b32_e32 v3, 43
	v_cmp_gt_i16_sdwa s[12:13], v5, v3 src0_sel:BYTE_0 src1_sel:DWORD
	s_mov_b64 s[16:17], 0
	s_mov_b64 s[18:19], 0
                                        ; implicit-def: $vgpr3
	s_and_saveexec_b64 s[14:15], s[12:13]
	s_xor_b64 s[12:13], exec, s[14:15]
	s_cbranch_execz .LBB97_107
; %bb.98:
	v_mov_b32_e32 v3, 45
	v_cmp_gt_i16_sdwa s[18:19], v5, v3 src0_sel:BYTE_0 src1_sel:DWORD
	s_mov_b64 s[14:15], 0
                                        ; implicit-def: $vgpr3
	s_and_saveexec_b64 s[20:21], s[18:19]
	s_xor_b64 s[18:19], exec, s[20:21]
	s_cbranch_execz .LBB97_102
; %bb.99:
	v_mov_b32_e32 v3, 46
	v_cmp_eq_u16_sdwa s[22:23], v5, v3 src0_sel:BYTE_0 src1_sel:DWORD
	s_mov_b64 s[20:21], -1
                                        ; implicit-def: $vgpr3
	s_and_saveexec_b64 s[16:17], s[22:23]
	s_cbranch_execz .LBB97_101
; %bb.100:
	flat_load_dword v3, v[1:2]
	s_mov_b64 s[14:15], exec
	s_xor_b64 s[20:21], exec, -1
	s_waitcnt vmcnt(0) lgkmcnt(0)
	v_lshlrev_b32_e32 v3, 16, v3
.LBB97_101:
	s_or_b64 exec, exec, s[16:17]
	s_and_b64 s[16:17], s[14:15], exec
	s_and_b64 s[14:15], s[20:21], exec
                                        ; implicit-def: $vgpr5
.LBB97_102:
	s_andn2_saveexec_b64 s[18:19], s[18:19]
	s_cbranch_execz .LBB97_106
; %bb.103:
	v_mov_b32_e32 v3, 44
	v_cmp_eq_u16_sdwa s[26:27], v5, v3 src0_sel:BYTE_0 src1_sel:DWORD
	s_mov_b64 s[24:25], -1
	s_mov_b64 s[22:23], s[16:17]
                                        ; implicit-def: $vgpr3
	s_and_saveexec_b64 s[20:21], s[26:27]
	s_cbranch_execz .LBB97_105
; %bb.104:
	flat_load_ubyte v3, v[1:2]
	s_movk_i32 s24, 0xff
	v_mov_b32_e32 v4, 0x7f800001
	v_mov_b32_e32 v5, 0x400000
	s_or_b64 s[22:23], s[16:17], exec
	s_waitcnt vmcnt(0) lgkmcnt(0)
	v_lshlrev_b32_e32 v6, 23, v3
	v_cmp_ne_u32_e32 vcc, s24, v3
	v_cndmask_b32_e32 v4, v4, v6, vcc
	v_cmp_ne_u32_e32 vcc, 0, v3
	v_cndmask_b32_e32 v3, v5, v4, vcc
	s_xor_b64 s[24:25], exec, -1
.LBB97_105:
	s_or_b64 exec, exec, s[20:21]
	s_andn2_b64 s[16:17], s[16:17], exec
	s_and_b64 s[20:21], s[22:23], exec
	s_or_b64 s[16:17], s[16:17], s[20:21]
	s_andn2_b64 s[14:15], s[14:15], exec
	s_and_b64 s[20:21], s[24:25], exec
	s_or_b64 s[14:15], s[14:15], s[20:21]
.LBB97_106:
	s_or_b64 exec, exec, s[18:19]
	s_and_b64 s[18:19], s[16:17], exec
	s_and_b64 s[16:17], s[14:15], exec
                                        ; implicit-def: $vgpr5
.LBB97_107:
	s_andn2_saveexec_b64 s[12:13], s[12:13]
	s_cbranch_execz .LBB97_111
; %bb.108:
	v_mov_b32_e32 v3, 29
	v_cmp_eq_u16_sdwa s[24:25], v5, v3 src0_sel:BYTE_0 src1_sel:DWORD
	s_mov_b64 s[20:21], -1
	s_mov_b64 s[22:23], s[18:19]
                                        ; implicit-def: $vgpr3
	s_and_saveexec_b64 s[14:15], s[24:25]
	s_cbranch_execz .LBB97_110
; %bb.109:
	flat_load_dwordx2 v[3:4], v[1:2]
	s_or_b64 s[22:23], s[18:19], exec
	s_xor_b64 s[20:21], exec, -1
	s_waitcnt vmcnt(0) lgkmcnt(0)
	v_ffbh_u32_e32 v5, v4
	v_min_u32_e32 v5, 32, v5
	v_lshlrev_b64 v[3:4], v5, v[3:4]
	v_min_u32_e32 v3, 1, v3
	v_or_b32_e32 v3, v4, v3
	v_cvt_f32_u32_e32 v3, v3
	v_sub_u32_e32 v4, 32, v5
	v_ldexp_f32 v3, v3, v4
.LBB97_110:
	s_or_b64 exec, exec, s[14:15]
	s_andn2_b64 s[14:15], s[18:19], exec
	s_and_b64 s[18:19], s[22:23], exec
	s_or_b64 s[18:19], s[14:15], s[18:19]
	s_andn2_b64 s[14:15], s[16:17], exec
	s_and_b64 s[16:17], s[20:21], exec
	s_or_b64 s[16:17], s[14:15], s[16:17]
.LBB97_111:
	s_or_b64 exec, exec, s[12:13]
	s_and_b64 s[14:15], s[18:19], exec
	s_and_b64 s[12:13], s[16:17], exec
                                        ; implicit-def: $vgpr5
.LBB97_112:
	s_andn2_saveexec_b64 s[8:9], s[8:9]
	s_cbranch_execz .LBB97_126
; %bb.113:
	v_mov_b32_e32 v3, 26
	v_cmp_gt_i16_sdwa s[16:17], v5, v3 src0_sel:BYTE_0 src1_sel:DWORD
                                        ; implicit-def: $vgpr3
	s_and_saveexec_b64 s[18:19], s[16:17]
	s_xor_b64 s[16:17], exec, s[18:19]
	s_cbranch_execz .LBB97_119
; %bb.114:
	v_mov_b32_e32 v3, 27
	v_cmp_gt_i16_sdwa s[18:19], v5, v3 src0_sel:BYTE_0 src1_sel:DWORD
                                        ; implicit-def: $vgpr3
	s_and_saveexec_b64 s[20:21], s[18:19]
	s_xor_b64 s[18:19], exec, s[20:21]
	s_cbranch_execz .LBB97_116
; %bb.115:
	flat_load_dword v3, v[1:2]
	s_waitcnt vmcnt(0) lgkmcnt(0)
	v_cvt_f32_u32_e32 v3, v3
.LBB97_116:
	s_andn2_saveexec_b64 s[18:19], s[18:19]
	s_cbranch_execz .LBB97_118
; %bb.117:
	flat_load_ushort v3, v[1:2]
	s_waitcnt vmcnt(0) lgkmcnt(0)
	v_cvt_f32_u32_e32 v3, v3
.LBB97_118:
	s_or_b64 exec, exec, s[18:19]
.LBB97_119:
	s_andn2_saveexec_b64 s[16:17], s[16:17]
	s_cbranch_execz .LBB97_125
; %bb.120:
	flat_load_ubyte v4, v[1:2]
	s_movk_i32 s18, 0x7f
	s_waitcnt vmcnt(0) lgkmcnt(0)
	v_cmp_lt_i16_e32 vcc, s18, v4
	s_mov_b64 s[18:19], 0
	s_and_saveexec_b64 s[20:21], vcc
	s_xor_b64 s[20:21], exec, s[20:21]
	s_cbranch_execnz .LBB97_158
; %bb.121:
	s_or_saveexec_b64 s[20:21], s[20:21]
	v_mov_b32_e32 v3, 0x7f800001
	s_xor_b64 exec, exec, s[20:21]
	s_cbranch_execnz .LBB97_161
.LBB97_122:
	s_or_b64 exec, exec, s[20:21]
	s_and_saveexec_b64 s[20:21], s[18:19]
	s_cbranch_execz .LBB97_124
.LBB97_123:
	v_lshlrev_b32_e32 v3, 24, v4
	v_and_b32_e32 v4, 0xffff, v4
	v_and_b32_e32 v5, 7, v4
	v_ffbh_u32_e32 v7, v5
	v_min_u32_e32 v7, 32, v7
	v_subrev_u32_e32 v8, 28, v7
	v_bfe_u32 v6, v4, 3, 4
	v_lshlrev_b32_e32 v4, v8, v4
	v_sub_u32_e32 v7, 29, v7
	v_and_b32_e32 v4, 7, v4
	v_cmp_eq_u32_e32 vcc, 0, v6
	v_cndmask_b32_e32 v6, v6, v7, vcc
	v_cndmask_b32_e32 v4, v5, v4, vcc
	v_mov_b32_e32 v5, 0x3b800000
	v_lshlrev_b32_e32 v4, 20, v4
	v_and_b32_e32 v3, 0x80000000, v3
	v_lshl_add_u32 v5, v6, 23, v5
	v_or3_b32 v3, v3, v5, v4
.LBB97_124:
	s_or_b64 exec, exec, s[20:21]
.LBB97_125:
	s_or_b64 exec, exec, s[16:17]
	s_or_b64 s[14:15], s[14:15], exec
.LBB97_126:
	s_or_b64 exec, exec, s[8:9]
	s_and_b64 s[8:9], s[14:15], exec
	s_and_b64 s[12:13], s[12:13], exec
                                        ; implicit-def: $vgpr5
	s_andn2_saveexec_b64 s[10:11], s[10:11]
	s_cbranch_execz .LBB97_6
.LBB97_127:
	v_mov_b32_e32 v3, 22
	v_cmp_gt_i16_sdwa s[6:7], v5, v3 src0_sel:BYTE_0 src1_sel:DWORD
	s_mov_b64 s[14:15], s[8:9]
                                        ; implicit-def: $vgpr3
	s_and_saveexec_b64 s[16:17], s[6:7]
	s_xor_b64 s[6:7], exec, s[16:17]
	s_cbranch_execz .LBB97_141
; %bb.128:
	v_mov_b32_e32 v3, 23
	v_cmp_gt_i16_sdwa s[14:15], v5, v3 src0_sel:BYTE_0 src1_sel:DWORD
                                        ; implicit-def: $vgpr3
	s_and_saveexec_b64 s[16:17], s[14:15]
	s_xor_b64 s[14:15], exec, s[16:17]
	s_cbranch_execz .LBB97_138
; %bb.129:
	v_mov_b32_e32 v3, 24
	v_cmp_gt_i16_sdwa s[16:17], v5, v3 src0_sel:BYTE_0 src1_sel:DWORD
                                        ; implicit-def: $vgpr3
	s_and_saveexec_b64 s[18:19], s[16:17]
	s_xor_b64 s[16:17], exec, s[18:19]
	s_cbranch_execz .LBB97_135
; %bb.130:
	flat_load_ubyte v4, v[1:2]
	s_movk_i32 s18, 0x7f
	s_waitcnt vmcnt(0) lgkmcnt(0)
	v_cmp_lt_i16_e32 vcc, s18, v4
	s_mov_b64 s[18:19], 0
	s_and_saveexec_b64 s[20:21], vcc
	s_xor_b64 s[20:21], exec, s[20:21]
	s_cbranch_execnz .LBB97_167
; %bb.131:
	s_or_saveexec_b64 s[20:21], s[20:21]
	v_mov_b32_e32 v3, 0x7f800001
	s_xor_b64 exec, exec, s[20:21]
	s_cbranch_execnz .LBB97_170
.LBB97_132:
	s_or_b64 exec, exec, s[20:21]
	s_and_saveexec_b64 s[20:21], s[18:19]
	s_cbranch_execz .LBB97_134
.LBB97_133:
	v_lshlrev_b32_e32 v3, 24, v4
	v_and_b32_e32 v4, 0xffff, v4
	v_and_b32_e32 v5, 3, v4
	v_ffbh_u32_e32 v7, v5
	v_min_u32_e32 v7, 32, v7
	v_subrev_u32_e32 v8, 29, v7
	v_bfe_u32 v6, v4, 2, 5
	v_lshlrev_b32_e32 v4, v8, v4
	v_sub_u32_e32 v7, 30, v7
	v_and_b32_e32 v4, 3, v4
	v_cmp_eq_u32_e32 vcc, 0, v6
	v_cndmask_b32_e32 v6, v6, v7, vcc
	v_cndmask_b32_e32 v4, v5, v4, vcc
	v_mov_b32_e32 v5, 0x37800000
	v_lshlrev_b32_e32 v4, 21, v4
	v_and_b32_e32 v3, 0x80000000, v3
	v_lshl_add_u32 v5, v6, 23, v5
	v_or3_b32 v3, v3, v5, v4
.LBB97_134:
	s_or_b64 exec, exec, s[20:21]
.LBB97_135:
	s_andn2_saveexec_b64 s[16:17], s[16:17]
	s_cbranch_execz .LBB97_137
; %bb.136:
	flat_load_ubyte v3, v[1:2]
	s_mov_b32 s18, 0x7f800000
	s_waitcnt vmcnt(0) lgkmcnt(0)
	v_lshlrev_b32_e32 v3, 24, v3
	v_and_b32_e32 v4, 0x7f000000, v3
	v_ffbh_u32_e32 v5, v4
	v_min_u32_e32 v5, 32, v5
	v_sub_u32_e64 v5, v5, 4 clamp
	v_lshlrev_b32_e32 v7, v5, v4
	v_lshlrev_b32_e32 v5, 23, v5
	v_lshrrev_b32_e32 v7, 4, v7
	v_add_u32_e32 v6, 0x1000000, v4
	v_sub_u32_e32 v5, v7, v5
	v_ashrrev_i32_e32 v6, 8, v6
	v_add_u32_e32 v5, 0x3c000000, v5
	v_and_or_b32 v5, v6, s18, v5
	v_cmp_ne_u32_e32 vcc, 0, v4
	v_cndmask_b32_e32 v4, 0, v5, vcc
	s_brev_b32 s18, 1
	v_and_or_b32 v3, v3, s18, v4
.LBB97_137:
	s_or_b64 exec, exec, s[16:17]
.LBB97_138:
	s_andn2_saveexec_b64 s[14:15], s[14:15]
	s_cbranch_execz .LBB97_140
; %bb.139:
	flat_load_ubyte v3, v[1:2]
	s_movk_i32 s16, 0x7f00
	s_brev_b32 s17, 16
	s_waitcnt vmcnt(0) lgkmcnt(0)
	v_lshlrev_b16_e32 v4, 8, v3
	v_lshlrev_b32_e32 v3, 25, v3
	v_lshrrev_b32_e32 v5, 4, v3
	v_and_or_b32 v6, v4, s16, 0.5
	v_or_b32_e32 v5, 0x70000000, v5
	v_add_f32_e32 v6, -0.5, v6
	v_mul_f32_e32 v5, 0x7800000, v5
	v_cmp_gt_u32_e32 vcc, s17, v3
	v_bfe_i32 v4, v4, 0, 16
	v_cndmask_b32_e32 v3, v5, v6, vcc
	s_brev_b32 s16, 1
	v_and_or_b32 v3, v4, s16, v3
.LBB97_140:
	s_or_b64 exec, exec, s[14:15]
	s_or_b64 s[14:15], s[8:9], exec
                                        ; implicit-def: $vgpr5
.LBB97_141:
	s_or_saveexec_b64 s[6:7], s[6:7]
	s_mov_b64 s[18:19], 0
	s_mov_b64 s[16:17], s[12:13]
	s_xor_b64 exec, exec, s[6:7]
	s_cbranch_execz .LBB97_149
; %bb.142:
	v_mov_b32_e32 v3, 14
	v_cmp_gt_i16_sdwa s[20:21], v5, v3 src0_sel:BYTE_0 src1_sel:DWORD
	s_mov_b64 s[16:17], s[12:13]
	s_mov_b64 s[18:19], s[14:15]
                                        ; implicit-def: $vgpr3
	s_and_saveexec_b64 s[22:23], s[20:21]
	s_xor_b64 s[20:21], exec, s[22:23]
	s_cbranch_execz .LBB97_146
; %bb.143:
	v_mov_b32_e32 v3, 15
	v_cmp_eq_u16_sdwa s[24:25], v5, v3 src0_sel:BYTE_0 src1_sel:DWORD
	s_mov_b64 s[16:17], -1
	s_mov_b64 s[18:19], s[14:15]
                                        ; implicit-def: $vgpr3
	s_and_saveexec_b64 s[22:23], s[24:25]
	s_cbranch_execz .LBB97_145
; %bb.144:
	flat_load_ushort v3, v[1:2]
	s_or_b64 s[18:19], s[14:15], exec
	s_xor_b64 s[16:17], exec, -1
	s_waitcnt vmcnt(0) lgkmcnt(0)
	v_lshlrev_b32_e32 v3, 16, v3
.LBB97_145:
	s_or_b64 exec, exec, s[22:23]
	s_andn2_b64 s[22:23], s[14:15], exec
	s_and_b64 s[18:19], s[18:19], exec
	s_or_b64 s[18:19], s[22:23], s[18:19]
	s_andn2_b64 s[22:23], s[12:13], exec
	s_and_b64 s[16:17], s[16:17], exec
	s_or_b64 s[16:17], s[22:23], s[16:17]
                                        ; implicit-def: $vgpr5
.LBB97_146:
	s_or_saveexec_b64 s[20:21], s[20:21]
	s_mov_b64 s[22:23], 0
	s_xor_b64 exec, exec, s[20:21]
; %bb.147:
	v_mov_b32_e32 v4, 11
	v_cmp_ne_u16_sdwa s[24:25], v5, v4 src0_sel:BYTE_0 src1_sel:DWORD
	s_andn2_b64 s[16:17], s[16:17], exec
	s_and_b64 s[24:25], s[24:25], exec
	s_mov_b64 s[22:23], exec
	s_or_b64 s[16:17], s[16:17], s[24:25]
; %bb.148:
	s_or_b64 exec, exec, s[20:21]
	s_andn2_b64 s[14:15], s[14:15], exec
	s_and_b64 s[18:19], s[18:19], exec
	s_andn2_b64 s[20:21], s[12:13], exec
	s_and_b64 s[16:17], s[16:17], exec
	s_or_b64 s[14:15], s[14:15], s[18:19]
	s_and_b64 s[18:19], s[22:23], exec
	s_or_b64 s[16:17], s[20:21], s[16:17]
.LBB97_149:
	s_or_b64 exec, exec, s[6:7]
	s_andn2_b64 s[6:7], s[8:9], exec
	s_and_b64 s[8:9], s[14:15], exec
	s_andn2_b64 s[12:13], s[12:13], exec
	s_and_b64 s[14:15], s[16:17], exec
	s_or_b64 s[8:9], s[6:7], s[8:9]
	s_and_b64 s[6:7], s[18:19], exec
	s_or_b64 s[12:13], s[12:13], s[14:15]
	s_or_b64 exec, exec, s[10:11]
	s_and_saveexec_b64 s[10:11], s[12:13]
	s_cbranch_execz .LBB97_7
.LBB97_150:
	s_trap 2
	; divergent unreachable
	s_andn2_b64 s[6:7], s[6:7], exec
	s_or_b64 exec, exec, s[10:11]
	s_and_saveexec_b64 s[10:11], s[6:7]
	s_xor_b64 s[6:7], exec, s[10:11]
	s_cbranch_execnz .LBB97_8
	s_branch .LBB97_9
.LBB97_151:
	s_or_b64 exec, exec, s[18:19]
	s_xor_b64 s[6:7], s[20:21], -1
	s_and_saveexec_b64 s[8:9], s[6:7]
	s_xor_b64 s[6:7], exec, s[8:9]
	s_cbranch_execz .LBB97_163
; %bb.152:
	v_mul_f32_e32 v9, v3, v11
	v_add_f32_e32 v10, -1.0, v5
	v_div_scale_f32 v7, s[8:9], v10, v10, v9
	v_div_scale_f32 v8, vcc, v9, v10, v9
	s_mov_b64 s[8:9], 0
	s_mov_b32 s28, 0x25000000
	s_mov_b64 s[20:21], 0
                                        ; implicit-def: $sgpr18_sgpr19
	v_rcp_f32_e32 v12, v7
	v_fma_f32 v13, -v7, v12, 1.0
	v_fmac_f32_e32 v12, v13, v12
	v_mul_f32_e32 v13, v8, v12
	v_fma_f32 v14, -v7, v13, v8
	v_fmac_f32_e32 v13, v14, v12
	v_fma_f32 v7, -v7, v13, v8
	v_div_fmas_f32 v12, v7, v12, v13
	v_mov_b32_e32 v8, 1.0
	v_mov_b32_e32 v7, 0
	v_div_fixup_f32 v9, v12, v10, v9
	v_add_f32_e32 v6, v6, v9
	v_fmac_f32_e32 v6, -0.5, v11
	s_branch .LBB97_155
.LBB97_153:                             ;   in Loop: Header=BB97_155 Depth=1
	s_or_b64 exec, exec, s[24:25]
	s_andn2_b64 s[18:19], s[18:19], exec
	s_and_b64 s[24:25], s[26:27], exec
	s_or_b64 s[18:19], s[18:19], s[24:25]
.LBB97_154:                             ;   in Loop: Header=BB97_155 Depth=1
	s_or_b64 exec, exec, s[22:23]
	s_and_b64 s[22:23], exec, s[18:19]
	s_or_b64 s[8:9], s[22:23], s[8:9]
	s_andn2_b64 exec, exec, s[8:9]
	s_cbranch_execz .LBB97_162
.LBB97_155:                             ; =>This Inner Loop Header: Depth=1
	v_div_scale_f32 v9, s[22:23], v3, v3, v11
	v_div_scale_f32 v10, vcc, v11, v3, v11
	s_getpc_b64 s[22:23]
	s_add_u32 s22, s22, _ZZ4zetaIfLb1EET_S0_S0_E1A@rel32@lo+4
	s_addc_u32 s23, s23, _ZZ4zetaIfLb1EET_S0_S0_E1A@rel32@hi+12
	s_add_u32 s22, s22, s20
	s_addc_u32 s23, s23, s21
	s_load_dword s24, s[22:23], 0x0
	s_or_b64 s[18:19], s[18:19], exec
	v_rcp_f32_e32 v12, v9
	v_fma_f32 v13, -v9, v12, 1.0
	v_fmac_f32_e32 v12, v13, v12
	v_mul_f32_e32 v13, v10, v12
	v_fma_f32 v14, -v9, v13, v10
	v_fmac_f32_e32 v13, v14, v12
	v_fma_f32 v9, -v9, v13, v10
	v_div_fmas_f32 v10, v9, v12, v13
	v_add_f32_e32 v9, v7, v5
	v_mul_f32_e32 v9, v8, v9
	v_div_fixup_f32 v10, v10, v3, v11
	v_mul_f32_e32 v8, v10, v9
	s_waitcnt lgkmcnt(0)
	v_div_scale_f32 v11, s[22:23], s24, s24, v8
	v_div_scale_f32 v12, vcc, v8, s24, v8
	v_rcp_f32_e32 v13, v11
	v_fma_f32 v14, -v11, v13, 1.0
	v_fmac_f32_e32 v13, v14, v13
	v_mul_f32_e32 v14, v12, v13
	v_fma_f32 v15, -v11, v14, v12
	v_fmac_f32_e32 v14, v15, v13
	v_fma_f32 v11, -v11, v14, v12
	v_div_fmas_f32 v11, v11, v13, v14
	v_div_fixup_f32 v8, v11, s24, v8
	v_add_f32_e32 v6, v6, v8
	v_div_scale_f32 v11, s[22:23], v6, v6, v8
	v_div_scale_f32 v12, vcc, v8, v6, v8
	v_rcp_f32_e32 v13, v11
	v_fma_f32 v14, -v11, v13, 1.0
	v_fmac_f32_e32 v13, v14, v13
	v_mul_f32_e32 v14, v12, v13
	v_fma_f32 v15, -v11, v14, v12
	v_fmac_f32_e32 v14, v15, v13
	v_fma_f32 v11, -v11, v14, v12
	v_div_fmas_f32 v11, v11, v13, v14
	v_div_fixup_f32 v8, v11, v6, v8
	v_cmp_nlt_f32_e64 s[24:25], |v8|, s28
                                        ; implicit-def: $vgpr11
                                        ; implicit-def: $vgpr8
	s_and_saveexec_b64 s[22:23], s[24:25]
	s_cbranch_execz .LBB97_154
; %bb.156:                              ;   in Loop: Header=BB97_155 Depth=1
	v_div_scale_f32 v8, s[24:25], v3, v3, v10
	v_div_scale_f32 v11, vcc, v10, v3, v10
	v_add_f32_e32 v7, 1.0, v7
	v_rcp_f32_e32 v12, v8
	v_fma_f32 v13, -v8, v12, 1.0
	v_fmac_f32_e32 v12, v13, v12
	v_mul_f32_e32 v13, v11, v12
	v_fma_f32 v14, -v8, v13, v11
	v_fmac_f32_e32 v13, v14, v12
	v_fma_f32 v8, -v8, v13, v11
	v_div_fmas_f32 v8, v8, v12, v13
	v_div_fixup_f32 v8, v8, v3, v10
	v_div_scale_f32 v10, s[24:25], v3, v3, v8
	v_div_scale_f32 v11, vcc, v8, v3, v8
	s_getpc_b64 s[24:25]
	s_add_u32 s24, s24, _ZZ4zetaIfLb1EET_S0_S0_E1A@rel32@lo+8
	s_addc_u32 s25, s25, _ZZ4zetaIfLb1EET_S0_S0_E1A@rel32@hi+16
	s_add_u32 s24, s24, s20
	s_addc_u32 s25, s25, s21
	s_load_dword s26, s[24:25], 0x0
	v_rcp_f32_e32 v12, v10
	v_fma_f32 v13, -v10, v12, 1.0
	v_fmac_f32_e32 v12, v13, v12
	v_mul_f32_e32 v13, v11, v12
	v_fma_f32 v14, -v10, v13, v11
	v_fmac_f32_e32 v13, v14, v12
	v_fma_f32 v10, -v10, v13, v11
	v_div_fmas_f32 v11, v10, v12, v13
	v_add_f32_e32 v12, v7, v5
	v_add_f32_e32 v10, 1.0, v7
	v_mul_f32_e32 v7, v12, v9
	v_add_f32_e32 v9, v10, v5
	v_mul_f32_e32 v12, v7, v9
	v_div_fixup_f32 v9, v11, v3, v8
	v_mul_f32_e32 v7, v9, v12
	s_waitcnt lgkmcnt(0)
	v_div_scale_f32 v8, s[24:25], s26, s26, v7
	v_div_scale_f32 v11, vcc, v7, s26, v7
	v_rcp_f32_e32 v13, v8
	v_fma_f32 v14, -v8, v13, 1.0
	v_fmac_f32_e32 v13, v14, v13
	v_mul_f32_e32 v14, v11, v13
	v_fma_f32 v15, -v8, v14, v11
	v_fmac_f32_e32 v14, v15, v13
	v_fma_f32 v8, -v8, v14, v11
	v_div_fmas_f32 v8, v8, v13, v14
	v_div_fixup_f32 v7, v8, s26, v7
	v_add_f32_e32 v6, v6, v7
	v_div_scale_f32 v8, s[24:25], v6, v6, v7
	v_div_scale_f32 v11, vcc, v7, v6, v7
	s_mov_b64 s[26:27], -1
	v_rcp_f32_e32 v13, v8
	v_fma_f32 v14, -v8, v13, 1.0
	v_fmac_f32_e32 v13, v14, v13
	v_mul_f32_e32 v14, v11, v13
	v_fma_f32 v15, -v8, v14, v11
	v_fmac_f32_e32 v14, v15, v13
	v_fma_f32 v8, -v8, v14, v11
	v_div_fmas_f32 v8, v8, v13, v14
                                        ; implicit-def: $vgpr11
	v_div_fixup_f32 v7, v8, v6, v7
	v_cmp_nlt_f32_e64 s[40:41], |v7|, s28
                                        ; implicit-def: $vgpr7
                                        ; implicit-def: $vgpr8
	s_and_saveexec_b64 s[24:25], s[40:41]
	s_cbranch_execz .LBB97_153
; %bb.157:                              ;   in Loop: Header=BB97_155 Depth=1
	v_div_scale_f32 v7, s[26:27], v3, v3, v9
	v_div_scale_f32 v8, vcc, v9, v3, v9
	s_add_u32 s20, s20, 8
	s_addc_u32 s21, s21, 0
	s_cmp_eq_u32 s20, 48
	s_cselect_b64 s[26:27], -1, 0
	s_orn2_b64 s[26:27], s[26:27], exec
	v_rcp_f32_e32 v11, v7
	v_fma_f32 v13, -v7, v11, 1.0
	v_fmac_f32_e32 v11, v13, v11
	v_mul_f32_e32 v13, v8, v11
	v_fma_f32 v14, -v7, v13, v8
	v_fmac_f32_e32 v13, v14, v11
	v_fma_f32 v7, -v7, v13, v8
	v_div_fmas_f32 v11, v7, v11, v13
	v_add_f32_e32 v7, 1.0, v10
	v_add_f32_e32 v8, v7, v5
	v_add_f32_e32 v7, 1.0, v7
	v_mul_f32_e32 v8, v8, v12
	v_div_fixup_f32 v11, v11, v3, v9
	s_branch .LBB97_153
.LBB97_158:
	s_movk_i32 s18, 0x80
	v_cmp_eq_u16_e32 vcc, s18, v4
	s_mov_b64 s[18:19], -1
	s_and_saveexec_b64 s[22:23], vcc
; %bb.159:
	s_xor_b64 s[18:19], exec, -1
; %bb.160:
	s_or_b64 exec, exec, s[22:23]
	s_and_b64 s[18:19], s[18:19], exec
	s_or_saveexec_b64 s[20:21], s[20:21]
	v_mov_b32_e32 v3, 0x7f800001
	s_xor_b64 exec, exec, s[20:21]
	s_cbranch_execz .LBB97_122
.LBB97_161:
	v_cmp_ne_u16_e32 vcc, 0, v4
	s_andn2_b64 s[18:19], s[18:19], exec
	s_and_b64 s[22:23], vcc, exec
	v_mov_b32_e32 v3, 0
	s_or_b64 s[18:19], s[18:19], s[22:23]
	s_or_b64 exec, exec, s[20:21]
	s_and_saveexec_b64 s[20:21], s[18:19]
	s_cbranch_execnz .LBB97_123
	s_branch .LBB97_124
.LBB97_162:
	s_or_b64 exec, exec, s[8:9]
.LBB97_163:
	s_or_b64 exec, exec, s[6:7]
.LBB97_164:
	s_or_b64 exec, exec, s[16:17]
.LBB97_165:
	s_or_b64 exec, exec, s[14:15]
.LBB97_166:
	s_or_b64 exec, exec, s[12:13]
	s_mov_b32 s6, 0x4b000000
	v_cmp_lt_f32_e64 s[6:7], |v1|, s6
	s_waitcnt vmcnt(0) lgkmcnt(0)
	v_mov_b32_e32 v3, 0x244
	s_or_b64 vcc, s[4:5], s[6:7]
	v_cndmask_b32_e32 v2, v4, v2, vcc
	v_cmp_class_f32_e32 vcc, v1, v3
	v_cndmask_b32_e32 v1, v2, v4, vcc
	s_mov_b32 s4, 0x3fb8aa3b
	v_mul_f32_e32 v2, 0x3fb8aa3b, v1
	v_fma_f32 v3, v1, s4, -v2
	v_rndne_f32_e32 v5, v2
	v_fmac_f32_e32 v3, 0x32a5705f, v1
	v_sub_f32_e32 v2, v2, v5
	v_add_f32_e32 v2, v2, v3
	v_exp_f32_e32 v2, v2
	v_cvt_i32_f32_e32 v3, v5
	s_mov_b32 s4, 0xc2ce8ed0
	v_cmp_ngt_f32_e32 vcc, s4, v1
	s_mov_b32 s4, 0x42b17218
	v_ldexp_f32 v2, v2, v3
	v_and_b32_e32 v0, 1, v0
	v_cndmask_b32_e32 v2, 0, v2, vcc
	v_cmp_nlt_f32_e32 vcc, s4, v1
	v_cndmask_b32_e32 v1, v4, v2, vcc
	v_cmp_eq_u32_e32 vcc, 0, v0
	v_cndmask_b32_e64 v0, v1, -v1, vcc
	v_mul_f32_e32 v1, v0, v6
	s_or_b64 exec, exec, s[10:11]
	v_mov_b32_e32 v0, v1
	s_setpc_b64 s[30:31]
.LBB97_167:
	s_movk_i32 s18, 0x80
	v_cmp_eq_u16_e32 vcc, s18, v4
	s_mov_b64 s[18:19], -1
	s_and_saveexec_b64 s[22:23], vcc
; %bb.168:
	s_xor_b64 s[18:19], exec, -1
; %bb.169:
	s_or_b64 exec, exec, s[22:23]
	s_and_b64 s[18:19], s[18:19], exec
	s_or_saveexec_b64 s[20:21], s[20:21]
	v_mov_b32_e32 v3, 0x7f800001
	s_xor_b64 exec, exec, s[20:21]
	s_cbranch_execz .LBB97_132
.LBB97_170:
	v_cmp_ne_u16_e32 vcc, 0, v4
	s_andn2_b64 s[18:19], s[18:19], exec
	s_and_b64 s[22:23], vcc, exec
	v_mov_b32_e32 v3, 0
	s_or_b64 s[18:19], s[18:19], s[22:23]
	s_or_b64 exec, exec, s[20:21]
	s_and_saveexec_b64 s[20:21], s[18:19]
	s_cbranch_execnz .LBB97_133
	s_branch .LBB97_134
.Lfunc_end97:
	.size	_ZN2at6native6invokeIZZZNS0_21polygamma_kernel_cudaERNS_18TensorIteratorBaseElENKUlvE_clEvENKUlvE0_clEvEUlfE_j15function_traitsIS6_EEENT1_11result_typeERKT_PrKPcPKT0_PKN3c1010ScalarTypeEi, .Lfunc_end97-_ZN2at6native6invokeIZZZNS0_21polygamma_kernel_cudaERNS_18TensorIteratorBaseElENKUlvE_clEvENKUlvE0_clEvEUlfE_j15function_traitsIS6_EEENT1_11result_typeERKT_PrKPcPKT0_PKN3c1010ScalarTypeEi
                                        ; -- End function
	.set .L_ZN2at6native6invokeIZZZNS0_21polygamma_kernel_cudaERNS_18TensorIteratorBaseElENKUlvE_clEvENKUlvE0_clEvEUlfE_j15function_traitsIS6_EEENT1_11result_typeERKT_PrKPcPKT0_PKN3c1010ScalarTypeEi.num_vgpr, 22
	.set .L_ZN2at6native6invokeIZZZNS0_21polygamma_kernel_cudaERNS_18TensorIteratorBaseElENKUlvE_clEvENKUlvE0_clEvEUlfE_j15function_traitsIS6_EEENT1_11result_typeERKT_PrKPcPKT0_PKN3c1010ScalarTypeEi.num_agpr, 0
	.set .L_ZN2at6native6invokeIZZZNS0_21polygamma_kernel_cudaERNS_18TensorIteratorBaseElENKUlvE_clEvENKUlvE0_clEvEUlfE_j15function_traitsIS6_EEENT1_11result_typeERKT_PrKPcPKT0_PKN3c1010ScalarTypeEi.numbered_sgpr, 48
	.set .L_ZN2at6native6invokeIZZZNS0_21polygamma_kernel_cudaERNS_18TensorIteratorBaseElENKUlvE_clEvENKUlvE0_clEvEUlfE_j15function_traitsIS6_EEENT1_11result_typeERKT_PrKPcPKT0_PKN3c1010ScalarTypeEi.num_named_barrier, 0
	.set .L_ZN2at6native6invokeIZZZNS0_21polygamma_kernel_cudaERNS_18TensorIteratorBaseElENKUlvE_clEvENKUlvE0_clEvEUlfE_j15function_traitsIS6_EEENT1_11result_typeERKT_PrKPcPKT0_PKN3c1010ScalarTypeEi.private_seg_size, 0
	.set .L_ZN2at6native6invokeIZZZNS0_21polygamma_kernel_cudaERNS_18TensorIteratorBaseElENKUlvE_clEvENKUlvE0_clEvEUlfE_j15function_traitsIS6_EEENT1_11result_typeERKT_PrKPcPKT0_PKN3c1010ScalarTypeEi.uses_vcc, 1
	.set .L_ZN2at6native6invokeIZZZNS0_21polygamma_kernel_cudaERNS_18TensorIteratorBaseElENKUlvE_clEvENKUlvE0_clEvEUlfE_j15function_traitsIS6_EEENT1_11result_typeERKT_PrKPcPKT0_PKN3c1010ScalarTypeEi.uses_flat_scratch, 0
	.set .L_ZN2at6native6invokeIZZZNS0_21polygamma_kernel_cudaERNS_18TensorIteratorBaseElENKUlvE_clEvENKUlvE0_clEvEUlfE_j15function_traitsIS6_EEENT1_11result_typeERKT_PrKPcPKT0_PKN3c1010ScalarTypeEi.has_dyn_sized_stack, 0
	.set .L_ZN2at6native6invokeIZZZNS0_21polygamma_kernel_cudaERNS_18TensorIteratorBaseElENKUlvE_clEvENKUlvE0_clEvEUlfE_j15function_traitsIS6_EEENT1_11result_typeERKT_PrKPcPKT0_PKN3c1010ScalarTypeEi.has_recursion, 0
	.set .L_ZN2at6native6invokeIZZZNS0_21polygamma_kernel_cudaERNS_18TensorIteratorBaseElENKUlvE_clEvENKUlvE0_clEvEUlfE_j15function_traitsIS6_EEENT1_11result_typeERKT_PrKPcPKT0_PKN3c1010ScalarTypeEi.has_indirect_call, 0
	.section	.AMDGPU.csdata,"",@progbits
; Function info:
; codeLenInByte = 7928
; TotalNumSgprs: 52
; NumVgprs: 22
; ScratchSize: 0
; MemoryBound: 1
	.section	.text._ZN2at6native32elementwise_kernel_manual_unrollILi128ELi4EZNS0_15gpu_kernel_implIZZZNS0_21polygamma_kernel_cudaERNS_18TensorIteratorBaseElENKUlvE_clEvENKUlvE0_clEvEUlfE_EEvS4_RKT_EUlibE0_EEviT1_,"axG",@progbits,_ZN2at6native32elementwise_kernel_manual_unrollILi128ELi4EZNS0_15gpu_kernel_implIZZZNS0_21polygamma_kernel_cudaERNS_18TensorIteratorBaseElENKUlvE_clEvENKUlvE0_clEvEUlfE_EEvS4_RKT_EUlibE0_EEviT1_,comdat
	.globl	_ZN2at6native32elementwise_kernel_manual_unrollILi128ELi4EZNS0_15gpu_kernel_implIZZZNS0_21polygamma_kernel_cudaERNS_18TensorIteratorBaseElENKUlvE_clEvENKUlvE0_clEvEUlfE_EEvS4_RKT_EUlibE0_EEviT1_ ; -- Begin function _ZN2at6native32elementwise_kernel_manual_unrollILi128ELi4EZNS0_15gpu_kernel_implIZZZNS0_21polygamma_kernel_cudaERNS_18TensorIteratorBaseElENKUlvE_clEvENKUlvE0_clEvEUlfE_EEvS4_RKT_EUlibE0_EEviT1_
	.p2align	8
	.type	_ZN2at6native32elementwise_kernel_manual_unrollILi128ELi4EZNS0_15gpu_kernel_implIZZZNS0_21polygamma_kernel_cudaERNS_18TensorIteratorBaseElENKUlvE_clEvENKUlvE0_clEvEUlfE_EEvS4_RKT_EUlibE0_EEviT1_,@function
_ZN2at6native32elementwise_kernel_manual_unrollILi128ELi4EZNS0_15gpu_kernel_implIZZZNS0_21polygamma_kernel_cudaERNS_18TensorIteratorBaseElENKUlvE_clEvENKUlvE0_clEvEUlfE_EEvS4_RKT_EUlibE0_EEviT1_: ; @_ZN2at6native32elementwise_kernel_manual_unrollILi128ELi4EZNS0_15gpu_kernel_implIZZZNS0_21polygamma_kernel_cudaERNS_18TensorIteratorBaseElENKUlvE_clEvENKUlvE0_clEvEUlfE_EEvS4_RKT_EUlibE0_EEviT1_
; %bb.0:
	s_load_dword s86, s[4:5], 0x0
	s_load_dword s33, s[4:5], 0x8
	s_add_u32 s0, s0, s7
	s_addc_u32 s1, s1, 0
	s_mov_b64 s[34:35], s[4:5]
	s_add_u32 s56, s34, 8
	s_addc_u32 s57, s35, 0
	v_lshl_or_b32 v24, s6, 9, v0
	s_waitcnt lgkmcnt(0)
	s_add_i32 s88, s33, -1
	v_or_b32_e32 v1, 0x180, v24
	s_cmp_gt_u32 s88, 1
	v_cmp_le_i32_e32 vcc, s86, v1
	s_cselect_b64 s[60:61], -1, 0
	s_mov_b64 s[58:59], 0
	s_mov_b64 s[48:49], 0
	s_mov_b32 s32, 0
	s_and_saveexec_b64 s[4:5], vcc
	s_xor_b64 s[62:63], exec, s[4:5]
	s_cbranch_execz .LBB98_566
; %bb.1:
	s_load_dwordx4 s[48:51], s[56:57], 0x4
	s_load_dwordx2 s[66:67], s[56:57], 0x14
	s_load_dwordx2 s[64:65], s[56:57], 0x158
	s_load_dword s89, s[56:57], 0x160
	s_cmp_lg_u32 s33, 0
	s_load_dwordx4 s[52:55], s[56:57], 0xc4
	s_load_dwordx4 s[36:39], s[56:57], 0x148
	s_cselect_b64 s[72:73], -1, 0
	s_add_u32 s70, s56, 0xc4
	s_addc_u32 s71, s57, 0
	s_min_u32 s91, s88, 15
	s_cmp_gt_u32 s33, 1
	s_cselect_b64 s[68:69], -1, 0
	s_waitcnt lgkmcnt(0)
	s_bfe_u32 s90, s89, 0x80008
	v_cmp_gt_i32_e32 vcc, s86, v24
	s_mov_b64 s[4:5], -1
	s_mov_b64 s[80:81], 0
	s_mov_b64 s[74:75], 0
	s_and_saveexec_b64 s[76:77], vcc
	s_cbranch_execz .LBB98_138
; %bb.2:
	s_andn2_b64 vcc, exec, s[60:61]
	s_cbranch_vccnz .LBB98_7
; %bb.3:
	s_andn2_b64 vcc, exec, s[72:73]
	s_cbranch_vccnz .LBB98_8
; %bb.4:
	s_add_i32 s29, s91, 1
	s_cmp_eq_u32 s88, 2
	s_cbranch_scc1 .LBB98_9
; %bb.5:
	s_and_b32 s28, s29, 28
	v_mov_b32_e32 v4, 0
	s_mov_b32 s30, 0
	s_mov_b64 s[24:25], s[56:57]
	s_mov_b64 s[26:27], s[70:71]
	v_mov_b32_e32 v22, 0
	v_mov_b32_e32 v0, v24
.LBB98_6:                               ; =>This Inner Loop Header: Depth=1
	s_load_dwordx8 s[12:19], s[24:25], 0x4
	s_load_dwordx4 s[20:23], s[24:25], 0x24
	s_load_dwordx8 s[4:11], s[26:27], 0x0
	s_add_u32 s24, s24, 48
	s_addc_u32 s25, s25, 0
	s_waitcnt lgkmcnt(0)
	v_mul_hi_u32 v1, s13, v0
	s_add_i32 s30, s30, 4
	s_add_u32 s26, s26, 32
	s_addc_u32 s27, s27, 0
	v_add_u32_e32 v1, v0, v1
	v_lshrrev_b32_e32 v1, s14, v1
	v_mul_lo_u32 v2, v1, s12
	v_mul_hi_u32 v3, s16, v1
	s_cmp_lg_u32 s28, s30
	v_sub_u32_e32 v0, v0, v2
	v_add_u32_e32 v2, v1, v3
	v_mul_lo_u32 v3, v0, s4
	v_mul_lo_u32 v5, v0, s5
	v_lshrrev_b32_e32 v0, s17, v2
	v_mul_lo_u32 v2, v0, s15
	v_mul_hi_u32 v6, s19, v0
	v_sub_u32_e32 v1, v1, v2
	v_add_u32_e32 v2, v0, v6
	v_lshrrev_b32_e32 v2, s20, v2
	v_mul_hi_u32 v7, s22, v2
	v_mul_lo_u32 v8, v2, s18
	v_mul_lo_u32 v6, v1, s6
	;; [unrolled: 1-line block ×3, first 2 shown]
	v_sub_u32_e32 v8, v0, v8
	v_add_u32_e32 v0, v2, v7
	v_lshrrev_b32_e32 v0, s23, v0
	v_mul_lo_u32 v7, v0, s21
	v_mul_lo_u32 v9, v8, s8
	;; [unrolled: 1-line block ×3, first 2 shown]
	v_add3_u32 v3, v3, v22, v6
	v_sub_u32_e32 v2, v2, v7
	v_mul_lo_u32 v7, v2, s10
	v_mul_lo_u32 v2, v2, s11
	v_add3_u32 v1, v5, v4, v1
	v_add3_u32 v22, v9, v3, v7
	;; [unrolled: 1-line block ×3, first 2 shown]
	s_cbranch_scc1 .LBB98_6
	s_branch .LBB98_10
.LBB98_7:
                                        ; implicit-def: $vgpr22
                                        ; implicit-def: $vgpr4
	s_andn2_b64 vcc, exec, s[4:5]
	s_cbranch_vccz .LBB98_14
	s_branch .LBB98_16
.LBB98_8:
	v_mov_b32_e32 v22, 0
	v_mov_b32_e32 v4, 0
	s_branch .LBB98_13
.LBB98_9:
	s_mov_b32 s28, 0
	v_mov_b32_e32 v22, 0
	v_mov_b32_e32 v4, 0
	;; [unrolled: 1-line block ×3, first 2 shown]
.LBB98_10:
	s_and_b32 s8, s29, 3
	s_cmp_eq_u32 s8, 0
	s_cbranch_scc1 .LBB98_13
; %bb.11:
	s_lshl_b32 s4, s28, 3
	s_add_u32 s4, s56, s4
	s_addc_u32 s5, s57, 0
	s_add_u32 s4, s4, 0xc4
	s_addc_u32 s5, s5, 0
	s_mul_i32 s6, s28, 12
	s_add_u32 s6, s56, s6
	s_addc_u32 s7, s57, 0
.LBB98_12:                              ; =>This Inner Loop Header: Depth=1
	s_load_dwordx2 s[10:11], s[6:7], 0x4
	s_load_dword s9, s[6:7], 0xc
	s_load_dwordx2 s[12:13], s[4:5], 0x0
	s_add_u32 s6, s6, 12
	s_addc_u32 s7, s7, 0
	s_waitcnt lgkmcnt(0)
	v_mul_hi_u32 v1, s11, v0
	s_add_u32 s4, s4, 8
	s_addc_u32 s5, s5, 0
	s_add_i32 s8, s8, -1
	v_add_u32_e32 v1, v0, v1
	v_lshrrev_b32_e32 v1, s9, v1
	v_mul_lo_u32 v2, v1, s10
	s_cmp_lg_u32 s8, 0
	v_sub_u32_e32 v0, v0, v2
	v_mad_u64_u32 v[22:23], s[10:11], v0, s12, v[22:23]
	v_mad_u64_u32 v[4:5], s[10:11], v0, s13, v[4:5]
	v_mov_b32_e32 v0, v1
	s_cbranch_scc1 .LBB98_12
.LBB98_13:
	s_cbranch_execnz .LBB98_16
.LBB98_14:
	v_mul_hi_u32 v0, s49, v24
	s_andn2_b64 vcc, exec, s[68:69]
	v_add_u32_e32 v0, v24, v0
	v_lshrrev_b32_e32 v0, s50, v0
	v_mul_lo_u32 v1, v0, s48
	v_sub_u32_e32 v1, v24, v1
	v_mul_lo_u32 v22, v1, s52
	v_mul_lo_u32 v4, v1, s53
	s_cbranch_vccnz .LBB98_16
; %bb.15:
	v_mul_hi_u32 v1, s66, v0
	v_add_u32_e32 v1, v0, v1
	v_lshrrev_b32_e32 v1, s67, v1
	v_mul_lo_u32 v1, v1, s51
	v_sub_u32_e32 v0, v0, v1
	v_mad_u64_u32 v[22:23], s[4:5], v0, s54, v[22:23]
	v_mad_u64_u32 v[4:5], s[4:5], v0, s55, v[4:5]
.LBB98_16:
	s_getpc_b64 s[4:5]
	s_add_u32 s4, s4, _ZN2at6native6invokeIZZZNS0_21polygamma_kernel_cudaERNS_18TensorIteratorBaseElENKUlvE_clEvENKUlvE0_clEvEUlfE_j15function_traitsIS6_EEENT1_11result_typeERKT_PrKPcPKT0_PKN3c1010ScalarTypeEi@rel32@lo+4
	s_addc_u32 s5, s5, _ZN2at6native6invokeIZZZNS0_21polygamma_kernel_cudaERNS_18TensorIteratorBaseElENKUlvE_clEvENKUlvE0_clEvEUlfE_j15function_traitsIS6_EEENT1_11result_typeERKT_PrKPcPKT0_PKN3c1010ScalarTypeEi@rel32@hi+12
	v_mov_b32_e32 v0, s64
	v_mov_b32_e32 v1, s65
	;; [unrolled: 1-line block ×5, first 2 shown]
	s_swappc_b64 s[30:31], s[4:5]
	v_mov_b32_e32 v1, s37
	s_and_b32 s12, s89, 0xff
	v_add_co_u32_e32 v2, vcc, s36, v22
	s_cmp_lt_i32 s12, 11
	v_addc_co_u32_e32 v3, vcc, 0, v1, vcc
	s_cbranch_scc1 .LBB98_23
; %bb.17:
	s_and_b32 s13, 0xffff, s12
	s_cmp_gt_i32 s13, 25
	s_cbranch_scc0 .LBB98_26
; %bb.18:
	s_cmp_gt_i32 s13, 28
	s_cbranch_scc0 .LBB98_27
; %bb.19:
	;; [unrolled: 3-line block ×4, first 2 shown]
	s_mov_b64 s[8:9], 0
	s_mov_b64 s[4:5], -1
	s_cmp_eq_u32 s13, 46
	s_mov_b64 s[6:7], 0
	s_cbranch_scc0 .LBB98_30
; %bb.22:
	v_bfe_u32 v1, v0, 16, 1
	s_movk_i32 s4, 0x7fff
	v_add3_u32 v1, v0, v1, s4
	v_cmp_o_f32_e32 vcc, v0, v0
	v_mov_b32_e32 v4, 0x7fc0
	v_cndmask_b32_sdwa v1, v4, v1, vcc dst_sel:DWORD dst_unused:UNUSED_PAD src0_sel:DWORD src1_sel:WORD_1
	global_store_dword v[2:3], v1, off
	s_mov_b64 s[6:7], -1
	s_mov_b64 s[4:5], 0
	s_branch .LBB98_30
.LBB98_23:
	s_mov_b64 s[4:5], 0
	s_mov_b64 s[6:7], 0
	s_cbranch_execnz .LBB98_98
.LBB98_24:
	s_andn2_b64 vcc, exec, s[6:7]
	s_cbranch_vccnz .LBB98_136
.LBB98_25:
	v_add_u32_e32 v24, 0x80, v24
	s_mov_b64 s[6:7], -1
	s_branch .LBB98_137
.LBB98_26:
	s_mov_b64 s[4:5], 0
	s_mov_b64 s[6:7], 0
	s_cbranch_execnz .LBB98_57
	s_branch .LBB98_97
.LBB98_27:
	s_mov_b64 s[8:9], -1
	s_mov_b64 s[4:5], 0
	s_mov_b64 s[6:7], 0
	s_branch .LBB98_40
.LBB98_28:
	s_mov_b64 s[8:9], -1
	s_mov_b64 s[4:5], 0
	s_mov_b64 s[6:7], 0
	s_branch .LBB98_36
.LBB98_29:
	s_mov_b64 s[8:9], -1
	s_mov_b64 s[4:5], 0
	s_mov_b64 s[6:7], 0
.LBB98_30:
	s_and_b64 vcc, exec, s[8:9]
	s_cbranch_vccz .LBB98_35
; %bb.31:
	s_cmp_eq_u32 s13, 44
	s_mov_b64 s[4:5], -1
	s_cbranch_scc0 .LBB98_35
; %bb.32:
	v_bfe_u32 v1, v0, 23, 8
	s_movk_i32 s4, 0xff
	v_cmp_ne_u32_e32 vcc, s4, v1
	v_mov_b32_e32 v4, 0xff
	s_and_saveexec_b64 s[6:7], vcc
; %bb.33:
	s_mov_b32 s4, 0x3fffff
	v_and_b32_e32 v5, 0x400000, v0
	v_and_or_b32 v1, v0, s4, v1
	v_cmp_ne_u32_e32 vcc, 0, v5
	v_cmp_ne_u32_e64 s[4:5], 0, v1
	s_and_b64 s[4:5], vcc, s[4:5]
	v_lshrrev_b32_e32 v4, 23, v0
	v_cndmask_b32_e64 v1, 0, 1, s[4:5]
	v_add_u32_e32 v4, v4, v1
; %bb.34:
	s_or_b64 exec, exec, s[6:7]
	s_mov_b64 s[6:7], -1
	s_mov_b64 s[4:5], 0
	global_store_byte v[2:3], v4, off
.LBB98_35:
	s_mov_b64 s[8:9], 0
.LBB98_36:
	s_and_b64 vcc, exec, s[8:9]
	s_cbranch_vccz .LBB98_39
; %bb.37:
	s_cmp_eq_u32 s13, 29
	s_mov_b64 s[4:5], -1
	s_cbranch_scc0 .LBB98_39
; %bb.38:
	v_trunc_f32_e32 v1, v0
	v_mul_f32_e32 v4, 0x2f800000, v1
	v_floor_f32_e32 v4, v4
	v_fmac_f32_e32 v1, 0xcf800000, v4
	v_cvt_u32_f32_e32 v5, v4
	v_cvt_u32_f32_e32 v4, v1
	s_mov_b64 s[6:7], -1
	s_mov_b64 s[4:5], 0
	s_mov_b64 s[8:9], 0
	global_store_dwordx2 v[2:3], v[4:5], off
	s_branch .LBB98_40
.LBB98_39:
	s_mov_b64 s[8:9], 0
.LBB98_40:
	s_and_b64 vcc, exec, s[8:9]
	s_cbranch_vccz .LBB98_56
; %bb.41:
	s_cmp_lt_i32 s13, 27
	s_mov_b64 s[6:7], -1
	s_cbranch_scc1 .LBB98_47
; %bb.42:
	s_cmp_gt_i32 s13, 27
	s_cbranch_scc0 .LBB98_44
; %bb.43:
	v_cvt_u32_f32_e32 v1, v0
	s_mov_b64 s[6:7], 0
	global_store_dword v[2:3], v1, off
.LBB98_44:
	s_andn2_b64 vcc, exec, s[6:7]
	s_cbranch_vccnz .LBB98_46
; %bb.45:
	v_cvt_u32_f32_e32 v1, v0
	global_store_short v[2:3], v1, off
.LBB98_46:
	s_mov_b64 s[6:7], 0
.LBB98_47:
	s_andn2_b64 vcc, exec, s[6:7]
	s_cbranch_vccnz .LBB98_55
; %bb.48:
	v_and_b32_e32 v1, 0x7fffffff, v0
	s_mov_b32 s6, 0x43800000
	v_cmp_gt_u32_e32 vcc, s6, v1
	v_mov_b32_e32 v4, 0x80
	s_and_saveexec_b64 s[6:7], vcc
	s_cbranch_execz .LBB98_54
; %bb.49:
	s_mov_b32 s8, 0x3bffffff
	v_cmp_lt_u32_e32 vcc, s8, v1
	s_mov_b64 s[8:9], 0
                                        ; implicit-def: $vgpr1
	s_and_saveexec_b64 s[10:11], vcc
	s_xor_b64 s[10:11], exec, s[10:11]
	s_cbranch_execz .LBB98_169
; %bb.50:
	v_bfe_u32 v1, v0, 20, 1
	s_mov_b32 s14, 0x487ffff
	v_add3_u32 v1, v0, v1, s14
	s_mov_b64 s[8:9], exec
	v_lshrrev_b32_e32 v1, 20, v1
	s_andn2_saveexec_b64 s[10:11], s[10:11]
	s_cbranch_execnz .LBB98_170
.LBB98_51:
	s_or_b64 exec, exec, s[10:11]
	v_mov_b32_e32 v4, 0
	s_and_saveexec_b64 s[10:11], s[8:9]
.LBB98_52:
	v_lshrrev_b32_e32 v4, 24, v0
	s_movk_i32 s8, 0x80
	v_and_or_b32 v4, v4, s8, v1
.LBB98_53:
	s_or_b64 exec, exec, s[10:11]
.LBB98_54:
	s_or_b64 exec, exec, s[6:7]
	global_store_byte v[2:3], v4, off
.LBB98_55:
	s_mov_b64 s[6:7], -1
.LBB98_56:
	s_branch .LBB98_97
.LBB98_57:
	s_cmp_gt_i32 s13, 22
	s_mov_b64 s[8:9], -1
	s_cbranch_scc0 .LBB98_89
; %bb.58:
	s_cmp_lt_i32 s13, 24
	s_mov_b64 s[6:7], -1
	s_cbranch_scc1 .LBB98_78
; %bb.59:
	s_cmp_gt_i32 s13, 24
	s_cbranch_scc0 .LBB98_67
; %bb.60:
	v_and_b32_e32 v1, 0x7fffffff, v0
	s_mov_b32 s6, 0x47800000
	v_cmp_gt_u32_e32 vcc, s6, v1
	v_mov_b32_e32 v4, 0x80
	s_and_saveexec_b64 s[6:7], vcc
	s_cbranch_execz .LBB98_66
; %bb.61:
	s_mov_b32 s8, 0x37ffffff
	v_cmp_lt_u32_e32 vcc, s8, v1
	s_mov_b64 s[8:9], 0
                                        ; implicit-def: $vgpr1
	s_and_saveexec_b64 s[10:11], vcc
	s_xor_b64 s[10:11], exec, s[10:11]
	s_cbranch_execz .LBB98_172
; %bb.62:
	v_bfe_u32 v1, v0, 21, 1
	s_mov_b32 s14, 0x88fffff
	v_add3_u32 v1, v0, v1, s14
	s_mov_b64 s[8:9], exec
	v_lshrrev_b32_e32 v1, 21, v1
	s_andn2_saveexec_b64 s[10:11], s[10:11]
	s_cbranch_execnz .LBB98_173
.LBB98_63:
	s_or_b64 exec, exec, s[10:11]
	v_mov_b32_e32 v4, 0
	s_and_saveexec_b64 s[10:11], s[8:9]
.LBB98_64:
	v_lshrrev_b32_e32 v4, 24, v0
	s_movk_i32 s8, 0x80
	v_and_or_b32 v4, v4, s8, v1
.LBB98_65:
	s_or_b64 exec, exec, s[10:11]
.LBB98_66:
	s_or_b64 exec, exec, s[6:7]
	s_mov_b64 s[6:7], 0
	global_store_byte v[2:3], v4, off
.LBB98_67:
	s_and_b64 vcc, exec, s[6:7]
	s_cbranch_vccz .LBB98_77
; %bb.68:
	v_and_b32_e32 v4, 0x7fffffff, v0
	s_mov_b32 s6, 0x43f00000
	v_cmp_gt_u32_e32 vcc, s6, v4
                                        ; implicit-def: $vgpr1
	s_and_saveexec_b64 s[6:7], vcc
	s_xor_b64 s[6:7], exec, s[6:7]
	s_cbranch_execz .LBB98_74
; %bb.69:
	s_mov_b32 s8, 0x3c7fffff
	v_cmp_lt_u32_e32 vcc, s8, v4
                                        ; implicit-def: $vgpr1
	s_and_saveexec_b64 s[8:9], vcc
	s_xor_b64 s[8:9], exec, s[8:9]
; %bb.70:
	v_bfe_u32 v1, v0, 20, 1
	s_mov_b32 s10, 0x407ffff
	v_add3_u32 v1, v0, v1, s10
	v_lshrrev_b32_e32 v4, 20, v1
	v_and_b32_e32 v1, 0xff00000, v1
	s_mov_b32 s10, 0x7f00000
	v_mov_b32_e32 v5, 0x7e
	v_cmp_ne_u32_e32 vcc, s10, v1
	v_cndmask_b32_e32 v1, v5, v4, vcc
; %bb.71:
	s_andn2_saveexec_b64 s[8:9], s[8:9]
; %bb.72:
	s_mov_b32 s10, 0x46800000
	v_add_f32_e64 v1, |v0|, s10
; %bb.73:
	s_or_b64 exec, exec, s[8:9]
                                        ; implicit-def: $vgpr4
.LBB98_74:
	s_andn2_saveexec_b64 s[6:7], s[6:7]
; %bb.75:
	s_mov_b32 s8, 0x7f800000
	v_mov_b32_e32 v1, 0x7e
	v_mov_b32_e32 v5, 0x7f
	v_cmp_lt_u32_e32 vcc, s8, v4
	v_cndmask_b32_e32 v1, v1, v5, vcc
; %bb.76:
	s_or_b64 exec, exec, s[6:7]
	v_lshrrev_b32_e32 v4, 24, v0
	s_movk_i32 s6, 0x80
	v_and_or_b32 v1, v4, s6, v1
	global_store_byte v[2:3], v1, off
.LBB98_77:
	s_mov_b64 s[6:7], 0
.LBB98_78:
	s_andn2_b64 vcc, exec, s[6:7]
	s_cbranch_vccnz .LBB98_88
; %bb.79:
	v_and_b32_e32 v4, 0x7fffffff, v0
	s_mov_b32 s6, 0x47800000
	v_cmp_gt_u32_e32 vcc, s6, v4
                                        ; implicit-def: $vgpr1
	s_and_saveexec_b64 s[6:7], vcc
	s_xor_b64 s[6:7], exec, s[6:7]
	s_cbranch_execz .LBB98_85
; %bb.80:
	s_mov_b32 s8, 0x387fffff
	v_cmp_lt_u32_e32 vcc, s8, v4
                                        ; implicit-def: $vgpr1
	s_and_saveexec_b64 s[8:9], vcc
	s_xor_b64 s[8:9], exec, s[8:9]
; %bb.81:
	v_bfe_u32 v1, v0, 21, 1
	s_mov_b32 s10, 0x80fffff
	v_add3_u32 v1, v0, v1, s10
	v_lshrrev_b32_e32 v1, 21, v1
; %bb.82:
	s_andn2_saveexec_b64 s[8:9], s[8:9]
; %bb.83:
	s_mov_b32 s10, 0x43000000
	v_add_f32_e64 v1, |v0|, s10
; %bb.84:
	s_or_b64 exec, exec, s[8:9]
                                        ; implicit-def: $vgpr4
.LBB98_85:
	s_andn2_saveexec_b64 s[6:7], s[6:7]
; %bb.86:
	s_mov_b32 s8, 0x7f800000
	v_mov_b32_e32 v1, 0x7c
	v_mov_b32_e32 v5, 0x7f
	v_cmp_lt_u32_e32 vcc, s8, v4
	v_cndmask_b32_e32 v1, v1, v5, vcc
; %bb.87:
	s_or_b64 exec, exec, s[6:7]
	v_lshrrev_b32_e32 v4, 24, v0
	s_movk_i32 s6, 0x80
	v_and_or_b32 v1, v4, s6, v1
	global_store_byte v[2:3], v1, off
.LBB98_88:
	s_mov_b64 s[8:9], 0
	s_mov_b64 s[6:7], -1
.LBB98_89:
	s_andn2_b64 vcc, exec, s[8:9]
	s_cbranch_vccnz .LBB98_97
; %bb.90:
	s_cmp_gt_i32 s13, 14
	s_mov_b64 s[8:9], -1
	s_cbranch_scc0 .LBB98_94
; %bb.91:
	s_cmp_eq_u32 s13, 15
	s_mov_b64 s[4:5], -1
	s_cbranch_scc0 .LBB98_93
; %bb.92:
	v_bfe_u32 v1, v0, 16, 1
	s_movk_i32 s4, 0x7fff
	v_add3_u32 v1, v0, v1, s4
	v_cmp_o_f32_e32 vcc, v0, v0
	v_mov_b32_e32 v4, 0x7fc0
	v_cndmask_b32_sdwa v1, v4, v1, vcc dst_sel:DWORD dst_unused:UNUSED_PAD src0_sel:DWORD src1_sel:WORD_1
	global_store_short v[2:3], v1, off
	s_mov_b64 s[6:7], -1
	s_mov_b64 s[4:5], 0
.LBB98_93:
	s_mov_b64 s[8:9], 0
.LBB98_94:
	s_and_b64 vcc, exec, s[8:9]
	s_cbranch_vccz .LBB98_97
; %bb.95:
	s_cmp_eq_u32 s13, 11
	s_mov_b64 s[4:5], -1
	s_cbranch_scc0 .LBB98_97
; %bb.96:
	v_cmp_neq_f32_e32 vcc, 0, v0
	v_cndmask_b32_e64 v1, 0, 1, vcc
	s_mov_b64 s[6:7], -1
	s_mov_b64 s[4:5], 0
	global_store_byte v[2:3], v1, off
.LBB98_97:
	s_branch .LBB98_24
.LBB98_98:
	s_and_b32 s8, 0xffff, s12
	s_cmp_lt_i32 s8, 5
	s_mov_b64 s[6:7], -1
	s_cbranch_scc1 .LBB98_119
; %bb.99:
	s_cmp_lt_i32 s8, 8
	s_cbranch_scc1 .LBB98_109
; %bb.100:
	s_cmp_lt_i32 s8, 9
	s_cbranch_scc1 .LBB98_106
; %bb.101:
	s_cmp_gt_i32 s8, 9
	s_cbranch_scc0 .LBB98_103
; %bb.102:
	v_cvt_f64_f32_e32 v[4:5], v0
	v_mov_b32_e32 v6, 0
	v_mov_b32_e32 v7, v6
	s_mov_b64 s[6:7], 0
	global_store_dwordx4 v[2:3], v[4:7], off
.LBB98_103:
	s_andn2_b64 vcc, exec, s[6:7]
	s_cbranch_vccnz .LBB98_105
; %bb.104:
	v_mov_b32_e32 v1, 0
	global_store_dwordx2 v[2:3], v[0:1], off
.LBB98_105:
	s_mov_b64 s[6:7], 0
.LBB98_106:
	s_andn2_b64 vcc, exec, s[6:7]
	s_cbranch_vccnz .LBB98_108
; %bb.107:
	v_cvt_f16_f32_e32 v1, v0
	global_store_dword v[2:3], v1, off
.LBB98_108:
	s_mov_b64 s[6:7], 0
.LBB98_109:
	s_andn2_b64 vcc, exec, s[6:7]
	s_cbranch_vccnz .LBB98_118
; %bb.110:
	s_cmp_lt_i32 s8, 6
	s_mov_b64 s[6:7], -1
	s_cbranch_scc1 .LBB98_116
; %bb.111:
	s_cmp_gt_i32 s8, 6
	s_cbranch_scc0 .LBB98_113
; %bb.112:
	v_cvt_f64_f32_e32 v[4:5], v0
	s_mov_b64 s[6:7], 0
	global_store_dwordx2 v[2:3], v[4:5], off
.LBB98_113:
	s_andn2_b64 vcc, exec, s[6:7]
	s_cbranch_vccnz .LBB98_115
; %bb.114:
	global_store_dword v[2:3], v0, off
.LBB98_115:
	s_mov_b64 s[6:7], 0
.LBB98_116:
	s_andn2_b64 vcc, exec, s[6:7]
	s_cbranch_vccnz .LBB98_118
; %bb.117:
	v_cvt_f16_f32_e32 v1, v0
	global_store_short v[2:3], v1, off
.LBB98_118:
	s_mov_b64 s[6:7], 0
.LBB98_119:
	s_andn2_b64 vcc, exec, s[6:7]
	s_cbranch_vccnz .LBB98_135
; %bb.120:
	s_cmp_lt_i32 s8, 2
	s_mov_b64 s[6:7], -1
	s_cbranch_scc1 .LBB98_130
; %bb.121:
	s_cmp_lt_i32 s8, 3
	s_cbranch_scc1 .LBB98_127
; %bb.122:
	s_cmp_gt_i32 s8, 3
	s_cbranch_scc0 .LBB98_124
; %bb.123:
	v_trunc_f32_e32 v1, v0
	s_mov_b32 s6, 0x2f800000
	v_mul_f32_e64 v4, |v1|, s6
	v_floor_f32_e32 v4, v4
	s_mov_b32 s6, 0xcf800000
	v_cvt_u32_f32_e32 v5, v4
	v_fma_f32 v4, v4, s6, |v1|
	v_cvt_u32_f32_e32 v4, v4
	v_ashrrev_i32_e32 v1, 31, v1
	v_xor_b32_e32 v5, v5, v1
	s_mov_b64 s[6:7], 0
	v_xor_b32_e32 v4, v4, v1
	v_sub_co_u32_e32 v4, vcc, v4, v1
	v_subb_co_u32_e32 v5, vcc, v5, v1, vcc
	global_store_dwordx2 v[2:3], v[4:5], off
.LBB98_124:
	s_andn2_b64 vcc, exec, s[6:7]
	s_cbranch_vccnz .LBB98_126
; %bb.125:
	v_cvt_i32_f32_e32 v1, v0
	global_store_dword v[2:3], v1, off
.LBB98_126:
	s_mov_b64 s[6:7], 0
.LBB98_127:
	s_andn2_b64 vcc, exec, s[6:7]
	s_cbranch_vccnz .LBB98_129
; %bb.128:
	v_cvt_i32_f32_e32 v1, v0
	global_store_short v[2:3], v1, off
.LBB98_129:
	s_mov_b64 s[6:7], 0
.LBB98_130:
	s_andn2_b64 vcc, exec, s[6:7]
	s_cbranch_vccnz .LBB98_135
; %bb.131:
	s_cmp_gt_i32 s8, 0
	s_mov_b64 s[6:7], -1
	s_cbranch_scc0 .LBB98_133
; %bb.132:
	v_cvt_i32_f32_e32 v1, v0
	s_mov_b64 s[6:7], 0
	global_store_byte v[2:3], v1, off
.LBB98_133:
	s_andn2_b64 vcc, exec, s[6:7]
	s_cbranch_vccnz .LBB98_135
; %bb.134:
	v_trunc_f32_e32 v0, v0
	s_mov_b32 s6, 0x2f800000
	v_mul_f32_e64 v1, |v0|, s6
	v_floor_f32_e32 v1, v1
	s_mov_b32 s6, 0xcf800000
	v_fma_f32 v1, v1, s6, |v0|
	v_cvt_u32_f32_e32 v1, v1
	v_ashrrev_i32_e32 v0, 31, v0
	v_xor_b32_e32 v1, v1, v0
	v_sub_u32_e32 v0, v1, v0
	global_store_byte v[2:3], v0, off
.LBB98_135:
	s_branch .LBB98_25
.LBB98_136:
	s_mov_b64 s[6:7], 0
                                        ; implicit-def: $vgpr24
.LBB98_137:
	s_and_b64 s[74:75], s[4:5], exec
	s_orn2_b64 s[4:5], s[6:7], exec
.LBB98_138:
	s_or_b64 exec, exec, s[76:77]
	s_mov_b64 s[6:7], 0
                                        ; implicit-def: $sgpr14
                                        ; implicit-def: $vgpr2_vgpr3
                                        ; implicit-def: $vgpr0
	s_and_saveexec_b64 s[76:77], s[4:5]
	s_cbranch_execz .LBB98_145
; %bb.139:
	v_cmp_gt_i32_e32 vcc, s86, v24
	s_mov_b64 s[8:9], -1
	s_mov_b64 s[78:79], s[74:75]
	s_and_saveexec_b64 s[80:81], vcc
	s_cbranch_execz .LBB98_284
; %bb.140:
	s_andn2_b64 vcc, exec, s[60:61]
	s_cbranch_vccnz .LBB98_148
; %bb.141:
	s_andn2_b64 vcc, exec, s[72:73]
	s_cbranch_vccnz .LBB98_149
; %bb.142:
	s_add_i32 s29, s91, 1
	s_cmp_eq_u32 s88, 2
	s_cbranch_scc1 .LBB98_150
; %bb.143:
	s_and_b32 s28, s29, 28
	v_mov_b32_e32 v4, 0
	s_mov_b32 s30, 0
	s_mov_b64 s[24:25], s[56:57]
	s_mov_b64 s[26:27], s[70:71]
	v_mov_b32_e32 v22, 0
	v_mov_b32_e32 v0, v24
.LBB98_144:                             ; =>This Inner Loop Header: Depth=1
	s_load_dwordx8 s[12:19], s[24:25], 0x4
	s_load_dwordx4 s[20:23], s[24:25], 0x24
	s_load_dwordx8 s[4:11], s[26:27], 0x0
	s_add_u32 s24, s24, 48
	s_addc_u32 s25, s25, 0
	s_waitcnt lgkmcnt(0)
	v_mul_hi_u32 v1, s13, v0
	s_add_i32 s30, s30, 4
	s_add_u32 s26, s26, 32
	s_addc_u32 s27, s27, 0
	v_add_u32_e32 v1, v0, v1
	v_lshrrev_b32_e32 v1, s14, v1
	v_mul_lo_u32 v2, v1, s12
	v_mul_hi_u32 v3, s16, v1
	s_cmp_eq_u32 s28, s30
	v_sub_u32_e32 v0, v0, v2
	v_add_u32_e32 v2, v1, v3
	v_mul_lo_u32 v3, v0, s4
	v_mul_lo_u32 v5, v0, s5
	v_lshrrev_b32_e32 v0, s17, v2
	v_mul_lo_u32 v2, v0, s15
	v_mul_hi_u32 v6, s19, v0
	v_sub_u32_e32 v1, v1, v2
	v_add_u32_e32 v2, v0, v6
	v_lshrrev_b32_e32 v2, s20, v2
	v_mul_hi_u32 v7, s22, v2
	v_mul_lo_u32 v8, v2, s18
	v_mul_lo_u32 v6, v1, s6
	;; [unrolled: 1-line block ×3, first 2 shown]
	v_sub_u32_e32 v8, v0, v8
	v_add_u32_e32 v0, v2, v7
	v_lshrrev_b32_e32 v0, s23, v0
	v_mul_lo_u32 v7, v0, s21
	v_mul_lo_u32 v9, v8, s8
	;; [unrolled: 1-line block ×3, first 2 shown]
	v_add3_u32 v3, v3, v22, v6
	v_sub_u32_e32 v2, v2, v7
	v_mul_lo_u32 v7, v2, s10
	v_mul_lo_u32 v2, v2, s11
	v_add3_u32 v1, v5, v4, v1
	v_add3_u32 v22, v9, v3, v7
	;; [unrolled: 1-line block ×3, first 2 shown]
	s_cbranch_scc0 .LBB98_144
	s_branch .LBB98_151
.LBB98_145:
	s_or_b64 exec, exec, s[76:77]
	s_mov_b64 s[4:5], 0
	s_and_saveexec_b64 s[8:9], s[74:75]
	s_cbranch_execnz .LBB98_526
.LBB98_146:
	s_or_b64 exec, exec, s[8:9]
	s_and_saveexec_b64 s[8:9], s[80:81]
	s_xor_b64 s[8:9], exec, s[8:9]
	s_cbranch_execz .LBB98_527
.LBB98_147:
	v_cmp_neq_f32_e32 vcc, 0, v0
	v_cndmask_b32_e64 v1, 0, 1, vcc
	global_store_byte v[2:3], v1, off
	s_or_b64 exec, exec, s[8:9]
	s_and_saveexec_b64 s[8:9], s[6:7]
	s_xor_b64 s[6:7], exec, s[8:9]
	s_cbranch_execz .LBB98_565
	s_branch .LBB98_528
.LBB98_148:
                                        ; implicit-def: $vgpr22
                                        ; implicit-def: $vgpr4
	s_branch .LBB98_155
.LBB98_149:
	v_mov_b32_e32 v22, 0
	v_mov_b32_e32 v4, 0
	s_branch .LBB98_154
.LBB98_150:
	s_mov_b32 s28, 0
	v_mov_b32_e32 v22, 0
	v_mov_b32_e32 v4, 0
	;; [unrolled: 1-line block ×3, first 2 shown]
.LBB98_151:
	s_and_b32 s8, s29, 3
	s_cmp_eq_u32 s8, 0
	s_cbranch_scc1 .LBB98_154
; %bb.152:
	s_lshl_b32 s4, s28, 3
	s_add_u32 s4, s56, s4
	s_addc_u32 s5, s57, 0
	s_add_u32 s4, s4, 0xc4
	s_addc_u32 s5, s5, 0
	s_mul_i32 s6, s28, 12
	s_add_u32 s6, s56, s6
	s_addc_u32 s7, s57, 0
.LBB98_153:                             ; =>This Inner Loop Header: Depth=1
	s_load_dwordx2 s[10:11], s[6:7], 0x4
	s_load_dword s9, s[6:7], 0xc
	s_load_dwordx2 s[12:13], s[4:5], 0x0
	s_add_u32 s6, s6, 12
	s_addc_u32 s7, s7, 0
	s_waitcnt lgkmcnt(0)
	v_mul_hi_u32 v1, s11, v0
	s_add_u32 s4, s4, 8
	s_addc_u32 s5, s5, 0
	s_add_i32 s8, s8, -1
	v_add_u32_e32 v1, v0, v1
	v_lshrrev_b32_e32 v1, s9, v1
	v_mul_lo_u32 v2, v1, s10
	s_cmp_lg_u32 s8, 0
	v_sub_u32_e32 v0, v0, v2
	v_mad_u64_u32 v[22:23], s[10:11], v0, s12, v[22:23]
	v_mad_u64_u32 v[4:5], s[10:11], v0, s13, v[4:5]
	v_mov_b32_e32 v0, v1
	s_cbranch_scc1 .LBB98_153
.LBB98_154:
	s_cbranch_execnz .LBB98_157
.LBB98_155:
	v_mul_hi_u32 v0, s49, v24
	s_andn2_b64 vcc, exec, s[68:69]
	v_add_u32_e32 v0, v24, v0
	v_lshrrev_b32_e32 v0, s50, v0
	v_mul_lo_u32 v1, v0, s48
	v_sub_u32_e32 v1, v24, v1
	v_mul_lo_u32 v22, v1, s52
	v_mul_lo_u32 v4, v1, s53
	s_cbranch_vccnz .LBB98_157
; %bb.156:
	v_mul_hi_u32 v1, s66, v0
	v_add_u32_e32 v1, v0, v1
	v_lshrrev_b32_e32 v1, s67, v1
	v_mul_lo_u32 v1, v1, s51
	v_sub_u32_e32 v0, v0, v1
	v_mad_u64_u32 v[22:23], s[4:5], v0, s54, v[22:23]
	v_mad_u64_u32 v[4:5], s[4:5], v0, s55, v[4:5]
.LBB98_157:
	s_getpc_b64 s[4:5]
	s_add_u32 s4, s4, _ZN2at6native6invokeIZZZNS0_21polygamma_kernel_cudaERNS_18TensorIteratorBaseElENKUlvE_clEvENKUlvE0_clEvEUlfE_j15function_traitsIS6_EEENT1_11result_typeERKT_PrKPcPKT0_PKN3c1010ScalarTypeEi@rel32@lo+4
	s_addc_u32 s5, s5, _ZN2at6native6invokeIZZZNS0_21polygamma_kernel_cudaERNS_18TensorIteratorBaseElENKUlvE_clEvENKUlvE0_clEvEUlfE_j15function_traitsIS6_EEENT1_11result_typeERKT_PrKPcPKT0_PKN3c1010ScalarTypeEi@rel32@hi+12
	v_mov_b32_e32 v0, s64
	v_mov_b32_e32 v1, s65
	;; [unrolled: 1-line block ×5, first 2 shown]
	s_swappc_b64 s[30:31], s[4:5]
	v_mov_b32_e32 v1, s37
	s_and_b32 s12, s89, 0xff
	v_add_co_u32_e32 v2, vcc, s36, v22
	s_cmp_lt_i32 s12, 11
	v_addc_co_u32_e32 v3, vcc, 0, v1, vcc
	s_cbranch_scc1 .LBB98_164
; %bb.158:
	s_and_b32 s13, 0xffff, s12
	s_cmp_gt_i32 s13, 25
	s_cbranch_scc0 .LBB98_167
; %bb.159:
	s_cmp_gt_i32 s13, 28
	s_cbranch_scc0 .LBB98_168
; %bb.160:
	;; [unrolled: 3-line block ×4, first 2 shown]
	s_mov_b64 s[8:9], 0
	s_mov_b64 s[4:5], -1
	s_cmp_eq_u32 s13, 46
	s_mov_b64 s[6:7], 0
	s_cbranch_scc0 .LBB98_175
; %bb.163:
	v_bfe_u32 v1, v0, 16, 1
	s_movk_i32 s4, 0x7fff
	v_add3_u32 v1, v0, v1, s4
	v_cmp_o_f32_e32 vcc, v0, v0
	v_mov_b32_e32 v4, 0x7fc0
	v_cndmask_b32_sdwa v1, v4, v1, vcc dst_sel:DWORD dst_unused:UNUSED_PAD src0_sel:DWORD src1_sel:WORD_1
	global_store_dword v[2:3], v1, off
	s_mov_b64 s[6:7], -1
	s_mov_b64 s[4:5], 0
	s_branch .LBB98_175
.LBB98_164:
	s_mov_b64 s[6:7], 0
	s_mov_b64 s[4:5], s[74:75]
	s_cbranch_execnz .LBB98_244
.LBB98_165:
	s_andn2_b64 vcc, exec, s[6:7]
	s_cbranch_vccnz .LBB98_282
.LBB98_166:
	v_add_u32_e32 v24, 0x80, v24
	s_mov_b64 s[6:7], -1
	s_branch .LBB98_283
.LBB98_167:
	s_mov_b64 s[8:9], -1
	s_mov_b64 s[6:7], 0
	s_mov_b64 s[4:5], s[74:75]
	s_branch .LBB98_202
.LBB98_168:
	s_mov_b64 s[8:9], -1
	s_mov_b64 s[6:7], 0
	s_mov_b64 s[4:5], s[74:75]
	s_branch .LBB98_185
.LBB98_169:
	s_andn2_saveexec_b64 s[10:11], s[10:11]
	s_cbranch_execz .LBB98_51
.LBB98_170:
	s_mov_b32 s14, 0x46000000
	v_add_f32_e64 v1, |v0|, s14
	v_and_b32_e32 v1, 0xff, v1
	v_cmp_ne_u32_e32 vcc, 0, v1
	s_andn2_b64 s[8:9], s[8:9], exec
	s_and_b64 s[14:15], vcc, exec
	s_or_b64 s[8:9], s[8:9], s[14:15]
	s_or_b64 exec, exec, s[10:11]
	v_mov_b32_e32 v4, 0
	s_and_saveexec_b64 s[10:11], s[8:9]
	s_cbranch_execnz .LBB98_52
	s_branch .LBB98_53
.LBB98_171:
	s_mov_b64 s[8:9], -1
	s_mov_b64 s[6:7], 0
	s_mov_b64 s[4:5], s[74:75]
	s_branch .LBB98_181
.LBB98_172:
	s_andn2_saveexec_b64 s[10:11], s[10:11]
	s_cbranch_execz .LBB98_63
.LBB98_173:
	s_mov_b32 s14, 0x42800000
	v_add_f32_e64 v1, |v0|, s14
	v_and_b32_e32 v1, 0xff, v1
	v_cmp_ne_u32_e32 vcc, 0, v1
	s_andn2_b64 s[8:9], s[8:9], exec
	s_and_b64 s[14:15], vcc, exec
	s_or_b64 s[8:9], s[8:9], s[14:15]
	s_or_b64 exec, exec, s[10:11]
	v_mov_b32_e32 v4, 0
	s_and_saveexec_b64 s[10:11], s[8:9]
	s_cbranch_execnz .LBB98_64
	s_branch .LBB98_65
.LBB98_174:
	s_mov_b64 s[8:9], -1
	s_mov_b64 s[6:7], 0
	s_mov_b64 s[4:5], s[74:75]
.LBB98_175:
	s_and_b64 vcc, exec, s[8:9]
	s_cbranch_vccz .LBB98_180
; %bb.176:
	s_cmp_eq_u32 s13, 44
	s_mov_b64 s[4:5], -1
	s_cbranch_scc0 .LBB98_180
; %bb.177:
	v_bfe_u32 v1, v0, 23, 8
	s_movk_i32 s4, 0xff
	v_cmp_ne_u32_e32 vcc, s4, v1
	v_mov_b32_e32 v4, 0xff
	s_and_saveexec_b64 s[6:7], vcc
; %bb.178:
	s_mov_b32 s4, 0x3fffff
	v_and_b32_e32 v5, 0x400000, v0
	v_and_or_b32 v1, v0, s4, v1
	v_cmp_ne_u32_e32 vcc, 0, v5
	v_cmp_ne_u32_e64 s[4:5], 0, v1
	s_and_b64 s[4:5], vcc, s[4:5]
	v_lshrrev_b32_e32 v4, 23, v0
	v_cndmask_b32_e64 v1, 0, 1, s[4:5]
	v_add_u32_e32 v4, v4, v1
; %bb.179:
	s_or_b64 exec, exec, s[6:7]
	s_mov_b64 s[6:7], -1
	s_mov_b64 s[4:5], 0
	global_store_byte v[2:3], v4, off
.LBB98_180:
	s_mov_b64 s[8:9], 0
.LBB98_181:
	s_and_b64 vcc, exec, s[8:9]
	s_cbranch_vccz .LBB98_184
; %bb.182:
	s_cmp_eq_u32 s13, 29
	s_mov_b64 s[4:5], -1
	s_cbranch_scc0 .LBB98_184
; %bb.183:
	v_trunc_f32_e32 v1, v0
	v_mul_f32_e32 v4, 0x2f800000, v1
	v_floor_f32_e32 v4, v4
	v_fmac_f32_e32 v1, 0xcf800000, v4
	v_cvt_u32_f32_e32 v5, v4
	v_cvt_u32_f32_e32 v4, v1
	s_mov_b64 s[6:7], -1
	s_mov_b64 s[4:5], 0
	s_mov_b64 s[8:9], 0
	global_store_dwordx2 v[2:3], v[4:5], off
	s_branch .LBB98_185
.LBB98_184:
	s_mov_b64 s[8:9], 0
.LBB98_185:
	s_and_b64 vcc, exec, s[8:9]
	s_cbranch_vccz .LBB98_201
; %bb.186:
	s_cmp_lt_i32 s13, 27
	s_mov_b64 s[6:7], -1
	s_cbranch_scc1 .LBB98_192
; %bb.187:
	v_cvt_u32_f32_e32 v1, v0
	s_cmp_gt_i32 s13, 27
	s_cbranch_scc0 .LBB98_189
; %bb.188:
	s_mov_b64 s[6:7], 0
	global_store_dword v[2:3], v1, off
.LBB98_189:
	s_andn2_b64 vcc, exec, s[6:7]
	s_cbranch_vccnz .LBB98_191
; %bb.190:
	global_store_short v[2:3], v1, off
.LBB98_191:
	s_mov_b64 s[6:7], 0
.LBB98_192:
	s_andn2_b64 vcc, exec, s[6:7]
	s_cbranch_vccnz .LBB98_200
; %bb.193:
	v_and_b32_e32 v1, 0x7fffffff, v0
	s_mov_b32 s6, 0x43800000
	v_cmp_gt_u32_e32 vcc, s6, v1
	v_mov_b32_e32 v4, 0x80
	s_and_saveexec_b64 s[6:7], vcc
	s_cbranch_execz .LBB98_199
; %bb.194:
	s_mov_b32 s8, 0x3bffffff
	v_cmp_lt_u32_e32 vcc, s8, v1
	s_mov_b64 s[8:9], 0
                                        ; implicit-def: $vgpr1
	s_and_saveexec_b64 s[10:11], vcc
	s_xor_b64 s[10:11], exec, s[10:11]
	s_cbranch_execz .LBB98_311
; %bb.195:
	v_bfe_u32 v1, v0, 20, 1
	s_mov_b32 s14, 0x487ffff
	v_add3_u32 v1, v0, v1, s14
	s_mov_b64 s[8:9], exec
	v_lshrrev_b32_e32 v1, 20, v1
	s_andn2_saveexec_b64 s[10:11], s[10:11]
	s_cbranch_execnz .LBB98_312
.LBB98_196:
	s_or_b64 exec, exec, s[10:11]
	v_mov_b32_e32 v4, 0
	s_and_saveexec_b64 s[10:11], s[8:9]
.LBB98_197:
	v_lshrrev_b32_e32 v4, 24, v0
	s_movk_i32 s8, 0x80
	v_and_or_b32 v4, v4, s8, v1
.LBB98_198:
	s_or_b64 exec, exec, s[10:11]
.LBB98_199:
	s_or_b64 exec, exec, s[6:7]
	global_store_byte v[2:3], v4, off
.LBB98_200:
	s_mov_b64 s[6:7], -1
.LBB98_201:
	s_mov_b64 s[8:9], 0
.LBB98_202:
	s_and_b64 vcc, exec, s[8:9]
	s_cbranch_vccz .LBB98_243
; %bb.203:
	s_cmp_gt_i32 s13, 22
	s_mov_b64 s[8:9], -1
	s_cbranch_scc0 .LBB98_235
; %bb.204:
	s_cmp_lt_i32 s13, 24
	s_mov_b64 s[6:7], -1
	s_cbranch_scc1 .LBB98_224
; %bb.205:
	s_cmp_gt_i32 s13, 24
	s_cbranch_scc0 .LBB98_213
; %bb.206:
	v_and_b32_e32 v1, 0x7fffffff, v0
	s_mov_b32 s6, 0x47800000
	v_cmp_gt_u32_e32 vcc, s6, v1
	v_mov_b32_e32 v4, 0x80
	s_and_saveexec_b64 s[6:7], vcc
	s_cbranch_execz .LBB98_212
; %bb.207:
	s_mov_b32 s8, 0x37ffffff
	v_cmp_lt_u32_e32 vcc, s8, v1
	s_mov_b64 s[8:9], 0
                                        ; implicit-def: $vgpr1
	s_and_saveexec_b64 s[10:11], vcc
	s_xor_b64 s[10:11], exec, s[10:11]
	s_cbranch_execz .LBB98_314
; %bb.208:
	v_bfe_u32 v1, v0, 21, 1
	s_mov_b32 s14, 0x88fffff
	v_add3_u32 v1, v0, v1, s14
	s_mov_b64 s[8:9], exec
	v_lshrrev_b32_e32 v1, 21, v1
	s_andn2_saveexec_b64 s[10:11], s[10:11]
	s_cbranch_execnz .LBB98_315
.LBB98_209:
	s_or_b64 exec, exec, s[10:11]
	v_mov_b32_e32 v4, 0
	s_and_saveexec_b64 s[10:11], s[8:9]
.LBB98_210:
	v_lshrrev_b32_e32 v4, 24, v0
	s_movk_i32 s8, 0x80
	v_and_or_b32 v4, v4, s8, v1
.LBB98_211:
	s_or_b64 exec, exec, s[10:11]
.LBB98_212:
	s_or_b64 exec, exec, s[6:7]
	s_mov_b64 s[6:7], 0
	global_store_byte v[2:3], v4, off
.LBB98_213:
	s_and_b64 vcc, exec, s[6:7]
	s_cbranch_vccz .LBB98_223
; %bb.214:
	v_and_b32_e32 v4, 0x7fffffff, v0
	s_mov_b32 s6, 0x43f00000
	v_cmp_gt_u32_e32 vcc, s6, v4
                                        ; implicit-def: $vgpr1
	s_and_saveexec_b64 s[6:7], vcc
	s_xor_b64 s[6:7], exec, s[6:7]
	s_cbranch_execz .LBB98_220
; %bb.215:
	s_mov_b32 s8, 0x3c7fffff
	v_cmp_lt_u32_e32 vcc, s8, v4
                                        ; implicit-def: $vgpr1
	s_and_saveexec_b64 s[8:9], vcc
	s_xor_b64 s[8:9], exec, s[8:9]
; %bb.216:
	v_bfe_u32 v1, v0, 20, 1
	s_mov_b32 s10, 0x407ffff
	v_add3_u32 v1, v0, v1, s10
	v_lshrrev_b32_e32 v4, 20, v1
	v_and_b32_e32 v1, 0xff00000, v1
	s_mov_b32 s10, 0x7f00000
	v_mov_b32_e32 v5, 0x7e
	v_cmp_ne_u32_e32 vcc, s10, v1
	v_cndmask_b32_e32 v1, v5, v4, vcc
; %bb.217:
	s_andn2_saveexec_b64 s[8:9], s[8:9]
; %bb.218:
	s_mov_b32 s10, 0x46800000
	v_add_f32_e64 v1, |v0|, s10
; %bb.219:
	s_or_b64 exec, exec, s[8:9]
                                        ; implicit-def: $vgpr4
.LBB98_220:
	s_andn2_saveexec_b64 s[6:7], s[6:7]
; %bb.221:
	s_mov_b32 s8, 0x7f800000
	v_mov_b32_e32 v1, 0x7e
	v_mov_b32_e32 v5, 0x7f
	v_cmp_lt_u32_e32 vcc, s8, v4
	v_cndmask_b32_e32 v1, v1, v5, vcc
; %bb.222:
	s_or_b64 exec, exec, s[6:7]
	v_lshrrev_b32_e32 v4, 24, v0
	s_movk_i32 s6, 0x80
	v_and_or_b32 v1, v4, s6, v1
	global_store_byte v[2:3], v1, off
.LBB98_223:
	s_mov_b64 s[6:7], 0
.LBB98_224:
	s_andn2_b64 vcc, exec, s[6:7]
	s_cbranch_vccnz .LBB98_234
; %bb.225:
	v_and_b32_e32 v4, 0x7fffffff, v0
	s_mov_b32 s6, 0x47800000
	v_cmp_gt_u32_e32 vcc, s6, v4
                                        ; implicit-def: $vgpr1
	s_and_saveexec_b64 s[6:7], vcc
	s_xor_b64 s[6:7], exec, s[6:7]
	s_cbranch_execz .LBB98_231
; %bb.226:
	s_mov_b32 s8, 0x387fffff
	v_cmp_lt_u32_e32 vcc, s8, v4
                                        ; implicit-def: $vgpr1
	s_and_saveexec_b64 s[8:9], vcc
	s_xor_b64 s[8:9], exec, s[8:9]
; %bb.227:
	v_bfe_u32 v1, v0, 21, 1
	s_mov_b32 s10, 0x80fffff
	v_add3_u32 v1, v0, v1, s10
	v_lshrrev_b32_e32 v1, 21, v1
; %bb.228:
	s_andn2_saveexec_b64 s[8:9], s[8:9]
; %bb.229:
	s_mov_b32 s10, 0x43000000
	v_add_f32_e64 v1, |v0|, s10
; %bb.230:
	s_or_b64 exec, exec, s[8:9]
                                        ; implicit-def: $vgpr4
.LBB98_231:
	s_andn2_saveexec_b64 s[6:7], s[6:7]
; %bb.232:
	s_mov_b32 s8, 0x7f800000
	v_mov_b32_e32 v1, 0x7c
	v_mov_b32_e32 v5, 0x7f
	v_cmp_lt_u32_e32 vcc, s8, v4
	v_cndmask_b32_e32 v1, v1, v5, vcc
; %bb.233:
	s_or_b64 exec, exec, s[6:7]
	v_lshrrev_b32_e32 v4, 24, v0
	s_movk_i32 s6, 0x80
	v_and_or_b32 v1, v4, s6, v1
	global_store_byte v[2:3], v1, off
.LBB98_234:
	s_mov_b64 s[8:9], 0
	s_mov_b64 s[6:7], -1
.LBB98_235:
	s_andn2_b64 vcc, exec, s[8:9]
	s_cbranch_vccnz .LBB98_243
; %bb.236:
	s_cmp_gt_i32 s13, 14
	s_mov_b64 s[8:9], -1
	s_cbranch_scc0 .LBB98_240
; %bb.237:
	s_cmp_eq_u32 s13, 15
	s_mov_b64 s[4:5], -1
	s_cbranch_scc0 .LBB98_239
; %bb.238:
	v_bfe_u32 v1, v0, 16, 1
	s_movk_i32 s4, 0x7fff
	v_add3_u32 v1, v0, v1, s4
	v_cmp_o_f32_e32 vcc, v0, v0
	v_mov_b32_e32 v4, 0x7fc0
	v_cndmask_b32_sdwa v1, v4, v1, vcc dst_sel:DWORD dst_unused:UNUSED_PAD src0_sel:DWORD src1_sel:WORD_1
	global_store_short v[2:3], v1, off
	s_mov_b64 s[6:7], -1
	s_mov_b64 s[4:5], 0
.LBB98_239:
	s_mov_b64 s[8:9], 0
.LBB98_240:
	s_and_b64 vcc, exec, s[8:9]
	s_cbranch_vccz .LBB98_243
; %bb.241:
	s_cmp_eq_u32 s13, 11
	s_mov_b64 s[4:5], -1
	s_cbranch_scc0 .LBB98_243
; %bb.242:
	v_cmp_neq_f32_e32 vcc, 0, v0
	v_cndmask_b32_e64 v1, 0, 1, vcc
	s_mov_b64 s[6:7], -1
	s_mov_b64 s[4:5], 0
	global_store_byte v[2:3], v1, off
.LBB98_243:
	s_branch .LBB98_165
.LBB98_244:
	s_and_b32 s8, 0xffff, s12
	s_cmp_lt_i32 s8, 5
	s_mov_b64 s[6:7], -1
	s_cbranch_scc1 .LBB98_265
; %bb.245:
	s_cmp_lt_i32 s8, 8
	s_cbranch_scc1 .LBB98_255
; %bb.246:
	s_cmp_lt_i32 s8, 9
	s_cbranch_scc1 .LBB98_252
; %bb.247:
	s_cmp_gt_i32 s8, 9
	s_cbranch_scc0 .LBB98_249
; %bb.248:
	v_cvt_f64_f32_e32 v[4:5], v0
	v_mov_b32_e32 v6, 0
	v_mov_b32_e32 v7, v6
	s_mov_b64 s[6:7], 0
	global_store_dwordx4 v[2:3], v[4:7], off
.LBB98_249:
	s_andn2_b64 vcc, exec, s[6:7]
	s_cbranch_vccnz .LBB98_251
; %bb.250:
	v_mov_b32_e32 v1, 0
	global_store_dwordx2 v[2:3], v[0:1], off
.LBB98_251:
	s_mov_b64 s[6:7], 0
.LBB98_252:
	s_andn2_b64 vcc, exec, s[6:7]
	s_cbranch_vccnz .LBB98_254
; %bb.253:
	v_cvt_f16_f32_e32 v1, v0
	global_store_dword v[2:3], v1, off
.LBB98_254:
	s_mov_b64 s[6:7], 0
.LBB98_255:
	s_andn2_b64 vcc, exec, s[6:7]
	s_cbranch_vccnz .LBB98_264
; %bb.256:
	s_cmp_lt_i32 s8, 6
	s_mov_b64 s[6:7], -1
	s_cbranch_scc1 .LBB98_262
; %bb.257:
	s_cmp_gt_i32 s8, 6
	s_cbranch_scc0 .LBB98_259
; %bb.258:
	v_cvt_f64_f32_e32 v[4:5], v0
	s_mov_b64 s[6:7], 0
	global_store_dwordx2 v[2:3], v[4:5], off
.LBB98_259:
	s_andn2_b64 vcc, exec, s[6:7]
	s_cbranch_vccnz .LBB98_261
; %bb.260:
	global_store_dword v[2:3], v0, off
.LBB98_261:
	s_mov_b64 s[6:7], 0
.LBB98_262:
	s_andn2_b64 vcc, exec, s[6:7]
	s_cbranch_vccnz .LBB98_264
; %bb.263:
	v_cvt_f16_f32_e32 v1, v0
	global_store_short v[2:3], v1, off
.LBB98_264:
	s_mov_b64 s[6:7], 0
.LBB98_265:
	s_andn2_b64 vcc, exec, s[6:7]
	s_cbranch_vccnz .LBB98_281
; %bb.266:
	s_cmp_lt_i32 s8, 2
	s_mov_b64 s[6:7], -1
	s_cbranch_scc1 .LBB98_276
; %bb.267:
	s_cmp_lt_i32 s8, 3
	s_cbranch_scc1 .LBB98_273
; %bb.268:
	s_cmp_gt_i32 s8, 3
	s_cbranch_scc0 .LBB98_270
; %bb.269:
	v_trunc_f32_e32 v1, v0
	s_mov_b32 s6, 0x2f800000
	v_mul_f32_e64 v4, |v1|, s6
	v_floor_f32_e32 v4, v4
	s_mov_b32 s6, 0xcf800000
	v_cvt_u32_f32_e32 v5, v4
	v_fma_f32 v4, v4, s6, |v1|
	v_cvt_u32_f32_e32 v4, v4
	v_ashrrev_i32_e32 v1, 31, v1
	v_xor_b32_e32 v5, v5, v1
	s_mov_b64 s[6:7], 0
	v_xor_b32_e32 v4, v4, v1
	v_sub_co_u32_e32 v4, vcc, v4, v1
	v_subb_co_u32_e32 v5, vcc, v5, v1, vcc
	global_store_dwordx2 v[2:3], v[4:5], off
.LBB98_270:
	s_andn2_b64 vcc, exec, s[6:7]
	s_cbranch_vccnz .LBB98_272
; %bb.271:
	v_cvt_i32_f32_e32 v1, v0
	global_store_dword v[2:3], v1, off
.LBB98_272:
	s_mov_b64 s[6:7], 0
.LBB98_273:
	s_andn2_b64 vcc, exec, s[6:7]
	s_cbranch_vccnz .LBB98_275
; %bb.274:
	v_cvt_i32_f32_e32 v1, v0
	global_store_short v[2:3], v1, off
.LBB98_275:
	s_mov_b64 s[6:7], 0
.LBB98_276:
	s_andn2_b64 vcc, exec, s[6:7]
	s_cbranch_vccnz .LBB98_281
; %bb.277:
	s_cmp_gt_i32 s8, 0
	s_mov_b64 s[6:7], -1
	s_cbranch_scc0 .LBB98_279
; %bb.278:
	v_cvt_i32_f32_e32 v1, v0
	s_mov_b64 s[6:7], 0
	global_store_byte v[2:3], v1, off
.LBB98_279:
	s_andn2_b64 vcc, exec, s[6:7]
	s_cbranch_vccnz .LBB98_281
; %bb.280:
	v_trunc_f32_e32 v0, v0
	s_mov_b32 s6, 0x2f800000
	v_mul_f32_e64 v1, |v0|, s6
	v_floor_f32_e32 v1, v1
	s_mov_b32 s6, 0xcf800000
	v_fma_f32 v1, v1, s6, |v0|
	v_cvt_u32_f32_e32 v1, v1
	v_ashrrev_i32_e32 v0, 31, v0
	v_xor_b32_e32 v1, v1, v0
	v_sub_u32_e32 v0, v1, v0
	global_store_byte v[2:3], v0, off
.LBB98_281:
	s_branch .LBB98_166
.LBB98_282:
	s_mov_b64 s[6:7], 0
                                        ; implicit-def: $vgpr24
.LBB98_283:
	s_andn2_b64 s[8:9], s[74:75], exec
	s_and_b64 s[4:5], s[4:5], exec
	s_or_b64 s[78:79], s[8:9], s[4:5]
	s_orn2_b64 s[8:9], s[6:7], exec
.LBB98_284:
	s_or_b64 exec, exec, s[80:81]
	s_mov_b64 s[4:5], 0
	s_mov_b64 s[6:7], 0
                                        ; implicit-def: $sgpr14
                                        ; implicit-def: $vgpr2_vgpr3
                                        ; implicit-def: $vgpr0
	s_and_saveexec_b64 s[80:81], s[8:9]
	s_cbranch_execz .LBB98_525
; %bb.285:
	v_cmp_gt_i32_e32 vcc, s86, v24
	s_mov_b64 s[6:7], -1
	s_mov_b64 s[84:85], s[78:79]
	s_and_saveexec_b64 s[82:83], vcc
	s_cbranch_execz .LBB98_429
; %bb.286:
	s_andn2_b64 vcc, exec, s[60:61]
	s_cbranch_vccnz .LBB98_291
; %bb.287:
	s_andn2_b64 vcc, exec, s[72:73]
	s_cbranch_vccnz .LBB98_292
; %bb.288:
	s_add_i32 s29, s91, 1
	s_cmp_eq_u32 s88, 2
	s_cbranch_scc1 .LBB98_293
; %bb.289:
	s_and_b32 s28, s29, 28
	v_mov_b32_e32 v4, 0
	s_mov_b32 s30, 0
	s_mov_b64 s[24:25], s[56:57]
	s_mov_b64 s[26:27], s[70:71]
	v_mov_b32_e32 v22, 0
	v_mov_b32_e32 v0, v24
.LBB98_290:                             ; =>This Inner Loop Header: Depth=1
	s_load_dwordx8 s[12:19], s[24:25], 0x4
	s_load_dwordx4 s[20:23], s[24:25], 0x24
	s_load_dwordx8 s[4:11], s[26:27], 0x0
	s_add_u32 s24, s24, 48
	s_addc_u32 s25, s25, 0
	s_waitcnt lgkmcnt(0)
	v_mul_hi_u32 v1, s13, v0
	s_add_i32 s30, s30, 4
	s_add_u32 s26, s26, 32
	s_addc_u32 s27, s27, 0
	v_add_u32_e32 v1, v0, v1
	v_lshrrev_b32_e32 v1, s14, v1
	v_mul_lo_u32 v2, v1, s12
	v_mul_hi_u32 v3, s16, v1
	s_cmp_eq_u32 s28, s30
	v_sub_u32_e32 v0, v0, v2
	v_add_u32_e32 v2, v1, v3
	v_mul_lo_u32 v3, v0, s4
	v_mul_lo_u32 v5, v0, s5
	v_lshrrev_b32_e32 v0, s17, v2
	v_mul_lo_u32 v2, v0, s15
	v_mul_hi_u32 v6, s19, v0
	v_sub_u32_e32 v1, v1, v2
	v_add_u32_e32 v2, v0, v6
	v_lshrrev_b32_e32 v2, s20, v2
	v_mul_hi_u32 v7, s22, v2
	v_mul_lo_u32 v8, v2, s18
	v_mul_lo_u32 v6, v1, s6
	;; [unrolled: 1-line block ×3, first 2 shown]
	v_sub_u32_e32 v8, v0, v8
	v_add_u32_e32 v0, v2, v7
	v_lshrrev_b32_e32 v0, s23, v0
	v_mul_lo_u32 v7, v0, s21
	v_mul_lo_u32 v9, v8, s8
	v_mul_lo_u32 v8, v8, s9
	v_add3_u32 v3, v3, v22, v6
	v_sub_u32_e32 v2, v2, v7
	v_mul_lo_u32 v7, v2, s10
	v_mul_lo_u32 v2, v2, s11
	v_add3_u32 v1, v5, v4, v1
	v_add3_u32 v22, v9, v3, v7
	;; [unrolled: 1-line block ×3, first 2 shown]
	s_cbranch_scc0 .LBB98_290
	s_branch .LBB98_294
.LBB98_291:
	s_mov_b64 s[4:5], -1
                                        ; implicit-def: $vgpr22
                                        ; implicit-def: $vgpr4
	s_branch .LBB98_298
.LBB98_292:
	v_mov_b32_e32 v22, 0
	v_mov_b32_e32 v4, 0
	s_branch .LBB98_297
.LBB98_293:
	s_mov_b32 s28, 0
	v_mov_b32_e32 v22, 0
	v_mov_b32_e32 v4, 0
	;; [unrolled: 1-line block ×3, first 2 shown]
.LBB98_294:
	s_and_b32 s8, s29, 3
	s_cmp_eq_u32 s8, 0
	s_cbranch_scc1 .LBB98_297
; %bb.295:
	s_lshl_b32 s4, s28, 3
	s_add_u32 s4, s56, s4
	s_addc_u32 s5, s57, 0
	s_add_u32 s4, s4, 0xc4
	s_addc_u32 s5, s5, 0
	s_mul_i32 s6, s28, 12
	s_add_u32 s6, s56, s6
	s_addc_u32 s7, s57, 0
.LBB98_296:                             ; =>This Inner Loop Header: Depth=1
	s_load_dwordx2 s[10:11], s[6:7], 0x4
	s_load_dword s9, s[6:7], 0xc
	s_load_dwordx2 s[12:13], s[4:5], 0x0
	s_add_u32 s6, s6, 12
	s_addc_u32 s7, s7, 0
	s_waitcnt lgkmcnt(0)
	v_mul_hi_u32 v1, s11, v0
	s_add_u32 s4, s4, 8
	s_addc_u32 s5, s5, 0
	s_add_i32 s8, s8, -1
	v_add_u32_e32 v1, v0, v1
	v_lshrrev_b32_e32 v1, s9, v1
	v_mul_lo_u32 v2, v1, s10
	s_cmp_lg_u32 s8, 0
	v_sub_u32_e32 v0, v0, v2
	v_mad_u64_u32 v[22:23], s[10:11], v0, s12, v[22:23]
	v_mad_u64_u32 v[4:5], s[10:11], v0, s13, v[4:5]
	v_mov_b32_e32 v0, v1
	s_cbranch_scc1 .LBB98_296
.LBB98_297:
	s_mov_b64 s[4:5], 0
.LBB98_298:
	s_andn2_b64 vcc, exec, s[4:5]
	s_cbranch_vccnz .LBB98_301
; %bb.299:
	v_mul_hi_u32 v0, s49, v24
	s_andn2_b64 vcc, exec, s[68:69]
	v_add_u32_e32 v0, v24, v0
	v_lshrrev_b32_e32 v0, s50, v0
	v_mul_lo_u32 v1, v0, s48
	v_sub_u32_e32 v1, v24, v1
	v_mul_lo_u32 v22, v1, s52
	v_mul_lo_u32 v4, v1, s53
	s_cbranch_vccnz .LBB98_301
; %bb.300:
	v_mul_hi_u32 v1, s66, v0
	v_add_u32_e32 v1, v0, v1
	v_lshrrev_b32_e32 v1, s67, v1
	v_mul_lo_u32 v1, v1, s51
	v_sub_u32_e32 v0, v0, v1
	v_mad_u64_u32 v[22:23], s[4:5], v0, s54, v[22:23]
	v_mad_u64_u32 v[4:5], s[4:5], v0, s55, v[4:5]
.LBB98_301:
	s_getpc_b64 s[4:5]
	s_add_u32 s4, s4, _ZN2at6native6invokeIZZZNS0_21polygamma_kernel_cudaERNS_18TensorIteratorBaseElENKUlvE_clEvENKUlvE0_clEvEUlfE_j15function_traitsIS6_EEENT1_11result_typeERKT_PrKPcPKT0_PKN3c1010ScalarTypeEi@rel32@lo+4
	s_addc_u32 s5, s5, _ZN2at6native6invokeIZZZNS0_21polygamma_kernel_cudaERNS_18TensorIteratorBaseElENKUlvE_clEvENKUlvE0_clEvEUlfE_j15function_traitsIS6_EEENT1_11result_typeERKT_PrKPcPKT0_PKN3c1010ScalarTypeEi@rel32@hi+12
	v_mov_b32_e32 v0, s64
	v_mov_b32_e32 v1, s65
	;; [unrolled: 1-line block ×5, first 2 shown]
	s_swappc_b64 s[30:31], s[4:5]
	v_mov_b32_e32 v1, s37
	s_and_b32 s12, s89, 0xff
	v_add_co_u32_e32 v2, vcc, s36, v22
	s_cmp_lt_i32 s12, 11
	v_addc_co_u32_e32 v3, vcc, 0, v1, vcc
	s_cbranch_scc1 .LBB98_308
; %bb.302:
	s_and_b32 s13, 0xffff, s12
	s_cmp_gt_i32 s13, 25
	s_cbranch_scc0 .LBB98_309
; %bb.303:
	s_cmp_gt_i32 s13, 28
	s_cbranch_scc0 .LBB98_310
; %bb.304:
	;; [unrolled: 3-line block ×4, first 2 shown]
	s_mov_b64 s[8:9], 0
	s_mov_b64 s[4:5], -1
	s_cmp_eq_u32 s13, 46
	s_mov_b64 s[6:7], 0
	s_cbranch_scc0 .LBB98_317
; %bb.307:
	v_bfe_u32 v1, v0, 16, 1
	s_movk_i32 s4, 0x7fff
	v_add3_u32 v1, v0, v1, s4
	v_cmp_o_f32_e32 vcc, v0, v0
	v_mov_b32_e32 v4, 0x7fc0
	v_cndmask_b32_sdwa v1, v4, v1, vcc dst_sel:DWORD dst_unused:UNUSED_PAD src0_sel:DWORD src1_sel:WORD_1
	global_store_dword v[2:3], v1, off
	s_mov_b64 s[6:7], -1
	s_mov_b64 s[4:5], 0
	s_branch .LBB98_317
.LBB98_308:
	s_mov_b64 s[8:9], -1
	s_mov_b64 s[6:7], 0
	s_mov_b64 s[4:5], s[78:79]
	s_branch .LBB98_386
.LBB98_309:
	s_mov_b64 s[8:9], -1
	s_mov_b64 s[6:7], 0
	s_mov_b64 s[4:5], s[78:79]
	s_branch .LBB98_344
.LBB98_310:
	s_mov_b64 s[8:9], -1
	s_mov_b64 s[6:7], 0
	s_mov_b64 s[4:5], s[78:79]
	s_branch .LBB98_327
.LBB98_311:
	s_andn2_saveexec_b64 s[10:11], s[10:11]
	s_cbranch_execz .LBB98_196
.LBB98_312:
	s_mov_b32 s14, 0x46000000
	v_add_f32_e64 v1, |v0|, s14
	v_and_b32_e32 v1, 0xff, v1
	v_cmp_ne_u32_e32 vcc, 0, v1
	s_andn2_b64 s[8:9], s[8:9], exec
	s_and_b64 s[14:15], vcc, exec
	s_or_b64 s[8:9], s[8:9], s[14:15]
	s_or_b64 exec, exec, s[10:11]
	v_mov_b32_e32 v4, 0
	s_and_saveexec_b64 s[10:11], s[8:9]
	s_cbranch_execnz .LBB98_197
	s_branch .LBB98_198
.LBB98_313:
	s_mov_b64 s[8:9], -1
	s_mov_b64 s[6:7], 0
	s_mov_b64 s[4:5], s[78:79]
	s_branch .LBB98_323
.LBB98_314:
	s_andn2_saveexec_b64 s[10:11], s[10:11]
	s_cbranch_execz .LBB98_209
.LBB98_315:
	s_mov_b32 s14, 0x42800000
	v_add_f32_e64 v1, |v0|, s14
	v_and_b32_e32 v1, 0xff, v1
	v_cmp_ne_u32_e32 vcc, 0, v1
	s_andn2_b64 s[8:9], s[8:9], exec
	s_and_b64 s[14:15], vcc, exec
	s_or_b64 s[8:9], s[8:9], s[14:15]
	s_or_b64 exec, exec, s[10:11]
	v_mov_b32_e32 v4, 0
	s_and_saveexec_b64 s[10:11], s[8:9]
	s_cbranch_execnz .LBB98_210
	s_branch .LBB98_211
.LBB98_316:
	s_mov_b64 s[8:9], -1
	s_mov_b64 s[6:7], 0
	s_mov_b64 s[4:5], s[78:79]
.LBB98_317:
	s_and_b64 vcc, exec, s[8:9]
	s_cbranch_vccz .LBB98_322
; %bb.318:
	s_cmp_eq_u32 s13, 44
	s_mov_b64 s[4:5], -1
	s_cbranch_scc0 .LBB98_322
; %bb.319:
	v_bfe_u32 v1, v0, 23, 8
	s_movk_i32 s4, 0xff
	v_cmp_ne_u32_e32 vcc, s4, v1
	v_mov_b32_e32 v4, 0xff
	s_and_saveexec_b64 s[6:7], vcc
; %bb.320:
	s_mov_b32 s4, 0x3fffff
	v_and_b32_e32 v5, 0x400000, v0
	v_and_or_b32 v1, v0, s4, v1
	v_cmp_ne_u32_e32 vcc, 0, v5
	v_cmp_ne_u32_e64 s[4:5], 0, v1
	s_and_b64 s[4:5], vcc, s[4:5]
	v_lshrrev_b32_e32 v4, 23, v0
	v_cndmask_b32_e64 v1, 0, 1, s[4:5]
	v_add_u32_e32 v4, v4, v1
; %bb.321:
	s_or_b64 exec, exec, s[6:7]
	s_mov_b64 s[6:7], -1
	s_mov_b64 s[4:5], 0
	global_store_byte v[2:3], v4, off
.LBB98_322:
	s_mov_b64 s[8:9], 0
.LBB98_323:
	s_and_b64 vcc, exec, s[8:9]
	s_cbranch_vccz .LBB98_326
; %bb.324:
	s_cmp_eq_u32 s13, 29
	s_mov_b64 s[4:5], -1
	s_cbranch_scc0 .LBB98_326
; %bb.325:
	v_trunc_f32_e32 v1, v0
	v_mul_f32_e32 v4, 0x2f800000, v1
	v_floor_f32_e32 v4, v4
	v_fmac_f32_e32 v1, 0xcf800000, v4
	v_cvt_u32_f32_e32 v5, v4
	v_cvt_u32_f32_e32 v4, v1
	s_mov_b64 s[6:7], -1
	s_mov_b64 s[4:5], 0
	s_mov_b64 s[8:9], 0
	global_store_dwordx2 v[2:3], v[4:5], off
	s_branch .LBB98_327
.LBB98_326:
	s_mov_b64 s[8:9], 0
.LBB98_327:
	s_and_b64 vcc, exec, s[8:9]
	s_cbranch_vccz .LBB98_343
; %bb.328:
	s_cmp_lt_i32 s13, 27
	s_mov_b64 s[6:7], -1
	s_cbranch_scc1 .LBB98_334
; %bb.329:
	v_cvt_u32_f32_e32 v1, v0
	s_cmp_gt_i32 s13, 27
	s_cbranch_scc0 .LBB98_331
; %bb.330:
	s_mov_b64 s[6:7], 0
	global_store_dword v[2:3], v1, off
.LBB98_331:
	s_andn2_b64 vcc, exec, s[6:7]
	s_cbranch_vccnz .LBB98_333
; %bb.332:
	global_store_short v[2:3], v1, off
.LBB98_333:
	s_mov_b64 s[6:7], 0
.LBB98_334:
	s_andn2_b64 vcc, exec, s[6:7]
	s_cbranch_vccnz .LBB98_342
; %bb.335:
	v_and_b32_e32 v1, 0x7fffffff, v0
	s_mov_b32 s6, 0x43800000
	v_cmp_gt_u32_e32 vcc, s6, v1
	v_mov_b32_e32 v4, 0x80
	s_and_saveexec_b64 s[6:7], vcc
	s_cbranch_execz .LBB98_341
; %bb.336:
	s_mov_b32 s8, 0x3bffffff
	v_cmp_lt_u32_e32 vcc, s8, v1
	s_mov_b64 s[8:9], 0
                                        ; implicit-def: $vgpr1
	s_and_saveexec_b64 s[10:11], vcc
	s_xor_b64 s[10:11], exec, s[10:11]
	s_cbranch_execz .LBB98_1112
; %bb.337:
	v_bfe_u32 v1, v0, 20, 1
	s_mov_b32 s14, 0x487ffff
	v_add3_u32 v1, v0, v1, s14
	s_mov_b64 s[8:9], exec
	v_lshrrev_b32_e32 v1, 20, v1
	s_andn2_saveexec_b64 s[10:11], s[10:11]
	s_cbranch_execnz .LBB98_1113
.LBB98_338:
	s_or_b64 exec, exec, s[10:11]
	v_mov_b32_e32 v4, 0
	s_and_saveexec_b64 s[10:11], s[8:9]
.LBB98_339:
	v_lshrrev_b32_e32 v4, 24, v0
	s_movk_i32 s8, 0x80
	v_and_or_b32 v4, v4, s8, v1
.LBB98_340:
	s_or_b64 exec, exec, s[10:11]
.LBB98_341:
	s_or_b64 exec, exec, s[6:7]
	global_store_byte v[2:3], v4, off
.LBB98_342:
	s_mov_b64 s[6:7], -1
.LBB98_343:
	s_mov_b64 s[8:9], 0
.LBB98_344:
	s_and_b64 vcc, exec, s[8:9]
	s_cbranch_vccz .LBB98_385
; %bb.345:
	s_cmp_gt_i32 s13, 22
	s_mov_b64 s[8:9], -1
	s_cbranch_scc0 .LBB98_377
; %bb.346:
	s_cmp_lt_i32 s13, 24
	s_mov_b64 s[6:7], -1
	s_cbranch_scc1 .LBB98_366
; %bb.347:
	s_cmp_gt_i32 s13, 24
	s_cbranch_scc0 .LBB98_355
; %bb.348:
	v_and_b32_e32 v1, 0x7fffffff, v0
	s_mov_b32 s6, 0x47800000
	v_cmp_gt_u32_e32 vcc, s6, v1
	v_mov_b32_e32 v4, 0x80
	s_and_saveexec_b64 s[6:7], vcc
	s_cbranch_execz .LBB98_354
; %bb.349:
	s_mov_b32 s8, 0x37ffffff
	v_cmp_lt_u32_e32 vcc, s8, v1
	s_mov_b64 s[8:9], 0
                                        ; implicit-def: $vgpr1
	s_and_saveexec_b64 s[10:11], vcc
	s_xor_b64 s[10:11], exec, s[10:11]
	s_cbranch_execz .LBB98_1119
; %bb.350:
	v_bfe_u32 v1, v0, 21, 1
	s_mov_b32 s14, 0x88fffff
	v_add3_u32 v1, v0, v1, s14
	s_mov_b64 s[8:9], exec
	v_lshrrev_b32_e32 v1, 21, v1
	s_andn2_saveexec_b64 s[10:11], s[10:11]
	s_cbranch_execnz .LBB98_1120
.LBB98_351:
	s_or_b64 exec, exec, s[10:11]
	v_mov_b32_e32 v4, 0
	s_and_saveexec_b64 s[10:11], s[8:9]
.LBB98_352:
	v_lshrrev_b32_e32 v4, 24, v0
	s_movk_i32 s8, 0x80
	v_and_or_b32 v4, v4, s8, v1
.LBB98_353:
	s_or_b64 exec, exec, s[10:11]
.LBB98_354:
	s_or_b64 exec, exec, s[6:7]
	s_mov_b64 s[6:7], 0
	global_store_byte v[2:3], v4, off
.LBB98_355:
	s_and_b64 vcc, exec, s[6:7]
	s_cbranch_vccz .LBB98_365
; %bb.356:
	v_and_b32_e32 v4, 0x7fffffff, v0
	s_mov_b32 s6, 0x43f00000
	v_cmp_gt_u32_e32 vcc, s6, v4
                                        ; implicit-def: $vgpr1
	s_and_saveexec_b64 s[6:7], vcc
	s_xor_b64 s[6:7], exec, s[6:7]
	s_cbranch_execz .LBB98_362
; %bb.357:
	s_mov_b32 s8, 0x3c7fffff
	v_cmp_lt_u32_e32 vcc, s8, v4
                                        ; implicit-def: $vgpr1
	s_and_saveexec_b64 s[8:9], vcc
	s_xor_b64 s[8:9], exec, s[8:9]
; %bb.358:
	v_bfe_u32 v1, v0, 20, 1
	s_mov_b32 s10, 0x407ffff
	v_add3_u32 v1, v0, v1, s10
	v_lshrrev_b32_e32 v4, 20, v1
	v_and_b32_e32 v1, 0xff00000, v1
	s_mov_b32 s10, 0x7f00000
	v_mov_b32_e32 v5, 0x7e
	v_cmp_ne_u32_e32 vcc, s10, v1
	v_cndmask_b32_e32 v1, v5, v4, vcc
; %bb.359:
	s_andn2_saveexec_b64 s[8:9], s[8:9]
; %bb.360:
	s_mov_b32 s10, 0x46800000
	v_add_f32_e64 v1, |v0|, s10
; %bb.361:
	s_or_b64 exec, exec, s[8:9]
                                        ; implicit-def: $vgpr4
.LBB98_362:
	s_andn2_saveexec_b64 s[6:7], s[6:7]
; %bb.363:
	s_mov_b32 s8, 0x7f800000
	v_mov_b32_e32 v1, 0x7e
	v_mov_b32_e32 v5, 0x7f
	v_cmp_lt_u32_e32 vcc, s8, v4
	v_cndmask_b32_e32 v1, v1, v5, vcc
; %bb.364:
	s_or_b64 exec, exec, s[6:7]
	v_lshrrev_b32_e32 v4, 24, v0
	s_movk_i32 s6, 0x80
	v_and_or_b32 v1, v4, s6, v1
	global_store_byte v[2:3], v1, off
.LBB98_365:
	s_mov_b64 s[6:7], 0
.LBB98_366:
	s_andn2_b64 vcc, exec, s[6:7]
	s_cbranch_vccnz .LBB98_376
; %bb.367:
	v_and_b32_e32 v4, 0x7fffffff, v0
	s_mov_b32 s6, 0x47800000
	v_cmp_gt_u32_e32 vcc, s6, v4
                                        ; implicit-def: $vgpr1
	s_and_saveexec_b64 s[6:7], vcc
	s_xor_b64 s[6:7], exec, s[6:7]
	s_cbranch_execz .LBB98_373
; %bb.368:
	s_mov_b32 s8, 0x387fffff
	v_cmp_lt_u32_e32 vcc, s8, v4
                                        ; implicit-def: $vgpr1
	s_and_saveexec_b64 s[8:9], vcc
	s_xor_b64 s[8:9], exec, s[8:9]
; %bb.369:
	v_bfe_u32 v1, v0, 21, 1
	s_mov_b32 s10, 0x80fffff
	v_add3_u32 v1, v0, v1, s10
	v_lshrrev_b32_e32 v1, 21, v1
; %bb.370:
	s_andn2_saveexec_b64 s[8:9], s[8:9]
; %bb.371:
	s_mov_b32 s10, 0x43000000
	v_add_f32_e64 v1, |v0|, s10
; %bb.372:
	s_or_b64 exec, exec, s[8:9]
                                        ; implicit-def: $vgpr4
.LBB98_373:
	s_andn2_saveexec_b64 s[6:7], s[6:7]
; %bb.374:
	s_mov_b32 s8, 0x7f800000
	v_mov_b32_e32 v1, 0x7c
	v_mov_b32_e32 v5, 0x7f
	v_cmp_lt_u32_e32 vcc, s8, v4
	v_cndmask_b32_e32 v1, v1, v5, vcc
; %bb.375:
	s_or_b64 exec, exec, s[6:7]
	v_lshrrev_b32_e32 v4, 24, v0
	s_movk_i32 s6, 0x80
	v_and_or_b32 v1, v4, s6, v1
	global_store_byte v[2:3], v1, off
.LBB98_376:
	s_mov_b64 s[8:9], 0
	s_mov_b64 s[6:7], -1
.LBB98_377:
	s_andn2_b64 vcc, exec, s[8:9]
	s_cbranch_vccnz .LBB98_385
; %bb.378:
	s_cmp_gt_i32 s13, 14
	s_mov_b64 s[8:9], -1
	s_cbranch_scc0 .LBB98_382
; %bb.379:
	s_cmp_eq_u32 s13, 15
	s_mov_b64 s[4:5], -1
	s_cbranch_scc0 .LBB98_381
; %bb.380:
	v_bfe_u32 v1, v0, 16, 1
	s_movk_i32 s4, 0x7fff
	v_add3_u32 v1, v0, v1, s4
	v_cmp_o_f32_e32 vcc, v0, v0
	v_mov_b32_e32 v4, 0x7fc0
	v_cndmask_b32_sdwa v1, v4, v1, vcc dst_sel:DWORD dst_unused:UNUSED_PAD src0_sel:DWORD src1_sel:WORD_1
	global_store_short v[2:3], v1, off
	s_mov_b64 s[6:7], -1
	s_mov_b64 s[4:5], 0
.LBB98_381:
	s_mov_b64 s[8:9], 0
.LBB98_382:
	s_and_b64 vcc, exec, s[8:9]
	s_cbranch_vccz .LBB98_385
; %bb.383:
	s_cmp_eq_u32 s13, 11
	s_mov_b64 s[4:5], -1
	s_cbranch_scc0 .LBB98_385
; %bb.384:
	v_cmp_neq_f32_e32 vcc, 0, v0
	v_cndmask_b32_e64 v1, 0, 1, vcc
	s_mov_b64 s[6:7], -1
	s_mov_b64 s[4:5], 0
	global_store_byte v[2:3], v1, off
.LBB98_385:
	s_mov_b64 s[8:9], 0
.LBB98_386:
	s_and_b64 vcc, exec, s[8:9]
	s_cbranch_vccz .LBB98_425
; %bb.387:
	s_and_b32 s8, 0xffff, s12
	s_cmp_lt_i32 s8, 5
	s_mov_b64 s[6:7], -1
	s_cbranch_scc1 .LBB98_408
; %bb.388:
	s_cmp_lt_i32 s8, 8
	s_cbranch_scc1 .LBB98_398
; %bb.389:
	s_cmp_lt_i32 s8, 9
	s_cbranch_scc1 .LBB98_395
; %bb.390:
	s_cmp_gt_i32 s8, 9
	s_cbranch_scc0 .LBB98_392
; %bb.391:
	v_cvt_f64_f32_e32 v[4:5], v0
	v_mov_b32_e32 v6, 0
	v_mov_b32_e32 v7, v6
	s_mov_b64 s[6:7], 0
	global_store_dwordx4 v[2:3], v[4:7], off
.LBB98_392:
	s_andn2_b64 vcc, exec, s[6:7]
	s_cbranch_vccnz .LBB98_394
; %bb.393:
	v_mov_b32_e32 v1, 0
	global_store_dwordx2 v[2:3], v[0:1], off
.LBB98_394:
	s_mov_b64 s[6:7], 0
.LBB98_395:
	s_andn2_b64 vcc, exec, s[6:7]
	s_cbranch_vccnz .LBB98_397
; %bb.396:
	v_cvt_f16_f32_e32 v1, v0
	global_store_dword v[2:3], v1, off
.LBB98_397:
	s_mov_b64 s[6:7], 0
.LBB98_398:
	s_andn2_b64 vcc, exec, s[6:7]
	s_cbranch_vccnz .LBB98_407
; %bb.399:
	s_cmp_lt_i32 s8, 6
	s_mov_b64 s[6:7], -1
	s_cbranch_scc1 .LBB98_405
; %bb.400:
	s_cmp_gt_i32 s8, 6
	s_cbranch_scc0 .LBB98_402
; %bb.401:
	v_cvt_f64_f32_e32 v[4:5], v0
	s_mov_b64 s[6:7], 0
	global_store_dwordx2 v[2:3], v[4:5], off
.LBB98_402:
	s_andn2_b64 vcc, exec, s[6:7]
	s_cbranch_vccnz .LBB98_404
; %bb.403:
	global_store_dword v[2:3], v0, off
.LBB98_404:
	s_mov_b64 s[6:7], 0
.LBB98_405:
	s_andn2_b64 vcc, exec, s[6:7]
	s_cbranch_vccnz .LBB98_407
; %bb.406:
	v_cvt_f16_f32_e32 v1, v0
	global_store_short v[2:3], v1, off
.LBB98_407:
	s_mov_b64 s[6:7], 0
.LBB98_408:
	s_andn2_b64 vcc, exec, s[6:7]
	s_cbranch_vccnz .LBB98_424
; %bb.409:
	s_cmp_lt_i32 s8, 2
	s_mov_b64 s[6:7], -1
	s_cbranch_scc1 .LBB98_419
; %bb.410:
	s_cmp_lt_i32 s8, 3
	s_cbranch_scc1 .LBB98_416
; %bb.411:
	s_cmp_gt_i32 s8, 3
	s_cbranch_scc0 .LBB98_413
; %bb.412:
	v_trunc_f32_e32 v1, v0
	s_mov_b32 s6, 0x2f800000
	v_mul_f32_e64 v4, |v1|, s6
	v_floor_f32_e32 v4, v4
	s_mov_b32 s6, 0xcf800000
	v_cvt_u32_f32_e32 v5, v4
	v_fma_f32 v4, v4, s6, |v1|
	v_cvt_u32_f32_e32 v4, v4
	v_ashrrev_i32_e32 v1, 31, v1
	v_xor_b32_e32 v5, v5, v1
	s_mov_b64 s[6:7], 0
	v_xor_b32_e32 v4, v4, v1
	v_sub_co_u32_e32 v4, vcc, v4, v1
	v_subb_co_u32_e32 v5, vcc, v5, v1, vcc
	global_store_dwordx2 v[2:3], v[4:5], off
.LBB98_413:
	s_andn2_b64 vcc, exec, s[6:7]
	s_cbranch_vccnz .LBB98_415
; %bb.414:
	v_cvt_i32_f32_e32 v1, v0
	global_store_dword v[2:3], v1, off
.LBB98_415:
	s_mov_b64 s[6:7], 0
.LBB98_416:
	s_andn2_b64 vcc, exec, s[6:7]
	s_cbranch_vccnz .LBB98_418
; %bb.417:
	v_cvt_i32_f32_e32 v1, v0
	global_store_short v[2:3], v1, off
.LBB98_418:
	s_mov_b64 s[6:7], 0
.LBB98_419:
	s_andn2_b64 vcc, exec, s[6:7]
	s_cbranch_vccnz .LBB98_424
; %bb.420:
	s_cmp_gt_i32 s8, 0
	s_mov_b64 s[6:7], -1
	s_cbranch_scc0 .LBB98_422
; %bb.421:
	v_cvt_i32_f32_e32 v1, v0
	s_mov_b64 s[6:7], 0
	global_store_byte v[2:3], v1, off
.LBB98_422:
	s_andn2_b64 vcc, exec, s[6:7]
	s_cbranch_vccnz .LBB98_424
; %bb.423:
	v_trunc_f32_e32 v0, v0
	s_mov_b32 s6, 0x2f800000
	v_mul_f32_e64 v1, |v0|, s6
	v_floor_f32_e32 v1, v1
	s_mov_b32 s6, 0xcf800000
	v_fma_f32 v1, v1, s6, |v0|
	v_cvt_u32_f32_e32 v1, v1
	v_ashrrev_i32_e32 v0, 31, v0
	v_xor_b32_e32 v1, v1, v0
	v_sub_u32_e32 v0, v1, v0
	global_store_byte v[2:3], v0, off
.LBB98_424:
	s_mov_b64 s[6:7], -1
.LBB98_425:
	s_andn2_b64 vcc, exec, s[6:7]
	s_cbranch_vccnz .LBB98_427
; %bb.426:
	v_add_u32_e32 v24, 0x80, v24
	s_mov_b64 s[6:7], -1
	s_branch .LBB98_428
.LBB98_427:
	s_mov_b64 s[6:7], 0
                                        ; implicit-def: $vgpr24
.LBB98_428:
	s_andn2_b64 s[8:9], s[78:79], exec
	s_and_b64 s[4:5], s[4:5], exec
	s_or_b64 s[84:85], s[8:9], s[4:5]
	s_orn2_b64 s[6:7], s[6:7], exec
.LBB98_429:
	s_or_b64 exec, exec, s[82:83]
	s_mov_b64 s[4:5], 0
	s_mov_b64 s[10:11], 0
                                        ; implicit-def: $sgpr14
                                        ; implicit-def: $vgpr2_vgpr3
                                        ; implicit-def: $vgpr0
	s_and_saveexec_b64 s[82:83], s[6:7]
	s_cbranch_execz .LBB98_524
; %bb.430:
	v_cmp_gt_i32_e32 vcc, s86, v24
	s_mov_b64 s[6:7], 0
	s_mov_b64 s[8:9], s[84:85]
                                        ; implicit-def: $sgpr14
                                        ; implicit-def: $vgpr2_vgpr3
                                        ; implicit-def: $vgpr0
	s_and_saveexec_b64 s[86:87], vcc
	s_cbranch_execz .LBB98_523
; %bb.431:
	s_andn2_b64 vcc, exec, s[60:61]
	s_cbranch_vccnz .LBB98_436
; %bb.432:
	s_andn2_b64 vcc, exec, s[72:73]
	s_cbranch_vccnz .LBB98_437
; %bb.433:
	s_add_i32 s91, s91, 1
	s_cmp_eq_u32 s88, 2
	s_cbranch_scc1 .LBB98_438
; %bb.434:
	s_and_b32 s26, s91, 28
	v_mov_b32_e32 v4, 0
	s_mov_b32 s27, 0
	s_mov_b64 s[24:25], s[56:57]
	v_mov_b32_e32 v22, 0
	v_mov_b32_e32 v0, v24
.LBB98_435:                             ; =>This Inner Loop Header: Depth=1
	s_load_dwordx8 s[12:19], s[24:25], 0x4
	s_load_dwordx4 s[20:23], s[24:25], 0x24
	s_load_dwordx8 s[4:11], s[70:71], 0x0
	s_add_u32 s24, s24, 48
	s_addc_u32 s25, s25, 0
	s_waitcnt lgkmcnt(0)
	v_mul_hi_u32 v1, s13, v0
	s_add_i32 s27, s27, 4
	s_add_u32 s70, s70, 32
	s_addc_u32 s71, s71, 0
	v_add_u32_e32 v1, v0, v1
	v_lshrrev_b32_e32 v1, s14, v1
	v_mul_lo_u32 v2, v1, s12
	v_mul_hi_u32 v3, s16, v1
	s_cmp_eq_u32 s26, s27
	v_sub_u32_e32 v0, v0, v2
	v_add_u32_e32 v2, v1, v3
	v_mul_lo_u32 v3, v0, s4
	v_mul_lo_u32 v5, v0, s5
	v_lshrrev_b32_e32 v0, s17, v2
	v_mul_lo_u32 v2, v0, s15
	v_mul_hi_u32 v6, s19, v0
	v_sub_u32_e32 v1, v1, v2
	v_add_u32_e32 v2, v0, v6
	v_lshrrev_b32_e32 v2, s20, v2
	v_mul_hi_u32 v7, s22, v2
	v_mul_lo_u32 v8, v2, s18
	v_mul_lo_u32 v6, v1, s6
	v_mul_lo_u32 v1, v1, s7
	v_sub_u32_e32 v8, v0, v8
	v_add_u32_e32 v0, v2, v7
	v_lshrrev_b32_e32 v0, s23, v0
	v_mul_lo_u32 v7, v0, s21
	v_mul_lo_u32 v9, v8, s8
	;; [unrolled: 1-line block ×3, first 2 shown]
	v_add3_u32 v3, v3, v22, v6
	v_sub_u32_e32 v2, v2, v7
	v_mul_lo_u32 v7, v2, s10
	v_mul_lo_u32 v2, v2, s11
	v_add3_u32 v1, v5, v4, v1
	v_add3_u32 v22, v9, v3, v7
	;; [unrolled: 1-line block ×3, first 2 shown]
	s_cbranch_scc0 .LBB98_435
	s_branch .LBB98_439
.LBB98_436:
	s_mov_b64 s[4:5], -1
                                        ; implicit-def: $vgpr22
                                        ; implicit-def: $vgpr4
	s_branch .LBB98_443
.LBB98_437:
	v_mov_b32_e32 v22, 0
	v_mov_b32_e32 v4, 0
	s_branch .LBB98_442
.LBB98_438:
	s_mov_b32 s26, 0
	v_mov_b32_e32 v22, 0
	v_mov_b32_e32 v4, 0
	;; [unrolled: 1-line block ×3, first 2 shown]
.LBB98_439:
	s_and_b32 s8, s91, 3
	s_cmp_eq_u32 s8, 0
	s_cbranch_scc1 .LBB98_442
; %bb.440:
	s_lshl_b32 s4, s26, 3
	s_add_u32 s4, s56, s4
	s_addc_u32 s5, s57, 0
	s_add_u32 s4, s4, 0xc4
	s_addc_u32 s5, s5, 0
	s_mul_i32 s6, s26, 12
	s_add_u32 s6, s56, s6
	s_addc_u32 s7, s57, 0
.LBB98_441:                             ; =>This Inner Loop Header: Depth=1
	s_load_dwordx2 s[10:11], s[6:7], 0x4
	s_load_dword s9, s[6:7], 0xc
	s_load_dwordx2 s[12:13], s[4:5], 0x0
	s_add_u32 s6, s6, 12
	s_addc_u32 s7, s7, 0
	s_waitcnt lgkmcnt(0)
	v_mul_hi_u32 v1, s11, v0
	s_add_u32 s4, s4, 8
	s_addc_u32 s5, s5, 0
	s_add_i32 s8, s8, -1
	v_add_u32_e32 v1, v0, v1
	v_lshrrev_b32_e32 v1, s9, v1
	v_mul_lo_u32 v2, v1, s10
	s_cmp_lg_u32 s8, 0
	v_sub_u32_e32 v0, v0, v2
	v_mad_u64_u32 v[22:23], s[10:11], v0, s12, v[22:23]
	v_mad_u64_u32 v[4:5], s[10:11], v0, s13, v[4:5]
	v_mov_b32_e32 v0, v1
	s_cbranch_scc1 .LBB98_441
.LBB98_442:
	s_mov_b64 s[4:5], 0
.LBB98_443:
	s_andn2_b64 vcc, exec, s[4:5]
	s_cbranch_vccnz .LBB98_446
; %bb.444:
	v_mul_hi_u32 v0, s49, v24
	s_andn2_b64 vcc, exec, s[68:69]
	v_add_u32_e32 v0, v24, v0
	v_lshrrev_b32_e32 v0, s50, v0
	v_mul_lo_u32 v1, v0, s48
	v_sub_u32_e32 v1, v24, v1
	v_mul_lo_u32 v22, v1, s52
	v_mul_lo_u32 v4, v1, s53
	s_cbranch_vccnz .LBB98_446
; %bb.445:
	v_mul_hi_u32 v1, s66, v0
	v_add_u32_e32 v1, v0, v1
	v_lshrrev_b32_e32 v1, s67, v1
	v_mul_lo_u32 v1, v1, s51
	v_sub_u32_e32 v0, v0, v1
	v_mad_u64_u32 v[22:23], s[4:5], v0, s54, v[22:23]
	v_mad_u64_u32 v[4:5], s[4:5], v0, s55, v[4:5]
.LBB98_446:
	s_getpc_b64 s[4:5]
	s_add_u32 s4, s4, _ZN2at6native6invokeIZZZNS0_21polygamma_kernel_cudaERNS_18TensorIteratorBaseElENKUlvE_clEvENKUlvE0_clEvEUlfE_j15function_traitsIS6_EEENT1_11result_typeERKT_PrKPcPKT0_PKN3c1010ScalarTypeEi@rel32@lo+4
	s_addc_u32 s5, s5, _ZN2at6native6invokeIZZZNS0_21polygamma_kernel_cudaERNS_18TensorIteratorBaseElENKUlvE_clEvENKUlvE0_clEvEUlfE_j15function_traitsIS6_EEENT1_11result_typeERKT_PrKPcPKT0_PKN3c1010ScalarTypeEi@rel32@hi+12
	v_mov_b32_e32 v0, s64
	v_mov_b32_e32 v1, s65
	;; [unrolled: 1-line block ×5, first 2 shown]
	s_swappc_b64 s[30:31], s[4:5]
	v_mov_b32_e32 v1, s37
	s_and_b32 s14, s89, 0xff
	v_add_co_u32_e32 v2, vcc, s36, v22
	s_cmp_lt_i32 s14, 11
	v_addc_co_u32_e32 v3, vcc, 0, v1, vcc
	s_cbranch_scc1 .LBB98_463
; %bb.447:
	s_and_b32 s15, 0xffff, s14
	s_mov_b64 s[8:9], -1
	s_cmp_gt_i32 s15, 25
	s_mov_b64 s[4:5], s[84:85]
	s_cbranch_scc0 .LBB98_481
; %bb.448:
	s_mov_b64 s[6:7], -1
	s_cmp_gt_i32 s15, 28
	s_mov_b64 s[4:5], s[84:85]
	s_cbranch_scc0 .LBB98_465
; %bb.449:
	s_cmp_gt_i32 s15, 43
	s_mov_b64 s[4:5], s[84:85]
	s_cbranch_scc0 .LBB98_460
; %bb.450:
	;; [unrolled: 4-line block ×3, first 2 shown]
	s_cmp_eq_u32 s15, 46
	s_mov_b64 s[4:5], -1
	s_cbranch_scc0 .LBB98_453
; %bb.452:
	v_bfe_u32 v1, v0, 16, 1
	s_movk_i32 s4, 0x7fff
	v_add3_u32 v1, v0, v1, s4
	v_cmp_o_f32_e32 vcc, v0, v0
	v_mov_b32_e32 v4, 0x7fc0
	v_cndmask_b32_sdwa v1, v4, v1, vcc dst_sel:DWORD dst_unused:UNUSED_PAD src0_sel:DWORD src1_sel:WORD_1
	global_store_dword v[2:3], v1, off
	s_mov_b64 s[4:5], 0
.LBB98_453:
	s_mov_b64 s[6:7], 0
.LBB98_454:
	s_and_b64 vcc, exec, s[6:7]
	s_cbranch_vccz .LBB98_459
; %bb.455:
	s_cmp_eq_u32 s15, 44
	s_mov_b64 s[4:5], -1
	s_cbranch_scc0 .LBB98_459
; %bb.456:
	v_bfe_u32 v1, v0, 23, 8
	s_movk_i32 s4, 0xff
	v_cmp_ne_u32_e32 vcc, s4, v1
	v_mov_b32_e32 v4, 0xff
	s_and_saveexec_b64 s[6:7], vcc
; %bb.457:
	s_mov_b32 s4, 0x3fffff
	v_and_b32_e32 v5, 0x400000, v0
	v_and_or_b32 v1, v0, s4, v1
	v_cmp_ne_u32_e32 vcc, 0, v5
	v_cmp_ne_u32_e64 s[4:5], 0, v1
	s_and_b64 s[4:5], vcc, s[4:5]
	v_lshrrev_b32_e32 v4, 23, v0
	v_cndmask_b32_e64 v1, 0, 1, s[4:5]
	v_add_u32_e32 v4, v4, v1
; %bb.458:
	s_or_b64 exec, exec, s[6:7]
	s_mov_b64 s[4:5], 0
	global_store_byte v[2:3], v4, off
.LBB98_459:
	s_mov_b64 s[6:7], 0
.LBB98_460:
	s_and_b64 vcc, exec, s[6:7]
	s_cbranch_vccz .LBB98_464
; %bb.461:
	s_cmp_eq_u32 s15, 29
	s_mov_b64 s[4:5], -1
	s_cbranch_scc0 .LBB98_464
; %bb.462:
	v_trunc_f32_e32 v1, v0
	v_mul_f32_e32 v4, 0x2f800000, v1
	v_floor_f32_e32 v4, v4
	v_fmac_f32_e32 v1, 0xcf800000, v4
	v_cvt_u32_f32_e32 v5, v4
	v_cvt_u32_f32_e32 v4, v1
	s_mov_b64 s[4:5], 0
	s_mov_b64 s[6:7], 0
	global_store_dwordx2 v[2:3], v[4:5], off
	s_branch .LBB98_465
.LBB98_463:
	s_mov_b64 s[8:9], 0
	s_mov_b64 s[6:7], -1
	s_mov_b64 s[4:5], s[84:85]
	s_branch .LBB98_522
.LBB98_464:
	s_mov_b64 s[6:7], 0
.LBB98_465:
	s_and_b64 vcc, exec, s[6:7]
	s_cbranch_vccz .LBB98_480
; %bb.466:
	s_cmp_lt_i32 s15, 27
	s_mov_b64 s[6:7], -1
	s_cbranch_scc1 .LBB98_472
; %bb.467:
	v_cvt_u32_f32_e32 v1, v0
	s_cmp_gt_i32 s15, 27
	s_cbranch_scc0 .LBB98_469
; %bb.468:
	s_mov_b64 s[6:7], 0
	global_store_dword v[2:3], v1, off
.LBB98_469:
	s_andn2_b64 vcc, exec, s[6:7]
	s_cbranch_vccnz .LBB98_471
; %bb.470:
	global_store_short v[2:3], v1, off
.LBB98_471:
	s_mov_b64 s[6:7], 0
.LBB98_472:
	s_andn2_b64 vcc, exec, s[6:7]
	s_cbranch_vccnz .LBB98_480
; %bb.473:
	v_and_b32_e32 v1, 0x7fffffff, v0
	s_mov_b32 s6, 0x43800000
	v_cmp_gt_u32_e32 vcc, s6, v1
	v_mov_b32_e32 v4, 0x80
	s_and_saveexec_b64 s[6:7], vcc
	s_cbranch_execz .LBB98_479
; %bb.474:
	s_mov_b32 s8, 0x3bffffff
	v_cmp_lt_u32_e32 vcc, s8, v1
	s_mov_b64 s[8:9], 0
                                        ; implicit-def: $vgpr1
	s_and_saveexec_b64 s[10:11], vcc
	s_xor_b64 s[10:11], exec, s[10:11]
	s_cbranch_execz .LBB98_1121
; %bb.475:
	v_bfe_u32 v1, v0, 20, 1
	s_mov_b32 s12, 0x487ffff
	v_add3_u32 v1, v0, v1, s12
	s_mov_b64 s[8:9], exec
	v_lshrrev_b32_e32 v1, 20, v1
	s_andn2_saveexec_b64 s[10:11], s[10:11]
	s_cbranch_execnz .LBB98_1122
.LBB98_476:
	s_or_b64 exec, exec, s[10:11]
	v_mov_b32_e32 v4, 0
	s_and_saveexec_b64 s[10:11], s[8:9]
.LBB98_477:
	v_lshrrev_b32_e32 v4, 24, v0
	s_movk_i32 s8, 0x80
	v_and_or_b32 v4, v4, s8, v1
.LBB98_478:
	s_or_b64 exec, exec, s[10:11]
.LBB98_479:
	s_or_b64 exec, exec, s[6:7]
	global_store_byte v[2:3], v4, off
.LBB98_480:
	s_mov_b64 s[8:9], 0
.LBB98_481:
	s_mov_b64 s[6:7], 0
	s_and_b64 vcc, exec, s[8:9]
	s_cbranch_vccz .LBB98_521
; %bb.482:
	s_cmp_gt_i32 s15, 22
	s_mov_b64 s[8:9], -1
	s_cbranch_scc0 .LBB98_514
; %bb.483:
	s_cmp_lt_i32 s15, 24
	s_cbranch_scc1 .LBB98_503
; %bb.484:
	s_cmp_gt_i32 s15, 24
	s_cbranch_scc0 .LBB98_492
; %bb.485:
	v_and_b32_e32 v1, 0x7fffffff, v0
	s_mov_b32 s8, 0x47800000
	v_cmp_gt_u32_e32 vcc, s8, v1
	v_mov_b32_e32 v4, 0x80
	s_and_saveexec_b64 s[8:9], vcc
	s_cbranch_execz .LBB98_491
; %bb.486:
	s_mov_b32 s10, 0x37ffffff
	v_cmp_lt_u32_e32 vcc, s10, v1
	s_mov_b64 s[10:11], 0
                                        ; implicit-def: $vgpr1
	s_and_saveexec_b64 s[12:13], vcc
	s_xor_b64 s[12:13], exec, s[12:13]
	s_cbranch_execz .LBB98_1125
; %bb.487:
	v_bfe_u32 v1, v0, 21, 1
	s_mov_b32 s16, 0x88fffff
	v_add3_u32 v1, v0, v1, s16
	s_mov_b64 s[10:11], exec
	v_lshrrev_b32_e32 v1, 21, v1
	s_andn2_saveexec_b64 s[12:13], s[12:13]
	s_cbranch_execnz .LBB98_1126
.LBB98_488:
	s_or_b64 exec, exec, s[12:13]
	v_mov_b32_e32 v4, 0
	s_and_saveexec_b64 s[12:13], s[10:11]
.LBB98_489:
	v_lshrrev_b32_e32 v4, 24, v0
	s_movk_i32 s10, 0x80
	v_and_or_b32 v4, v4, s10, v1
.LBB98_490:
	s_or_b64 exec, exec, s[12:13]
.LBB98_491:
	s_or_b64 exec, exec, s[8:9]
	s_mov_b64 s[8:9], 0
	global_store_byte v[2:3], v4, off
.LBB98_492:
	s_and_b64 vcc, exec, s[8:9]
	s_cbranch_vccz .LBB98_502
; %bb.493:
	v_and_b32_e32 v4, 0x7fffffff, v0
	s_mov_b32 s8, 0x43f00000
	v_cmp_gt_u32_e32 vcc, s8, v4
                                        ; implicit-def: $vgpr1
	s_and_saveexec_b64 s[8:9], vcc
	s_xor_b64 s[8:9], exec, s[8:9]
	s_cbranch_execz .LBB98_499
; %bb.494:
	s_mov_b32 s10, 0x3c7fffff
	v_cmp_lt_u32_e32 vcc, s10, v4
                                        ; implicit-def: $vgpr1
	s_and_saveexec_b64 s[10:11], vcc
	s_xor_b64 s[10:11], exec, s[10:11]
; %bb.495:
	v_bfe_u32 v1, v0, 20, 1
	s_mov_b32 s12, 0x407ffff
	v_add3_u32 v1, v0, v1, s12
	v_lshrrev_b32_e32 v4, 20, v1
	v_and_b32_e32 v1, 0xff00000, v1
	s_mov_b32 s12, 0x7f00000
	v_mov_b32_e32 v5, 0x7e
	v_cmp_ne_u32_e32 vcc, s12, v1
	v_cndmask_b32_e32 v1, v5, v4, vcc
; %bb.496:
	s_andn2_saveexec_b64 s[10:11], s[10:11]
; %bb.497:
	s_mov_b32 s12, 0x46800000
	v_add_f32_e64 v1, |v0|, s12
; %bb.498:
	s_or_b64 exec, exec, s[10:11]
                                        ; implicit-def: $vgpr4
.LBB98_499:
	s_andn2_saveexec_b64 s[8:9], s[8:9]
; %bb.500:
	s_mov_b32 s10, 0x7f800000
	v_mov_b32_e32 v1, 0x7e
	v_mov_b32_e32 v5, 0x7f
	v_cmp_lt_u32_e32 vcc, s10, v4
	v_cndmask_b32_e32 v1, v1, v5, vcc
; %bb.501:
	s_or_b64 exec, exec, s[8:9]
	v_lshrrev_b32_e32 v4, 24, v0
	s_movk_i32 s8, 0x80
	v_and_or_b32 v1, v4, s8, v1
	global_store_byte v[2:3], v1, off
.LBB98_502:
	s_mov_b64 s[8:9], 0
.LBB98_503:
	s_andn2_b64 vcc, exec, s[8:9]
	s_cbranch_vccnz .LBB98_513
; %bb.504:
	v_and_b32_e32 v4, 0x7fffffff, v0
	s_mov_b32 s8, 0x47800000
	v_cmp_gt_u32_e32 vcc, s8, v4
                                        ; implicit-def: $vgpr1
	s_and_saveexec_b64 s[8:9], vcc
	s_xor_b64 s[8:9], exec, s[8:9]
	s_cbranch_execz .LBB98_510
; %bb.505:
	s_mov_b32 s10, 0x387fffff
	v_cmp_lt_u32_e32 vcc, s10, v4
                                        ; implicit-def: $vgpr1
	s_and_saveexec_b64 s[10:11], vcc
	s_xor_b64 s[10:11], exec, s[10:11]
; %bb.506:
	v_bfe_u32 v1, v0, 21, 1
	s_mov_b32 s12, 0x80fffff
	v_add3_u32 v1, v0, v1, s12
	v_lshrrev_b32_e32 v1, 21, v1
; %bb.507:
	s_andn2_saveexec_b64 s[10:11], s[10:11]
; %bb.508:
	s_mov_b32 s12, 0x43000000
	v_add_f32_e64 v1, |v0|, s12
; %bb.509:
	s_or_b64 exec, exec, s[10:11]
                                        ; implicit-def: $vgpr4
.LBB98_510:
	s_andn2_saveexec_b64 s[8:9], s[8:9]
; %bb.511:
	s_mov_b32 s10, 0x7f800000
	v_mov_b32_e32 v1, 0x7c
	v_mov_b32_e32 v5, 0x7f
	v_cmp_lt_u32_e32 vcc, s10, v4
	v_cndmask_b32_e32 v1, v1, v5, vcc
; %bb.512:
	s_or_b64 exec, exec, s[8:9]
	v_lshrrev_b32_e32 v4, 24, v0
	s_movk_i32 s8, 0x80
	v_and_or_b32 v1, v4, s8, v1
	global_store_byte v[2:3], v1, off
.LBB98_513:
	s_mov_b64 s[8:9], 0
.LBB98_514:
	s_andn2_b64 vcc, exec, s[8:9]
	s_mov_b64 s[8:9], 0
	s_cbranch_vccnz .LBB98_522
; %bb.515:
	s_cmp_gt_i32 s15, 14
	s_mov_b64 s[10:11], -1
	s_cbranch_scc0 .LBB98_519
; %bb.516:
	s_cmp_eq_u32 s15, 15
	s_mov_b64 s[4:5], -1
	s_cbranch_scc0 .LBB98_518
; %bb.517:
	v_bfe_u32 v1, v0, 16, 1
	s_movk_i32 s4, 0x7fff
	v_add3_u32 v1, v0, v1, s4
	v_cmp_o_f32_e32 vcc, v0, v0
	v_mov_b32_e32 v4, 0x7fc0
	v_cndmask_b32_sdwa v1, v4, v1, vcc dst_sel:DWORD dst_unused:UNUSED_PAD src0_sel:DWORD src1_sel:WORD_1
	global_store_short v[2:3], v1, off
	s_mov_b64 s[4:5], 0
.LBB98_518:
	s_mov_b64 s[10:11], 0
.LBB98_519:
	s_and_b64 vcc, exec, s[10:11]
	s_cbranch_vccz .LBB98_522
; %bb.520:
	s_cmp_lg_u32 s15, 11
	s_cselect_b64 s[10:11], -1, 0
	s_andn2_b64 s[4:5], s[4:5], exec
	s_and_b64 s[10:11], s[10:11], exec
	s_mov_b64 s[8:9], -1
	s_or_b64 s[4:5], s[4:5], s[10:11]
	s_branch .LBB98_522
.LBB98_521:
	s_mov_b64 s[8:9], 0
.LBB98_522:
	s_and_b64 s[10:11], s[6:7], exec
	s_and_b64 s[6:7], s[8:9], exec
	s_andn2_b64 s[8:9], s[84:85], exec
	s_and_b64 s[4:5], s[4:5], exec
	s_or_b64 s[8:9], s[8:9], s[4:5]
.LBB98_523:
	s_or_b64 exec, exec, s[86:87]
	s_and_b64 s[4:5], s[6:7], exec
	s_andn2_b64 s[6:7], s[84:85], exec
	s_and_b64 s[8:9], s[8:9], exec
	s_and_b64 s[10:11], s[10:11], exec
	s_or_b64 s[84:85], s[6:7], s[8:9]
.LBB98_524:
	s_or_b64 exec, exec, s[82:83]
	s_and_b64 s[6:7], s[10:11], exec
	s_andn2_b64 s[8:9], s[78:79], exec
	s_and_b64 s[10:11], s[84:85], exec
	s_and_b64 s[4:5], s[4:5], exec
	s_or_b64 s[78:79], s[8:9], s[10:11]
.LBB98_525:
	s_or_b64 exec, exec, s[80:81]
	s_and_b64 s[80:81], s[4:5], exec
	s_andn2_b64 s[4:5], s[74:75], exec
	s_and_b64 s[8:9], s[78:79], exec
	s_and_b64 s[6:7], s[6:7], exec
	s_or_b64 s[74:75], s[4:5], s[8:9]
	s_or_b64 exec, exec, s[76:77]
	s_mov_b64 s[4:5], 0
	s_and_saveexec_b64 s[8:9], s[74:75]
	s_cbranch_execz .LBB98_146
.LBB98_526:
	s_mov_b64 s[4:5], exec
	s_andn2_b64 s[80:81], s[80:81], exec
	s_trap 2
	s_or_b64 exec, exec, s[8:9]
	s_and_saveexec_b64 s[8:9], s[80:81]
	s_xor_b64 s[8:9], exec, s[8:9]
	s_cbranch_execnz .LBB98_147
.LBB98_527:
	s_or_b64 exec, exec, s[8:9]
	s_and_saveexec_b64 s[8:9], s[6:7]
	s_xor_b64 s[6:7], exec, s[8:9]
	s_cbranch_execz .LBB98_565
.LBB98_528:
	s_sext_i32_i16 s10, s14
	s_cmp_lt_i32 s10, 5
	s_mov_b64 s[8:9], -1
	s_cbranch_scc1 .LBB98_549
; %bb.529:
	s_cmp_lt_i32 s10, 8
	s_cbranch_scc1 .LBB98_539
; %bb.530:
	s_cmp_lt_i32 s10, 9
	s_cbranch_scc1 .LBB98_536
; %bb.531:
	s_cmp_gt_i32 s10, 9
	s_cbranch_scc0 .LBB98_533
; %bb.532:
	v_cvt_f64_f32_e32 v[4:5], v0
	v_mov_b32_e32 v6, 0
	v_mov_b32_e32 v7, v6
	s_mov_b64 s[8:9], 0
	global_store_dwordx4 v[2:3], v[4:7], off
.LBB98_533:
	s_andn2_b64 vcc, exec, s[8:9]
	s_cbranch_vccnz .LBB98_535
; %bb.534:
	v_mov_b32_e32 v1, 0
	global_store_dwordx2 v[2:3], v[0:1], off
.LBB98_535:
	s_mov_b64 s[8:9], 0
.LBB98_536:
	s_andn2_b64 vcc, exec, s[8:9]
	s_cbranch_vccnz .LBB98_538
; %bb.537:
	v_cvt_f16_f32_e32 v1, v0
	global_store_dword v[2:3], v1, off
.LBB98_538:
	s_mov_b64 s[8:9], 0
.LBB98_539:
	s_andn2_b64 vcc, exec, s[8:9]
	s_cbranch_vccnz .LBB98_548
; %bb.540:
	s_sext_i32_i16 s10, s14
	s_cmp_lt_i32 s10, 6
	s_mov_b64 s[8:9], -1
	s_cbranch_scc1 .LBB98_546
; %bb.541:
	s_cmp_gt_i32 s10, 6
	s_cbranch_scc0 .LBB98_543
; %bb.542:
	v_cvt_f64_f32_e32 v[4:5], v0
	s_mov_b64 s[8:9], 0
	global_store_dwordx2 v[2:3], v[4:5], off
.LBB98_543:
	s_andn2_b64 vcc, exec, s[8:9]
	s_cbranch_vccnz .LBB98_545
; %bb.544:
	global_store_dword v[2:3], v0, off
.LBB98_545:
	s_mov_b64 s[8:9], 0
.LBB98_546:
	s_andn2_b64 vcc, exec, s[8:9]
	s_cbranch_vccnz .LBB98_548
; %bb.547:
	v_cvt_f16_f32_e32 v1, v0
	global_store_short v[2:3], v1, off
.LBB98_548:
	s_mov_b64 s[8:9], 0
.LBB98_549:
	s_andn2_b64 vcc, exec, s[8:9]
	s_cbranch_vccnz .LBB98_565
; %bb.550:
	s_sext_i32_i16 s10, s14
	s_cmp_lt_i32 s10, 2
	s_mov_b64 s[8:9], -1
	s_cbranch_scc1 .LBB98_560
; %bb.551:
	s_cmp_lt_i32 s10, 3
	s_cbranch_scc1 .LBB98_557
; %bb.552:
	s_cmp_gt_i32 s10, 3
	s_cbranch_scc0 .LBB98_554
; %bb.553:
	v_trunc_f32_e32 v1, v0
	s_mov_b32 s8, 0x2f800000
	v_mul_f32_e64 v4, |v1|, s8
	v_floor_f32_e32 v4, v4
	s_mov_b32 s8, 0xcf800000
	v_cvt_u32_f32_e32 v5, v4
	v_fma_f32 v4, v4, s8, |v1|
	v_cvt_u32_f32_e32 v4, v4
	v_ashrrev_i32_e32 v1, 31, v1
	v_xor_b32_e32 v5, v5, v1
	s_mov_b64 s[8:9], 0
	v_xor_b32_e32 v4, v4, v1
	v_sub_co_u32_e32 v4, vcc, v4, v1
	v_subb_co_u32_e32 v5, vcc, v5, v1, vcc
	global_store_dwordx2 v[2:3], v[4:5], off
.LBB98_554:
	s_andn2_b64 vcc, exec, s[8:9]
	s_cbranch_vccnz .LBB98_556
; %bb.555:
	v_cvt_i32_f32_e32 v1, v0
	global_store_dword v[2:3], v1, off
.LBB98_556:
	s_mov_b64 s[8:9], 0
.LBB98_557:
	s_andn2_b64 vcc, exec, s[8:9]
	s_cbranch_vccnz .LBB98_559
; %bb.558:
	v_cvt_i32_f32_e32 v1, v0
	global_store_short v[2:3], v1, off
.LBB98_559:
	s_mov_b64 s[8:9], 0
.LBB98_560:
	s_andn2_b64 vcc, exec, s[8:9]
	s_cbranch_vccnz .LBB98_565
; %bb.561:
	s_sext_i32_i16 s8, s14
	s_cmp_gt_i32 s8, 0
	s_mov_b64 s[8:9], -1
	s_cbranch_scc0 .LBB98_563
; %bb.562:
	v_cvt_i32_f32_e32 v1, v0
	s_mov_b64 s[8:9], 0
	global_store_byte v[2:3], v1, off
.LBB98_563:
	s_andn2_b64 vcc, exec, s[8:9]
	s_cbranch_vccnz .LBB98_565
; %bb.564:
	v_trunc_f32_e32 v0, v0
	s_mov_b32 s8, 0x2f800000
	v_mul_f32_e64 v1, |v0|, s8
	v_floor_f32_e32 v1, v1
	s_mov_b32 s8, 0xcf800000
	v_fma_f32 v1, v1, s8, |v0|
	v_cvt_u32_f32_e32 v1, v1
	v_ashrrev_i32_e32 v0, 31, v0
	v_xor_b32_e32 v1, v1, v0
	v_sub_u32_e32 v0, v1, v0
	global_store_byte v[2:3], v0, off
.LBB98_565:
	s_or_b64 exec, exec, s[6:7]
	s_and_b64 s[48:49], s[4:5], exec
                                        ; implicit-def: $vgpr1
                                        ; implicit-def: $vgpr24
.LBB98_566:
	s_or_saveexec_b64 s[50:51], s[62:63]
	s_mov_b64 s[4:5], 0
                                        ; implicit-def: $sgpr16
                                        ; implicit-def: $vgpr2_vgpr3
                                        ; implicit-def: $vgpr0
	s_xor_b64 exec, exec, s[50:51]
	s_cbranch_execz .LBB98_1055
; %bb.567:
	v_cndmask_b32_e64 v0, 0, 1, s[60:61]
	v_cmp_ne_u32_e64 s[4:5], 1, v0
	s_andn2_b64 vcc, exec, s[60:61]
	s_cbranch_vccnz .LBB98_573
; %bb.568:
	s_cmp_lg_u32 s33, 0
	s_mov_b32 s30, 0
	s_cbranch_scc0 .LBB98_574
; %bb.569:
	s_min_u32 s31, s88, 15
	s_add_i32 s31, s31, 1
	s_cmp_eq_u32 s88, 2
	s_cbranch_scc1 .LBB98_575
; %bb.570:
	s_and_b32 s30, s31, 28
	s_add_u32 s6, s56, 0xc4
	s_addc_u32 s7, s57, 0
	v_mov_b32_e32 v4, 0
	s_mov_b32 s36, 0
	s_mov_b64 s[28:29], s[56:57]
	v_mov_b32_e32 v34, 0
	v_mov_b32_e32 v0, v24
.LBB98_571:                             ; =>This Inner Loop Header: Depth=1
	s_load_dwordx8 s[16:23], s[28:29], 0x4
	s_load_dwordx4 s[24:27], s[28:29], 0x24
	s_load_dwordx8 s[8:15], s[6:7], 0x0
	s_add_u32 s28, s28, 48
	s_addc_u32 s29, s29, 0
	s_waitcnt lgkmcnt(0)
	v_mul_hi_u32 v2, s17, v0
	s_add_i32 s36, s36, 4
	s_add_u32 s6, s6, 32
	s_addc_u32 s7, s7, 0
	v_add_u32_e32 v2, v0, v2
	v_lshrrev_b32_e32 v2, s18, v2
	v_mul_lo_u32 v3, v2, s16
	v_mul_hi_u32 v5, s20, v2
	s_cmp_lg_u32 s30, s36
	v_sub_u32_e32 v0, v0, v3
	v_add_u32_e32 v3, v2, v5
	v_mul_lo_u32 v5, v0, s8
	v_mul_lo_u32 v6, v0, s9
	v_lshrrev_b32_e32 v0, s21, v3
	v_mul_lo_u32 v3, v0, s19
	v_mul_hi_u32 v7, s23, v0
	v_sub_u32_e32 v2, v2, v3
	v_add_u32_e32 v3, v0, v7
	v_lshrrev_b32_e32 v3, s24, v3
	v_mul_hi_u32 v8, s26, v3
	v_mul_lo_u32 v9, v3, s22
	v_mul_lo_u32 v7, v2, s10
	;; [unrolled: 1-line block ×3, first 2 shown]
	v_sub_u32_e32 v9, v0, v9
	v_add_u32_e32 v0, v3, v8
	v_lshrrev_b32_e32 v0, s27, v0
	v_mul_lo_u32 v8, v0, s25
	v_mul_lo_u32 v10, v9, s12
	;; [unrolled: 1-line block ×3, first 2 shown]
	v_add3_u32 v5, v5, v34, v7
	v_sub_u32_e32 v3, v3, v8
	v_mul_lo_u32 v8, v3, s14
	v_mul_lo_u32 v3, v3, s15
	v_add3_u32 v2, v6, v4, v2
	v_add3_u32 v34, v10, v5, v8
	;; [unrolled: 1-line block ×3, first 2 shown]
	s_cbranch_scc1 .LBB98_571
; %bb.572:
	s_and_b32 s10, s31, 3
	s_cmp_eq_u32 s10, 0
	s_cbranch_scc0 .LBB98_576
	s_branch .LBB98_578
.LBB98_573:
                                        ; implicit-def: $vgpr34
                                        ; implicit-def: $vgpr4
	s_branch .LBB98_579
.LBB98_574:
	v_mov_b32_e32 v34, 0
	v_mov_b32_e32 v4, 0
	s_branch .LBB98_578
.LBB98_575:
	v_mov_b32_e32 v34, 0
	v_mov_b32_e32 v4, 0
	;; [unrolled: 1-line block ×3, first 2 shown]
	s_and_b32 s10, s31, 3
	s_cmp_eq_u32 s10, 0
	s_cbranch_scc1 .LBB98_578
.LBB98_576:
	s_lshl_b32 s6, s30, 3
	s_add_u32 s6, s56, s6
	s_addc_u32 s7, s57, 0
	s_add_u32 s6, s6, 0xc4
	s_addc_u32 s7, s7, 0
	s_mul_i32 s8, s30, 12
	s_add_u32 s8, s56, s8
	s_addc_u32 s9, s57, 0
.LBB98_577:                             ; =>This Inner Loop Header: Depth=1
	s_load_dwordx2 s[12:13], s[8:9], 0x4
	s_load_dword s11, s[8:9], 0xc
	s_load_dwordx2 s[14:15], s[6:7], 0x0
	s_add_u32 s8, s8, 12
	s_addc_u32 s9, s9, 0
	s_waitcnt lgkmcnt(0)
	v_mul_hi_u32 v2, s13, v0
	s_add_u32 s6, s6, 8
	s_addc_u32 s7, s7, 0
	s_add_i32 s10, s10, -1
	v_add_u32_e32 v2, v0, v2
	v_lshrrev_b32_e32 v2, s11, v2
	v_mul_lo_u32 v3, v2, s12
	s_cmp_lg_u32 s10, 0
	v_sub_u32_e32 v0, v0, v3
	v_mad_u64_u32 v[34:35], s[12:13], v0, s14, v[34:35]
	v_mad_u64_u32 v[4:5], s[12:13], v0, s15, v[4:5]
	v_mov_b32_e32 v0, v2
	s_cbranch_scc1 .LBB98_577
.LBB98_578:
	s_cbranch_execnz .LBB98_581
.LBB98_579:
	s_load_dwordx4 s[8:11], s[56:57], 0x4
	s_load_dwordx2 s[6:7], s[56:57], 0xc4
	s_cmp_lt_u32 s33, 2
	s_waitcnt lgkmcnt(0)
	v_mul_hi_u32 v0, s9, v24
	v_add_u32_e32 v0, v24, v0
	v_lshrrev_b32_e32 v0, s10, v0
	v_mul_lo_u32 v2, v0, s8
	v_sub_u32_e32 v2, v24, v2
	v_mul_lo_u32 v34, v2, s6
	v_mul_lo_u32 v4, v2, s7
	s_cbranch_scc1 .LBB98_581
; %bb.580:
	s_load_dwordx4 s[8:11], s[56:57], 0x10
	s_load_dwordx2 s[6:7], s[56:57], 0xcc
	s_waitcnt lgkmcnt(0)
	v_mul_hi_u32 v2, s9, v0
	v_add_u32_e32 v2, v0, v2
	v_lshrrev_b32_e32 v2, s10, v2
	v_mul_lo_u32 v2, v2, s8
	v_sub_u32_e32 v0, v0, v2
	v_mad_u64_u32 v[34:35], s[8:9], v0, s6, v[34:35]
	v_mad_u64_u32 v[4:5], s[6:7], v0, s7, v[4:5]
.LBB98_581:
	s_and_b64 vcc, exec, s[4:5]
	v_add_u32_e32 v0, 0x80, v24
	s_cbranch_vccnz .LBB98_587
; %bb.582:
	s_cmp_lg_u32 s33, 0
	s_mov_b32 s30, 0
	s_cbranch_scc0 .LBB98_588
; %bb.583:
	s_min_u32 s31, s88, 15
	s_add_i32 s31, s31, 1
	s_cmp_eq_u32 s88, 2
	s_cbranch_scc1 .LBB98_589
; %bb.584:
	s_and_b32 s30, s31, 28
	s_add_u32 s6, s56, 0xc4
	s_addc_u32 s7, s57, 0
	v_mov_b32_e32 v22, 0
	s_mov_b32 s36, 0
	s_mov_b64 s[28:29], s[56:57]
	v_mov_b32_e32 v32, 0
	v_mov_b32_e32 v2, v0
.LBB98_585:                             ; =>This Inner Loop Header: Depth=1
	s_load_dwordx8 s[16:23], s[28:29], 0x4
	s_load_dwordx4 s[24:27], s[28:29], 0x24
	s_load_dwordx8 s[8:15], s[6:7], 0x0
	s_add_u32 s28, s28, 48
	s_addc_u32 s29, s29, 0
	s_waitcnt lgkmcnt(0)
	v_mul_hi_u32 v3, s17, v2
	s_add_i32 s36, s36, 4
	s_add_u32 s6, s6, 32
	s_addc_u32 s7, s7, 0
	v_add_u32_e32 v3, v2, v3
	v_lshrrev_b32_e32 v3, s18, v3
	v_mul_lo_u32 v5, v3, s16
	v_mul_hi_u32 v6, s20, v3
	s_cmp_lg_u32 s30, s36
	v_sub_u32_e32 v2, v2, v5
	v_add_u32_e32 v5, v3, v6
	v_mul_lo_u32 v6, v2, s8
	v_mul_lo_u32 v7, v2, s9
	v_lshrrev_b32_e32 v2, s21, v5
	v_mul_lo_u32 v5, v2, s19
	v_mul_hi_u32 v8, s23, v2
	v_sub_u32_e32 v3, v3, v5
	v_add_u32_e32 v5, v2, v8
	v_lshrrev_b32_e32 v5, s24, v5
	v_mul_hi_u32 v9, s26, v5
	v_mul_lo_u32 v10, v5, s22
	v_mul_lo_u32 v8, v3, s10
	;; [unrolled: 1-line block ×3, first 2 shown]
	v_sub_u32_e32 v10, v2, v10
	v_add_u32_e32 v2, v5, v9
	v_lshrrev_b32_e32 v2, s27, v2
	v_mul_lo_u32 v9, v2, s25
	v_mul_lo_u32 v11, v10, s12
	;; [unrolled: 1-line block ×3, first 2 shown]
	v_add3_u32 v6, v6, v32, v8
	v_sub_u32_e32 v5, v5, v9
	v_mul_lo_u32 v9, v5, s14
	v_mul_lo_u32 v5, v5, s15
	v_add3_u32 v3, v7, v22, v3
	v_add3_u32 v32, v11, v6, v9
	;; [unrolled: 1-line block ×3, first 2 shown]
	s_cbranch_scc1 .LBB98_585
; %bb.586:
	s_and_b32 s10, s31, 3
	s_cmp_eq_u32 s10, 0
	s_cbranch_scc0 .LBB98_590
	s_branch .LBB98_592
.LBB98_587:
                                        ; implicit-def: $vgpr32
                                        ; implicit-def: $vgpr22
	s_branch .LBB98_593
.LBB98_588:
	v_mov_b32_e32 v32, 0
	v_mov_b32_e32 v22, 0
	s_branch .LBB98_592
.LBB98_589:
	v_mov_b32_e32 v32, 0
	v_mov_b32_e32 v22, 0
	;; [unrolled: 1-line block ×3, first 2 shown]
	s_and_b32 s10, s31, 3
	s_cmp_eq_u32 s10, 0
	s_cbranch_scc1 .LBB98_592
.LBB98_590:
	s_lshl_b32 s6, s30, 3
	s_add_u32 s6, s56, s6
	s_addc_u32 s7, s57, 0
	s_add_u32 s6, s6, 0xc4
	s_addc_u32 s7, s7, 0
	s_mul_i32 s8, s30, 12
	s_add_u32 s8, s56, s8
	s_addc_u32 s9, s57, 0
.LBB98_591:                             ; =>This Inner Loop Header: Depth=1
	s_load_dwordx2 s[12:13], s[8:9], 0x4
	s_load_dword s11, s[8:9], 0xc
	s_load_dwordx2 s[14:15], s[6:7], 0x0
	s_add_u32 s8, s8, 12
	s_addc_u32 s9, s9, 0
	s_waitcnt lgkmcnt(0)
	v_mul_hi_u32 v3, s13, v2
	s_add_u32 s6, s6, 8
	s_addc_u32 s7, s7, 0
	s_add_i32 s10, s10, -1
	v_add_u32_e32 v3, v2, v3
	v_lshrrev_b32_e32 v3, s11, v3
	v_mul_lo_u32 v5, v3, s12
	s_cmp_lg_u32 s10, 0
	v_sub_u32_e32 v2, v2, v5
	v_mad_u64_u32 v[32:33], s[12:13], v2, s14, v[32:33]
	v_mad_u64_u32 v[22:23], s[12:13], v2, s15, v[22:23]
	v_mov_b32_e32 v2, v3
	s_cbranch_scc1 .LBB98_591
.LBB98_592:
	s_cbranch_execnz .LBB98_595
.LBB98_593:
	s_load_dwordx4 s[8:11], s[56:57], 0x4
	s_load_dwordx2 s[6:7], s[56:57], 0xc4
	s_cmp_lt_u32 s33, 2
	s_waitcnt lgkmcnt(0)
	v_mul_hi_u32 v2, s9, v0
	v_add_u32_e32 v2, v0, v2
	v_lshrrev_b32_e32 v2, s10, v2
	v_mul_lo_u32 v3, v2, s8
	v_sub_u32_e32 v0, v0, v3
	v_mul_lo_u32 v32, v0, s6
	v_mul_lo_u32 v22, v0, s7
	s_cbranch_scc1 .LBB98_595
; %bb.594:
	s_load_dwordx4 s[8:11], s[56:57], 0x10
	s_load_dwordx2 s[6:7], s[56:57], 0xcc
	s_waitcnt lgkmcnt(0)
	v_mul_hi_u32 v0, s9, v2
	v_add_u32_e32 v0, v2, v0
	v_lshrrev_b32_e32 v0, s10, v0
	v_mul_lo_u32 v0, v0, s8
	v_sub_u32_e32 v0, v2, v0
	v_mad_u64_u32 v[32:33], s[8:9], v0, s6, v[32:33]
	v_mad_u64_u32 v[22:23], s[6:7], v0, s7, v[22:23]
.LBB98_595:
	s_and_b64 vcc, exec, s[4:5]
	v_add_u32_e32 v0, 0x100, v24
	s_cbranch_vccnz .LBB98_601
; %bb.596:
	s_cmp_lg_u32 s33, 0
	s_mov_b32 s30, 0
	s_cbranch_scc0 .LBB98_602
; %bb.597:
	s_min_u32 s31, s88, 15
	s_add_i32 s31, s31, 1
	s_cmp_eq_u32 s88, 2
	s_cbranch_scc1 .LBB98_603
; %bb.598:
	s_and_b32 s30, s31, 28
	s_add_u32 s6, s56, 0xc4
	s_addc_u32 s7, s57, 0
	v_mov_b32_e32 v25, 0
	s_mov_b32 s36, 0
	s_mov_b64 s[28:29], s[56:57]
	v_mov_b32_e32 v30, 0
	v_mov_b32_e32 v2, v0
.LBB98_599:                             ; =>This Inner Loop Header: Depth=1
	s_load_dwordx8 s[16:23], s[28:29], 0x4
	s_load_dwordx4 s[24:27], s[28:29], 0x24
	s_load_dwordx8 s[8:15], s[6:7], 0x0
	s_add_u32 s28, s28, 48
	s_addc_u32 s29, s29, 0
	s_waitcnt lgkmcnt(0)
	v_mul_hi_u32 v3, s17, v2
	s_add_i32 s36, s36, 4
	s_add_u32 s6, s6, 32
	s_addc_u32 s7, s7, 0
	v_add_u32_e32 v3, v2, v3
	v_lshrrev_b32_e32 v3, s18, v3
	v_mul_lo_u32 v5, v3, s16
	v_mul_hi_u32 v6, s20, v3
	s_cmp_lg_u32 s30, s36
	v_sub_u32_e32 v2, v2, v5
	v_add_u32_e32 v5, v3, v6
	v_mul_lo_u32 v6, v2, s8
	v_mul_lo_u32 v7, v2, s9
	v_lshrrev_b32_e32 v2, s21, v5
	v_mul_lo_u32 v5, v2, s19
	v_mul_hi_u32 v8, s23, v2
	v_sub_u32_e32 v3, v3, v5
	v_add_u32_e32 v5, v2, v8
	v_lshrrev_b32_e32 v5, s24, v5
	v_mul_hi_u32 v9, s26, v5
	v_mul_lo_u32 v10, v5, s22
	v_mul_lo_u32 v8, v3, s10
	;; [unrolled: 1-line block ×3, first 2 shown]
	v_sub_u32_e32 v10, v2, v10
	v_add_u32_e32 v2, v5, v9
	v_lshrrev_b32_e32 v2, s27, v2
	v_mul_lo_u32 v9, v2, s25
	v_mul_lo_u32 v11, v10, s12
	;; [unrolled: 1-line block ×3, first 2 shown]
	v_add3_u32 v6, v6, v30, v8
	v_sub_u32_e32 v5, v5, v9
	v_mul_lo_u32 v9, v5, s14
	v_mul_lo_u32 v5, v5, s15
	v_add3_u32 v3, v7, v25, v3
	v_add3_u32 v30, v11, v6, v9
	v_add3_u32 v25, v10, v3, v5
	s_cbranch_scc1 .LBB98_599
; %bb.600:
	s_and_b32 s10, s31, 3
	s_cmp_eq_u32 s10, 0
	s_cbranch_scc0 .LBB98_604
	s_branch .LBB98_606
.LBB98_601:
                                        ; implicit-def: $vgpr30
                                        ; implicit-def: $vgpr25
	s_branch .LBB98_607
.LBB98_602:
	v_mov_b32_e32 v30, 0
	v_mov_b32_e32 v25, 0
	s_branch .LBB98_606
.LBB98_603:
	v_mov_b32_e32 v30, 0
	v_mov_b32_e32 v25, 0
	;; [unrolled: 1-line block ×3, first 2 shown]
	s_and_b32 s10, s31, 3
	s_cmp_eq_u32 s10, 0
	s_cbranch_scc1 .LBB98_606
.LBB98_604:
	s_lshl_b32 s6, s30, 3
	s_add_u32 s6, s56, s6
	s_addc_u32 s7, s57, 0
	s_add_u32 s6, s6, 0xc4
	s_addc_u32 s7, s7, 0
	s_mul_i32 s8, s30, 12
	s_add_u32 s8, s56, s8
	s_addc_u32 s9, s57, 0
.LBB98_605:                             ; =>This Inner Loop Header: Depth=1
	s_load_dwordx2 s[12:13], s[8:9], 0x4
	s_load_dword s11, s[8:9], 0xc
	s_load_dwordx2 s[14:15], s[6:7], 0x0
	s_add_u32 s8, s8, 12
	s_addc_u32 s9, s9, 0
	s_waitcnt lgkmcnt(0)
	v_mul_hi_u32 v3, s13, v2
	s_add_u32 s6, s6, 8
	s_addc_u32 s7, s7, 0
	s_add_i32 s10, s10, -1
	v_add_u32_e32 v3, v2, v3
	v_lshrrev_b32_e32 v3, s11, v3
	v_mul_lo_u32 v5, v3, s12
	s_cmp_lg_u32 s10, 0
	v_sub_u32_e32 v2, v2, v5
	v_mad_u64_u32 v[30:31], s[12:13], v2, s14, v[30:31]
	v_mad_u64_u32 v[25:26], s[12:13], v2, s15, v[25:26]
	v_mov_b32_e32 v2, v3
	s_cbranch_scc1 .LBB98_605
.LBB98_606:
	s_cbranch_execnz .LBB98_609
.LBB98_607:
	s_load_dwordx4 s[8:11], s[56:57], 0x4
	s_load_dwordx2 s[6:7], s[56:57], 0xc4
	s_cmp_lt_u32 s33, 2
	s_waitcnt lgkmcnt(0)
	v_mul_hi_u32 v2, s9, v0
	v_add_u32_e32 v2, v0, v2
	v_lshrrev_b32_e32 v2, s10, v2
	v_mul_lo_u32 v3, v2, s8
	v_sub_u32_e32 v0, v0, v3
	v_mul_lo_u32 v30, v0, s6
	v_mul_lo_u32 v25, v0, s7
	s_cbranch_scc1 .LBB98_609
; %bb.608:
	s_load_dwordx4 s[8:11], s[56:57], 0x10
	s_load_dwordx2 s[6:7], s[56:57], 0xcc
	s_waitcnt lgkmcnt(0)
	v_mul_hi_u32 v0, s9, v2
	v_add_u32_e32 v0, v2, v0
	v_lshrrev_b32_e32 v0, s10, v0
	v_mul_lo_u32 v0, v0, s8
	v_sub_u32_e32 v0, v2, v0
	v_mad_u64_u32 v[30:31], s[8:9], v0, s6, v[30:31]
	v_mad_u64_u32 v[25:26], s[6:7], v0, s7, v[25:26]
.LBB98_609:
	s_and_b64 vcc, exec, s[4:5]
	s_cbranch_vccnz .LBB98_615
; %bb.610:
	s_cmp_lg_u32 s33, 0
	s_mov_b32 s28, 0
	s_cbranch_scc0 .LBB98_616
; %bb.611:
	s_min_u32 s29, s88, 15
	s_add_i32 s29, s29, 1
	s_cmp_eq_u32 s88, 2
	s_cbranch_scc1 .LBB98_617
; %bb.612:
	s_and_b32 s28, s29, 28
	s_add_u32 s24, s56, 0xc4
	s_addc_u32 s25, s57, 0
	v_mov_b32_e32 v26, 0
	s_mov_b32 s30, 0
	s_mov_b64 s[26:27], s[56:57]
	v_mov_b32_e32 v28, 0
	v_mov_b32_e32 v0, v1
.LBB98_613:                             ; =>This Inner Loop Header: Depth=1
	s_load_dwordx8 s[12:19], s[26:27], 0x4
	s_load_dwordx4 s[20:23], s[26:27], 0x24
	s_load_dwordx8 s[4:11], s[24:25], 0x0
	s_add_u32 s26, s26, 48
	s_addc_u32 s27, s27, 0
	s_waitcnt lgkmcnt(0)
	v_mul_hi_u32 v2, s13, v0
	s_add_i32 s30, s30, 4
	s_add_u32 s24, s24, 32
	s_addc_u32 s25, s25, 0
	v_add_u32_e32 v2, v0, v2
	v_lshrrev_b32_e32 v2, s14, v2
	v_mul_lo_u32 v3, v2, s12
	v_mul_hi_u32 v5, s16, v2
	s_cmp_lg_u32 s28, s30
	v_sub_u32_e32 v0, v0, v3
	v_add_u32_e32 v3, v2, v5
	v_mul_lo_u32 v5, v0, s4
	v_mul_lo_u32 v6, v0, s5
	v_lshrrev_b32_e32 v0, s17, v3
	v_mul_lo_u32 v3, v0, s15
	v_mul_hi_u32 v7, s19, v0
	v_sub_u32_e32 v2, v2, v3
	v_add_u32_e32 v3, v0, v7
	v_lshrrev_b32_e32 v3, s20, v3
	v_mul_hi_u32 v8, s22, v3
	v_mul_lo_u32 v9, v3, s18
	v_mul_lo_u32 v7, v2, s6
	;; [unrolled: 1-line block ×3, first 2 shown]
	v_sub_u32_e32 v9, v0, v9
	v_add_u32_e32 v0, v3, v8
	v_lshrrev_b32_e32 v0, s23, v0
	v_mul_lo_u32 v8, v0, s21
	v_mul_lo_u32 v10, v9, s8
	;; [unrolled: 1-line block ×3, first 2 shown]
	v_add3_u32 v5, v5, v28, v7
	v_sub_u32_e32 v3, v3, v8
	v_mul_lo_u32 v8, v3, s10
	v_mul_lo_u32 v3, v3, s11
	v_add3_u32 v2, v6, v26, v2
	v_add3_u32 v28, v10, v5, v8
	;; [unrolled: 1-line block ×3, first 2 shown]
	s_cbranch_scc1 .LBB98_613
; %bb.614:
	s_and_b32 s8, s29, 3
	s_cmp_eq_u32 s8, 0
	s_cbranch_scc0 .LBB98_618
	s_branch .LBB98_620
.LBB98_615:
                                        ; implicit-def: $vgpr28
                                        ; implicit-def: $vgpr26
	s_branch .LBB98_621
.LBB98_616:
	v_mov_b32_e32 v28, 0
	v_mov_b32_e32 v26, 0
	s_branch .LBB98_620
.LBB98_617:
	v_mov_b32_e32 v28, 0
	v_mov_b32_e32 v26, 0
	;; [unrolled: 1-line block ×3, first 2 shown]
	s_and_b32 s8, s29, 3
	s_cmp_eq_u32 s8, 0
	s_cbranch_scc1 .LBB98_620
.LBB98_618:
	s_lshl_b32 s4, s28, 3
	s_add_u32 s4, s56, s4
	s_addc_u32 s5, s57, 0
	s_add_u32 s4, s4, 0xc4
	s_addc_u32 s5, s5, 0
	s_mul_i32 s6, s28, 12
	s_add_u32 s6, s56, s6
	s_addc_u32 s7, s57, 0
.LBB98_619:                             ; =>This Inner Loop Header: Depth=1
	s_load_dwordx2 s[10:11], s[6:7], 0x4
	s_load_dword s9, s[6:7], 0xc
	s_load_dwordx2 s[12:13], s[4:5], 0x0
	s_add_u32 s6, s6, 12
	s_addc_u32 s7, s7, 0
	s_waitcnt lgkmcnt(0)
	v_mul_hi_u32 v2, s11, v0
	s_add_u32 s4, s4, 8
	s_addc_u32 s5, s5, 0
	s_add_i32 s8, s8, -1
	v_add_u32_e32 v2, v0, v2
	v_lshrrev_b32_e32 v2, s9, v2
	v_mul_lo_u32 v3, v2, s10
	s_cmp_lg_u32 s8, 0
	v_sub_u32_e32 v0, v0, v3
	v_mad_u64_u32 v[28:29], s[10:11], v0, s12, v[28:29]
	v_mad_u64_u32 v[26:27], s[10:11], v0, s13, v[26:27]
	v_mov_b32_e32 v0, v2
	s_cbranch_scc1 .LBB98_619
.LBB98_620:
	s_cbranch_execnz .LBB98_623
.LBB98_621:
	s_load_dwordx4 s[4:7], s[56:57], 0x4
	s_load_dwordx2 s[8:9], s[56:57], 0xc4
	s_cmp_lt_u32 s33, 2
	s_waitcnt lgkmcnt(0)
	v_mul_hi_u32 v0, s5, v1
	v_add_u32_e32 v0, v1, v0
	v_lshrrev_b32_e32 v0, s6, v0
	v_mul_lo_u32 v2, v0, s4
	v_sub_u32_e32 v1, v1, v2
	v_mul_lo_u32 v28, v1, s8
	v_mul_lo_u32 v26, v1, s9
	s_cbranch_scc1 .LBB98_623
; %bb.622:
	s_load_dwordx4 s[4:7], s[56:57], 0x10
	s_load_dwordx2 s[8:9], s[56:57], 0xcc
	s_waitcnt lgkmcnt(0)
	v_mul_hi_u32 v1, s5, v0
	v_add_u32_e32 v1, v0, v1
	v_lshrrev_b32_e32 v1, s6, v1
	v_mul_lo_u32 v1, v1, s4
	v_sub_u32_e32 v0, v0, v1
	v_mad_u64_u32 v[28:29], s[4:5], v0, s8, v[28:29]
	v_mad_u64_u32 v[26:27], s[4:5], v0, s9, v[26:27]
.LBB98_623:
	s_load_dword s4, s[34:35], 0x168
	s_load_dwordx2 s[52:53], s[56:57], 0x158
	s_load_dwordx4 s[36:39], s[56:57], 0x148
	s_getpc_b64 s[34:35]
	s_add_u32 s34, s34, _ZN2at6native6invokeIZZZNS0_21polygamma_kernel_cudaERNS_18TensorIteratorBaseElENKUlvE_clEvENKUlvE0_clEvEUlfE_j15function_traitsIS6_EEENT1_11result_typeERKT_PrKPcPKT0_PKN3c1010ScalarTypeEi@rel32@lo+4
	s_addc_u32 s35, s35, _ZN2at6native6invokeIZZZNS0_21polygamma_kernel_cudaERNS_18TensorIteratorBaseElENKUlvE_clEvENKUlvE0_clEvEUlfE_j15function_traitsIS6_EEENT1_11result_typeERKT_PrKPcPKT0_PKN3c1010ScalarTypeEi@rel32@hi+12
	s_waitcnt lgkmcnt(0)
	s_lshr_b32 s33, s4, 8
	v_mov_b32_e32 v0, s52
	v_mov_b32_e32 v1, s53
	v_mov_b32_e32 v2, s38
	v_mov_b32_e32 v3, s39
	v_mov_b32_e32 v5, s33
	s_swappc_b64 s[30:31], s[34:35]
	v_mov_b32_e32 v24, v0
	v_mov_b32_e32 v0, s52
	v_mov_b32_e32 v1, s53
	v_mov_b32_e32 v2, s38
	v_mov_b32_e32 v3, s39
	v_mov_b32_e32 v4, v22
	v_mov_b32_e32 v5, s33
	s_swappc_b64 s[30:31], s[34:35]
	v_mov_b32_e32 v23, v0
	v_mov_b32_e32 v0, s52
	;; [unrolled: 8-line block ×3, first 2 shown]
	v_mov_b32_e32 v1, s53
	v_mov_b32_e32 v2, s38
	;; [unrolled: 1-line block ×5, first 2 shown]
	s_swappc_b64 s[30:31], s[34:35]
	s_load_dword s4, s[56:57], 0x160
	v_mov_b32_e32 v2, s37
	v_add_co_u32_e32 v1, vcc, s36, v34
	v_addc_co_u32_e32 v2, vcc, 0, v2, vcc
	s_waitcnt lgkmcnt(0)
	s_and_b32 s16, s4, 0xff
	s_cmp_lt_i32 s16, 11
	s_cbranch_scc1 .LBB98_702
; %bb.624:
	s_and_b32 s14, 0xffff, s16
	s_mov_b64 s[6:7], -1
	s_mov_b64 s[8:9], 0
	s_cmp_gt_i32 s14, 25
	s_mov_b64 s[10:11], 0
	s_mov_b64 s[4:5], 0
	s_cbranch_scc0 .LBB98_657
; %bb.625:
	s_cmp_gt_i32 s14, 28
	s_cbranch_scc0 .LBB98_640
; %bb.626:
	s_cmp_gt_i32 s14, 43
	;; [unrolled: 3-line block ×3, first 2 shown]
	s_cbranch_scc0 .LBB98_630
; %bb.628:
	s_mov_b64 s[4:5], -1
	s_mov_b64 s[6:7], 0
	s_cmp_eq_u32 s14, 46
	s_cbranch_scc0 .LBB98_630
; %bb.629:
	v_bfe_u32 v3, v24, 16, 1
	s_movk_i32 s4, 0x7fff
	v_add3_u32 v3, v24, v3, s4
	v_cmp_o_f32_e32 vcc, v24, v24
	v_mov_b32_e32 v4, 0x7fc0
	v_cndmask_b32_sdwa v3, v4, v3, vcc dst_sel:DWORD dst_unused:UNUSED_PAD src0_sel:DWORD src1_sel:WORD_1
	global_store_dword v[1:2], v3, off
	s_mov_b64 s[4:5], 0
	s_mov_b64 s[10:11], -1
.LBB98_630:
	s_and_b64 vcc, exec, s[6:7]
	s_cbranch_vccz .LBB98_635
; %bb.631:
	s_cmp_eq_u32 s14, 44
	s_mov_b64 s[4:5], -1
	s_cbranch_scc0 .LBB98_635
; %bb.632:
	v_bfe_u32 v3, v24, 23, 8
	s_movk_i32 s4, 0xff
	v_cmp_ne_u32_e32 vcc, s4, v3
	v_mov_b32_e32 v4, 0xff
	s_and_saveexec_b64 s[6:7], vcc
; %bb.633:
	s_mov_b32 s4, 0x3fffff
	v_and_b32_e32 v5, 0x400000, v24
	v_and_or_b32 v3, v24, s4, v3
	v_cmp_ne_u32_e32 vcc, 0, v5
	v_cmp_ne_u32_e64 s[4:5], 0, v3
	s_and_b64 s[4:5], vcc, s[4:5]
	v_lshrrev_b32_e32 v4, 23, v24
	v_cndmask_b32_e64 v3, 0, 1, s[4:5]
	v_add_u32_e32 v4, v4, v3
; %bb.634:
	s_or_b64 exec, exec, s[6:7]
	s_mov_b64 s[4:5], 0
	s_mov_b64 s[10:11], -1
	global_store_byte v[1:2], v4, off
.LBB98_635:
	s_mov_b64 s[6:7], 0
.LBB98_636:
	s_and_b64 vcc, exec, s[6:7]
	s_cbranch_vccz .LBB98_639
; %bb.637:
	s_cmp_eq_u32 s14, 29
	s_mov_b64 s[4:5], -1
	s_cbranch_scc0 .LBB98_639
; %bb.638:
	v_trunc_f32_e32 v3, v24
	v_mul_f32_e32 v4, 0x2f800000, v3
	v_floor_f32_e32 v5, v4
	v_fmac_f32_e32 v3, 0xcf800000, v5
	v_cvt_u32_f32_e32 v4, v5
	v_cvt_u32_f32_e32 v3, v3
	s_mov_b64 s[4:5], 0
	s_mov_b64 s[10:11], -1
	global_store_dwordx2 v[1:2], v[3:4], off
.LBB98_639:
	s_mov_b64 s[6:7], 0
.LBB98_640:
	s_and_b64 vcc, exec, s[6:7]
	s_cbranch_vccz .LBB98_656
; %bb.641:
	s_cmp_lt_i32 s14, 27
	s_mov_b64 s[6:7], -1
	s_cbranch_scc1 .LBB98_647
; %bb.642:
	s_cmp_gt_i32 s14, 27
	s_cbranch_scc0 .LBB98_644
; %bb.643:
	v_cvt_u32_f32_e32 v3, v24
	s_mov_b64 s[6:7], 0
	global_store_dword v[1:2], v3, off
.LBB98_644:
	s_andn2_b64 vcc, exec, s[6:7]
	s_cbranch_vccnz .LBB98_646
; %bb.645:
	v_cvt_u32_f32_e32 v3, v24
	global_store_short v[1:2], v3, off
.LBB98_646:
	s_mov_b64 s[6:7], 0
.LBB98_647:
	s_andn2_b64 vcc, exec, s[6:7]
	s_cbranch_vccnz .LBB98_655
; %bb.648:
	v_and_b32_e32 v3, 0x7fffffff, v24
	s_mov_b32 s6, 0x43800000
	v_cmp_gt_u32_e32 vcc, s6, v3
	v_mov_b32_e32 v4, 0x80
	s_and_saveexec_b64 s[6:7], vcc
	s_cbranch_execz .LBB98_654
; %bb.649:
	s_mov_b32 s10, 0x3bffffff
	v_cmp_lt_u32_e32 vcc, s10, v3
	s_mov_b64 s[10:11], 0
                                        ; implicit-def: $vgpr3
	s_and_saveexec_b64 s[12:13], vcc
	s_xor_b64 s[12:13], exec, s[12:13]
	s_cbranch_execz .LBB98_1099
; %bb.650:
	v_bfe_u32 v3, v24, 20, 1
	s_mov_b32 s15, 0x487ffff
	v_add3_u32 v3, v24, v3, s15
	s_mov_b64 s[10:11], exec
	v_lshrrev_b32_e32 v3, 20, v3
	s_andn2_saveexec_b64 s[12:13], s[12:13]
	s_cbranch_execnz .LBB98_1100
.LBB98_651:
	s_or_b64 exec, exec, s[12:13]
	v_mov_b32_e32 v4, 0
	s_and_saveexec_b64 s[12:13], s[10:11]
.LBB98_652:
	v_lshrrev_b32_e32 v4, 24, v24
	s_movk_i32 s10, 0x80
	v_and_or_b32 v4, v4, s10, v3
.LBB98_653:
	s_or_b64 exec, exec, s[12:13]
.LBB98_654:
	s_or_b64 exec, exec, s[6:7]
	global_store_byte v[1:2], v4, off
.LBB98_655:
	s_mov_b64 s[10:11], -1
.LBB98_656:
	s_mov_b64 s[6:7], 0
.LBB98_657:
	s_and_b64 vcc, exec, s[6:7]
	s_cbranch_vccz .LBB98_697
; %bb.658:
	s_cmp_gt_i32 s14, 22
	s_mov_b64 s[6:7], -1
	s_cbranch_scc0 .LBB98_690
; %bb.659:
	s_cmp_lt_i32 s14, 24
	s_cbranch_scc1 .LBB98_679
; %bb.660:
	s_cmp_gt_i32 s14, 24
	s_cbranch_scc0 .LBB98_668
; %bb.661:
	v_and_b32_e32 v3, 0x7fffffff, v24
	s_mov_b32 s6, 0x47800000
	v_cmp_gt_u32_e32 vcc, s6, v3
	v_mov_b32_e32 v4, 0x80
	s_and_saveexec_b64 s[6:7], vcc
	s_cbranch_execz .LBB98_667
; %bb.662:
	s_mov_b32 s8, 0x37ffffff
	v_cmp_lt_u32_e32 vcc, s8, v3
	s_mov_b64 s[8:9], 0
                                        ; implicit-def: $vgpr3
	s_and_saveexec_b64 s[10:11], vcc
	s_xor_b64 s[10:11], exec, s[10:11]
	s_cbranch_execz .LBB98_1102
; %bb.663:
	v_bfe_u32 v3, v24, 21, 1
	s_mov_b32 s12, 0x88fffff
	v_add3_u32 v3, v24, v3, s12
	s_mov_b64 s[8:9], exec
	v_lshrrev_b32_e32 v3, 21, v3
	s_andn2_saveexec_b64 s[10:11], s[10:11]
	s_cbranch_execnz .LBB98_1103
.LBB98_664:
	s_or_b64 exec, exec, s[10:11]
	v_mov_b32_e32 v4, 0
	s_and_saveexec_b64 s[10:11], s[8:9]
.LBB98_665:
	v_lshrrev_b32_e32 v4, 24, v24
	s_movk_i32 s8, 0x80
	v_and_or_b32 v4, v4, s8, v3
.LBB98_666:
	s_or_b64 exec, exec, s[10:11]
.LBB98_667:
	s_or_b64 exec, exec, s[6:7]
	s_mov_b64 s[6:7], 0
	global_store_byte v[1:2], v4, off
.LBB98_668:
	s_and_b64 vcc, exec, s[6:7]
	s_cbranch_vccz .LBB98_678
; %bb.669:
	v_and_b32_e32 v4, 0x7fffffff, v24
	s_mov_b32 s6, 0x43f00000
	v_cmp_gt_u32_e32 vcc, s6, v4
                                        ; implicit-def: $vgpr3
	s_and_saveexec_b64 s[6:7], vcc
	s_xor_b64 s[6:7], exec, s[6:7]
	s_cbranch_execz .LBB98_675
; %bb.670:
	s_mov_b32 s8, 0x3c7fffff
	v_cmp_lt_u32_e32 vcc, s8, v4
                                        ; implicit-def: $vgpr3
	s_and_saveexec_b64 s[8:9], vcc
	s_xor_b64 s[8:9], exec, s[8:9]
; %bb.671:
	v_bfe_u32 v3, v24, 20, 1
	s_mov_b32 s10, 0x407ffff
	v_add3_u32 v3, v24, v3, s10
	v_lshrrev_b32_e32 v4, 20, v3
	v_and_b32_e32 v3, 0xff00000, v3
	s_mov_b32 s10, 0x7f00000
	v_mov_b32_e32 v5, 0x7e
	v_cmp_ne_u32_e32 vcc, s10, v3
	v_cndmask_b32_e32 v3, v5, v4, vcc
; %bb.672:
	s_andn2_saveexec_b64 s[8:9], s[8:9]
; %bb.673:
	s_mov_b32 s10, 0x46800000
	v_add_f32_e64 v3, |v24|, s10
; %bb.674:
	s_or_b64 exec, exec, s[8:9]
                                        ; implicit-def: $vgpr4
.LBB98_675:
	s_andn2_saveexec_b64 s[6:7], s[6:7]
; %bb.676:
	s_mov_b32 s8, 0x7f800000
	v_mov_b32_e32 v3, 0x7e
	v_mov_b32_e32 v5, 0x7f
	v_cmp_lt_u32_e32 vcc, s8, v4
	v_cndmask_b32_e32 v3, v3, v5, vcc
; %bb.677:
	s_or_b64 exec, exec, s[6:7]
	v_lshrrev_b32_e32 v4, 24, v24
	s_movk_i32 s6, 0x80
	v_and_or_b32 v3, v4, s6, v3
	global_store_byte v[1:2], v3, off
.LBB98_678:
	s_mov_b64 s[6:7], 0
.LBB98_679:
	s_andn2_b64 vcc, exec, s[6:7]
	s_cbranch_vccnz .LBB98_689
; %bb.680:
	v_and_b32_e32 v4, 0x7fffffff, v24
	s_mov_b32 s6, 0x47800000
	v_cmp_gt_u32_e32 vcc, s6, v4
                                        ; implicit-def: $vgpr3
	s_and_saveexec_b64 s[6:7], vcc
	s_xor_b64 s[6:7], exec, s[6:7]
	s_cbranch_execz .LBB98_686
; %bb.681:
	s_mov_b32 s8, 0x387fffff
	v_cmp_lt_u32_e32 vcc, s8, v4
                                        ; implicit-def: $vgpr3
	s_and_saveexec_b64 s[8:9], vcc
	s_xor_b64 s[8:9], exec, s[8:9]
; %bb.682:
	v_bfe_u32 v3, v24, 21, 1
	s_mov_b32 s10, 0x80fffff
	v_add3_u32 v3, v24, v3, s10
	v_lshrrev_b32_e32 v3, 21, v3
; %bb.683:
	s_andn2_saveexec_b64 s[8:9], s[8:9]
; %bb.684:
	s_mov_b32 s10, 0x43000000
	v_add_f32_e64 v3, |v24|, s10
; %bb.685:
	s_or_b64 exec, exec, s[8:9]
                                        ; implicit-def: $vgpr4
.LBB98_686:
	s_andn2_saveexec_b64 s[6:7], s[6:7]
; %bb.687:
	s_mov_b32 s8, 0x7f800000
	v_mov_b32_e32 v3, 0x7c
	v_mov_b32_e32 v5, 0x7f
	v_cmp_lt_u32_e32 vcc, s8, v4
	v_cndmask_b32_e32 v3, v3, v5, vcc
; %bb.688:
	s_or_b64 exec, exec, s[6:7]
	v_lshrrev_b32_e32 v4, 24, v24
	s_movk_i32 s6, 0x80
	v_and_or_b32 v3, v4, s6, v3
	global_store_byte v[1:2], v3, off
.LBB98_689:
	s_mov_b64 s[6:7], 0
	s_mov_b64 s[10:11], -1
.LBB98_690:
	s_andn2_b64 vcc, exec, s[6:7]
	s_mov_b64 s[8:9], 0
	s_cbranch_vccnz .LBB98_697
; %bb.691:
	s_cmp_gt_i32 s14, 14
	s_mov_b64 s[6:7], -1
	s_cbranch_scc0 .LBB98_695
; %bb.692:
	s_cmp_eq_u32 s14, 15
	s_mov_b64 s[4:5], -1
	s_cbranch_scc0 .LBB98_694
; %bb.693:
	v_bfe_u32 v3, v24, 16, 1
	s_movk_i32 s4, 0x7fff
	v_add3_u32 v3, v24, v3, s4
	v_cmp_o_f32_e32 vcc, v24, v24
	v_mov_b32_e32 v4, 0x7fc0
	v_cndmask_b32_sdwa v3, v4, v3, vcc dst_sel:DWORD dst_unused:UNUSED_PAD src0_sel:DWORD src1_sel:WORD_1
	global_store_short v[1:2], v3, off
	s_mov_b64 s[4:5], 0
	s_mov_b64 s[10:11], -1
.LBB98_694:
	s_mov_b64 s[6:7], 0
.LBB98_695:
	s_and_b64 vcc, exec, s[6:7]
	s_cbranch_vccz .LBB98_697
; %bb.696:
	s_cmp_lg_u32 s14, 11
	s_mov_b64 s[8:9], -1
	s_cselect_b64 s[4:5], -1, 0
.LBB98_697:
	s_and_b64 vcc, exec, s[4:5]
	s_mov_b64 s[6:7], s[48:49]
	s_cbranch_vccnz .LBB98_1101
; %bb.698:
	s_andn2_b64 vcc, exec, s[8:9]
	s_cbranch_vccnz .LBB98_700
.LBB98_699:
	v_cmp_neq_f32_e32 vcc, 0, v24
	v_cndmask_b32_e64 v3, 0, 1, vcc
	global_store_byte v[1:2], v3, off
	s_mov_b64 s[10:11], -1
.LBB98_700:
.LBB98_701:
	s_andn2_b64 vcc, exec, s[10:11]
	s_cbranch_vccz .LBB98_741
	s_branch .LBB98_1053
.LBB98_702:
	s_mov_b64 s[10:11], 0
	s_mov_b64 s[6:7], s[48:49]
	s_cbranch_execz .LBB98_701
; %bb.703:
	s_and_b32 s8, 0xffff, s16
	s_cmp_lt_i32 s8, 5
	s_mov_b64 s[4:5], -1
	s_cbranch_scc1 .LBB98_724
; %bb.704:
	s_cmp_lt_i32 s8, 8
	s_cbranch_scc1 .LBB98_714
; %bb.705:
	s_cmp_lt_i32 s8, 9
	s_cbranch_scc1 .LBB98_711
; %bb.706:
	s_cmp_gt_i32 s8, 9
	s_cbranch_scc0 .LBB98_708
; %bb.707:
	v_cvt_f64_f32_e32 v[3:4], v24
	v_mov_b32_e32 v5, 0
	v_mov_b32_e32 v6, v5
	s_mov_b64 s[4:5], 0
	global_store_dwordx4 v[1:2], v[3:6], off
.LBB98_708:
	s_andn2_b64 vcc, exec, s[4:5]
	s_cbranch_vccnz .LBB98_710
; %bb.709:
	v_mov_b32_e32 v25, 0
	global_store_dwordx2 v[1:2], v[24:25], off
.LBB98_710:
	s_mov_b64 s[4:5], 0
.LBB98_711:
	s_andn2_b64 vcc, exec, s[4:5]
	s_cbranch_vccnz .LBB98_713
; %bb.712:
	v_cvt_f16_f32_e32 v3, v24
	global_store_dword v[1:2], v3, off
.LBB98_713:
	s_mov_b64 s[4:5], 0
.LBB98_714:
	s_andn2_b64 vcc, exec, s[4:5]
	s_cbranch_vccnz .LBB98_723
; %bb.715:
	s_cmp_lt_i32 s8, 6
	s_mov_b64 s[4:5], -1
	s_cbranch_scc1 .LBB98_721
; %bb.716:
	s_cmp_gt_i32 s8, 6
	s_cbranch_scc0 .LBB98_718
; %bb.717:
	v_cvt_f64_f32_e32 v[3:4], v24
	s_mov_b64 s[4:5], 0
	global_store_dwordx2 v[1:2], v[3:4], off
.LBB98_718:
	s_andn2_b64 vcc, exec, s[4:5]
	s_cbranch_vccnz .LBB98_720
; %bb.719:
	global_store_dword v[1:2], v24, off
.LBB98_720:
	s_mov_b64 s[4:5], 0
.LBB98_721:
	s_andn2_b64 vcc, exec, s[4:5]
	s_cbranch_vccnz .LBB98_723
; %bb.722:
	v_cvt_f16_f32_e32 v3, v24
	global_store_short v[1:2], v3, off
.LBB98_723:
	s_mov_b64 s[4:5], 0
.LBB98_724:
	s_andn2_b64 vcc, exec, s[4:5]
	s_cbranch_vccnz .LBB98_740
; %bb.725:
	s_cmp_lt_i32 s8, 2
	s_mov_b64 s[4:5], -1
	s_cbranch_scc1 .LBB98_735
; %bb.726:
	s_cmp_lt_i32 s8, 3
	s_cbranch_scc1 .LBB98_732
; %bb.727:
	s_cmp_gt_i32 s8, 3
	s_cbranch_scc0 .LBB98_729
; %bb.728:
	v_trunc_f32_e32 v3, v24
	s_mov_b32 s4, 0x2f800000
	v_mul_f32_e64 v4, |v3|, s4
	v_floor_f32_e32 v4, v4
	s_mov_b32 s4, 0xcf800000
	v_cvt_u32_f32_e32 v5, v4
	v_fma_f32 v4, v4, s4, |v3|
	v_cvt_u32_f32_e32 v4, v4
	v_ashrrev_i32_e32 v6, 31, v3
	v_xor_b32_e32 v5, v5, v6
	s_mov_b64 s[4:5], 0
	v_xor_b32_e32 v3, v4, v6
	v_sub_co_u32_e32 v3, vcc, v3, v6
	v_subb_co_u32_e32 v4, vcc, v5, v6, vcc
	global_store_dwordx2 v[1:2], v[3:4], off
.LBB98_729:
	s_andn2_b64 vcc, exec, s[4:5]
	s_cbranch_vccnz .LBB98_731
; %bb.730:
	v_cvt_i32_f32_e32 v3, v24
	global_store_dword v[1:2], v3, off
.LBB98_731:
	s_mov_b64 s[4:5], 0
.LBB98_732:
	s_andn2_b64 vcc, exec, s[4:5]
	s_cbranch_vccnz .LBB98_734
; %bb.733:
	v_cvt_i32_f32_e32 v3, v24
	global_store_short v[1:2], v3, off
.LBB98_734:
	s_mov_b64 s[4:5], 0
.LBB98_735:
	s_andn2_b64 vcc, exec, s[4:5]
	s_cbranch_vccnz .LBB98_740
; %bb.736:
	s_cmp_gt_i32 s8, 0
	s_mov_b64 s[4:5], -1
	s_cbranch_scc0 .LBB98_738
; %bb.737:
	v_cvt_i32_f32_e32 v3, v24
	s_mov_b64 s[4:5], 0
	global_store_byte v[1:2], v3, off
.LBB98_738:
	s_andn2_b64 vcc, exec, s[4:5]
	s_cbranch_vccnz .LBB98_740
; %bb.739:
	v_trunc_f32_e32 v3, v24
	s_mov_b32 s4, 0x2f800000
	v_mul_f32_e64 v4, |v3|, s4
	v_floor_f32_e32 v4, v4
	s_mov_b32 s4, 0xcf800000
	v_fma_f32 v4, v4, s4, |v3|
	v_cvt_u32_f32_e32 v4, v4
	v_ashrrev_i32_e32 v3, 31, v3
	v_xor_b32_e32 v4, v4, v3
	v_sub_u32_e32 v3, v4, v3
	global_store_byte v[1:2], v3, off
.LBB98_740:
.LBB98_741:
	v_mov_b32_e32 v2, s37
	s_and_b32 s17, 0xffff, s16
	v_add_co_u32_e32 v1, vcc, s36, v32
	s_cmp_lt_i32 s17, 11
	v_addc_co_u32_e32 v2, vcc, 0, v2, vcc
	s_cbranch_scc1 .LBB98_820
; %bb.742:
	s_mov_b64 s[12:13], -1
	s_mov_b64 s[8:9], 0
	s_cmp_gt_i32 s17, 25
	s_mov_b64 s[10:11], 0
	s_mov_b64 s[4:5], 0
	s_cbranch_scc0 .LBB98_775
; %bb.743:
	s_cmp_gt_i32 s17, 28
	s_cbranch_scc0 .LBB98_758
; %bb.744:
	s_cmp_gt_i32 s17, 43
	;; [unrolled: 3-line block ×3, first 2 shown]
	s_cbranch_scc0 .LBB98_748
; %bb.746:
	s_mov_b64 s[4:5], -1
	s_mov_b64 s[12:13], 0
	s_cmp_eq_u32 s17, 46
	s_cbranch_scc0 .LBB98_748
; %bb.747:
	v_bfe_u32 v3, v23, 16, 1
	s_movk_i32 s4, 0x7fff
	v_add3_u32 v3, v23, v3, s4
	v_cmp_o_f32_e32 vcc, v23, v23
	v_mov_b32_e32 v4, 0x7fc0
	v_cndmask_b32_sdwa v3, v4, v3, vcc dst_sel:DWORD dst_unused:UNUSED_PAD src0_sel:DWORD src1_sel:WORD_1
	global_store_dword v[1:2], v3, off
	s_mov_b64 s[4:5], 0
	s_mov_b64 s[10:11], -1
.LBB98_748:
	s_and_b64 vcc, exec, s[12:13]
	s_cbranch_vccz .LBB98_753
; %bb.749:
	s_cmp_eq_u32 s17, 44
	s_mov_b64 s[4:5], -1
	s_cbranch_scc0 .LBB98_753
; %bb.750:
	v_bfe_u32 v3, v23, 23, 8
	s_movk_i32 s4, 0xff
	v_cmp_ne_u32_e32 vcc, s4, v3
	v_mov_b32_e32 v4, 0xff
	s_and_saveexec_b64 s[10:11], vcc
; %bb.751:
	s_mov_b32 s4, 0x3fffff
	v_and_b32_e32 v5, 0x400000, v23
	v_and_or_b32 v3, v23, s4, v3
	v_cmp_ne_u32_e32 vcc, 0, v5
	v_cmp_ne_u32_e64 s[4:5], 0, v3
	s_and_b64 s[4:5], vcc, s[4:5]
	v_lshrrev_b32_e32 v4, 23, v23
	v_cndmask_b32_e64 v3, 0, 1, s[4:5]
	v_add_u32_e32 v4, v4, v3
; %bb.752:
	s_or_b64 exec, exec, s[10:11]
	s_mov_b64 s[4:5], 0
	s_mov_b64 s[10:11], -1
	global_store_byte v[1:2], v4, off
.LBB98_753:
	s_mov_b64 s[12:13], 0
.LBB98_754:
	s_and_b64 vcc, exec, s[12:13]
	s_cbranch_vccz .LBB98_757
; %bb.755:
	s_cmp_eq_u32 s17, 29
	s_mov_b64 s[4:5], -1
	s_cbranch_scc0 .LBB98_757
; %bb.756:
	v_trunc_f32_e32 v3, v23
	v_mul_f32_e32 v4, 0x2f800000, v3
	v_floor_f32_e32 v5, v4
	v_fmac_f32_e32 v3, 0xcf800000, v5
	v_cvt_u32_f32_e32 v4, v5
	v_cvt_u32_f32_e32 v3, v3
	s_mov_b64 s[4:5], 0
	s_mov_b64 s[10:11], -1
	global_store_dwordx2 v[1:2], v[3:4], off
.LBB98_757:
	s_mov_b64 s[12:13], 0
.LBB98_758:
	s_and_b64 vcc, exec, s[12:13]
	s_cbranch_vccz .LBB98_774
; %bb.759:
	s_cmp_lt_i32 s17, 27
	s_mov_b64 s[10:11], -1
	s_cbranch_scc1 .LBB98_765
; %bb.760:
	s_cmp_gt_i32 s17, 27
	s_cbranch_scc0 .LBB98_762
; %bb.761:
	v_cvt_u32_f32_e32 v3, v23
	s_mov_b64 s[10:11], 0
	global_store_dword v[1:2], v3, off
.LBB98_762:
	s_andn2_b64 vcc, exec, s[10:11]
	s_cbranch_vccnz .LBB98_764
; %bb.763:
	v_cvt_u32_f32_e32 v3, v23
	global_store_short v[1:2], v3, off
.LBB98_764:
	s_mov_b64 s[10:11], 0
.LBB98_765:
	s_andn2_b64 vcc, exec, s[10:11]
	s_cbranch_vccnz .LBB98_773
; %bb.766:
	v_and_b32_e32 v3, 0x7fffffff, v23
	s_mov_b32 s10, 0x43800000
	v_cmp_gt_u32_e32 vcc, s10, v3
	v_mov_b32_e32 v4, 0x80
	s_and_saveexec_b64 s[10:11], vcc
	s_cbranch_execz .LBB98_772
; %bb.767:
	s_mov_b32 s12, 0x3bffffff
	v_cmp_lt_u32_e32 vcc, s12, v3
	s_mov_b64 s[12:13], 0
                                        ; implicit-def: $vgpr3
	s_and_saveexec_b64 s[14:15], vcc
	s_xor_b64 s[14:15], exec, s[14:15]
	s_cbranch_execz .LBB98_1104
; %bb.768:
	v_bfe_u32 v3, v23, 20, 1
	s_mov_b32 s18, 0x487ffff
	v_add3_u32 v3, v23, v3, s18
	s_mov_b64 s[12:13], exec
	v_lshrrev_b32_e32 v3, 20, v3
	s_andn2_saveexec_b64 s[14:15], s[14:15]
	s_cbranch_execnz .LBB98_1105
.LBB98_769:
	s_or_b64 exec, exec, s[14:15]
	v_mov_b32_e32 v4, 0
	s_and_saveexec_b64 s[14:15], s[12:13]
.LBB98_770:
	v_lshrrev_b32_e32 v4, 24, v23
	s_movk_i32 s12, 0x80
	v_and_or_b32 v4, v4, s12, v3
.LBB98_771:
	s_or_b64 exec, exec, s[14:15]
.LBB98_772:
	s_or_b64 exec, exec, s[10:11]
	global_store_byte v[1:2], v4, off
.LBB98_773:
	s_mov_b64 s[10:11], -1
.LBB98_774:
	s_mov_b64 s[12:13], 0
.LBB98_775:
	s_and_b64 vcc, exec, s[12:13]
	s_cbranch_vccz .LBB98_815
; %bb.776:
	s_cmp_gt_i32 s17, 22
	s_mov_b64 s[8:9], -1
	s_cbranch_scc0 .LBB98_808
; %bb.777:
	s_cmp_lt_i32 s17, 24
	s_cbranch_scc1 .LBB98_797
; %bb.778:
	s_cmp_gt_i32 s17, 24
	s_cbranch_scc0 .LBB98_786
; %bb.779:
	v_and_b32_e32 v3, 0x7fffffff, v23
	s_mov_b32 s8, 0x47800000
	v_cmp_gt_u32_e32 vcc, s8, v3
	v_mov_b32_e32 v4, 0x80
	s_and_saveexec_b64 s[8:9], vcc
	s_cbranch_execz .LBB98_785
; %bb.780:
	s_mov_b32 s10, 0x37ffffff
	v_cmp_lt_u32_e32 vcc, s10, v3
	s_mov_b64 s[10:11], 0
                                        ; implicit-def: $vgpr3
	s_and_saveexec_b64 s[12:13], vcc
	s_xor_b64 s[12:13], exec, s[12:13]
	s_cbranch_execz .LBB98_1107
; %bb.781:
	v_bfe_u32 v3, v23, 21, 1
	s_mov_b32 s14, 0x88fffff
	v_add3_u32 v3, v23, v3, s14
	s_mov_b64 s[10:11], exec
	v_lshrrev_b32_e32 v3, 21, v3
	s_andn2_saveexec_b64 s[12:13], s[12:13]
	s_cbranch_execnz .LBB98_1108
.LBB98_782:
	s_or_b64 exec, exec, s[12:13]
	v_mov_b32_e32 v4, 0
	s_and_saveexec_b64 s[12:13], s[10:11]
.LBB98_783:
	v_lshrrev_b32_e32 v4, 24, v23
	s_movk_i32 s10, 0x80
	v_and_or_b32 v4, v4, s10, v3
.LBB98_784:
	s_or_b64 exec, exec, s[12:13]
.LBB98_785:
	s_or_b64 exec, exec, s[8:9]
	s_mov_b64 s[8:9], 0
	global_store_byte v[1:2], v4, off
.LBB98_786:
	s_and_b64 vcc, exec, s[8:9]
	s_cbranch_vccz .LBB98_796
; %bb.787:
	v_and_b32_e32 v4, 0x7fffffff, v23
	s_mov_b32 s8, 0x43f00000
	v_cmp_gt_u32_e32 vcc, s8, v4
                                        ; implicit-def: $vgpr3
	s_and_saveexec_b64 s[8:9], vcc
	s_xor_b64 s[8:9], exec, s[8:9]
	s_cbranch_execz .LBB98_793
; %bb.788:
	s_mov_b32 s10, 0x3c7fffff
	v_cmp_lt_u32_e32 vcc, s10, v4
                                        ; implicit-def: $vgpr3
	s_and_saveexec_b64 s[10:11], vcc
	s_xor_b64 s[10:11], exec, s[10:11]
; %bb.789:
	v_bfe_u32 v3, v23, 20, 1
	s_mov_b32 s12, 0x407ffff
	v_add3_u32 v3, v23, v3, s12
	v_lshrrev_b32_e32 v4, 20, v3
	v_and_b32_e32 v3, 0xff00000, v3
	s_mov_b32 s12, 0x7f00000
	v_mov_b32_e32 v5, 0x7e
	v_cmp_ne_u32_e32 vcc, s12, v3
	v_cndmask_b32_e32 v3, v5, v4, vcc
; %bb.790:
	s_andn2_saveexec_b64 s[10:11], s[10:11]
; %bb.791:
	s_mov_b32 s12, 0x46800000
	v_add_f32_e64 v3, |v23|, s12
; %bb.792:
	s_or_b64 exec, exec, s[10:11]
                                        ; implicit-def: $vgpr4
.LBB98_793:
	s_andn2_saveexec_b64 s[8:9], s[8:9]
; %bb.794:
	s_mov_b32 s10, 0x7f800000
	v_mov_b32_e32 v3, 0x7e
	v_mov_b32_e32 v5, 0x7f
	v_cmp_lt_u32_e32 vcc, s10, v4
	v_cndmask_b32_e32 v3, v3, v5, vcc
; %bb.795:
	s_or_b64 exec, exec, s[8:9]
	v_lshrrev_b32_e32 v4, 24, v23
	s_movk_i32 s8, 0x80
	v_and_or_b32 v3, v4, s8, v3
	global_store_byte v[1:2], v3, off
.LBB98_796:
	s_mov_b64 s[8:9], 0
.LBB98_797:
	s_andn2_b64 vcc, exec, s[8:9]
	s_cbranch_vccnz .LBB98_807
; %bb.798:
	v_and_b32_e32 v4, 0x7fffffff, v23
	s_mov_b32 s8, 0x47800000
	v_cmp_gt_u32_e32 vcc, s8, v4
                                        ; implicit-def: $vgpr3
	s_and_saveexec_b64 s[8:9], vcc
	s_xor_b64 s[8:9], exec, s[8:9]
	s_cbranch_execz .LBB98_804
; %bb.799:
	s_mov_b32 s10, 0x387fffff
	v_cmp_lt_u32_e32 vcc, s10, v4
                                        ; implicit-def: $vgpr3
	s_and_saveexec_b64 s[10:11], vcc
	s_xor_b64 s[10:11], exec, s[10:11]
; %bb.800:
	v_bfe_u32 v3, v23, 21, 1
	s_mov_b32 s12, 0x80fffff
	v_add3_u32 v3, v23, v3, s12
	v_lshrrev_b32_e32 v3, 21, v3
; %bb.801:
	s_andn2_saveexec_b64 s[10:11], s[10:11]
; %bb.802:
	s_mov_b32 s12, 0x43000000
	v_add_f32_e64 v3, |v23|, s12
; %bb.803:
	s_or_b64 exec, exec, s[10:11]
                                        ; implicit-def: $vgpr4
.LBB98_804:
	s_andn2_saveexec_b64 s[8:9], s[8:9]
; %bb.805:
	s_mov_b32 s10, 0x7f800000
	v_mov_b32_e32 v3, 0x7c
	v_mov_b32_e32 v5, 0x7f
	v_cmp_lt_u32_e32 vcc, s10, v4
	v_cndmask_b32_e32 v3, v3, v5, vcc
; %bb.806:
	s_or_b64 exec, exec, s[8:9]
	v_lshrrev_b32_e32 v4, 24, v23
	s_movk_i32 s8, 0x80
	v_and_or_b32 v3, v4, s8, v3
	global_store_byte v[1:2], v3, off
.LBB98_807:
	s_mov_b64 s[8:9], 0
	s_mov_b64 s[10:11], -1
.LBB98_808:
	s_andn2_b64 vcc, exec, s[8:9]
	s_mov_b64 s[8:9], 0
	s_cbranch_vccnz .LBB98_815
; %bb.809:
	s_cmp_gt_i32 s17, 14
	s_mov_b64 s[12:13], -1
	s_cbranch_scc0 .LBB98_813
; %bb.810:
	s_cmp_eq_u32 s17, 15
	s_mov_b64 s[4:5], -1
	s_cbranch_scc0 .LBB98_812
; %bb.811:
	v_bfe_u32 v3, v23, 16, 1
	s_movk_i32 s4, 0x7fff
	v_add3_u32 v3, v23, v3, s4
	v_cmp_o_f32_e32 vcc, v23, v23
	v_mov_b32_e32 v4, 0x7fc0
	v_cndmask_b32_sdwa v3, v4, v3, vcc dst_sel:DWORD dst_unused:UNUSED_PAD src0_sel:DWORD src1_sel:WORD_1
	global_store_short v[1:2], v3, off
	s_mov_b64 s[4:5], 0
	s_mov_b64 s[10:11], -1
.LBB98_812:
	s_mov_b64 s[12:13], 0
.LBB98_813:
	s_and_b64 vcc, exec, s[12:13]
	s_cbranch_vccz .LBB98_815
; %bb.814:
	s_cmp_lg_u32 s17, 11
	s_mov_b64 s[8:9], -1
	s_cselect_b64 s[4:5], -1, 0
.LBB98_815:
	s_and_b64 vcc, exec, s[4:5]
	s_cbranch_vccnz .LBB98_1106
; %bb.816:
	s_andn2_b64 vcc, exec, s[8:9]
	s_cbranch_vccnz .LBB98_818
.LBB98_817:
	v_cmp_neq_f32_e32 vcc, 0, v23
	v_cndmask_b32_e64 v3, 0, 1, vcc
	s_mov_b64 s[10:11], -1
	global_store_byte v[1:2], v3, off
.LBB98_818:
.LBB98_819:
	s_andn2_b64 vcc, exec, s[10:11]
	s_cbranch_vccz .LBB98_859
	s_branch .LBB98_1053
.LBB98_820:
	s_mov_b64 s[10:11], 0
	s_cbranch_execz .LBB98_819
; %bb.821:
	s_cmp_lt_i32 s17, 5
	s_mov_b64 s[4:5], -1
	s_cbranch_scc1 .LBB98_842
; %bb.822:
	s_cmp_lt_i32 s17, 8
	s_cbranch_scc1 .LBB98_832
; %bb.823:
	s_cmp_lt_i32 s17, 9
	s_cbranch_scc1 .LBB98_829
; %bb.824:
	s_cmp_gt_i32 s17, 9
	s_cbranch_scc0 .LBB98_826
; %bb.825:
	v_cvt_f64_f32_e32 v[3:4], v23
	v_mov_b32_e32 v5, 0
	v_mov_b32_e32 v6, v5
	s_mov_b64 s[4:5], 0
	global_store_dwordx4 v[1:2], v[3:6], off
.LBB98_826:
	s_andn2_b64 vcc, exec, s[4:5]
	s_cbranch_vccnz .LBB98_828
; %bb.827:
	v_mov_b32_e32 v24, 0
	global_store_dwordx2 v[1:2], v[23:24], off
.LBB98_828:
	s_mov_b64 s[4:5], 0
.LBB98_829:
	s_andn2_b64 vcc, exec, s[4:5]
	s_cbranch_vccnz .LBB98_831
; %bb.830:
	v_cvt_f16_f32_e32 v3, v23
	global_store_dword v[1:2], v3, off
.LBB98_831:
	s_mov_b64 s[4:5], 0
.LBB98_832:
	s_andn2_b64 vcc, exec, s[4:5]
	s_cbranch_vccnz .LBB98_841
; %bb.833:
	s_cmp_lt_i32 s17, 6
	s_mov_b64 s[4:5], -1
	s_cbranch_scc1 .LBB98_839
; %bb.834:
	s_cmp_gt_i32 s17, 6
	s_cbranch_scc0 .LBB98_836
; %bb.835:
	v_cvt_f64_f32_e32 v[3:4], v23
	s_mov_b64 s[4:5], 0
	global_store_dwordx2 v[1:2], v[3:4], off
.LBB98_836:
	s_andn2_b64 vcc, exec, s[4:5]
	s_cbranch_vccnz .LBB98_838
; %bb.837:
	global_store_dword v[1:2], v23, off
.LBB98_838:
	s_mov_b64 s[4:5], 0
.LBB98_839:
	s_andn2_b64 vcc, exec, s[4:5]
	s_cbranch_vccnz .LBB98_841
; %bb.840:
	v_cvt_f16_f32_e32 v3, v23
	global_store_short v[1:2], v3, off
.LBB98_841:
	s_mov_b64 s[4:5], 0
.LBB98_842:
	s_andn2_b64 vcc, exec, s[4:5]
	s_cbranch_vccnz .LBB98_858
; %bb.843:
	s_cmp_lt_i32 s17, 2
	s_mov_b64 s[4:5], -1
	s_cbranch_scc1 .LBB98_853
; %bb.844:
	s_cmp_lt_i32 s17, 3
	s_cbranch_scc1 .LBB98_850
; %bb.845:
	s_cmp_gt_i32 s17, 3
	s_cbranch_scc0 .LBB98_847
; %bb.846:
	v_trunc_f32_e32 v3, v23
	s_mov_b32 s4, 0x2f800000
	v_mul_f32_e64 v4, |v3|, s4
	v_floor_f32_e32 v4, v4
	s_mov_b32 s4, 0xcf800000
	v_cvt_u32_f32_e32 v5, v4
	v_fma_f32 v4, v4, s4, |v3|
	v_cvt_u32_f32_e32 v4, v4
	v_ashrrev_i32_e32 v6, 31, v3
	v_xor_b32_e32 v5, v5, v6
	s_mov_b64 s[4:5], 0
	v_xor_b32_e32 v3, v4, v6
	v_sub_co_u32_e32 v3, vcc, v3, v6
	v_subb_co_u32_e32 v4, vcc, v5, v6, vcc
	global_store_dwordx2 v[1:2], v[3:4], off
.LBB98_847:
	s_andn2_b64 vcc, exec, s[4:5]
	s_cbranch_vccnz .LBB98_849
; %bb.848:
	v_cvt_i32_f32_e32 v3, v23
	global_store_dword v[1:2], v3, off
.LBB98_849:
	s_mov_b64 s[4:5], 0
.LBB98_850:
	s_andn2_b64 vcc, exec, s[4:5]
	s_cbranch_vccnz .LBB98_852
; %bb.851:
	v_cvt_i32_f32_e32 v3, v23
	global_store_short v[1:2], v3, off
.LBB98_852:
	s_mov_b64 s[4:5], 0
.LBB98_853:
	s_andn2_b64 vcc, exec, s[4:5]
	s_cbranch_vccnz .LBB98_858
; %bb.854:
	s_cmp_gt_i32 s17, 0
	s_mov_b64 s[4:5], -1
	s_cbranch_scc0 .LBB98_856
; %bb.855:
	v_cvt_i32_f32_e32 v3, v23
	s_mov_b64 s[4:5], 0
	global_store_byte v[1:2], v3, off
.LBB98_856:
	s_andn2_b64 vcc, exec, s[4:5]
	s_cbranch_vccnz .LBB98_858
; %bb.857:
	v_trunc_f32_e32 v3, v23
	s_mov_b32 s4, 0x2f800000
	v_mul_f32_e64 v4, |v3|, s4
	v_floor_f32_e32 v4, v4
	s_mov_b32 s4, 0xcf800000
	v_fma_f32 v4, v4, s4, |v3|
	v_cvt_u32_f32_e32 v4, v4
	v_ashrrev_i32_e32 v3, 31, v3
	v_xor_b32_e32 v4, v4, v3
	v_sub_u32_e32 v3, v4, v3
	global_store_byte v[1:2], v3, off
.LBB98_858:
.LBB98_859:
	v_mov_b32_e32 v2, s37
	v_add_co_u32_e32 v1, vcc, s36, v30
	s_cmp_lt_i32 s17, 11
	v_addc_co_u32_e32 v2, vcc, 0, v2, vcc
	s_cbranch_scc1 .LBB98_1014
; %bb.860:
	s_mov_b64 s[12:13], -1
	s_mov_b64 s[8:9], 0
	s_cmp_gt_i32 s17, 25
	s_mov_b64 s[10:11], 0
	s_mov_b64 s[4:5], 0
	s_cbranch_scc0 .LBB98_893
; %bb.861:
	s_cmp_gt_i32 s17, 28
	s_cbranch_scc0 .LBB98_876
; %bb.862:
	s_cmp_gt_i32 s17, 43
	;; [unrolled: 3-line block ×3, first 2 shown]
	s_cbranch_scc0 .LBB98_866
; %bb.864:
	s_mov_b64 s[4:5], -1
	s_mov_b64 s[12:13], 0
	s_cmp_eq_u32 s17, 46
	s_cbranch_scc0 .LBB98_866
; %bb.865:
	v_bfe_u32 v3, v22, 16, 1
	s_movk_i32 s4, 0x7fff
	v_add3_u32 v3, v22, v3, s4
	v_cmp_o_f32_e32 vcc, v22, v22
	v_mov_b32_e32 v4, 0x7fc0
	v_cndmask_b32_sdwa v3, v4, v3, vcc dst_sel:DWORD dst_unused:UNUSED_PAD src0_sel:DWORD src1_sel:WORD_1
	global_store_dword v[1:2], v3, off
	s_mov_b64 s[4:5], 0
	s_mov_b64 s[10:11], -1
.LBB98_866:
	s_and_b64 vcc, exec, s[12:13]
	s_cbranch_vccz .LBB98_871
; %bb.867:
	s_cmp_eq_u32 s17, 44
	s_mov_b64 s[4:5], -1
	s_cbranch_scc0 .LBB98_871
; %bb.868:
	v_bfe_u32 v3, v22, 23, 8
	s_movk_i32 s4, 0xff
	v_cmp_ne_u32_e32 vcc, s4, v3
	v_mov_b32_e32 v4, 0xff
	s_and_saveexec_b64 s[10:11], vcc
; %bb.869:
	s_mov_b32 s4, 0x3fffff
	v_and_b32_e32 v5, 0x400000, v22
	v_and_or_b32 v3, v22, s4, v3
	v_cmp_ne_u32_e32 vcc, 0, v5
	v_cmp_ne_u32_e64 s[4:5], 0, v3
	s_and_b64 s[4:5], vcc, s[4:5]
	v_lshrrev_b32_e32 v4, 23, v22
	v_cndmask_b32_e64 v3, 0, 1, s[4:5]
	v_add_u32_e32 v4, v4, v3
; %bb.870:
	s_or_b64 exec, exec, s[10:11]
	s_mov_b64 s[4:5], 0
	s_mov_b64 s[10:11], -1
	global_store_byte v[1:2], v4, off
.LBB98_871:
	s_mov_b64 s[12:13], 0
.LBB98_872:
	s_and_b64 vcc, exec, s[12:13]
	s_cbranch_vccz .LBB98_875
; %bb.873:
	s_cmp_eq_u32 s17, 29
	s_mov_b64 s[4:5], -1
	s_cbranch_scc0 .LBB98_875
; %bb.874:
	v_trunc_f32_e32 v3, v22
	v_mul_f32_e32 v4, 0x2f800000, v3
	v_floor_f32_e32 v5, v4
	v_fmac_f32_e32 v3, 0xcf800000, v5
	v_cvt_u32_f32_e32 v4, v5
	v_cvt_u32_f32_e32 v3, v3
	s_mov_b64 s[4:5], 0
	s_mov_b64 s[10:11], -1
	global_store_dwordx2 v[1:2], v[3:4], off
.LBB98_875:
	s_mov_b64 s[12:13], 0
.LBB98_876:
	s_and_b64 vcc, exec, s[12:13]
	s_cbranch_vccz .LBB98_892
; %bb.877:
	s_cmp_lt_i32 s17, 27
	s_mov_b64 s[10:11], -1
	s_cbranch_scc1 .LBB98_883
; %bb.878:
	v_cvt_u32_f32_e32 v3, v22
	s_cmp_gt_i32 s17, 27
	s_cbranch_scc0 .LBB98_880
; %bb.879:
	s_mov_b64 s[10:11], 0
	global_store_dword v[1:2], v3, off
.LBB98_880:
	s_andn2_b64 vcc, exec, s[10:11]
	s_cbranch_vccnz .LBB98_882
; %bb.881:
	global_store_short v[1:2], v3, off
.LBB98_882:
	s_mov_b64 s[10:11], 0
.LBB98_883:
	s_andn2_b64 vcc, exec, s[10:11]
	s_cbranch_vccnz .LBB98_891
; %bb.884:
	v_and_b32_e32 v3, 0x7fffffff, v22
	s_mov_b32 s10, 0x43800000
	v_cmp_gt_u32_e32 vcc, s10, v3
	v_mov_b32_e32 v4, 0x80
	s_and_saveexec_b64 s[10:11], vcc
	s_cbranch_execz .LBB98_890
; %bb.885:
	s_mov_b32 s12, 0x3bffffff
	v_cmp_lt_u32_e32 vcc, s12, v3
	s_mov_b64 s[12:13], 0
                                        ; implicit-def: $vgpr3
	s_and_saveexec_b64 s[14:15], vcc
	s_xor_b64 s[14:15], exec, s[14:15]
	s_cbranch_execz .LBB98_1109
; %bb.886:
	v_bfe_u32 v3, v22, 20, 1
	s_mov_b32 s18, 0x487ffff
	v_add3_u32 v3, v22, v3, s18
	s_mov_b64 s[12:13], exec
	v_lshrrev_b32_e32 v3, 20, v3
	s_andn2_saveexec_b64 s[14:15], s[14:15]
	s_cbranch_execnz .LBB98_1110
.LBB98_887:
	s_or_b64 exec, exec, s[14:15]
	v_mov_b32_e32 v4, 0
	s_and_saveexec_b64 s[14:15], s[12:13]
.LBB98_888:
	v_lshrrev_b32_e32 v4, 24, v22
	s_movk_i32 s12, 0x80
	v_and_or_b32 v4, v4, s12, v3
.LBB98_889:
	s_or_b64 exec, exec, s[14:15]
.LBB98_890:
	s_or_b64 exec, exec, s[10:11]
	global_store_byte v[1:2], v4, off
.LBB98_891:
	s_mov_b64 s[10:11], -1
.LBB98_892:
	s_mov_b64 s[12:13], 0
.LBB98_893:
	s_and_b64 vcc, exec, s[12:13]
	s_cbranch_vccz .LBB98_933
; %bb.894:
	s_cmp_gt_i32 s17, 22
	s_mov_b64 s[8:9], -1
	s_cbranch_scc0 .LBB98_926
; %bb.895:
	s_cmp_lt_i32 s17, 24
	s_cbranch_scc1 .LBB98_915
; %bb.896:
	s_cmp_gt_i32 s17, 24
	s_cbranch_scc0 .LBB98_904
; %bb.897:
	v_and_b32_e32 v3, 0x7fffffff, v22
	s_mov_b32 s8, 0x47800000
	v_cmp_gt_u32_e32 vcc, s8, v3
	v_mov_b32_e32 v4, 0x80
	s_and_saveexec_b64 s[8:9], vcc
	s_cbranch_execz .LBB98_903
; %bb.898:
	s_mov_b32 s10, 0x37ffffff
	v_cmp_lt_u32_e32 vcc, s10, v3
	s_mov_b64 s[10:11], 0
                                        ; implicit-def: $vgpr3
	s_and_saveexec_b64 s[12:13], vcc
	s_xor_b64 s[12:13], exec, s[12:13]
	s_cbranch_execz .LBB98_1114
; %bb.899:
	v_bfe_u32 v3, v22, 21, 1
	s_mov_b32 s14, 0x88fffff
	v_add3_u32 v3, v22, v3, s14
	s_mov_b64 s[10:11], exec
	v_lshrrev_b32_e32 v3, 21, v3
	s_andn2_saveexec_b64 s[12:13], s[12:13]
	s_cbranch_execnz .LBB98_1115
.LBB98_900:
	s_or_b64 exec, exec, s[12:13]
	v_mov_b32_e32 v4, 0
	s_and_saveexec_b64 s[12:13], s[10:11]
.LBB98_901:
	v_lshrrev_b32_e32 v4, 24, v22
	s_movk_i32 s10, 0x80
	v_and_or_b32 v4, v4, s10, v3
.LBB98_902:
	s_or_b64 exec, exec, s[12:13]
.LBB98_903:
	s_or_b64 exec, exec, s[8:9]
	s_mov_b64 s[8:9], 0
	global_store_byte v[1:2], v4, off
.LBB98_904:
	s_and_b64 vcc, exec, s[8:9]
	s_cbranch_vccz .LBB98_914
; %bb.905:
	v_and_b32_e32 v4, 0x7fffffff, v22
	s_mov_b32 s8, 0x43f00000
	v_cmp_gt_u32_e32 vcc, s8, v4
                                        ; implicit-def: $vgpr3
	s_and_saveexec_b64 s[8:9], vcc
	s_xor_b64 s[8:9], exec, s[8:9]
	s_cbranch_execz .LBB98_911
; %bb.906:
	s_mov_b32 s10, 0x3c7fffff
	v_cmp_lt_u32_e32 vcc, s10, v4
                                        ; implicit-def: $vgpr3
	s_and_saveexec_b64 s[10:11], vcc
	s_xor_b64 s[10:11], exec, s[10:11]
; %bb.907:
	v_bfe_u32 v3, v22, 20, 1
	s_mov_b32 s12, 0x407ffff
	v_add3_u32 v3, v22, v3, s12
	v_lshrrev_b32_e32 v4, 20, v3
	v_and_b32_e32 v3, 0xff00000, v3
	s_mov_b32 s12, 0x7f00000
	v_mov_b32_e32 v5, 0x7e
	v_cmp_ne_u32_e32 vcc, s12, v3
	v_cndmask_b32_e32 v3, v5, v4, vcc
; %bb.908:
	s_andn2_saveexec_b64 s[10:11], s[10:11]
; %bb.909:
	s_mov_b32 s12, 0x46800000
	v_add_f32_e64 v3, |v22|, s12
; %bb.910:
	s_or_b64 exec, exec, s[10:11]
                                        ; implicit-def: $vgpr4
.LBB98_911:
	s_andn2_saveexec_b64 s[8:9], s[8:9]
; %bb.912:
	s_mov_b32 s10, 0x7f800000
	v_mov_b32_e32 v3, 0x7e
	v_mov_b32_e32 v5, 0x7f
	v_cmp_lt_u32_e32 vcc, s10, v4
	v_cndmask_b32_e32 v3, v3, v5, vcc
; %bb.913:
	s_or_b64 exec, exec, s[8:9]
	v_lshrrev_b32_e32 v4, 24, v22
	s_movk_i32 s8, 0x80
	v_and_or_b32 v3, v4, s8, v3
	global_store_byte v[1:2], v3, off
.LBB98_914:
	s_mov_b64 s[8:9], 0
.LBB98_915:
	s_andn2_b64 vcc, exec, s[8:9]
	s_cbranch_vccnz .LBB98_925
; %bb.916:
	v_and_b32_e32 v4, 0x7fffffff, v22
	s_mov_b32 s8, 0x47800000
	v_cmp_gt_u32_e32 vcc, s8, v4
                                        ; implicit-def: $vgpr3
	s_and_saveexec_b64 s[8:9], vcc
	s_xor_b64 s[8:9], exec, s[8:9]
	s_cbranch_execz .LBB98_922
; %bb.917:
	s_mov_b32 s10, 0x387fffff
	v_cmp_lt_u32_e32 vcc, s10, v4
                                        ; implicit-def: $vgpr3
	s_and_saveexec_b64 s[10:11], vcc
	s_xor_b64 s[10:11], exec, s[10:11]
; %bb.918:
	v_bfe_u32 v3, v22, 21, 1
	s_mov_b32 s12, 0x80fffff
	v_add3_u32 v3, v22, v3, s12
	v_lshrrev_b32_e32 v3, 21, v3
; %bb.919:
	s_andn2_saveexec_b64 s[10:11], s[10:11]
; %bb.920:
	s_mov_b32 s12, 0x43000000
	v_add_f32_e64 v3, |v22|, s12
; %bb.921:
	s_or_b64 exec, exec, s[10:11]
                                        ; implicit-def: $vgpr4
.LBB98_922:
	s_andn2_saveexec_b64 s[8:9], s[8:9]
; %bb.923:
	s_mov_b32 s10, 0x7f800000
	v_mov_b32_e32 v3, 0x7c
	v_mov_b32_e32 v5, 0x7f
	v_cmp_lt_u32_e32 vcc, s10, v4
	v_cndmask_b32_e32 v3, v3, v5, vcc
; %bb.924:
	s_or_b64 exec, exec, s[8:9]
	v_lshrrev_b32_e32 v4, 24, v22
	s_movk_i32 s8, 0x80
	v_and_or_b32 v3, v4, s8, v3
	global_store_byte v[1:2], v3, off
.LBB98_925:
	s_mov_b64 s[8:9], 0
	s_mov_b64 s[10:11], -1
.LBB98_926:
	s_andn2_b64 vcc, exec, s[8:9]
	s_mov_b64 s[8:9], 0
	s_cbranch_vccnz .LBB98_933
; %bb.927:
	s_cmp_gt_i32 s17, 14
	s_mov_b64 s[12:13], -1
	s_cbranch_scc0 .LBB98_931
; %bb.928:
	s_cmp_eq_u32 s17, 15
	s_mov_b64 s[4:5], -1
	s_cbranch_scc0 .LBB98_930
; %bb.929:
	v_bfe_u32 v3, v22, 16, 1
	s_movk_i32 s4, 0x7fff
	v_add3_u32 v3, v22, v3, s4
	v_cmp_o_f32_e32 vcc, v22, v22
	v_mov_b32_e32 v4, 0x7fc0
	v_cndmask_b32_sdwa v3, v4, v3, vcc dst_sel:DWORD dst_unused:UNUSED_PAD src0_sel:DWORD src1_sel:WORD_1
	global_store_short v[1:2], v3, off
	s_mov_b64 s[4:5], 0
	s_mov_b64 s[10:11], -1
.LBB98_930:
	s_mov_b64 s[12:13], 0
.LBB98_931:
	s_and_b64 vcc, exec, s[12:13]
	s_cbranch_vccz .LBB98_933
; %bb.932:
	s_cmp_lg_u32 s17, 11
	s_mov_b64 s[8:9], -1
	s_cselect_b64 s[4:5], -1, 0
.LBB98_933:
	s_and_b64 vcc, exec, s[4:5]
	s_cbranch_vccnz .LBB98_1111
; %bb.934:
	s_andn2_b64 vcc, exec, s[8:9]
	s_cbranch_vccnz .LBB98_936
.LBB98_935:
	v_cmp_neq_f32_e32 vcc, 0, v22
	v_cndmask_b32_e64 v3, 0, 1, vcc
	s_mov_b64 s[10:11], -1
	global_store_byte v[1:2], v3, off
.LBB98_936:
.LBB98_937:
	s_andn2_b64 vcc, exec, s[10:11]
	s_cbranch_vccnz .LBB98_1053
.LBB98_938:
	v_mov_b32_e32 v1, s37
	v_add_co_u32_e32 v2, vcc, s36, v28
	s_cmp_lt_i32 s17, 11
	v_addc_co_u32_e32 v3, vcc, 0, v1, vcc
	s_cbranch_scc1 .LBB98_1098
; %bb.939:
	s_mov_b64 s[10:11], -1
	s_mov_b64 s[8:9], 0
	s_cmp_gt_i32 s17, 25
	s_mov_b64 s[4:5], 0
	s_cbranch_scc0 .LBB98_972
; %bb.940:
	s_cmp_gt_i32 s17, 28
	s_cbranch_scc0 .LBB98_956
; %bb.941:
	s_cmp_gt_i32 s17, 43
	;; [unrolled: 3-line block ×3, first 2 shown]
	s_cbranch_scc0 .LBB98_946
; %bb.943:
	s_cmp_eq_u32 s17, 46
	s_mov_b64 s[4:5], -1
	s_cbranch_scc0 .LBB98_945
; %bb.944:
	v_bfe_u32 v1, v0, 16, 1
	s_movk_i32 s4, 0x7fff
	v_add3_u32 v1, v0, v1, s4
	v_cmp_o_f32_e32 vcc, v0, v0
	v_mov_b32_e32 v4, 0x7fc0
	v_cndmask_b32_sdwa v1, v4, v1, vcc dst_sel:DWORD dst_unused:UNUSED_PAD src0_sel:DWORD src1_sel:WORD_1
	global_store_dword v[2:3], v1, off
	s_mov_b64 s[4:5], 0
.LBB98_945:
	s_mov_b64 s[10:11], 0
.LBB98_946:
	s_and_b64 vcc, exec, s[10:11]
	s_cbranch_vccz .LBB98_951
; %bb.947:
	s_cmp_eq_u32 s17, 44
	s_mov_b64 s[4:5], -1
	s_cbranch_scc0 .LBB98_951
; %bb.948:
	v_bfe_u32 v1, v0, 23, 8
	s_movk_i32 s4, 0xff
	v_cmp_ne_u32_e32 vcc, s4, v1
	v_mov_b32_e32 v4, 0xff
	s_and_saveexec_b64 s[10:11], vcc
; %bb.949:
	s_mov_b32 s4, 0x3fffff
	v_and_b32_e32 v5, 0x400000, v0
	v_and_or_b32 v1, v0, s4, v1
	v_cmp_ne_u32_e32 vcc, 0, v5
	v_cmp_ne_u32_e64 s[4:5], 0, v1
	s_and_b64 s[4:5], vcc, s[4:5]
	v_lshrrev_b32_e32 v4, 23, v0
	v_cndmask_b32_e64 v1, 0, 1, s[4:5]
	v_add_u32_e32 v4, v4, v1
; %bb.950:
	s_or_b64 exec, exec, s[10:11]
	s_mov_b64 s[4:5], 0
	global_store_byte v[2:3], v4, off
.LBB98_951:
	s_mov_b64 s[10:11], 0
.LBB98_952:
	s_and_b64 vcc, exec, s[10:11]
	s_cbranch_vccz .LBB98_955
; %bb.953:
	s_cmp_eq_u32 s17, 29
	s_mov_b64 s[4:5], -1
	s_cbranch_scc0 .LBB98_955
; %bb.954:
	v_trunc_f32_e32 v1, v0
	v_mul_f32_e32 v4, 0x2f800000, v1
	v_floor_f32_e32 v4, v4
	v_fmac_f32_e32 v1, 0xcf800000, v4
	v_cvt_u32_f32_e32 v5, v4
	v_cvt_u32_f32_e32 v4, v1
	s_mov_b64 s[4:5], 0
	global_store_dwordx2 v[2:3], v[4:5], off
.LBB98_955:
	s_mov_b64 s[10:11], 0
.LBB98_956:
	s_and_b64 vcc, exec, s[10:11]
	s_cbranch_vccz .LBB98_971
; %bb.957:
	s_cmp_lt_i32 s17, 27
	s_mov_b64 s[10:11], -1
	s_cbranch_scc1 .LBB98_963
; %bb.958:
	v_cvt_u32_f32_e32 v1, v0
	s_cmp_gt_i32 s17, 27
	s_cbranch_scc0 .LBB98_960
; %bb.959:
	global_store_dword v[2:3], v1, off
	s_mov_b64 s[10:11], 0
.LBB98_960:
	s_andn2_b64 vcc, exec, s[10:11]
	s_cbranch_vccnz .LBB98_962
; %bb.961:
	global_store_short v[2:3], v1, off
.LBB98_962:
	s_mov_b64 s[10:11], 0
.LBB98_963:
	s_andn2_b64 vcc, exec, s[10:11]
	s_cbranch_vccnz .LBB98_971
; %bb.964:
	v_and_b32_e32 v1, 0x7fffffff, v0
	s_mov_b32 s10, 0x43800000
	v_cmp_gt_u32_e32 vcc, s10, v1
	v_mov_b32_e32 v4, 0x80
	s_and_saveexec_b64 s[10:11], vcc
	s_cbranch_execz .LBB98_970
; %bb.965:
	s_mov_b32 s12, 0x3bffffff
	v_cmp_lt_u32_e32 vcc, s12, v1
	s_mov_b64 s[12:13], 0
                                        ; implicit-def: $vgpr1
	s_and_saveexec_b64 s[14:15], vcc
	s_xor_b64 s[14:15], exec, s[14:15]
	s_cbranch_execz .LBB98_1116
; %bb.966:
	v_bfe_u32 v1, v0, 20, 1
	s_mov_b32 s18, 0x487ffff
	v_add3_u32 v1, v0, v1, s18
	s_mov_b64 s[12:13], exec
	v_lshrrev_b32_e32 v1, 20, v1
	s_andn2_saveexec_b64 s[14:15], s[14:15]
	s_cbranch_execnz .LBB98_1117
.LBB98_967:
	s_or_b64 exec, exec, s[14:15]
	v_mov_b32_e32 v4, 0
	s_and_saveexec_b64 s[14:15], s[12:13]
.LBB98_968:
	v_lshrrev_b32_e32 v4, 24, v0
	s_movk_i32 s12, 0x80
	v_and_or_b32 v4, v4, s12, v1
.LBB98_969:
	s_or_b64 exec, exec, s[14:15]
.LBB98_970:
	s_or_b64 exec, exec, s[10:11]
	global_store_byte v[2:3], v4, off
.LBB98_971:
	s_mov_b64 s[10:11], 0
.LBB98_972:
	s_and_b64 vcc, exec, s[10:11]
	s_cbranch_vccz .LBB98_1012
; %bb.973:
	s_cmp_gt_i32 s17, 22
	s_mov_b64 s[8:9], -1
	s_cbranch_scc0 .LBB98_1005
; %bb.974:
	s_cmp_lt_i32 s17, 24
	s_cbranch_scc1 .LBB98_994
; %bb.975:
	s_cmp_gt_i32 s17, 24
	s_cbranch_scc0 .LBB98_983
; %bb.976:
	v_and_b32_e32 v1, 0x7fffffff, v0
	s_mov_b32 s8, 0x47800000
	v_cmp_gt_u32_e32 vcc, s8, v1
	v_mov_b32_e32 v4, 0x80
	s_and_saveexec_b64 s[8:9], vcc
	s_cbranch_execz .LBB98_982
; %bb.977:
	s_mov_b32 s10, 0x37ffffff
	v_cmp_lt_u32_e32 vcc, s10, v1
	s_mov_b64 s[10:11], 0
                                        ; implicit-def: $vgpr1
	s_and_saveexec_b64 s[12:13], vcc
	s_xor_b64 s[12:13], exec, s[12:13]
	s_cbranch_execz .LBB98_1123
; %bb.978:
	v_bfe_u32 v1, v0, 21, 1
	s_mov_b32 s14, 0x88fffff
	v_add3_u32 v1, v0, v1, s14
	s_mov_b64 s[10:11], exec
	v_lshrrev_b32_e32 v1, 21, v1
	s_andn2_saveexec_b64 s[12:13], s[12:13]
	s_cbranch_execnz .LBB98_1124
.LBB98_979:
	s_or_b64 exec, exec, s[12:13]
	v_mov_b32_e32 v4, 0
	s_and_saveexec_b64 s[12:13], s[10:11]
.LBB98_980:
	v_lshrrev_b32_e32 v4, 24, v0
	s_movk_i32 s10, 0x80
	v_and_or_b32 v4, v4, s10, v1
.LBB98_981:
	s_or_b64 exec, exec, s[12:13]
.LBB98_982:
	s_or_b64 exec, exec, s[8:9]
	s_mov_b64 s[8:9], 0
	global_store_byte v[2:3], v4, off
.LBB98_983:
	s_and_b64 vcc, exec, s[8:9]
	s_cbranch_vccz .LBB98_993
; %bb.984:
	v_and_b32_e32 v4, 0x7fffffff, v0
	s_mov_b32 s8, 0x43f00000
	v_cmp_gt_u32_e32 vcc, s8, v4
                                        ; implicit-def: $vgpr1
	s_and_saveexec_b64 s[8:9], vcc
	s_xor_b64 s[8:9], exec, s[8:9]
	s_cbranch_execz .LBB98_990
; %bb.985:
	s_mov_b32 s10, 0x3c7fffff
	v_cmp_lt_u32_e32 vcc, s10, v4
                                        ; implicit-def: $vgpr1
	s_and_saveexec_b64 s[10:11], vcc
	s_xor_b64 s[10:11], exec, s[10:11]
; %bb.986:
	v_bfe_u32 v1, v0, 20, 1
	s_mov_b32 s12, 0x407ffff
	v_add3_u32 v1, v0, v1, s12
	v_lshrrev_b32_e32 v4, 20, v1
	v_and_b32_e32 v1, 0xff00000, v1
	s_mov_b32 s12, 0x7f00000
	v_mov_b32_e32 v5, 0x7e
	v_cmp_ne_u32_e32 vcc, s12, v1
	v_cndmask_b32_e32 v1, v5, v4, vcc
; %bb.987:
	s_andn2_saveexec_b64 s[10:11], s[10:11]
; %bb.988:
	s_mov_b32 s12, 0x46800000
	v_add_f32_e64 v1, |v0|, s12
; %bb.989:
	s_or_b64 exec, exec, s[10:11]
                                        ; implicit-def: $vgpr4
.LBB98_990:
	s_andn2_saveexec_b64 s[8:9], s[8:9]
; %bb.991:
	s_mov_b32 s10, 0x7f800000
	v_mov_b32_e32 v1, 0x7e
	v_mov_b32_e32 v5, 0x7f
	v_cmp_lt_u32_e32 vcc, s10, v4
	v_cndmask_b32_e32 v1, v1, v5, vcc
; %bb.992:
	s_or_b64 exec, exec, s[8:9]
	v_lshrrev_b32_e32 v4, 24, v0
	s_movk_i32 s8, 0x80
	v_and_or_b32 v1, v4, s8, v1
	global_store_byte v[2:3], v1, off
.LBB98_993:
	s_mov_b64 s[8:9], 0
.LBB98_994:
	s_andn2_b64 vcc, exec, s[8:9]
	s_cbranch_vccnz .LBB98_1004
; %bb.995:
	v_and_b32_e32 v4, 0x7fffffff, v0
	s_mov_b32 s8, 0x47800000
	v_cmp_gt_u32_e32 vcc, s8, v4
                                        ; implicit-def: $vgpr1
	s_and_saveexec_b64 s[8:9], vcc
	s_xor_b64 s[8:9], exec, s[8:9]
	s_cbranch_execz .LBB98_1001
; %bb.996:
	s_mov_b32 s10, 0x387fffff
	v_cmp_lt_u32_e32 vcc, s10, v4
                                        ; implicit-def: $vgpr1
	s_and_saveexec_b64 s[10:11], vcc
	s_xor_b64 s[10:11], exec, s[10:11]
; %bb.997:
	v_bfe_u32 v1, v0, 21, 1
	s_mov_b32 s12, 0x80fffff
	v_add3_u32 v1, v0, v1, s12
	v_lshrrev_b32_e32 v1, 21, v1
; %bb.998:
	s_andn2_saveexec_b64 s[10:11], s[10:11]
; %bb.999:
	s_mov_b32 s12, 0x43000000
	v_add_f32_e64 v1, |v0|, s12
; %bb.1000:
	s_or_b64 exec, exec, s[10:11]
                                        ; implicit-def: $vgpr4
.LBB98_1001:
	s_andn2_saveexec_b64 s[8:9], s[8:9]
; %bb.1002:
	s_mov_b32 s10, 0x7f800000
	v_mov_b32_e32 v1, 0x7c
	v_mov_b32_e32 v5, 0x7f
	v_cmp_lt_u32_e32 vcc, s10, v4
	v_cndmask_b32_e32 v1, v1, v5, vcc
; %bb.1003:
	s_or_b64 exec, exec, s[8:9]
	v_lshrrev_b32_e32 v4, 24, v0
	s_movk_i32 s8, 0x80
	v_and_or_b32 v1, v4, s8, v1
	global_store_byte v[2:3], v1, off
.LBB98_1004:
	s_mov_b64 s[8:9], 0
.LBB98_1005:
	s_andn2_b64 vcc, exec, s[8:9]
	s_mov_b64 s[8:9], 0
	s_cbranch_vccnz .LBB98_1012
; %bb.1006:
	s_cmp_gt_i32 s17, 14
	s_mov_b64 s[10:11], -1
	s_cbranch_scc0 .LBB98_1010
; %bb.1007:
	s_cmp_eq_u32 s17, 15
	s_mov_b64 s[4:5], -1
	s_cbranch_scc0 .LBB98_1009
; %bb.1008:
	v_bfe_u32 v1, v0, 16, 1
	s_movk_i32 s4, 0x7fff
	v_add3_u32 v1, v0, v1, s4
	v_cmp_o_f32_e32 vcc, v0, v0
	v_mov_b32_e32 v4, 0x7fc0
	v_cndmask_b32_sdwa v1, v4, v1, vcc dst_sel:DWORD dst_unused:UNUSED_PAD src0_sel:DWORD src1_sel:WORD_1
	global_store_short v[2:3], v1, off
	s_mov_b64 s[4:5], 0
.LBB98_1009:
	s_mov_b64 s[10:11], 0
.LBB98_1010:
	s_and_b64 vcc, exec, s[10:11]
	s_cbranch_vccz .LBB98_1012
; %bb.1011:
	s_cmp_lg_u32 s17, 11
	s_mov_b64 s[8:9], -1
	s_cselect_b64 s[4:5], -1, 0
.LBB98_1012:
	s_and_b64 vcc, exec, s[4:5]
	s_cbranch_vccnz .LBB98_1118
.LBB98_1013:
	s_mov_b64 s[4:5], 0
	s_branch .LBB98_1054
.LBB98_1014:
	s_mov_b64 s[10:11], 0
	s_cbranch_execz .LBB98_937
; %bb.1015:
	s_cmp_lt_i32 s17, 5
	s_mov_b64 s[4:5], -1
	s_cbranch_scc1 .LBB98_1036
; %bb.1016:
	s_cmp_lt_i32 s17, 8
	s_cbranch_scc1 .LBB98_1026
; %bb.1017:
	s_cmp_lt_i32 s17, 9
	s_cbranch_scc1 .LBB98_1023
; %bb.1018:
	s_cmp_gt_i32 s17, 9
	s_cbranch_scc0 .LBB98_1020
; %bb.1019:
	v_cvt_f64_f32_e32 v[3:4], v22
	v_mov_b32_e32 v5, 0
	v_mov_b32_e32 v6, v5
	s_mov_b64 s[4:5], 0
	global_store_dwordx4 v[1:2], v[3:6], off
.LBB98_1020:
	s_andn2_b64 vcc, exec, s[4:5]
	s_cbranch_vccnz .LBB98_1022
; %bb.1021:
	v_mov_b32_e32 v23, 0
	global_store_dwordx2 v[1:2], v[22:23], off
.LBB98_1022:
	s_mov_b64 s[4:5], 0
.LBB98_1023:
	s_andn2_b64 vcc, exec, s[4:5]
	s_cbranch_vccnz .LBB98_1025
; %bb.1024:
	v_cvt_f16_f32_e32 v3, v22
	global_store_dword v[1:2], v3, off
.LBB98_1025:
	s_mov_b64 s[4:5], 0
.LBB98_1026:
	s_andn2_b64 vcc, exec, s[4:5]
	s_cbranch_vccnz .LBB98_1035
; %bb.1027:
	s_cmp_lt_i32 s17, 6
	s_mov_b64 s[4:5], -1
	s_cbranch_scc1 .LBB98_1033
; %bb.1028:
	s_cmp_gt_i32 s17, 6
	s_cbranch_scc0 .LBB98_1030
; %bb.1029:
	v_cvt_f64_f32_e32 v[3:4], v22
	s_mov_b64 s[4:5], 0
	global_store_dwordx2 v[1:2], v[3:4], off
.LBB98_1030:
	s_andn2_b64 vcc, exec, s[4:5]
	s_cbranch_vccnz .LBB98_1032
; %bb.1031:
	global_store_dword v[1:2], v22, off
.LBB98_1032:
	s_mov_b64 s[4:5], 0
.LBB98_1033:
	s_andn2_b64 vcc, exec, s[4:5]
	s_cbranch_vccnz .LBB98_1035
; %bb.1034:
	v_cvt_f16_f32_e32 v3, v22
	global_store_short v[1:2], v3, off
.LBB98_1035:
	s_mov_b64 s[4:5], 0
.LBB98_1036:
	s_andn2_b64 vcc, exec, s[4:5]
	s_cbranch_vccnz .LBB98_1052
; %bb.1037:
	s_cmp_lt_i32 s17, 2
	s_mov_b64 s[4:5], -1
	s_cbranch_scc1 .LBB98_1047
; %bb.1038:
	s_cmp_lt_i32 s17, 3
	s_cbranch_scc1 .LBB98_1044
; %bb.1039:
	s_cmp_gt_i32 s17, 3
	s_cbranch_scc0 .LBB98_1041
; %bb.1040:
	v_trunc_f32_e32 v3, v22
	s_mov_b32 s4, 0x2f800000
	v_mul_f32_e64 v4, |v3|, s4
	v_floor_f32_e32 v4, v4
	s_mov_b32 s4, 0xcf800000
	v_cvt_u32_f32_e32 v5, v4
	v_fma_f32 v4, v4, s4, |v3|
	v_cvt_u32_f32_e32 v4, v4
	v_ashrrev_i32_e32 v6, 31, v3
	v_xor_b32_e32 v5, v5, v6
	s_mov_b64 s[4:5], 0
	v_xor_b32_e32 v3, v4, v6
	v_sub_co_u32_e32 v3, vcc, v3, v6
	v_subb_co_u32_e32 v4, vcc, v5, v6, vcc
	global_store_dwordx2 v[1:2], v[3:4], off
.LBB98_1041:
	s_andn2_b64 vcc, exec, s[4:5]
	s_cbranch_vccnz .LBB98_1043
; %bb.1042:
	v_cvt_i32_f32_e32 v3, v22
	global_store_dword v[1:2], v3, off
.LBB98_1043:
	s_mov_b64 s[4:5], 0
.LBB98_1044:
	s_andn2_b64 vcc, exec, s[4:5]
	s_cbranch_vccnz .LBB98_1046
; %bb.1045:
	v_cvt_i32_f32_e32 v3, v22
	global_store_short v[1:2], v3, off
.LBB98_1046:
	s_mov_b64 s[4:5], 0
.LBB98_1047:
	s_andn2_b64 vcc, exec, s[4:5]
	s_cbranch_vccnz .LBB98_1052
; %bb.1048:
	s_cmp_gt_i32 s17, 0
	s_mov_b64 s[4:5], -1
	s_cbranch_scc0 .LBB98_1050
; %bb.1049:
	v_cvt_i32_f32_e32 v3, v22
	s_mov_b64 s[4:5], 0
	global_store_byte v[1:2], v3, off
.LBB98_1050:
	s_andn2_b64 vcc, exec, s[4:5]
	s_cbranch_vccnz .LBB98_1052
; %bb.1051:
	v_trunc_f32_e32 v3, v22
	s_mov_b32 s4, 0x2f800000
	v_mul_f32_e64 v4, |v3|, s4
	v_floor_f32_e32 v4, v4
	s_mov_b32 s4, 0xcf800000
	v_fma_f32 v4, v4, s4, |v3|
	v_cvt_u32_f32_e32 v4, v4
	v_ashrrev_i32_e32 v3, 31, v3
	v_xor_b32_e32 v4, v4, v3
	v_sub_u32_e32 v3, v4, v3
	global_store_byte v[1:2], v3, off
.LBB98_1052:
	s_branch .LBB98_938
.LBB98_1053:
	s_mov_b64 s[4:5], 0
	s_mov_b64 s[8:9], 0
                                        ; implicit-def: $sgpr16
                                        ; implicit-def: $vgpr2_vgpr3
.LBB98_1054:
	s_and_b64 s[58:59], s[8:9], exec
	s_andn2_b64 s[8:9], s[48:49], exec
	s_and_b64 s[6:7], s[6:7], exec
	s_and_b64 s[4:5], s[4:5], exec
	s_or_b64 s[48:49], s[8:9], s[6:7]
.LBB98_1055:
	s_or_b64 exec, exec, s[50:51]
	s_and_saveexec_b64 s[6:7], s[48:49]
	s_cbranch_execz .LBB98_1058
; %bb.1056:
	; divergent unreachable
	s_or_b64 exec, exec, s[6:7]
	s_and_saveexec_b64 s[6:7], s[58:59]
	s_xor_b64 s[6:7], exec, s[6:7]
	s_cbranch_execnz .LBB98_1059
.LBB98_1057:
	s_or_b64 exec, exec, s[6:7]
	s_and_saveexec_b64 s[6:7], s[4:5]
	s_cbranch_execnz .LBB98_1060
	s_branch .LBB98_1097
.LBB98_1058:
	s_or_b64 exec, exec, s[6:7]
	s_and_saveexec_b64 s[6:7], s[58:59]
	s_xor_b64 s[6:7], exec, s[6:7]
	s_cbranch_execz .LBB98_1057
.LBB98_1059:
	v_cmp_neq_f32_e32 vcc, 0, v0
	v_cndmask_b32_e64 v1, 0, 1, vcc
	global_store_byte v[2:3], v1, off
	s_or_b64 exec, exec, s[6:7]
	s_and_saveexec_b64 s[6:7], s[4:5]
	s_cbranch_execz .LBB98_1097
.LBB98_1060:
	s_sext_i32_i16 s6, s16
	s_cmp_lt_i32 s6, 5
	s_mov_b64 s[4:5], -1
	s_cbranch_scc1 .LBB98_1081
; %bb.1061:
	s_cmp_lt_i32 s6, 8
	s_cbranch_scc1 .LBB98_1071
; %bb.1062:
	s_cmp_lt_i32 s6, 9
	s_cbranch_scc1 .LBB98_1068
; %bb.1063:
	s_cmp_gt_i32 s6, 9
	s_cbranch_scc0 .LBB98_1065
; %bb.1064:
	v_cvt_f64_f32_e32 v[4:5], v0
	v_mov_b32_e32 v6, 0
	v_mov_b32_e32 v7, v6
	s_mov_b64 s[4:5], 0
	global_store_dwordx4 v[2:3], v[4:7], off
.LBB98_1065:
	s_andn2_b64 vcc, exec, s[4:5]
	s_cbranch_vccnz .LBB98_1067
; %bb.1066:
	v_mov_b32_e32 v1, 0
	global_store_dwordx2 v[2:3], v[0:1], off
.LBB98_1067:
	s_mov_b64 s[4:5], 0
.LBB98_1068:
	s_andn2_b64 vcc, exec, s[4:5]
	s_cbranch_vccnz .LBB98_1070
; %bb.1069:
	v_cvt_f16_f32_e32 v1, v0
	global_store_dword v[2:3], v1, off
.LBB98_1070:
	s_mov_b64 s[4:5], 0
.LBB98_1071:
	s_andn2_b64 vcc, exec, s[4:5]
	s_cbranch_vccnz .LBB98_1080
; %bb.1072:
	s_sext_i32_i16 s6, s16
	s_cmp_lt_i32 s6, 6
	s_mov_b64 s[4:5], -1
	s_cbranch_scc1 .LBB98_1078
; %bb.1073:
	s_cmp_gt_i32 s6, 6
	s_cbranch_scc0 .LBB98_1075
; %bb.1074:
	v_cvt_f64_f32_e32 v[4:5], v0
	s_mov_b64 s[4:5], 0
	global_store_dwordx2 v[2:3], v[4:5], off
.LBB98_1075:
	s_andn2_b64 vcc, exec, s[4:5]
	s_cbranch_vccnz .LBB98_1077
; %bb.1076:
	global_store_dword v[2:3], v0, off
.LBB98_1077:
	s_mov_b64 s[4:5], 0
.LBB98_1078:
	s_andn2_b64 vcc, exec, s[4:5]
	s_cbranch_vccnz .LBB98_1080
; %bb.1079:
	v_cvt_f16_f32_e32 v1, v0
	global_store_short v[2:3], v1, off
.LBB98_1080:
	s_mov_b64 s[4:5], 0
.LBB98_1081:
	s_andn2_b64 vcc, exec, s[4:5]
	s_cbranch_vccnz .LBB98_1097
; %bb.1082:
	s_sext_i32_i16 s6, s16
	s_cmp_lt_i32 s6, 2
	s_mov_b64 s[4:5], -1
	s_cbranch_scc1 .LBB98_1092
; %bb.1083:
	s_cmp_lt_i32 s6, 3
	s_cbranch_scc1 .LBB98_1089
; %bb.1084:
	s_cmp_gt_i32 s6, 3
	s_cbranch_scc0 .LBB98_1086
; %bb.1085:
	v_trunc_f32_e32 v1, v0
	s_mov_b32 s4, 0x2f800000
	v_mul_f32_e64 v4, |v1|, s4
	v_floor_f32_e32 v4, v4
	s_mov_b32 s4, 0xcf800000
	v_cvt_u32_f32_e32 v5, v4
	v_fma_f32 v4, v4, s4, |v1|
	v_cvt_u32_f32_e32 v4, v4
	v_ashrrev_i32_e32 v1, 31, v1
	v_xor_b32_e32 v5, v5, v1
	s_mov_b64 s[4:5], 0
	v_xor_b32_e32 v4, v4, v1
	v_sub_co_u32_e32 v4, vcc, v4, v1
	v_subb_co_u32_e32 v5, vcc, v5, v1, vcc
	global_store_dwordx2 v[2:3], v[4:5], off
.LBB98_1086:
	s_andn2_b64 vcc, exec, s[4:5]
	s_cbranch_vccnz .LBB98_1088
; %bb.1087:
	v_cvt_i32_f32_e32 v1, v0
	global_store_dword v[2:3], v1, off
.LBB98_1088:
	s_mov_b64 s[4:5], 0
.LBB98_1089:
	s_andn2_b64 vcc, exec, s[4:5]
	s_cbranch_vccnz .LBB98_1091
; %bb.1090:
	v_cvt_i32_f32_e32 v1, v0
	global_store_short v[2:3], v1, off
.LBB98_1091:
	s_mov_b64 s[4:5], 0
.LBB98_1092:
	s_andn2_b64 vcc, exec, s[4:5]
	s_cbranch_vccnz .LBB98_1097
; %bb.1093:
	s_sext_i32_i16 s4, s16
	s_cmp_gt_i32 s4, 0
	s_mov_b64 s[4:5], -1
	s_cbranch_scc0 .LBB98_1095
; %bb.1094:
	v_cvt_i32_f32_e32 v1, v0
	s_mov_b64 s[4:5], 0
	global_store_byte v[2:3], v1, off
.LBB98_1095:
	s_andn2_b64 vcc, exec, s[4:5]
	s_cbranch_vccnz .LBB98_1097
; %bb.1096:
	v_trunc_f32_e32 v0, v0
	s_mov_b32 s4, 0x2f800000
	v_mul_f32_e64 v1, |v0|, s4
	v_floor_f32_e32 v1, v1
	s_mov_b32 s4, 0xcf800000
	v_fma_f32 v1, v1, s4, |v0|
	v_cvt_u32_f32_e32 v1, v1
	v_ashrrev_i32_e32 v0, 31, v0
	v_xor_b32_e32 v1, v1, v0
	v_sub_u32_e32 v0, v1, v0
	global_store_byte v[2:3], v0, off
	s_endpgm
.LBB98_1097:
	s_endpgm
.LBB98_1098:
	s_mov_b64 s[8:9], 0
	s_mov_b64 s[4:5], -1
	s_branch .LBB98_1054
.LBB98_1099:
	s_andn2_saveexec_b64 s[12:13], s[12:13]
	s_cbranch_execz .LBB98_651
.LBB98_1100:
	s_mov_b32 s15, 0x46000000
	v_add_f32_e64 v3, |v24|, s15
	v_and_b32_e32 v3, 0xff, v3
	v_cmp_ne_u32_e32 vcc, 0, v3
	s_andn2_b64 s[10:11], s[10:11], exec
	s_and_b64 s[18:19], vcc, exec
	s_or_b64 s[10:11], s[10:11], s[18:19]
	s_or_b64 exec, exec, s[12:13]
	v_mov_b32_e32 v4, 0
	s_and_saveexec_b64 s[12:13], s[10:11]
	s_cbranch_execnz .LBB98_652
	s_branch .LBB98_653
.LBB98_1101:
	s_or_b64 s[6:7], s[48:49], exec
	s_trap 2
	s_cbranch_execz .LBB98_699
	s_branch .LBB98_700
.LBB98_1102:
	s_andn2_saveexec_b64 s[10:11], s[10:11]
	s_cbranch_execz .LBB98_664
.LBB98_1103:
	s_mov_b32 s12, 0x42800000
	v_add_f32_e64 v3, |v24|, s12
	v_and_b32_e32 v3, 0xff, v3
	v_cmp_ne_u32_e32 vcc, 0, v3
	s_andn2_b64 s[8:9], s[8:9], exec
	s_and_b64 s[12:13], vcc, exec
	s_or_b64 s[8:9], s[8:9], s[12:13]
	s_or_b64 exec, exec, s[10:11]
	v_mov_b32_e32 v4, 0
	s_and_saveexec_b64 s[10:11], s[8:9]
	s_cbranch_execnz .LBB98_665
	s_branch .LBB98_666
.LBB98_1104:
	s_andn2_saveexec_b64 s[14:15], s[14:15]
	s_cbranch_execz .LBB98_769
.LBB98_1105:
	s_mov_b32 s18, 0x46000000
	v_add_f32_e64 v3, |v23|, s18
	v_and_b32_e32 v3, 0xff, v3
	v_cmp_ne_u32_e32 vcc, 0, v3
	s_andn2_b64 s[12:13], s[12:13], exec
	s_and_b64 s[18:19], vcc, exec
	s_or_b64 s[12:13], s[12:13], s[18:19]
	s_or_b64 exec, exec, s[14:15]
	v_mov_b32_e32 v4, 0
	s_and_saveexec_b64 s[14:15], s[12:13]
	s_cbranch_execnz .LBB98_770
	s_branch .LBB98_771
.LBB98_1106:
	s_trap 2
	s_or_b64 s[6:7], s[6:7], exec
	s_cbranch_execz .LBB98_817
	s_branch .LBB98_818
.LBB98_1107:
	s_andn2_saveexec_b64 s[12:13], s[12:13]
	s_cbranch_execz .LBB98_782
.LBB98_1108:
	s_mov_b32 s14, 0x42800000
	v_add_f32_e64 v3, |v23|, s14
	v_and_b32_e32 v3, 0xff, v3
	v_cmp_ne_u32_e32 vcc, 0, v3
	s_andn2_b64 s[10:11], s[10:11], exec
	s_and_b64 s[14:15], vcc, exec
	s_or_b64 s[10:11], s[10:11], s[14:15]
	s_or_b64 exec, exec, s[12:13]
	v_mov_b32_e32 v4, 0
	s_and_saveexec_b64 s[12:13], s[10:11]
	s_cbranch_execnz .LBB98_783
	s_branch .LBB98_784
.LBB98_1109:
	s_andn2_saveexec_b64 s[14:15], s[14:15]
	s_cbranch_execz .LBB98_887
.LBB98_1110:
	s_mov_b32 s18, 0x46000000
	v_add_f32_e64 v3, |v22|, s18
	v_and_b32_e32 v3, 0xff, v3
	v_cmp_ne_u32_e32 vcc, 0, v3
	s_andn2_b64 s[12:13], s[12:13], exec
	s_and_b64 s[18:19], vcc, exec
	s_or_b64 s[12:13], s[12:13], s[18:19]
	s_or_b64 exec, exec, s[14:15]
	v_mov_b32_e32 v4, 0
	s_and_saveexec_b64 s[14:15], s[12:13]
	s_cbranch_execnz .LBB98_888
	s_branch .LBB98_889
.LBB98_1111:
	s_trap 2
	s_or_b64 s[6:7], s[6:7], exec
	s_cbranch_execz .LBB98_935
	s_branch .LBB98_936
.LBB98_1112:
	s_andn2_saveexec_b64 s[10:11], s[10:11]
	s_cbranch_execz .LBB98_338
.LBB98_1113:
	s_mov_b32 s14, 0x46000000
	v_add_f32_e64 v1, |v0|, s14
	v_and_b32_e32 v1, 0xff, v1
	v_cmp_ne_u32_e32 vcc, 0, v1
	s_andn2_b64 s[8:9], s[8:9], exec
	s_and_b64 s[14:15], vcc, exec
	s_or_b64 s[8:9], s[8:9], s[14:15]
	s_or_b64 exec, exec, s[10:11]
	v_mov_b32_e32 v4, 0
	s_and_saveexec_b64 s[10:11], s[8:9]
	s_cbranch_execnz .LBB98_339
	s_branch .LBB98_340
.LBB98_1114:
	s_andn2_saveexec_b64 s[12:13], s[12:13]
	s_cbranch_execz .LBB98_900
.LBB98_1115:
	s_mov_b32 s14, 0x42800000
	v_add_f32_e64 v3, |v22|, s14
	v_and_b32_e32 v3, 0xff, v3
	v_cmp_ne_u32_e32 vcc, 0, v3
	s_andn2_b64 s[10:11], s[10:11], exec
	s_and_b64 s[14:15], vcc, exec
	s_or_b64 s[10:11], s[10:11], s[14:15]
	s_or_b64 exec, exec, s[12:13]
	v_mov_b32_e32 v4, 0
	s_and_saveexec_b64 s[12:13], s[10:11]
	s_cbranch_execnz .LBB98_901
	s_branch .LBB98_902
.LBB98_1116:
	s_andn2_saveexec_b64 s[14:15], s[14:15]
	s_cbranch_execz .LBB98_967
.LBB98_1117:
	s_mov_b32 s18, 0x46000000
	v_add_f32_e64 v1, |v0|, s18
	v_and_b32_e32 v1, 0xff, v1
	v_cmp_ne_u32_e32 vcc, 0, v1
	s_andn2_b64 s[12:13], s[12:13], exec
	s_and_b64 s[18:19], vcc, exec
	s_or_b64 s[12:13], s[12:13], s[18:19]
	s_or_b64 exec, exec, s[14:15]
	v_mov_b32_e32 v4, 0
	s_and_saveexec_b64 s[14:15], s[12:13]
	s_cbranch_execnz .LBB98_968
	s_branch .LBB98_969
.LBB98_1118:
	s_mov_b64 s[8:9], 0
	s_or_b64 s[6:7], s[6:7], exec
	s_trap 2
	s_branch .LBB98_1013
.LBB98_1119:
	s_andn2_saveexec_b64 s[10:11], s[10:11]
	s_cbranch_execz .LBB98_351
.LBB98_1120:
	s_mov_b32 s14, 0x42800000
	v_add_f32_e64 v1, |v0|, s14
	v_and_b32_e32 v1, 0xff, v1
	v_cmp_ne_u32_e32 vcc, 0, v1
	s_andn2_b64 s[8:9], s[8:9], exec
	s_and_b64 s[14:15], vcc, exec
	s_or_b64 s[8:9], s[8:9], s[14:15]
	s_or_b64 exec, exec, s[10:11]
	v_mov_b32_e32 v4, 0
	s_and_saveexec_b64 s[10:11], s[8:9]
	s_cbranch_execnz .LBB98_352
	s_branch .LBB98_353
.LBB98_1121:
	s_andn2_saveexec_b64 s[10:11], s[10:11]
	s_cbranch_execz .LBB98_476
.LBB98_1122:
	s_mov_b32 s12, 0x46000000
	v_add_f32_e64 v1, |v0|, s12
	v_and_b32_e32 v1, 0xff, v1
	v_cmp_ne_u32_e32 vcc, 0, v1
	s_andn2_b64 s[8:9], s[8:9], exec
	s_and_b64 s[12:13], vcc, exec
	s_or_b64 s[8:9], s[8:9], s[12:13]
	s_or_b64 exec, exec, s[10:11]
	v_mov_b32_e32 v4, 0
	s_and_saveexec_b64 s[10:11], s[8:9]
	s_cbranch_execnz .LBB98_477
	s_branch .LBB98_478
.LBB98_1123:
	s_andn2_saveexec_b64 s[12:13], s[12:13]
	s_cbranch_execz .LBB98_979
.LBB98_1124:
	s_mov_b32 s14, 0x42800000
	v_add_f32_e64 v1, |v0|, s14
	v_and_b32_e32 v1, 0xff, v1
	v_cmp_ne_u32_e32 vcc, 0, v1
	s_andn2_b64 s[10:11], s[10:11], exec
	s_and_b64 s[14:15], vcc, exec
	s_or_b64 s[10:11], s[10:11], s[14:15]
	s_or_b64 exec, exec, s[12:13]
	v_mov_b32_e32 v4, 0
	s_and_saveexec_b64 s[12:13], s[10:11]
	s_cbranch_execnz .LBB98_980
	s_branch .LBB98_981
.LBB98_1125:
	s_andn2_saveexec_b64 s[12:13], s[12:13]
	s_cbranch_execz .LBB98_488
.LBB98_1126:
	s_mov_b32 s16, 0x42800000
	v_add_f32_e64 v1, |v0|, s16
	v_and_b32_e32 v1, 0xff, v1
	v_cmp_ne_u32_e32 vcc, 0, v1
	s_andn2_b64 s[10:11], s[10:11], exec
	s_and_b64 s[16:17], vcc, exec
	s_or_b64 s[10:11], s[10:11], s[16:17]
	s_or_b64 exec, exec, s[12:13]
	v_mov_b32_e32 v4, 0
	s_and_saveexec_b64 s[12:13], s[10:11]
	s_cbranch_execnz .LBB98_489
	s_branch .LBB98_490
	.section	.rodata,"a",@progbits
	.p2align	6, 0x0
	.amdhsa_kernel _ZN2at6native32elementwise_kernel_manual_unrollILi128ELi4EZNS0_15gpu_kernel_implIZZZNS0_21polygamma_kernel_cudaERNS_18TensorIteratorBaseElENKUlvE_clEvENKUlvE0_clEvEUlfE_EEvS4_RKT_EUlibE0_EEviT1_
		.amdhsa_group_segment_fixed_size 0
		.amdhsa_private_segment_fixed_size 0
		.amdhsa_kernarg_size 368
		.amdhsa_user_sgpr_count 6
		.amdhsa_user_sgpr_private_segment_buffer 1
		.amdhsa_user_sgpr_dispatch_ptr 0
		.amdhsa_user_sgpr_queue_ptr 0
		.amdhsa_user_sgpr_kernarg_segment_ptr 1
		.amdhsa_user_sgpr_dispatch_id 0
		.amdhsa_user_sgpr_flat_scratch_init 0
		.amdhsa_user_sgpr_private_segment_size 0
		.amdhsa_uses_dynamic_stack 0
		.amdhsa_system_sgpr_private_segment_wavefront_offset 0
		.amdhsa_system_sgpr_workgroup_id_x 1
		.amdhsa_system_sgpr_workgroup_id_y 0
		.amdhsa_system_sgpr_workgroup_id_z 0
		.amdhsa_system_sgpr_workgroup_info 0
		.amdhsa_system_vgpr_workitem_id 0
		.amdhsa_next_free_vgpr 36
		.amdhsa_next_free_sgpr 92
		.amdhsa_reserve_vcc 1
		.amdhsa_reserve_flat_scratch 0
		.amdhsa_float_round_mode_32 0
		.amdhsa_float_round_mode_16_64 0
		.amdhsa_float_denorm_mode_32 3
		.amdhsa_float_denorm_mode_16_64 3
		.amdhsa_dx10_clamp 1
		.amdhsa_ieee_mode 1
		.amdhsa_fp16_overflow 0
		.amdhsa_exception_fp_ieee_invalid_op 0
		.amdhsa_exception_fp_denorm_src 0
		.amdhsa_exception_fp_ieee_div_zero 0
		.amdhsa_exception_fp_ieee_overflow 0
		.amdhsa_exception_fp_ieee_underflow 0
		.amdhsa_exception_fp_ieee_inexact 0
		.amdhsa_exception_int_div_zero 0
	.end_amdhsa_kernel
	.section	.text._ZN2at6native32elementwise_kernel_manual_unrollILi128ELi4EZNS0_15gpu_kernel_implIZZZNS0_21polygamma_kernel_cudaERNS_18TensorIteratorBaseElENKUlvE_clEvENKUlvE0_clEvEUlfE_EEvS4_RKT_EUlibE0_EEviT1_,"axG",@progbits,_ZN2at6native32elementwise_kernel_manual_unrollILi128ELi4EZNS0_15gpu_kernel_implIZZZNS0_21polygamma_kernel_cudaERNS_18TensorIteratorBaseElENKUlvE_clEvENKUlvE0_clEvEUlfE_EEvS4_RKT_EUlibE0_EEviT1_,comdat
.Lfunc_end98:
	.size	_ZN2at6native32elementwise_kernel_manual_unrollILi128ELi4EZNS0_15gpu_kernel_implIZZZNS0_21polygamma_kernel_cudaERNS_18TensorIteratorBaseElENKUlvE_clEvENKUlvE0_clEvEUlfE_EEvS4_RKT_EUlibE0_EEviT1_, .Lfunc_end98-_ZN2at6native32elementwise_kernel_manual_unrollILi128ELi4EZNS0_15gpu_kernel_implIZZZNS0_21polygamma_kernel_cudaERNS_18TensorIteratorBaseElENKUlvE_clEvENKUlvE0_clEvEUlfE_EEvS4_RKT_EUlibE0_EEviT1_
                                        ; -- End function
	.set _ZN2at6native32elementwise_kernel_manual_unrollILi128ELi4EZNS0_15gpu_kernel_implIZZZNS0_21polygamma_kernel_cudaERNS_18TensorIteratorBaseElENKUlvE_clEvENKUlvE0_clEvEUlfE_EEvS4_RKT_EUlibE0_EEviT1_.num_vgpr, max(36, .L_ZN2at6native6invokeIZZZNS0_21polygamma_kernel_cudaERNS_18TensorIteratorBaseElENKUlvE_clEvENKUlvE0_clEvEUlfE_j15function_traitsIS6_EEENT1_11result_typeERKT_PrKPcPKT0_PKN3c1010ScalarTypeEi.num_vgpr)
	.set _ZN2at6native32elementwise_kernel_manual_unrollILi128ELi4EZNS0_15gpu_kernel_implIZZZNS0_21polygamma_kernel_cudaERNS_18TensorIteratorBaseElENKUlvE_clEvENKUlvE0_clEvEUlfE_EEvS4_RKT_EUlibE0_EEviT1_.num_agpr, max(0, .L_ZN2at6native6invokeIZZZNS0_21polygamma_kernel_cudaERNS_18TensorIteratorBaseElENKUlvE_clEvENKUlvE0_clEvEUlfE_j15function_traitsIS6_EEENT1_11result_typeERKT_PrKPcPKT0_PKN3c1010ScalarTypeEi.num_agpr)
	.set _ZN2at6native32elementwise_kernel_manual_unrollILi128ELi4EZNS0_15gpu_kernel_implIZZZNS0_21polygamma_kernel_cudaERNS_18TensorIteratorBaseElENKUlvE_clEvENKUlvE0_clEvEUlfE_EEvS4_RKT_EUlibE0_EEviT1_.numbered_sgpr, max(92, .L_ZN2at6native6invokeIZZZNS0_21polygamma_kernel_cudaERNS_18TensorIteratorBaseElENKUlvE_clEvENKUlvE0_clEvEUlfE_j15function_traitsIS6_EEENT1_11result_typeERKT_PrKPcPKT0_PKN3c1010ScalarTypeEi.numbered_sgpr)
	.set _ZN2at6native32elementwise_kernel_manual_unrollILi128ELi4EZNS0_15gpu_kernel_implIZZZNS0_21polygamma_kernel_cudaERNS_18TensorIteratorBaseElENKUlvE_clEvENKUlvE0_clEvEUlfE_EEvS4_RKT_EUlibE0_EEviT1_.num_named_barrier, max(0, .L_ZN2at6native6invokeIZZZNS0_21polygamma_kernel_cudaERNS_18TensorIteratorBaseElENKUlvE_clEvENKUlvE0_clEvEUlfE_j15function_traitsIS6_EEENT1_11result_typeERKT_PrKPcPKT0_PKN3c1010ScalarTypeEi.num_named_barrier)
	.set _ZN2at6native32elementwise_kernel_manual_unrollILi128ELi4EZNS0_15gpu_kernel_implIZZZNS0_21polygamma_kernel_cudaERNS_18TensorIteratorBaseElENKUlvE_clEvENKUlvE0_clEvEUlfE_EEvS4_RKT_EUlibE0_EEviT1_.private_seg_size, 0+max(.L_ZN2at6native6invokeIZZZNS0_21polygamma_kernel_cudaERNS_18TensorIteratorBaseElENKUlvE_clEvENKUlvE0_clEvEUlfE_j15function_traitsIS6_EEENT1_11result_typeERKT_PrKPcPKT0_PKN3c1010ScalarTypeEi.private_seg_size)
	.set _ZN2at6native32elementwise_kernel_manual_unrollILi128ELi4EZNS0_15gpu_kernel_implIZZZNS0_21polygamma_kernel_cudaERNS_18TensorIteratorBaseElENKUlvE_clEvENKUlvE0_clEvEUlfE_EEvS4_RKT_EUlibE0_EEviT1_.uses_vcc, or(1, .L_ZN2at6native6invokeIZZZNS0_21polygamma_kernel_cudaERNS_18TensorIteratorBaseElENKUlvE_clEvENKUlvE0_clEvEUlfE_j15function_traitsIS6_EEENT1_11result_typeERKT_PrKPcPKT0_PKN3c1010ScalarTypeEi.uses_vcc)
	.set _ZN2at6native32elementwise_kernel_manual_unrollILi128ELi4EZNS0_15gpu_kernel_implIZZZNS0_21polygamma_kernel_cudaERNS_18TensorIteratorBaseElENKUlvE_clEvENKUlvE0_clEvEUlfE_EEvS4_RKT_EUlibE0_EEviT1_.uses_flat_scratch, or(0, .L_ZN2at6native6invokeIZZZNS0_21polygamma_kernel_cudaERNS_18TensorIteratorBaseElENKUlvE_clEvENKUlvE0_clEvEUlfE_j15function_traitsIS6_EEENT1_11result_typeERKT_PrKPcPKT0_PKN3c1010ScalarTypeEi.uses_flat_scratch)
	.set _ZN2at6native32elementwise_kernel_manual_unrollILi128ELi4EZNS0_15gpu_kernel_implIZZZNS0_21polygamma_kernel_cudaERNS_18TensorIteratorBaseElENKUlvE_clEvENKUlvE0_clEvEUlfE_EEvS4_RKT_EUlibE0_EEviT1_.has_dyn_sized_stack, or(0, .L_ZN2at6native6invokeIZZZNS0_21polygamma_kernel_cudaERNS_18TensorIteratorBaseElENKUlvE_clEvENKUlvE0_clEvEUlfE_j15function_traitsIS6_EEENT1_11result_typeERKT_PrKPcPKT0_PKN3c1010ScalarTypeEi.has_dyn_sized_stack)
	.set _ZN2at6native32elementwise_kernel_manual_unrollILi128ELi4EZNS0_15gpu_kernel_implIZZZNS0_21polygamma_kernel_cudaERNS_18TensorIteratorBaseElENKUlvE_clEvENKUlvE0_clEvEUlfE_EEvS4_RKT_EUlibE0_EEviT1_.has_recursion, or(0, .L_ZN2at6native6invokeIZZZNS0_21polygamma_kernel_cudaERNS_18TensorIteratorBaseElENKUlvE_clEvENKUlvE0_clEvEUlfE_j15function_traitsIS6_EEENT1_11result_typeERKT_PrKPcPKT0_PKN3c1010ScalarTypeEi.has_recursion)
	.set _ZN2at6native32elementwise_kernel_manual_unrollILi128ELi4EZNS0_15gpu_kernel_implIZZZNS0_21polygamma_kernel_cudaERNS_18TensorIteratorBaseElENKUlvE_clEvENKUlvE0_clEvEUlfE_EEvS4_RKT_EUlibE0_EEviT1_.has_indirect_call, or(0, .L_ZN2at6native6invokeIZZZNS0_21polygamma_kernel_cudaERNS_18TensorIteratorBaseElENKUlvE_clEvENKUlvE0_clEvEUlfE_j15function_traitsIS6_EEENT1_11result_typeERKT_PrKPcPKT0_PKN3c1010ScalarTypeEi.has_indirect_call)
	.section	.AMDGPU.csdata,"",@progbits
; Kernel info:
; codeLenInByte = 22120
; TotalNumSgprs: 96
; NumVgprs: 36
; ScratchSize: 0
; MemoryBound: 0
; FloatMode: 240
; IeeeMode: 1
; LDSByteSize: 0 bytes/workgroup (compile time only)
; SGPRBlocks: 11
; VGPRBlocks: 8
; NumSGPRsForWavesPerEU: 96
; NumVGPRsForWavesPerEU: 36
; Occupancy: 7
; WaveLimiterHint : 1
; COMPUTE_PGM_RSRC2:SCRATCH_EN: 0
; COMPUTE_PGM_RSRC2:USER_SGPR: 6
; COMPUTE_PGM_RSRC2:TRAP_HANDLER: 0
; COMPUTE_PGM_RSRC2:TGID_X_EN: 1
; COMPUTE_PGM_RSRC2:TGID_Y_EN: 0
; COMPUTE_PGM_RSRC2:TGID_Z_EN: 0
; COMPUTE_PGM_RSRC2:TIDIG_COMP_CNT: 0
	.text
	.p2align	2                               ; -- Begin function _ZN3c104guts5applyIRZZZN2at6native21polygamma_kernel_cudaERNS2_18TensorIteratorBaseElENKUlvE_clEvENKUlvE1_clEvEUlNS_4HalfEE_RSt5tupleIJS8_EEEEDaOT_OT0_
	.type	_ZN3c104guts5applyIRZZZN2at6native21polygamma_kernel_cudaERNS2_18TensorIteratorBaseElENKUlvE_clEvENKUlvE1_clEvEUlNS_4HalfEE_RSt5tupleIJS8_EEEEDaOT_OT0_,@function
_ZN3c104guts5applyIRZZZN2at6native21polygamma_kernel_cudaERNS2_18TensorIteratorBaseElENKUlvE_clEvENKUlvE1_clEvEUlNS_4HalfEE_RSt5tupleIJS8_EEEEDaOT_OT0_: ; @_ZN3c104guts5applyIRZZZN2at6native21polygamma_kernel_cudaERNS2_18TensorIteratorBaseElENKUlvE_clEvENKUlvE1_clEvEUlNS_4HalfEE_RSt5tupleIJS8_EEEEDaOT_OT0_
; %bb.0:
	s_waitcnt vmcnt(0) expcnt(0) lgkmcnt(0)
	v_cvt_f32_i32_e32 v1, v0
	s_mov_b32 s4, 0x3c800000
                                        ; implicit-def: $vgpr3
	v_cvt_f16_f32_e32 v1, v1
	v_add_f16_e32 v5, 1.0, v1
	v_cvt_f32_f16_e32 v1, v5
	v_and_b32_e32 v4, 0x7fffffff, v1
	v_cmp_nlt_f32_e64 s[4:5], |v1|, s4
	s_and_saveexec_b64 s[6:7], s[4:5]
	s_xor_b64 s[6:7], exec, s[6:7]
	s_cbranch_execz .LBB99_30
; %bb.1:
	v_cmp_nlt_f32_e64 s[4:5], |v1|, 2.0
                                        ; implicit-def: $vgpr3
	s_and_saveexec_b64 s[8:9], s[4:5]
	s_xor_b64 s[8:9], exec, s[8:9]
	s_cbranch_execz .LBB99_11
; %bb.2:
	s_mov_b32 s4, 0x41000000
	v_cmp_nlt_f32_e64 s[4:5], |v1|, s4
                                        ; implicit-def: $vgpr3
	s_and_saveexec_b64 s[10:11], s[4:5]
	s_xor_b64 s[10:11], exec, s[10:11]
	s_cbranch_execz .LBB99_8
; %bb.3:
	s_mov_b32 s4, 0x5c800000
	v_cmp_nlt_f32_e64 s[4:5], |v1|, s4
                                        ; implicit-def: $vgpr3
	s_and_saveexec_b64 s[12:13], s[4:5]
	s_xor_b64 s[12:13], exec, s[12:13]
	s_cbranch_execz .LBB99_5
; %bb.4:
	s_mov_b32 s4, 0x800000
	v_cmp_lt_f32_e64 vcc, |v1|, s4
	v_cndmask_b32_e64 v3, 0, 32, vcc
	v_ldexp_f32 v3, |v1|, v3
	v_log_f32_e32 v3, v3
	s_mov_b32 s4, 0x3f317217
	s_mov_b32 s5, 0x7f800000
	v_mul_f32_e32 v6, 0x3f317217, v3
	v_fma_f32 v7, v3, s4, -v6
	v_fmac_f32_e32 v7, 0x3377d1cf, v3
	v_add_f32_e32 v6, v6, v7
	v_cmp_lt_f32_e64 s[4:5], |v3|, s5
	v_cndmask_b32_e64 v3, v3, v6, s[4:5]
	v_mov_b32_e32 v6, 0x41b17218
	v_cndmask_b32_e32 v6, 0, v6, vcc
	v_sub_f32_e32 v3, v3, v6
	v_fma_f32 v3, |v1|, v3, -|v1|
.LBB99_5:
	s_andn2_saveexec_b64 s[12:13], s[12:13]
	s_cbranch_execz .LBB99_7
; %bb.6:
	v_rcp_f32_e64 v6, |v1|
	v_mov_b32_e32 v3, 0x3a5b3dd2
	v_mov_b32_e32 v7, 0xba1c065c
	;; [unrolled: 1-line block ×3, first 2 shown]
	v_mul_f32_e32 v9, v6, v6
	v_fmac_f32_e32 v3, 0xbad5c4e8, v9
	v_fmac_f32_e32 v7, v9, v3
	s_mov_b32 s4, 0x800000
	v_fmac_f32_e32 v8, v9, v7
	v_mov_b32_e32 v3, 0xbb360b61
	v_cmp_lt_f32_e64 vcc, |v1|, s4
	v_fmac_f32_e32 v3, v9, v8
	v_cndmask_b32_e64 v8, 0, 32, vcc
	v_ldexp_f32 v8, |v1|, v8
	v_log_f32_e32 v8, v8
	v_mov_b32_e32 v7, 0x3daaaaab
	v_fmac_f32_e32 v7, v9, v3
	v_mov_b32_e32 v3, 0x3ed67f1d
	v_fmac_f32_e32 v3, v6, v7
	s_mov_b32 s4, 0x3f317217
	v_mul_f32_e32 v7, 0x3f317217, v8
	v_fma_f32 v9, v8, s4, -v7
	v_fmac_f32_e32 v9, 0x3377d1cf, v8
	s_mov_b32 s4, 0x7f800000
	v_add_f32_e32 v7, v7, v9
	v_cmp_lt_f32_e64 s[4:5], |v8|, s4
	v_cndmask_b32_e64 v7, v8, v7, s[4:5]
	v_mov_b32_e32 v8, 0x41b17218
	v_cndmask_b32_e32 v8, 0, v8, vcc
	v_sub_f32_e32 v7, v7, v8
	v_add_f32_e64 v6, |v1|, -0.5
	v_add_f32_e32 v7, -1.0, v7
	v_fmac_f32_e32 v3, v6, v7
.LBB99_7:
	s_or_b64 exec, exec, s[12:13]
.LBB99_8:
	s_andn2_saveexec_b64 s[10:11], s[10:11]
	s_cbranch_execz .LBB99_10
; %bb.9:
	v_cvt_i32_f32_e32 v3, v4
	v_mov_b32_e32 v6, 0x3af135b4
	v_mov_b32_e32 v7, 0x3cda40e4
	;; [unrolled: 1-line block ×3, first 2 shown]
	v_cvt_f32_i32_e32 v9, v3
	v_mov_b32_e32 v10, 0x3ea6cc7a
	v_mov_b32_e32 v11, 0x3e5c245a
	v_cmp_lt_i32_e32 vcc, 2, v3
	v_sub_f32_e64 v9, |v1|, v9
	v_fmac_f32_e32 v6, 0x3805ff67, v9
	v_fmac_f32_e32 v7, v9, v6
	;; [unrolled: 1-line block ×3, first 2 shown]
	v_mov_b32_e32 v7, 0x3a4beed6
	v_fmac_f32_e32 v10, v9, v8
	v_fmac_f32_e32 v7, 0x36f5d7bd, v9
	v_mov_b32_e32 v8, 0x3c98bf54
	v_fmac_f32_e32 v8, v9, v7
	v_mov_b32_e32 v7, 0x3e300f6e
	v_fmac_f32_e32 v7, v9, v8
	v_mov_b32_e32 v8, 0x3f38d0c5
	v_fmac_f32_e32 v8, v9, v7
	v_mov_b32_e32 v7, 0x3fb22d3b
	v_fmac_f32_e32 v7, v9, v8
	v_add_f32_e32 v8, 2.0, v9
	v_mov_b32_e32 v12, 0xbd9e233f
	v_fmac_f32_e32 v11, v9, v10
	v_add_f32_e32 v10, 0x40400000, v9
	v_cndmask_b32_e32 v8, 1.0, v8, vcc
	v_cmp_lt_i32_e32 vcc, 3, v3
	v_fmac_f32_e32 v12, v9, v11
	v_add_f32_e32 v11, 4.0, v9
	v_cndmask_b32_e32 v10, 1.0, v10, vcc
	v_cmp_lt_i32_e32 vcc, 4, v3
	v_mul_f32_e32 v6, v9, v12
	v_add_f32_e32 v12, 0x40a00000, v9
	v_mul_f32_e32 v8, v8, v10
	v_cndmask_b32_e32 v10, 1.0, v11, vcc
	v_cmp_lt_i32_e32 vcc, 5, v3
	v_add_f32_e32 v13, 0x40c00000, v9
	v_mul_f32_e32 v8, v10, v8
	v_cndmask_b32_e32 v10, 1.0, v12, vcc
	v_cmp_lt_i32_e32 vcc, 6, v3
	v_mul_f32_e32 v8, v10, v8
	v_cndmask_b32_e32 v3, 1.0, v13, vcc
	v_mul_f32_e32 v3, v3, v8
	s_mov_b32 s4, 0x800000
	v_cmp_gt_f32_e32 vcc, s4, v3
	v_cndmask_b32_e64 v8, 0, 32, vcc
	v_fma_f32 v7, v9, v7, 1.0
	v_ldexp_f32 v3, v3, v8
	v_rcp_f32_e32 v7, v7
	v_log_f32_e32 v3, v3
	s_mov_b32 s4, 0x3f317217
	v_mul_f32_e32 v6, v6, v7
	v_mul_f32_e32 v7, 0x3f317217, v3
	v_fma_f32 v8, v3, s4, -v7
	v_fmac_f32_e32 v8, 0x3377d1cf, v3
	s_mov_b32 s4, 0x7f800000
	v_add_f32_e32 v7, v7, v8
	v_cmp_lt_f32_e64 s[4:5], |v3|, s4
	v_cndmask_b32_e64 v3, v3, v7, s[4:5]
	v_mov_b32_e32 v7, 0x41b17218
	v_cndmask_b32_e32 v7, 0, v7, vcc
	v_fmac_f32_e32 v6, 0.5, v9
	v_sub_f32_e32 v3, v3, v7
	v_add_f32_e32 v3, v3, v6
.LBB99_10:
	s_or_b64 exec, exec, s[10:11]
.LBB99_11:
	s_andn2_saveexec_b64 s[8:9], s[8:9]
	s_cbranch_execz .LBB99_29
; %bb.12:
	s_mov_b32 s4, 0x3f666666
	v_cmp_le_f32_e64 s[4:5], |v1|, s4
                                        ; implicit-def: $vgpr3
                                        ; implicit-def: $vgpr7
                                        ; implicit-def: $vgpr6
	s_and_saveexec_b64 s[10:11], s[4:5]
	s_xor_b64 s[10:11], exec, s[10:11]
	s_cbranch_execz .LBB99_14
; %bb.13:
	s_mov_b32 s4, 0x800000
	v_cmp_lt_f32_e64 vcc, |v1|, s4
	v_cndmask_b32_e64 v3, 0, 32, vcc
	v_ldexp_f32 v3, |v1|, v3
	v_log_f32_e32 v3, v3
	s_mov_b32 s4, 0x3f317217
	s_mov_b32 s5, 0x7f800000
	v_mul_f32_e32 v6, 0x3f317217, v3
	v_fma_f32 v7, v3, s4, -v6
	v_fmac_f32_e32 v7, 0x3377d1cf, v3
	v_add_f32_e32 v6, v6, v7
	v_cmp_lt_f32_e64 s[4:5], |v3|, s5
	v_cndmask_b32_e64 v3, v3, v6, s[4:5]
	v_mov_b32_e32 v6, 0x41b17218
	v_cndmask_b32_e32 v6, 0, v6, vcc
	s_mov_b32 s4, 0x3f3b4a23
	s_mov_b32 s5, 0xbeec5b0c
	v_sub_f32_e32 v3, v3, v6
	v_sub_f32_e64 v6, 1.0, |v1|
	v_add_f32_e64 v7, |v1|, s5
	v_cmp_lt_f32_e64 vcc, |v1|, s4
	s_mov_b32 s4, 0x3e6d3309
	v_cndmask_b32_e32 v6, v6, v7, vcc
	v_cndmask_b32_e64 v7, 0, 1, vcc
	v_cmp_lt_f32_e64 s[4:5], |v1|, s4
	v_xor_b32_e32 v3, 0x80000000, v3
	v_cndmask_b32_e64 v6, v6, |v1|, s[4:5]
	v_cndmask_b32_e64 v7, v7, 2, s[4:5]
.LBB99_14:
	s_andn2_saveexec_b64 s[4:5], s[10:11]
	s_cbranch_execz .LBB99_16
; %bb.15:
	s_mov_b32 s10, 0x3fdda512
	s_mov_b32 s11, 0xbfbb16c3
	v_sub_f32_e64 v3, 2.0, |v1|
	v_add_f32_e64 v6, |v1|, s11
	v_cmp_lt_f32_e64 vcc, |v1|, s10
	v_cndmask_b32_e32 v6, v3, v6, vcc
	v_cndmask_b32_e64 v3, v3, 1.0, vcc
	v_cvt_i32_f32_e32 v3, v3
	s_mov_b32 s10, 0x3f9d70a4
	v_add_f32_e64 v7, |v1|, -1.0
	v_cmp_lt_f32_e64 vcc, |v1|, s10
	v_cndmask_b32_e32 v6, v6, v7, vcc
	v_cndmask_b32_e64 v7, v3, 2, vcc
	v_mov_b32_e32 v3, 0
.LBB99_16:
	s_or_b64 exec, exec, s[4:5]
	v_cmp_lt_i32_e32 vcc, 0, v7
	s_and_saveexec_b64 s[4:5], vcc
	s_xor_b64 s[4:5], exec, s[4:5]
	s_cbranch_execz .LBB99_24
; %bb.17:
	v_cmp_lt_i32_e32 vcc, 1, v7
	s_and_saveexec_b64 s[10:11], vcc
	s_xor_b64 s[10:11], exec, s[10:11]
	s_cbranch_execz .LBB99_21
; %bb.18:
	v_cmp_eq_u32_e32 vcc, 2, v7
	s_and_saveexec_b64 s[12:13], vcc
	s_cbranch_execz .LBB99_20
; %bb.19:
	v_mov_b32_e32 v7, 0x3e6a7578
	v_fmac_f32_e32 v7, 0x3c5b3c5e, v6
	v_mov_b32_e32 v8, 0x3f7a4bb2
	v_fmac_f32_e32 v8, v6, v7
	;; [unrolled: 2-line block ×8, first 2 shown]
	v_fma_f32 v7, v6, v9, 1.0
	v_rcp_f32_e32 v7, v7
	v_mov_b32_e32 v9, 0xbd9e233f
	v_fmac_f32_e32 v9, v6, v8
	v_mul_f32_e32 v8, v6, v9
	v_mul_f32_e32 v7, v8, v7
	v_fmac_f32_e32 v7, -0.5, v6
	v_add_f32_e32 v3, v3, v7
.LBB99_20:
	s_or_b64 exec, exec, s[12:13]
                                        ; implicit-def: $vgpr6
.LBB99_21:
	s_andn2_saveexec_b64 s[10:11], s[10:11]
	s_cbranch_execz .LBB99_23
; %bb.22:
	v_mul_f32_e32 v7, v6, v6
	v_mul_f32_e32 v8, v6, v7
	v_mov_b32_e32 v9, 0xbab7f476
	v_fmac_f32_e32 v9, 0x39a57b6b, v8
	v_mov_b32_e32 v10, 0x3bc7e707
	v_fmac_f32_e32 v10, v8, v9
	;; [unrolled: 2-line block ×12, first 2 shown]
	v_fmac_f32_e32 v11, v6, v12
	s_mov_b32 s12, 0xa2863e55
	v_fma_f32 v6, v8, -v11, s12
	v_fma_f32 v6, v7, v10, -v6
	v_add_f32_e32 v6, 0xbdf8cdce, v6
	v_add_f32_e32 v3, v3, v6
.LBB99_23:
	s_or_b64 exec, exec, s[10:11]
                                        ; implicit-def: $vgpr7
                                        ; implicit-def: $vgpr6
.LBB99_24:
	s_andn2_saveexec_b64 s[4:5], s[4:5]
	s_cbranch_execz .LBB99_28
; %bb.25:
	v_cmp_eq_u32_e32 vcc, 0, v7
	s_and_saveexec_b64 s[10:11], vcc
	s_cbranch_execz .LBB99_27
; %bb.26:
	v_mul_f32_e32 v7, v6, v6
	v_mov_b32_e32 v8, 0x39679767
	v_fmac_f32_e32 v8, 0x37d383a2, v7
	v_mov_b32_e32 v9, 0x3a9c54a1
	v_fmac_f32_e32 v9, v7, v8
	;; [unrolled: 2-line block ×10, first 2 shown]
	v_mul_f32_e32 v7, v7, v9
	v_fmac_f32_e32 v7, v6, v8
	v_fmac_f32_e32 v7, -0.5, v6
	v_add_f32_e32 v3, v3, v7
.LBB99_27:
	s_or_b64 exec, exec, s[10:11]
.LBB99_28:
	s_or_b64 exec, exec, s[4:5]
.LBB99_29:
	s_or_b64 exec, exec, s[8:9]
.LBB99_30:
	s_andn2_saveexec_b64 s[6:7], s[6:7]
	s_cbranch_execz .LBB99_32
; %bb.31:
	s_mov_b32 s4, 0x3e8a8991
	v_mov_b32_e32 v3, 0xbecd26ab
	v_fma_f32 v3, |v1|, s4, v3
	s_mov_b32 s4, 0x3f528d33
	v_fma_f32 v3, |v1|, v3, s4
	s_mov_b32 s4, 0x800000
	v_cmp_lt_f32_e64 vcc, |v1|, s4
	v_cndmask_b32_e64 v6, 0, 32, vcc
	v_ldexp_f32 v6, |v1|, v6
	v_log_f32_e32 v6, v6
	s_mov_b32 s4, 0xbf13c468
	v_fma_f32 v3, |v1|, v3, s4
	s_mov_b32 s4, 0x3f317217
	v_mul_f32_e32 v7, 0x3f317217, v6
	v_fma_f32 v8, v6, s4, -v7
	v_fmac_f32_e32 v8, 0x3377d1cf, v6
	s_mov_b32 s4, 0x7f800000
	v_add_f32_e32 v7, v7, v8
	v_cmp_lt_f32_e64 s[4:5], |v6|, s4
	v_cndmask_b32_e64 v6, v6, v7, s[4:5]
	v_mov_b32_e32 v7, 0x41b17218
	v_cndmask_b32_e32 v7, 0, v7, vcc
	v_sub_f32_e32 v6, v6, v7
	v_fma_f32 v3, |v1|, v3, -v6
.LBB99_32:
	s_or_b64 exec, exec, s[6:7]
	v_cmp_le_f16_e64 s[4:5], 0, v5
	v_cmp_nle_f16_e32 vcc, 0, v5
	s_and_saveexec_b64 s[6:7], vcc
	s_xor_b64 s[8:9], exec, s[6:7]
	s_cbranch_execz .LBB99_36
; %bb.33:
	s_mov_b32 s6, 0x4b000000
	s_mov_b32 s10, 0x35000000
	v_cmp_lt_f32_e64 s[6:7], |v1|, s6
	v_cmp_gt_f32_e64 s[10:11], |v1|, s10
	s_and_b64 s[6:7], s[6:7], s[10:11]
	s_and_saveexec_b64 s[10:11], s[6:7]
	s_cbranch_execz .LBB99_35
; %bb.34:
	v_mul_f32_e64 v5, |v1|, 0.5
	v_fract_f32_e32 v6, v5
	s_mov_b32 s12, 0x7f800000
	v_add_f32_e32 v6, v6, v6
	v_cmp_neq_f32_e32 vcc, s12, v5
	v_cndmask_b32_e32 v5, 0, v6, vcc
	v_cmp_gt_f32_e64 s[6:7], |v1|, 1.0
	v_cndmask_b32_e64 v5, |v1|, v5, s[6:7]
	v_add_f32_e32 v6, v5, v5
	v_rndne_f32_e32 v6, v6
	v_fmac_f32_e32 v5, -0.5, v6
	v_mul_f32_e32 v7, v5, v5
	v_mov_b32_e32 v8, 0xbf1f24be
	v_fmac_f32_e32 v8, 0x3e75aa41, v7
	v_mov_b32_e32 v9, 0x40234736
	v_fmac_f32_e32 v9, v7, v8
	;; [unrolled: 2-line block ×3, first 2 shown]
	v_mul_f32_e32 v9, v5, v7
	v_mul_f32_e32 v8, v9, v8
	v_fmac_f32_e32 v8, 0x40490fdb, v5
	v_mov_b32_e32 v5, 0x3e642e9d
	v_cvt_i32_f32_e32 v6, v6
	v_fmac_f32_e32 v5, 0x3d4be544, v7
	v_mov_b32_e32 v9, 0xbfaad1da
	v_fmac_f32_e32 v9, v7, v5
	v_mov_b32_e32 v5, 0x4081e0d3
	;; [unrolled: 2-line block ×3, first 2 shown]
	v_fmac_f32_e32 v9, v7, v5
	v_fma_f32 v5, v7, v9, 1.0
	v_and_b32_e32 v7, 1, v6
	v_lshlrev_b32_e32 v6, 30, v6
	v_cmp_eq_u32_e32 vcc, 0, v7
	v_and_b32_e32 v6, 0x80000000, v6
	v_xor_b32_e32 v4, v4, v1
	v_cndmask_b32_e32 v5, v5, v8, vcc
	v_xor_b32_e32 v4, v4, v6
	v_xor_b32_e32 v4, v4, v5
	v_mul_f32_e32 v4, v1, v4
	v_frexp_mant_f32_e64 v5, |v4|
	v_rcp_f32_e32 v5, v5
	v_frexp_exp_i32_f32_e32 v4, v4
	v_sub_u32_e32 v4, 2, v4
	s_mov_b32 s6, 0x800000
	v_mul_f32_e32 v5, 0x3f490fdb, v5
	v_ldexp_f32 v4, v5, v4
	v_cmp_gt_f32_e32 vcc, s6, v4
	v_cndmask_b32_e64 v5, 0, 32, vcc
	v_ldexp_f32 v4, v4, v5
	v_log_f32_e32 v4, v4
	s_mov_b32 s6, 0x3f317217
	v_mul_f32_e32 v5, 0x3f317217, v4
	v_fma_f32 v6, v4, s6, -v5
	v_fmac_f32_e32 v6, 0x3377d1cf, v4
	v_add_f32_e32 v5, v5, v6
	v_cmp_lt_f32_e64 s[6:7], |v4|, s12
	v_cndmask_b32_e64 v4, v4, v5, s[6:7]
	v_mov_b32_e32 v5, 0x41b17218
	v_cndmask_b32_e32 v5, 0, v5, vcc
	v_sub_f32_e32 v4, v4, v5
	v_sub_f32_e32 v3, v4, v3
	v_fract_f32_e32 v4, v1
	v_mov_b32_e32 v5, 0x7f800000
	v_cmp_neq_f32_e32 vcc, 0, v4
	v_cndmask_b32_e32 v3, v5, v3, vcc
.LBB99_35:
	s_or_b64 exec, exec, s[10:11]
                                        ; implicit-def: $vgpr5
.LBB99_36:
	s_andn2_saveexec_b64 s[8:9], s[8:9]
; %bb.37:
	v_cmp_eq_f16_e32 vcc, 1.0, v5
	v_cmp_eq_f16_e64 s[6:7], 2.0, v5
	s_or_b64 s[6:7], vcc, s[6:7]
	v_cndmask_b32_e64 v3, v3, 0, s[6:7]
; %bb.38:
	s_or_b64 exec, exec, s[8:9]
	v_add_u32_e32 v4, 1, v0
	v_cvt_f32_i32_e32 v4, v4
	v_mov_b32_e32 v7, 0x7c00
	v_cvt_f16_f32_e32 v6, v4
	v_cmp_neq_f16_e32 vcc, 1.0, v6
	s_and_saveexec_b64 s[10:11], vcc
	s_cbranch_execz .LBB99_66
; %bb.39:
	v_cmp_lt_i32_e32 vcc, -1, v0
	v_mov_b32_e32 v7, 0x7e00
	s_and_saveexec_b64 s[12:13], vcc
	s_cbranch_execz .LBB99_65
; %bb.40:
	v_cvt_f32_f16_e32 v4, v6
	v_cvt_f32_f16_e32 v5, v2
	v_cmp_ge_f16_e32 vcc, 0, v2
	s_mov_b64 s[8:9], -1
                                        ; implicit-def: $vgpr7
	s_and_saveexec_b64 s[6:7], vcc
	s_cbranch_execz .LBB99_44
; %bb.41:
	v_floor_f32_e32 v7, v5
	v_cmp_neq_f32_e32 vcc, v7, v5
	s_mov_b64 s[8:9], 0
	v_mov_b32_e32 v7, 0x7c00
	s_and_saveexec_b64 s[14:15], vcc
; %bb.42:
	v_floor_f32_e32 v7, v4
	v_cmp_eq_f32_e32 vcc, v7, v4
	v_mov_b32_e32 v7, 0x7e00
	s_and_b64 s[8:9], vcc, exec
; %bb.43:
	s_or_b64 exec, exec, s[14:15]
	s_orn2_b64 s[8:9], s[8:9], exec
.LBB99_44:
	s_or_b64 exec, exec, s[6:7]
	s_and_saveexec_b64 s[14:15], s[8:9]
	s_cbranch_execz .LBB99_64
; %bb.45:
	v_cvt_f32_f16_e64 v6, -v6
	v_frexp_mant_f32_e64 v7, |v5|
	s_mov_b32 s24, 0x3f2aaaab
	v_cmp_neq_f16_e32 vcc, 1.0, v2
	v_cndmask_b32_e32 v11, 1.0, v6, vcc
	v_cmp_gt_f32_e32 vcc, s24, v7
	v_cndmask_b32_e64 v8, 1.0, 2.0, vcc
	v_mul_f32_e32 v7, v7, v8
	v_add_f32_e32 v8, 1.0, v7
	v_rcp_f32_e32 v9, v8
	v_add_f32_e32 v10, -1.0, v7
	v_add_f32_e32 v12, -1.0, v8
	v_sub_f32_e32 v7, v7, v12
	v_mul_f32_e32 v12, v10, v9
	v_mul_f32_e32 v13, v8, v12
	v_fma_f32 v8, v12, v8, -v13
	v_fmac_f32_e32 v8, v12, v7
	v_add_f32_e32 v7, v13, v8
	v_sub_f32_e32 v14, v10, v7
	v_sub_f32_e32 v13, v7, v13
	;; [unrolled: 1-line block ×5, first 2 shown]
	v_add_f32_e32 v7, v8, v7
	v_add_f32_e32 v7, v14, v7
	v_mul_f32_e32 v7, v9, v7
	v_add_f32_e32 v10, v12, v7
	v_sub_f32_e32 v8, v10, v12
	v_sub_f32_e32 v12, v7, v8
	v_mul_f32_e32 v8, v10, v10
	v_fma_f32 v9, v10, v10, -v8
	v_add_f32_e32 v7, v12, v12
	v_fmac_f32_e32 v9, v10, v7
	v_add_f32_e32 v13, v8, v9
	v_sub_f32_e32 v8, v13, v8
	v_sub_f32_e32 v8, v9, v8
	v_mul_f32_e32 v9, v10, v13
	v_fma_f32 v15, v13, v10, -v9
	v_fmac_f32_e32 v15, v13, v12
	v_mov_b32_e32 v14, 0x3e91f4c4
	v_fmac_f32_e32 v15, v8, v10
	v_fmac_f32_e32 v14, 0x3e76c4e1, v13
	v_mov_b32_e32 v7, 0x3ecccdef
	v_add_f32_e32 v16, v9, v15
	v_fma_f32 v14, v13, v14, v7
	v_sub_f32_e32 v9, v16, v9
	v_sub_f32_e32 v15, v15, v9
	v_mul_f32_e32 v9, v13, v14
	v_fma_f32 v13, v13, v14, -v9
	v_fmac_f32_e32 v13, v8, v14
	v_add_f32_e32 v14, v9, v13
	v_sub_f32_e32 v8, v14, v9
	v_sub_f32_e32 v8, v13, v8
	v_add_f32_e32 v13, 0x31739010, v8
	v_cvt_f64_f32_e64 v[8:9], |v5|
	v_add_f32_e32 v17, 0x3f2aaaaa, v14
	v_add_f32_e32 v18, 0xbf2aaaaa, v17
	v_sub_f32_e32 v14, v14, v18
	v_frexp_exp_i32_f64_e32 v8, v[8:9]
	v_add_f32_e32 v13, v13, v14
	v_add_f32_e32 v9, v17, v13
	v_sub_f32_e32 v14, v17, v9
	v_add_f32_e32 v13, v13, v14
	v_mul_f32_e32 v14, v16, v9
	v_fma_f32 v17, v16, v9, -v14
	v_fmac_f32_e32 v17, v16, v13
	v_subbrev_co_u32_e32 v8, vcc, 0, v8, vcc
	v_cvt_f32_i32_e32 v8, v8
	v_fmac_f32_e32 v17, v15, v9
	s_mov_b32 s25, 0x3f317218
	v_ldexp_f32 v10, v10, 1
	v_mul_f32_e32 v9, 0x3f317218, v8
	v_fma_f32 v13, v8, s25, -v9
	v_fmac_f32_e32 v13, 0xb102e308, v8
	v_ldexp_f32 v8, v12, 1
	v_add_f32_e32 v12, v9, v13
	v_sub_f32_e32 v9, v12, v9
	v_sub_f32_e32 v9, v13, v9
	v_add_f32_e32 v13, v14, v17
	v_sub_f32_e32 v14, v13, v14
	v_add_f32_e32 v15, v10, v13
	v_sub_f32_e32 v14, v17, v14
	v_sub_f32_e32 v10, v15, v10
	;; [unrolled: 1-line block ×3, first 2 shown]
	v_add_f32_e32 v8, v8, v14
	v_add_f32_e32 v8, v8, v10
	;; [unrolled: 1-line block ×3, first 2 shown]
	v_sub_f32_e32 v13, v10, v15
	v_sub_f32_e32 v8, v8, v13
	v_add_f32_e32 v13, v12, v10
	v_sub_f32_e32 v14, v13, v12
	v_sub_f32_e32 v15, v13, v14
	;; [unrolled: 1-line block ×4, first 2 shown]
	v_add_f32_e32 v10, v10, v12
	v_add_f32_e32 v12, v9, v8
	v_sub_f32_e32 v14, v12, v9
	v_sub_f32_e32 v15, v12, v14
	;; [unrolled: 1-line block ×4, first 2 shown]
	v_add_f32_e32 v8, v8, v9
	v_add_f32_e32 v9, v12, v10
	v_add_f32_e32 v10, v13, v9
	v_sub_f32_e32 v12, v10, v13
	v_sub_f32_e32 v9, v9, v12
	v_add_f32_e32 v8, v8, v9
	v_add_f32_e32 v9, v10, v8
	v_sub_f32_e32 v10, v9, v10
	v_sub_f32_e32 v8, v8, v10
	v_mul_f32_e32 v10, v11, v9
	v_fma_f32 v9, v11, v9, -v10
	v_fmac_f32_e32 v9, v11, v8
	s_movk_i32 s27, 0x204
	v_add_f32_e32 v8, v10, v9
	v_cmp_class_f32_e64 vcc, v10, s27
	v_sub_f32_e32 v12, v8, v10
	v_cndmask_b32_e32 v10, v8, v10, vcc
	s_mov_b32 s29, 0x42b17218
	v_mov_b32_e32 v8, 0x37000000
	v_cmp_eq_f32_e32 vcc, s29, v10
	v_sub_f32_e32 v9, v9, v12
	v_cndmask_b32_e32 v12, 0, v8, vcc
	v_sub_f32_e32 v13, v10, v12
	s_mov_b32 s40, 0x3fb8aa3b
	v_mul_f32_e32 v14, 0x3fb8aa3b, v13
	v_fma_f32 v15, v13, s40, -v14
	v_rndne_f32_e32 v16, v14
	v_fmac_f32_e32 v15, 0x32a5705f, v13
	v_sub_f32_e32 v14, v14, v16
	v_add_f32_e32 v14, v14, v15
	v_exp_f32_e32 v14, v14
	v_cvt_i32_f32_e32 v15, v16
	s_mov_b32 s28, 0x7f800000
	v_cmp_neq_f32_e64 vcc, |v10|, s28
	v_cndmask_b32_e32 v9, 0, v9, vcc
	s_mov_b32 s41, 0xc2ce8ed0
	v_add_f32_e32 v10, v12, v9
	v_ldexp_f32 v9, v14, v15
	v_cmp_ngt_f32_e32 vcc, s41, v13
	v_cndmask_b32_e32 v12, 0, v9, vcc
	v_mov_b32_e32 v9, 0x7f800000
	v_cmp_nlt_f32_e32 vcc, s29, v13
	v_cndmask_b32_e32 v12, v9, v12, vcc
	v_fma_f32 v10, v12, v10, v12
	v_cmp_class_f32_e64 vcc, v12, s27
	v_trunc_f32_e32 v13, v11
	v_cndmask_b32_e32 v12, v10, v12, vcc
	v_cmp_eq_f32_e32 vcc, v13, v11
	v_mul_f32_e32 v13, 0.5, v11
	v_trunc_f32_e32 v14, v13
	v_cmp_neq_f32_e64 s[6:7], v14, v13
	s_and_b64 s[6:7], vcc, s[6:7]
	v_cndmask_b32_e64 v13, 1.0, v5, s[6:7]
	s_brev_b32 s42, -2
	v_mov_b32_e32 v10, 0x7fc00000
	v_bfi_b32 v12, s42, v12, v13
	v_cmp_neq_f32_e64 s[8:9], v11, |v11|
	v_cmp_lt_f32_e64 s[16:17], |v5|, 1.0
	v_cndmask_b32_e32 v13, v10, v12, vcc
	v_cmp_gt_f16_e32 vcc, 0, v2
	s_xor_b64 s[8:9], s[16:17], s[8:9]
	v_cndmask_b32_e32 v12, v12, v13, vcc
	v_cndmask_b32_e64 v13, v9, 0, s[8:9]
	v_cmp_neq_f32_e64 vcc, |v5|, 1.0
	v_cndmask_b32_e32 v13, 1.0, v13, vcc
	v_cmp_class_f32_e64 vcc, v11, s27
	v_cndmask_b32_e32 v12, v12, v13, vcc
	v_cmp_eq_f16_e32 vcc, 0, v2
	v_cmp_gt_f32_e64 s[8:9], 0, v11
	s_xor_b64 s[8:9], vcc, s[8:9]
	v_cmp_class_f32_e64 s[16:17], v5, s27
	v_cndmask_b32_e64 v11, v9, 0, s[8:9]
	v_cndmask_b32_e64 v13, 0, v5, s[6:7]
	v_bfi_b32 v11, s42, v11, v13
	s_or_b64 vcc, vcc, s[16:17]
	v_cndmask_b32_e32 v11, v12, v11, vcc
	v_cmp_o_f16_e32 vcc, v2, v2
	s_mov_b32 s26, 0
	v_cndmask_b32_e32 v2, v10, v11, vcc
	s_mov_b64 s[16:17], 0
	s_mov_b32 s43, 0x41100000
                                        ; implicit-def: $sgpr18_sgpr19
                                        ; implicit-def: $sgpr22_sgpr23
                                        ; implicit-def: $sgpr20_sgpr21
	s_branch .LBB99_47
.LBB99_46:                              ;   in Loop: Header=BB99_47 Depth=1
	s_or_b64 exec, exec, s[6:7]
	s_and_b64 s[6:7], exec, s[22:23]
	s_or_b64 s[16:17], s[6:7], s[16:17]
	s_andn2_b64 s[6:7], s[18:19], exec
	s_and_b64 s[8:9], s[20:21], exec
	s_or_b64 s[18:19], s[6:7], s[8:9]
	s_andn2_b64 exec, exec, s[16:17]
	s_cbranch_execz .LBB99_49
.LBB99_47:                              ; =>This Inner Loop Header: Depth=1
	v_add_f32_e32 v5, 1.0, v5
	v_cmp_neq_f32_e32 vcc, 1.0, v5
	v_frexp_mant_f32_e64 v11, |v5|
	v_cndmask_b32_e32 v13, 1.0, v6, vcc
	v_cmp_gt_f32_e32 vcc, s24, v11
	v_cndmask_b32_e64 v12, 1.0, 2.0, vcc
	v_mul_f32_e32 v11, v11, v12
	v_add_f32_e32 v12, 1.0, v11
	v_rcp_f32_e32 v14, v12
	v_add_f32_e32 v15, -1.0, v11
	v_add_f32_e32 v16, -1.0, v12
	v_sub_f32_e32 v11, v11, v16
	v_mul_f32_e32 v16, v15, v14
	v_mul_f32_e32 v17, v12, v16
	v_fma_f32 v12, v16, v12, -v17
	v_fmac_f32_e32 v12, v16, v11
	v_add_f32_e32 v11, v17, v12
	v_sub_f32_e32 v18, v15, v11
	v_sub_f32_e32 v17, v11, v17
	;; [unrolled: 1-line block ×5, first 2 shown]
	v_add_f32_e32 v11, v12, v11
	v_add_f32_e32 v11, v18, v11
	v_mul_f32_e32 v11, v14, v11
	v_add_f32_e32 v14, v16, v11
	v_sub_f32_e32 v12, v14, v16
	v_sub_f32_e32 v15, v11, v12
	v_mul_f32_e32 v11, v14, v14
	v_fma_f32 v12, v14, v14, -v11
	v_add_f32_e32 v16, v15, v15
	v_fmac_f32_e32 v12, v14, v16
	v_add_f32_e32 v16, v11, v12
	v_sub_f32_e32 v11, v16, v11
	v_sub_f32_e32 v11, v12, v11
	v_mul_f32_e32 v12, v14, v16
	v_fma_f32 v18, v16, v14, -v12
	v_fmac_f32_e32 v18, v16, v15
	v_mov_b32_e32 v17, 0x3e91f4c4
	v_fmac_f32_e32 v18, v11, v14
	v_fmac_f32_e32 v17, 0x3e76c4e1, v16
	v_add_f32_e32 v19, v12, v18
	v_fma_f32 v17, v16, v17, v7
	v_sub_f32_e32 v12, v19, v12
	v_sub_f32_e32 v18, v18, v12
	v_mul_f32_e32 v12, v16, v17
	v_fma_f32 v16, v16, v17, -v12
	v_fmac_f32_e32 v16, v11, v17
	v_add_f32_e32 v17, v12, v16
	v_sub_f32_e32 v21, v17, v12
	v_cvt_f64_f32_e64 v[11:12], |v5|
	v_add_f32_e32 v20, 0x3f2aaaaa, v17
	v_sub_f32_e32 v16, v16, v21
	v_add_f32_e32 v21, 0xbf2aaaaa, v20
	v_frexp_exp_i32_f64_e32 v11, v[11:12]
	v_add_f32_e32 v16, 0x31739010, v16
	v_sub_f32_e32 v12, v17, v21
	v_add_f32_e32 v12, v16, v12
	v_add_f32_e32 v16, v20, v12
	v_sub_f32_e32 v17, v20, v16
	v_add_f32_e32 v12, v12, v17
	v_mul_f32_e32 v17, v19, v16
	v_subbrev_co_u32_e32 v11, vcc, 0, v11, vcc
	v_cvt_f32_i32_e32 v11, v11
	v_fma_f32 v20, v19, v16, -v17
	v_fmac_f32_e32 v20, v19, v12
	v_fmac_f32_e32 v20, v18, v16
	v_mul_f32_e32 v12, 0x3f317218, v11
	v_fma_f32 v16, v11, s25, -v12
	v_fmac_f32_e32 v16, 0xb102e308, v11
	v_ldexp_f32 v11, v15, 1
	v_add_f32_e32 v15, v12, v16
	v_sub_f32_e32 v12, v15, v12
	v_ldexp_f32 v14, v14, 1
	v_sub_f32_e32 v12, v16, v12
	v_add_f32_e32 v16, v17, v20
	v_sub_f32_e32 v17, v16, v17
	v_add_f32_e32 v18, v14, v16
	v_sub_f32_e32 v17, v20, v17
	v_sub_f32_e32 v14, v18, v14
	v_sub_f32_e32 v14, v16, v14
	v_add_f32_e32 v11, v11, v17
	v_add_f32_e32 v11, v11, v14
	;; [unrolled: 1-line block ×3, first 2 shown]
	v_sub_f32_e32 v16, v14, v18
	v_sub_f32_e32 v11, v11, v16
	v_add_f32_e32 v16, v15, v14
	v_sub_f32_e32 v17, v16, v15
	v_sub_f32_e32 v18, v16, v17
	;; [unrolled: 1-line block ×4, first 2 shown]
	v_add_f32_e32 v14, v14, v15
	v_add_f32_e32 v15, v12, v11
	v_sub_f32_e32 v17, v15, v12
	v_sub_f32_e32 v18, v15, v17
	;; [unrolled: 1-line block ×4, first 2 shown]
	v_add_f32_e32 v11, v11, v12
	v_add_f32_e32 v12, v15, v14
	;; [unrolled: 1-line block ×3, first 2 shown]
	v_sub_f32_e32 v15, v14, v16
	v_sub_f32_e32 v12, v12, v15
	v_add_f32_e32 v11, v11, v12
	v_add_f32_e32 v12, v14, v11
	v_sub_f32_e32 v14, v12, v14
	v_sub_f32_e32 v11, v11, v14
	v_mul_f32_e32 v14, v13, v12
	v_fma_f32 v12, v13, v12, -v14
	v_fmac_f32_e32 v12, v13, v11
	v_add_f32_e32 v11, v14, v12
	v_cmp_class_f32_e64 vcc, v14, s27
	v_sub_f32_e32 v15, v11, v14
	v_cndmask_b32_e32 v11, v11, v14, vcc
	v_cmp_eq_f32_e32 vcc, s29, v11
	v_cndmask_b32_e32 v14, 0, v8, vcc
	v_sub_f32_e32 v12, v12, v15
	v_sub_f32_e32 v15, v11, v14
	v_mul_f32_e32 v16, 0x3fb8aa3b, v15
	v_fma_f32 v17, v15, s40, -v16
	v_rndne_f32_e32 v18, v16
	v_fmac_f32_e32 v17, 0x32a5705f, v15
	v_sub_f32_e32 v16, v16, v18
	v_add_f32_e32 v16, v16, v17
	v_exp_f32_e32 v16, v16
	v_cvt_i32_f32_e32 v17, v18
	v_cmp_neq_f32_e64 vcc, |v11|, s28
	v_cndmask_b32_e32 v11, 0, v12, vcc
	v_cmp_ngt_f32_e32 vcc, s41, v15
	v_ldexp_f32 v12, v16, v17
	v_cndmask_b32_e32 v12, 0, v12, vcc
	v_cmp_nlt_f32_e32 vcc, s29, v15
	v_add_f32_e32 v11, v14, v11
	v_cndmask_b32_e32 v12, v9, v12, vcc
	v_fma_f32 v11, v12, v11, v12
	v_cmp_class_f32_e64 vcc, v12, s27
	v_cndmask_b32_e32 v11, v11, v12, vcc
	v_trunc_f32_e32 v12, v13
	v_cmp_eq_f32_e32 vcc, v12, v13
	v_mul_f32_e32 v12, 0.5, v13
	v_trunc_f32_e32 v14, v12
	v_cmp_neq_f32_e64 s[6:7], v14, v12
	s_and_b64 s[6:7], vcc, s[6:7]
	v_cndmask_b32_e64 v12, 1.0, v5, s[6:7]
	v_bfi_b32 v11, s42, v11, v12
	v_cmp_neq_f32_e64 s[8:9], v13, |v13|
	v_cmp_lt_f32_e64 s[44:45], |v5|, 1.0
	v_cndmask_b32_e32 v12, v10, v11, vcc
	v_cmp_gt_f32_e32 vcc, 0, v5
	s_xor_b64 s[8:9], s[44:45], s[8:9]
	v_cndmask_b32_e32 v11, v11, v12, vcc
	v_cndmask_b32_e64 v12, v9, 0, s[8:9]
	v_cmp_neq_f32_e64 vcc, |v5|, 1.0
	v_cndmask_b32_e32 v12, 1.0, v12, vcc
	v_cmp_class_f32_e64 vcc, v13, s27
	v_cndmask_b32_e32 v11, v11, v12, vcc
	v_cmp_eq_f32_e32 vcc, 0, v5
	v_cmp_gt_f32_e64 s[8:9], 0, v13
	s_xor_b64 s[8:9], vcc, s[8:9]
	v_cmp_class_f32_e64 s[44:45], v5, s27
	v_cndmask_b32_e64 v12, v9, 0, s[8:9]
	v_cndmask_b32_e64 v13, 0, v5, s[6:7]
	v_bfi_b32 v12, s42, v12, v13
	s_or_b64 vcc, vcc, s[44:45]
	v_cndmask_b32_e32 v11, v11, v12, vcc
	v_cmp_o_f32_e32 vcc, v5, v5
	v_cndmask_b32_e32 v11, v10, v11, vcc
	v_add_f32_e32 v2, v2, v11
	v_mul_f32_e32 v12, 0xa5000000, v2
	v_cmp_nlt_f32_e32 vcc, v12, v11
	v_mul_f32_e32 v12, 0x25000000, v2
	v_cmp_nlt_f32_e64 s[6:7], v11, v12
	s_or_b64 s[8:9], vcc, s[6:7]
	s_or_b64 s[20:21], s[20:21], exec
	s_or_b64 s[22:23], s[22:23], exec
	s_and_saveexec_b64 s[6:7], s[8:9]
	s_cbranch_execz .LBB99_46
; %bb.48:                               ;   in Loop: Header=BB99_47 Depth=1
	s_add_i32 s44, s26, 1
	s_cmp_gt_u32 s26, 7
	s_cselect_b64 s[8:9], -1, 0
	v_cmp_nge_f32_e32 vcc, s43, v5
	s_and_b64 s[8:9], s[8:9], vcc
	s_andn2_b64 s[22:23], s[22:23], exec
	s_and_b64 s[8:9], s[8:9], exec
	s_andn2_b64 s[20:21], s[20:21], exec
	s_or_b64 s[22:23], s[22:23], s[8:9]
	s_mov_b32 s26, s44
	s_branch .LBB99_46
.LBB99_49:
	s_or_b64 exec, exec, s[16:17]
	s_xor_b64 s[6:7], s[18:19], -1
                                        ; implicit-def: $vgpr7
	s_and_saveexec_b64 s[8:9], s[6:7]
	s_xor_b64 s[6:7], exec, s[8:9]
	s_cbranch_execz .LBB99_61
; %bb.50:
	v_mul_f32_e32 v6, v5, v11
	v_add_f32_e32 v9, -1.0, v4
	v_div_scale_f32 v7, s[8:9], v9, v9, v6
	v_div_scale_f32 v8, vcc, v6, v9, v6
	s_mov_b64 s[8:9], 0
	s_mov_b32 s42, 0x25000000
	s_mov_b64 s[22:23], 0
                                        ; implicit-def: $sgpr16_sgpr17
                                        ; implicit-def: $sgpr18_sgpr19
                                        ; implicit-def: $sgpr20_sgpr21
	v_rcp_f32_e32 v10, v7
	v_fma_f32 v12, -v7, v10, 1.0
	v_fmac_f32_e32 v10, v12, v10
	v_mul_f32_e32 v12, v8, v10
	v_fma_f32 v13, -v7, v12, v8
	v_fmac_f32_e32 v12, v13, v10
	v_fma_f32 v7, -v7, v12, v8
	v_div_fmas_f32 v10, v7, v10, v12
	v_mov_b32_e32 v8, 1.0
	v_mov_b32_e32 v7, 0
	v_div_fixup_f32 v6, v10, v9, v6
	v_add_f32_e32 v6, v2, v6
	v_fmac_f32_e32 v6, -0.5, v11
	s_branch .LBB99_53
.LBB99_51:                              ;   in Loop: Header=BB99_53 Depth=1
	s_or_b64 exec, exec, s[26:27]
	s_andn2_b64 s[20:21], s[20:21], exec
	s_and_b64 s[26:27], s[40:41], exec
	s_or_b64 s[20:21], s[20:21], s[26:27]
	s_andn2_b64 s[18:19], s[18:19], exec
	s_and_b64 s[26:27], s[28:29], exec
	s_or_b64 s[18:19], s[18:19], s[26:27]
.LBB99_52:                              ;   in Loop: Header=BB99_53 Depth=1
	s_or_b64 exec, exec, s[24:25]
	s_and_b64 s[24:25], exec, s[18:19]
	s_or_b64 s[8:9], s[24:25], s[8:9]
	s_andn2_b64 s[16:17], s[16:17], exec
	s_and_b64 s[24:25], s[20:21], exec
	s_or_b64 s[16:17], s[16:17], s[24:25]
	s_andn2_b64 exec, exec, s[8:9]
	s_cbranch_execz .LBB99_56
.LBB99_53:                              ; =>This Inner Loop Header: Depth=1
	v_div_scale_f32 v9, s[24:25], v5, v5, v11
	v_div_scale_f32 v10, vcc, v11, v5, v11
	s_getpc_b64 s[24:25]
	s_add_u32 s24, s24, _ZZ4zetaIN3c104HalfELb1EET_S2_S2_E1A@rel32@lo+4
	s_addc_u32 s25, s25, _ZZ4zetaIN3c104HalfELb1EET_S2_S2_E1A@rel32@hi+12
	s_add_u32 s24, s24, s22
	s_addc_u32 s25, s25, s23
	s_load_dword s26, s[24:25], 0x0
	s_or_b64 s[20:21], s[20:21], exec
	s_or_b64 s[18:19], s[18:19], exec
	v_rcp_f32_e32 v12, v9
	v_fma_f32 v13, -v9, v12, 1.0
	v_fmac_f32_e32 v12, v13, v12
	v_mul_f32_e32 v13, v10, v12
	v_fma_f32 v14, -v9, v13, v10
	v_fmac_f32_e32 v13, v14, v12
	v_fma_f32 v9, -v9, v13, v10
	v_div_fmas_f32 v10, v9, v12, v13
	v_add_f32_e32 v9, v7, v4
	v_mul_f32_e32 v9, v8, v9
	v_div_fixup_f32 v10, v10, v5, v11
	v_mul_f32_e32 v8, v10, v9
	s_waitcnt lgkmcnt(0)
	v_div_scale_f32 v11, s[24:25], s26, s26, v8
	v_div_scale_f32 v12, vcc, v8, s26, v8
	v_rcp_f32_e32 v13, v11
	v_fma_f32 v14, -v11, v13, 1.0
	v_fmac_f32_e32 v13, v14, v13
	v_mul_f32_e32 v14, v12, v13
	v_fma_f32 v15, -v11, v14, v12
	v_fmac_f32_e32 v14, v15, v13
	v_fma_f32 v11, -v11, v14, v12
	v_div_fmas_f32 v11, v11, v13, v14
	v_div_fixup_f32 v8, v11, s26, v8
	v_add_f32_e32 v6, v6, v8
	v_div_scale_f32 v11, s[24:25], v6, v6, v8
	v_div_scale_f32 v12, vcc, v8, v6, v8
	v_rcp_f32_e32 v13, v11
	v_fma_f32 v14, -v11, v13, 1.0
	v_fmac_f32_e32 v13, v14, v13
	v_mul_f32_e32 v14, v12, v13
	v_fma_f32 v15, -v11, v14, v12
	v_fmac_f32_e32 v14, v15, v13
	v_fma_f32 v11, -v11, v14, v12
	v_div_fmas_f32 v11, v11, v13, v14
	v_div_fixup_f32 v8, v11, v6, v8
	v_cmp_nlt_f32_e64 s[26:27], |v8|, s42
                                        ; implicit-def: $vgpr11
                                        ; implicit-def: $vgpr8
	s_and_saveexec_b64 s[24:25], s[26:27]
	s_cbranch_execz .LBB99_52
; %bb.54:                               ;   in Loop: Header=BB99_53 Depth=1
	v_div_scale_f32 v8, s[26:27], v5, v5, v10
	v_div_scale_f32 v11, vcc, v10, v5, v10
	v_add_f32_e32 v7, 1.0, v7
	s_mov_b64 s[40:41], -1
	v_rcp_f32_e32 v12, v8
	v_fma_f32 v13, -v8, v12, 1.0
	v_fmac_f32_e32 v12, v13, v12
	v_mul_f32_e32 v13, v11, v12
	v_fma_f32 v14, -v8, v13, v11
	v_fmac_f32_e32 v13, v14, v12
	v_fma_f32 v8, -v8, v13, v11
	v_div_fmas_f32 v8, v8, v12, v13
	v_div_fixup_f32 v8, v8, v5, v10
	v_div_scale_f32 v10, s[26:27], v5, v5, v8
	v_div_scale_f32 v11, vcc, v8, v5, v8
	s_getpc_b64 s[26:27]
	s_add_u32 s26, s26, _ZZ4zetaIN3c104HalfELb1EET_S2_S2_E1A@rel32@lo+8
	s_addc_u32 s27, s27, _ZZ4zetaIN3c104HalfELb1EET_S2_S2_E1A@rel32@hi+16
	s_add_u32 s26, s26, s22
	s_addc_u32 s27, s27, s23
	s_load_dword s28, s[26:27], 0x0
	v_rcp_f32_e32 v12, v10
	v_fma_f32 v13, -v10, v12, 1.0
	v_fmac_f32_e32 v12, v13, v12
	v_mul_f32_e32 v13, v11, v12
	v_fma_f32 v14, -v10, v13, v11
	v_fmac_f32_e32 v13, v14, v12
	v_fma_f32 v10, -v10, v13, v11
	v_div_fmas_f32 v11, v10, v12, v13
	v_add_f32_e32 v12, v7, v4
	v_add_f32_e32 v10, 1.0, v7
	v_mul_f32_e32 v7, v12, v9
	v_add_f32_e32 v9, v10, v4
	v_mul_f32_e32 v12, v7, v9
	v_div_fixup_f32 v9, v11, v5, v8
	v_mul_f32_e32 v7, v9, v12
	s_waitcnt lgkmcnt(0)
	v_div_scale_f32 v8, s[26:27], s28, s28, v7
	v_div_scale_f32 v11, vcc, v7, s28, v7
	v_rcp_f32_e32 v13, v8
	v_fma_f32 v14, -v8, v13, 1.0
	v_fmac_f32_e32 v13, v14, v13
	v_mul_f32_e32 v14, v11, v13
	v_fma_f32 v15, -v8, v14, v11
	v_fmac_f32_e32 v14, v15, v13
	v_fma_f32 v8, -v8, v14, v11
	v_div_fmas_f32 v8, v8, v13, v14
	v_div_fixup_f32 v7, v8, s28, v7
	v_add_f32_e32 v6, v6, v7
	v_div_scale_f32 v8, s[26:27], v6, v6, v7
	v_div_scale_f32 v11, vcc, v7, v6, v7
	s_mov_b64 s[28:29], -1
	v_rcp_f32_e32 v13, v8
	v_fma_f32 v14, -v8, v13, 1.0
	v_fmac_f32_e32 v13, v14, v13
	v_mul_f32_e32 v14, v11, v13
	v_fma_f32 v15, -v8, v14, v11
	v_fmac_f32_e32 v14, v15, v13
	v_fma_f32 v8, -v8, v14, v11
	v_div_fmas_f32 v8, v8, v13, v14
                                        ; implicit-def: $vgpr11
	v_div_fixup_f32 v7, v8, v6, v7
	v_cmp_nlt_f32_e64 s[44:45], |v7|, s42
                                        ; implicit-def: $vgpr7
                                        ; implicit-def: $vgpr8
	s_and_saveexec_b64 s[26:27], s[44:45]
	s_cbranch_execz .LBB99_51
; %bb.55:                               ;   in Loop: Header=BB99_53 Depth=1
	v_div_scale_f32 v7, s[28:29], v5, v5, v9
	v_div_scale_f32 v8, vcc, v9, v5, v9
	s_add_u32 s22, s22, 8
	s_addc_u32 s23, s23, 0
	s_cmp_eq_u32 s22, 48
	s_cselect_b64 s[28:29], -1, 0
	s_xor_b64 s[40:41], exec, -1
	s_orn2_b64 s[28:29], s[28:29], exec
	v_rcp_f32_e32 v11, v7
	v_fma_f32 v13, -v7, v11, 1.0
	v_fmac_f32_e32 v11, v13, v11
	v_mul_f32_e32 v13, v8, v11
	v_fma_f32 v14, -v7, v13, v8
	v_fmac_f32_e32 v13, v14, v11
	v_fma_f32 v7, -v7, v13, v8
	v_div_fmas_f32 v11, v7, v11, v13
	v_add_f32_e32 v7, 1.0, v10
	v_add_f32_e32 v8, v7, v4
	v_add_f32_e32 v7, 1.0, v7
	v_mul_f32_e32 v8, v8, v12
	v_div_fixup_f32 v11, v11, v5, v9
	s_branch .LBB99_51
.LBB99_56:
	s_or_b64 exec, exec, s[8:9]
	s_xor_b64 s[8:9], s[16:17], -1
                                        ; implicit-def: $vgpr7
	s_and_saveexec_b64 s[16:17], s[8:9]
	s_xor_b64 s[8:9], exec, s[16:17]
; %bb.57:
	v_cvt_f16_f32_e32 v7, v6
; %bb.58:
	s_andn2_saveexec_b64 s[8:9], s[8:9]
; %bb.59:
	v_cvt_f16_f32_e32 v7, v6
; %bb.60:
	s_or_b64 exec, exec, s[8:9]
.LBB99_61:
	s_andn2_saveexec_b64 s[6:7], s[6:7]
; %bb.62:
	v_cvt_f16_f32_e32 v7, v2
; %bb.63:
	s_or_b64 exec, exec, s[6:7]
.LBB99_64:
	s_or_b64 exec, exec, s[14:15]
.LBB99_65:
	s_or_b64 exec, exec, s[12:13]
.LBB99_66:
	s_or_b64 exec, exec, s[10:11]
	s_mov_b32 s6, 0x4b000000
	v_cmp_lt_f32_e64 s[6:7], |v1|, s6
	v_mov_b32_e32 v2, 0x244
	v_mov_b32_e32 v4, 0x7f800000
	s_or_b64 vcc, s[4:5], s[6:7]
	v_cndmask_b32_e32 v3, v4, v3, vcc
	v_cmp_class_f32_e32 vcc, v1, v2
	v_cndmask_b32_e32 v1, v3, v4, vcc
	s_mov_b32 s4, 0x3fb8aa3b
	v_mul_f32_e32 v2, 0x3fb8aa3b, v1
	v_fma_f32 v3, v1, s4, -v2
	v_rndne_f32_e32 v5, v2
	v_fmac_f32_e32 v3, 0x32a5705f, v1
	v_sub_f32_e32 v2, v2, v5
	v_add_f32_e32 v2, v2, v3
	v_exp_f32_e32 v2, v2
	v_cvt_i32_f32_e32 v3, v5
	s_mov_b32 s4, 0xc2ce8ed0
	v_cmp_ngt_f32_e32 vcc, s4, v1
	s_mov_b32 s4, 0x42b17218
	v_ldexp_f32 v2, v2, v3
	v_cndmask_b32_e32 v2, 0, v2, vcc
	v_cmp_nlt_f32_e32 vcc, s4, v1
	v_and_b32_e32 v0, 1, v0
	v_cndmask_b32_e32 v1, v4, v2, vcc
	v_cmp_eq_u32_e32 vcc, 0, v0
	v_cndmask_b32_e64 v0, v1, -v1, vcc
	v_fma_mixlo_f16 v0, v0, v7, 0 op_sel_hi:[0,1,0]
	s_setpc_b64 s[30:31]
.Lfunc_end99:
	.size	_ZN3c104guts5applyIRZZZN2at6native21polygamma_kernel_cudaERNS2_18TensorIteratorBaseElENKUlvE_clEvENKUlvE1_clEvEUlNS_4HalfEE_RSt5tupleIJS8_EEEEDaOT_OT0_, .Lfunc_end99-_ZN3c104guts5applyIRZZZN2at6native21polygamma_kernel_cudaERNS2_18TensorIteratorBaseElENKUlvE_clEvENKUlvE1_clEvEUlNS_4HalfEE_RSt5tupleIJS8_EEEEDaOT_OT0_
                                        ; -- End function
	.set .L_ZN3c104guts5applyIRZZZN2at6native21polygamma_kernel_cudaERNS2_18TensorIteratorBaseElENKUlvE_clEvENKUlvE1_clEvEUlNS_4HalfEE_RSt5tupleIJS8_EEEEDaOT_OT0_.num_vgpr, 22
	.set .L_ZN3c104guts5applyIRZZZN2at6native21polygamma_kernel_cudaERNS2_18TensorIteratorBaseElENKUlvE_clEvENKUlvE1_clEvEUlNS_4HalfEE_RSt5tupleIJS8_EEEEDaOT_OT0_.num_agpr, 0
	.set .L_ZN3c104guts5applyIRZZZN2at6native21polygamma_kernel_cudaERNS2_18TensorIteratorBaseElENKUlvE_clEvENKUlvE1_clEvEUlNS_4HalfEE_RSt5tupleIJS8_EEEEDaOT_OT0_.numbered_sgpr, 46
	.set .L_ZN3c104guts5applyIRZZZN2at6native21polygamma_kernel_cudaERNS2_18TensorIteratorBaseElENKUlvE_clEvENKUlvE1_clEvEUlNS_4HalfEE_RSt5tupleIJS8_EEEEDaOT_OT0_.num_named_barrier, 0
	.set .L_ZN3c104guts5applyIRZZZN2at6native21polygamma_kernel_cudaERNS2_18TensorIteratorBaseElENKUlvE_clEvENKUlvE1_clEvEUlNS_4HalfEE_RSt5tupleIJS8_EEEEDaOT_OT0_.private_seg_size, 0
	.set .L_ZN3c104guts5applyIRZZZN2at6native21polygamma_kernel_cudaERNS2_18TensorIteratorBaseElENKUlvE_clEvENKUlvE1_clEvEUlNS_4HalfEE_RSt5tupleIJS8_EEEEDaOT_OT0_.uses_vcc, 1
	.set .L_ZN3c104guts5applyIRZZZN2at6native21polygamma_kernel_cudaERNS2_18TensorIteratorBaseElENKUlvE_clEvENKUlvE1_clEvEUlNS_4HalfEE_RSt5tupleIJS8_EEEEDaOT_OT0_.uses_flat_scratch, 0
	.set .L_ZN3c104guts5applyIRZZZN2at6native21polygamma_kernel_cudaERNS2_18TensorIteratorBaseElENKUlvE_clEvENKUlvE1_clEvEUlNS_4HalfEE_RSt5tupleIJS8_EEEEDaOT_OT0_.has_dyn_sized_stack, 0
	.set .L_ZN3c104guts5applyIRZZZN2at6native21polygamma_kernel_cudaERNS2_18TensorIteratorBaseElENKUlvE_clEvENKUlvE1_clEvEUlNS_4HalfEE_RSt5tupleIJS8_EEEEDaOT_OT0_.has_recursion, 0
	.set .L_ZN3c104guts5applyIRZZZN2at6native21polygamma_kernel_cudaERNS2_18TensorIteratorBaseElENKUlvE_clEvENKUlvE1_clEvEUlNS_4HalfEE_RSt5tupleIJS8_EEEEDaOT_OT0_.has_indirect_call, 0
	.section	.AMDGPU.csdata,"",@progbits
; Function info:
; codeLenInByte = 5736
; TotalNumSgprs: 50
; NumVgprs: 22
; ScratchSize: 0
; MemoryBound: 0
	.section	.text._ZN2at6native29vectorized_elementwise_kernelILi16EZZZNS0_21polygamma_kernel_cudaERNS_18TensorIteratorBaseElENKUlvE_clEvENKUlvE1_clEvEUlN3c104HalfEE_St5arrayIPcLm2EEEEviT0_T1_,"axG",@progbits,_ZN2at6native29vectorized_elementwise_kernelILi16EZZZNS0_21polygamma_kernel_cudaERNS_18TensorIteratorBaseElENKUlvE_clEvENKUlvE1_clEvEUlN3c104HalfEE_St5arrayIPcLm2EEEEviT0_T1_,comdat
	.globl	_ZN2at6native29vectorized_elementwise_kernelILi16EZZZNS0_21polygamma_kernel_cudaERNS_18TensorIteratorBaseElENKUlvE_clEvENKUlvE1_clEvEUlN3c104HalfEE_St5arrayIPcLm2EEEEviT0_T1_ ; -- Begin function _ZN2at6native29vectorized_elementwise_kernelILi16EZZZNS0_21polygamma_kernel_cudaERNS_18TensorIteratorBaseElENKUlvE_clEvENKUlvE1_clEvEUlN3c104HalfEE_St5arrayIPcLm2EEEEviT0_T1_
	.p2align	8
	.type	_ZN2at6native29vectorized_elementwise_kernelILi16EZZZNS0_21polygamma_kernel_cudaERNS_18TensorIteratorBaseElENKUlvE_clEvENKUlvE1_clEvEUlN3c104HalfEE_St5arrayIPcLm2EEEEviT0_T1_,@function
_ZN2at6native29vectorized_elementwise_kernelILi16EZZZNS0_21polygamma_kernel_cudaERNS_18TensorIteratorBaseElENKUlvE_clEvENKUlvE1_clEvEUlN3c104HalfEE_St5arrayIPcLm2EEEEviT0_T1_: ; @_ZN2at6native29vectorized_elementwise_kernelILi16EZZZNS0_21polygamma_kernel_cudaERNS_18TensorIteratorBaseElENKUlvE_clEvENKUlvE1_clEvEUlN3c104HalfEE_St5arrayIPcLm2EEEEviT0_T1_
; %bb.0:
	s_add_u32 s0, s0, s7
	s_load_dword s7, s[4:5], 0x0
	s_load_dwordx4 s[36:39], s[4:5], 0x8
	s_load_dwordx2 s[48:49], s[4:5], 0x18
	s_addc_u32 s1, s1, 0
	s_lshl_b32 s46, s6, 11
	s_waitcnt lgkmcnt(0)
	s_sub_i32 s33, s7, s46
	v_mov_b32_e32 v22, v0
	s_cmpk_gt_i32 s33, 0x7ff
	s_mov_b64 s[4:5], -1
	s_mov_b32 s32, 0
	s_cbranch_scc0 .LBB100_2
; %bb.1:
	s_ashr_i32 s47, s46, 31
	s_lshl_b64 s[34:35], s[46:47], 1
	s_add_u32 s4, s48, s34
	s_addc_u32 s5, s49, s35
	v_lshlrev_b32_e32 v31, 4, v22
	global_load_dwordx4 v[23:26], v31, s[4:5]
	s_getpc_b64 s[50:51]
	s_add_u32 s50, s50, _ZN3c104guts5applyIRZZZN2at6native21polygamma_kernel_cudaERNS2_18TensorIteratorBaseElENKUlvE_clEvENKUlvE1_clEvEUlNS_4HalfEE_RSt5tupleIJS8_EEEEDaOT_OT0_@rel32@lo+4
	s_addc_u32 s51, s51, _ZN3c104guts5applyIRZZZN2at6native21polygamma_kernel_cudaERNS2_18TensorIteratorBaseElENKUlvE_clEvENKUlvE1_clEvEUlNS_4HalfEE_RSt5tupleIJS8_EEEEDaOT_OT0_@rel32@hi+12
	v_mov_b32_e32 v0, s36
	v_mov_b32_e32 v1, s37
	s_waitcnt vmcnt(0)
	v_mov_b32_e32 v2, v23
	v_lshrrev_b32_e32 v27, 16, v23
	v_lshrrev_b32_e32 v28, 16, v24
	;; [unrolled: 1-line block ×4, first 2 shown]
	s_swappc_b64 s[30:31], s[50:51]
	v_mov_b32_e32 v23, v0
	v_mov_b32_e32 v0, s36
	v_mov_b32_e32 v1, s37
	v_mov_b32_e32 v2, v27
	s_swappc_b64 s[30:31], s[50:51]
	v_mov_b32_e32 v27, v0
	v_mov_b32_e32 v0, s36
	v_mov_b32_e32 v1, s37
	v_mov_b32_e32 v2, v24
	;; [unrolled: 5-line block ×7, first 2 shown]
	s_swappc_b64 s[30:31], s[50:51]
	s_add_u32 s4, s38, s34
	s_mov_b32 s6, 0x5040100
	s_addc_u32 s5, s39, s35
	v_perm_b32 v1, v27, v23, s6
	v_perm_b32 v2, v28, v24, s6
	;; [unrolled: 1-line block ×4, first 2 shown]
	global_store_dwordx4 v31, v[1:4], s[4:5]
	s_mov_b64 s[4:5], 0
.LBB100_2:
	s_andn2_b64 vcc, exec, s[4:5]
	s_cbranch_vccnz .LBB100_41
; %bb.3:
	v_cmp_gt_i32_e64 s[34:35], s33, v22
	v_mov_b32_e32 v23, 0
	v_or_b32_e32 v32, s46, v22
	v_mov_b32_e32 v2, 0
	v_mov_b32_e32 v0, v22
	s_and_saveexec_b64 s[4:5], s[34:35]
	s_cbranch_execz .LBB100_5
; %bb.4:
	v_mov_b32_e32 v33, 0
	v_lshlrev_b64 v[0:1], 1, v[32:33]
	v_mov_b32_e32 v2, s49
	v_add_co_u32_e32 v0, vcc, s48, v0
	v_addc_co_u32_e32 v1, vcc, v2, v1, vcc
	global_load_ushort v2, v[0:1], off
	v_or_b32_e32 v0, 0x100, v22
.LBB100_5:
	s_or_b64 exec, exec, s[4:5]
	v_cmp_gt_i32_e32 vcc, s33, v0
	s_and_saveexec_b64 s[4:5], vcc
	s_cbranch_execz .LBB100_7
; %bb.6:
	v_add_u32_e32 v3, s46, v0
	v_mov_b32_e32 v4, 0
	v_lshlrev_b64 v[3:4], 1, v[3:4]
	v_mov_b32_e32 v1, s49
	v_add_co_u32_e32 v3, vcc, s48, v3
	v_addc_co_u32_e32 v4, vcc, v1, v4, vcc
	global_load_ushort v23, v[3:4], off
	v_add_u32_e32 v0, 0x100, v0
.LBB100_7:
	s_or_b64 exec, exec, s[4:5]
	v_cmp_gt_i32_e32 vcc, s33, v0
	v_mov_b32_e32 v24, 0
	v_mov_b32_e32 v27, 0
	s_and_saveexec_b64 s[4:5], vcc
	s_cbranch_execz .LBB100_9
; %bb.8:
	v_add_u32_e32 v3, s46, v0
	v_mov_b32_e32 v4, 0
	v_lshlrev_b64 v[3:4], 1, v[3:4]
	v_mov_b32_e32 v1, s49
	v_add_co_u32_e32 v3, vcc, s48, v3
	v_addc_co_u32_e32 v4, vcc, v1, v4, vcc
	global_load_ushort v27, v[3:4], off
	v_add_u32_e32 v0, 0x100, v0
.LBB100_9:
	s_or_b64 exec, exec, s[4:5]
	v_cmp_gt_i32_e32 vcc, s33, v0
	s_and_saveexec_b64 s[4:5], vcc
	s_cbranch_execz .LBB100_11
; %bb.10:
	v_add_u32_e32 v3, s46, v0
	v_mov_b32_e32 v4, 0
	v_lshlrev_b64 v[3:4], 1, v[3:4]
	v_mov_b32_e32 v1, s49
	v_add_co_u32_e32 v3, vcc, s48, v3
	v_addc_co_u32_e32 v4, vcc, v1, v4, vcc
	global_load_ushort v24, v[3:4], off
	v_add_u32_e32 v0, 0x100, v0
.LBB100_11:
	s_or_b64 exec, exec, s[4:5]
	v_cmp_gt_i32_e32 vcc, s33, v0
	v_mov_b32_e32 v25, 0
	v_mov_b32_e32 v28, 0
	s_and_saveexec_b64 s[4:5], vcc
	s_cbranch_execz .LBB100_13
; %bb.12:
	v_add_u32_e32 v3, s46, v0
	v_mov_b32_e32 v4, 0
	v_lshlrev_b64 v[3:4], 1, v[3:4]
	v_mov_b32_e32 v1, s49
	v_add_co_u32_e32 v3, vcc, s48, v3
	v_addc_co_u32_e32 v4, vcc, v1, v4, vcc
	global_load_ushort v28, v[3:4], off
	v_add_u32_e32 v0, 0x100, v0
.LBB100_13:
	s_or_b64 exec, exec, s[4:5]
	v_cmp_gt_i32_e32 vcc, s33, v0
	s_and_saveexec_b64 s[4:5], vcc
	s_cbranch_execz .LBB100_15
; %bb.14:
	v_add_u32_e32 v3, s46, v0
	v_mov_b32_e32 v4, 0
	v_lshlrev_b64 v[3:4], 1, v[3:4]
	v_mov_b32_e32 v1, s49
	v_add_co_u32_e32 v3, vcc, s48, v3
	v_addc_co_u32_e32 v4, vcc, v1, v4, vcc
	global_load_ushort v25, v[3:4], off
	v_add_u32_e32 v0, 0x100, v0
.LBB100_15:
	s_or_b64 exec, exec, s[4:5]
	v_cmp_gt_i32_e32 vcc, s33, v0
	v_mov_b32_e32 v26, 0
	v_mov_b32_e32 v31, 0
	s_and_saveexec_b64 s[4:5], vcc
	s_cbranch_execnz .LBB100_42
; %bb.16:
	s_or_b64 exec, exec, s[4:5]
	v_cmp_gt_i32_e32 vcc, s33, v0
	s_and_saveexec_b64 s[4:5], vcc
	s_cbranch_execnz .LBB100_43
.LBB100_17:
	s_or_b64 exec, exec, s[4:5]
                                        ; implicit-def: $vgpr29
	s_and_saveexec_b64 s[48:49], s[34:35]
	s_cbranch_execz .LBB100_19
.LBB100_18:
	s_getpc_b64 s[4:5]
	s_add_u32 s4, s4, _ZN3c104guts5applyIRZZZN2at6native21polygamma_kernel_cudaERNS2_18TensorIteratorBaseElENKUlvE_clEvENKUlvE1_clEvEUlNS_4HalfEE_RSt5tupleIJS8_EEEEDaOT_OT0_@rel32@lo+4
	s_addc_u32 s5, s5, _ZN3c104guts5applyIRZZZN2at6native21polygamma_kernel_cudaERNS2_18TensorIteratorBaseElENKUlvE_clEvENKUlvE1_clEvEUlNS_4HalfEE_RSt5tupleIJS8_EEEEDaOT_OT0_@rel32@hi+12
	v_mov_b32_e32 v0, s36
	v_mov_b32_e32 v1, s37
	s_swappc_b64 s[30:31], s[4:5]
	v_mov_b32_e32 v29, v0
.LBB100_19:
	s_or_b64 exec, exec, s[48:49]
	v_or_b32_e32 v34, 0x100, v22
	v_cmp_gt_i32_e32 vcc, s33, v34
                                        ; implicit-def: $vgpr30
	s_and_saveexec_b64 s[48:49], vcc
	s_cbranch_execz .LBB100_21
; %bb.20:
	s_getpc_b64 s[4:5]
	s_add_u32 s4, s4, _ZN3c104guts5applyIRZZZN2at6native21polygamma_kernel_cudaERNS2_18TensorIteratorBaseElENKUlvE_clEvENKUlvE1_clEvEUlNS_4HalfEE_RSt5tupleIJS8_EEEEDaOT_OT0_@rel32@lo+4
	s_addc_u32 s5, s5, _ZN3c104guts5applyIRZZZN2at6native21polygamma_kernel_cudaERNS2_18TensorIteratorBaseElENKUlvE_clEvENKUlvE1_clEvEUlNS_4HalfEE_RSt5tupleIJS8_EEEEDaOT_OT0_@rel32@hi+12
	v_mov_b32_e32 v0, s36
	v_mov_b32_e32 v1, s37
	s_waitcnt vmcnt(0)
	v_mov_b32_e32 v2, v23
	s_swappc_b64 s[30:31], s[4:5]
	v_mov_b32_e32 v30, v0
.LBB100_21:
	s_or_b64 exec, exec, s[48:49]
	v_or_b32_e32 v0, 0x200, v22
	v_cmp_gt_i32_e32 vcc, s33, v0
                                        ; implicit-def: $vgpr23
	s_and_saveexec_b64 s[48:49], vcc
	s_cbranch_execz .LBB100_23
; %bb.22:
	s_getpc_b64 s[4:5]
	s_add_u32 s4, s4, _ZN3c104guts5applyIRZZZN2at6native21polygamma_kernel_cudaERNS2_18TensorIteratorBaseElENKUlvE_clEvENKUlvE1_clEvEUlNS_4HalfEE_RSt5tupleIJS8_EEEEDaOT_OT0_@rel32@lo+4
	s_addc_u32 s5, s5, _ZN3c104guts5applyIRZZZN2at6native21polygamma_kernel_cudaERNS2_18TensorIteratorBaseElENKUlvE_clEvENKUlvE1_clEvEUlNS_4HalfEE_RSt5tupleIJS8_EEEEDaOT_OT0_@rel32@hi+12
	v_mov_b32_e32 v0, s36
	v_mov_b32_e32 v1, s37
	s_waitcnt vmcnt(0)
	v_mov_b32_e32 v2, v27
	s_swappc_b64 s[30:31], s[4:5]
	v_mov_b32_e32 v23, v0
.LBB100_23:
	s_or_b64 exec, exec, s[48:49]
	v_or_b32_e32 v0, 0x300, v22
	v_cmp_gt_i32_e32 vcc, s33, v0
                                        ; implicit-def: $vgpr27
	s_and_saveexec_b64 s[48:49], vcc
	s_cbranch_execz .LBB100_25
; %bb.24:
	s_getpc_b64 s[4:5]
	s_add_u32 s4, s4, _ZN3c104guts5applyIRZZZN2at6native21polygamma_kernel_cudaERNS2_18TensorIteratorBaseElENKUlvE_clEvENKUlvE1_clEvEUlNS_4HalfEE_RSt5tupleIJS8_EEEEDaOT_OT0_@rel32@lo+4
	s_addc_u32 s5, s5, _ZN3c104guts5applyIRZZZN2at6native21polygamma_kernel_cudaERNS2_18TensorIteratorBaseElENKUlvE_clEvENKUlvE1_clEvEUlNS_4HalfEE_RSt5tupleIJS8_EEEEDaOT_OT0_@rel32@hi+12
	v_mov_b32_e32 v0, s36
	v_mov_b32_e32 v1, s37
	s_waitcnt vmcnt(0)
	v_mov_b32_e32 v2, v24
	s_swappc_b64 s[30:31], s[4:5]
	v_mov_b32_e32 v27, v0
.LBB100_25:
	s_or_b64 exec, exec, s[48:49]
	v_or_b32_e32 v0, 0x400, v22
	v_cmp_gt_i32_e32 vcc, s33, v0
                                        ; implicit-def: $vgpr24
	s_and_saveexec_b64 s[48:49], vcc
	s_cbranch_execz .LBB100_27
; %bb.26:
	s_getpc_b64 s[4:5]
	s_add_u32 s4, s4, _ZN3c104guts5applyIRZZZN2at6native21polygamma_kernel_cudaERNS2_18TensorIteratorBaseElENKUlvE_clEvENKUlvE1_clEvEUlNS_4HalfEE_RSt5tupleIJS8_EEEEDaOT_OT0_@rel32@lo+4
	s_addc_u32 s5, s5, _ZN3c104guts5applyIRZZZN2at6native21polygamma_kernel_cudaERNS2_18TensorIteratorBaseElENKUlvE_clEvENKUlvE1_clEvEUlNS_4HalfEE_RSt5tupleIJS8_EEEEDaOT_OT0_@rel32@hi+12
	v_mov_b32_e32 v0, s36
	v_mov_b32_e32 v1, s37
	s_waitcnt vmcnt(0)
	v_mov_b32_e32 v2, v28
	s_swappc_b64 s[30:31], s[4:5]
	v_mov_b32_e32 v24, v0
.LBB100_27:
	s_or_b64 exec, exec, s[48:49]
	v_or_b32_e32 v0, 0x500, v22
	v_cmp_gt_i32_e32 vcc, s33, v0
                                        ; implicit-def: $vgpr28
	s_and_saveexec_b64 s[48:49], vcc
	s_cbranch_execz .LBB100_29
; %bb.28:
	s_getpc_b64 s[4:5]
	s_add_u32 s4, s4, _ZN3c104guts5applyIRZZZN2at6native21polygamma_kernel_cudaERNS2_18TensorIteratorBaseElENKUlvE_clEvENKUlvE1_clEvEUlNS_4HalfEE_RSt5tupleIJS8_EEEEDaOT_OT0_@rel32@lo+4
	s_addc_u32 s5, s5, _ZN3c104guts5applyIRZZZN2at6native21polygamma_kernel_cudaERNS2_18TensorIteratorBaseElENKUlvE_clEvENKUlvE1_clEvEUlNS_4HalfEE_RSt5tupleIJS8_EEEEDaOT_OT0_@rel32@hi+12
	v_mov_b32_e32 v0, s36
	v_mov_b32_e32 v1, s37
	s_waitcnt vmcnt(0)
	v_mov_b32_e32 v2, v25
	s_swappc_b64 s[30:31], s[4:5]
	v_mov_b32_e32 v28, v0
.LBB100_29:
	s_or_b64 exec, exec, s[48:49]
	v_or_b32_e32 v0, 0x600, v22
	v_cmp_gt_i32_e32 vcc, s33, v0
                                        ; implicit-def: $vgpr25
	s_and_saveexec_b64 s[48:49], vcc
	s_cbranch_execz .LBB100_31
; %bb.30:
	s_getpc_b64 s[4:5]
	s_add_u32 s4, s4, _ZN3c104guts5applyIRZZZN2at6native21polygamma_kernel_cudaERNS2_18TensorIteratorBaseElENKUlvE_clEvENKUlvE1_clEvEUlNS_4HalfEE_RSt5tupleIJS8_EEEEDaOT_OT0_@rel32@lo+4
	s_addc_u32 s5, s5, _ZN3c104guts5applyIRZZZN2at6native21polygamma_kernel_cudaERNS2_18TensorIteratorBaseElENKUlvE_clEvENKUlvE1_clEvEUlNS_4HalfEE_RSt5tupleIJS8_EEEEDaOT_OT0_@rel32@hi+12
	v_mov_b32_e32 v0, s36
	v_mov_b32_e32 v1, s37
	s_waitcnt vmcnt(0)
	v_mov_b32_e32 v2, v31
	s_swappc_b64 s[30:31], s[4:5]
	v_mov_b32_e32 v25, v0
.LBB100_31:
	s_or_b64 exec, exec, s[48:49]
	v_or_b32_e32 v0, 0x700, v22
	v_cmp_gt_i32_e32 vcc, s33, v0
                                        ; implicit-def: $vgpr0
	s_and_saveexec_b64 s[48:49], vcc
	s_cbranch_execnz .LBB100_44
; %bb.32:
	s_or_b64 exec, exec, s[48:49]
	s_and_saveexec_b64 s[4:5], s[34:35]
	s_xor_b64 s[4:5], exec, s[4:5]
	s_cbranch_execnz .LBB100_45
.LBB100_33:
	s_or_b64 exec, exec, s[4:5]
	v_cmp_gt_i32_e32 vcc, s33, v22
	s_and_saveexec_b64 s[4:5], vcc
	s_cbranch_execnz .LBB100_46
.LBB100_34:
	s_or_b64 exec, exec, s[4:5]
	v_cmp_gt_i32_e32 vcc, s33, v22
	s_and_saveexec_b64 s[4:5], vcc
	s_cbranch_execnz .LBB100_47
.LBB100_35:
	s_or_b64 exec, exec, s[4:5]
	v_cmp_gt_i32_e32 vcc, s33, v22
	s_and_saveexec_b64 s[4:5], vcc
	s_cbranch_execnz .LBB100_48
.LBB100_36:
	s_or_b64 exec, exec, s[4:5]
	v_cmp_gt_i32_e32 vcc, s33, v22
	s_and_saveexec_b64 s[4:5], vcc
	s_cbranch_execnz .LBB100_49
.LBB100_37:
	s_or_b64 exec, exec, s[4:5]
	v_cmp_gt_i32_e32 vcc, s33, v22
	s_and_saveexec_b64 s[4:5], vcc
	s_cbranch_execnz .LBB100_50
.LBB100_38:
	s_or_b64 exec, exec, s[4:5]
	v_cmp_gt_i32_e32 vcc, s33, v22
	s_and_saveexec_b64 s[4:5], vcc
	s_cbranch_execnz .LBB100_51
.LBB100_39:
	s_or_b64 exec, exec, s[4:5]
	v_cmp_gt_i32_e32 vcc, s33, v22
	s_and_saveexec_b64 s[4:5], vcc
	s_cbranch_execz .LBB100_41
.LBB100_40:
	v_add_u32_e32 v1, s46, v22
	s_waitcnt vmcnt(0)
	v_mov_b32_e32 v2, 0
	v_lshlrev_b64 v[1:2], 1, v[1:2]
	v_mov_b32_e32 v3, s39
	v_add_co_u32_e32 v1, vcc, s38, v1
	v_addc_co_u32_e32 v2, vcc, v3, v2, vcc
	global_store_short v[1:2], v0, off
.LBB100_41:
	s_endpgm
.LBB100_42:
	v_add_u32_e32 v3, s46, v0
	v_mov_b32_e32 v4, 0
	v_lshlrev_b64 v[3:4], 1, v[3:4]
	v_mov_b32_e32 v1, s49
	v_add_co_u32_e32 v3, vcc, s48, v3
	v_addc_co_u32_e32 v4, vcc, v1, v4, vcc
	global_load_ushort v31, v[3:4], off
	v_add_u32_e32 v0, 0x100, v0
	s_or_b64 exec, exec, s[4:5]
	v_cmp_gt_i32_e32 vcc, s33, v0
	s_and_saveexec_b64 s[4:5], vcc
	s_cbranch_execz .LBB100_17
.LBB100_43:
	v_add_u32_e32 v0, s46, v0
	v_mov_b32_e32 v1, 0
	v_lshlrev_b64 v[0:1], 1, v[0:1]
	v_mov_b32_e32 v3, s49
	v_add_co_u32_e32 v0, vcc, s48, v0
	v_addc_co_u32_e32 v1, vcc, v3, v1, vcc
	global_load_ushort v26, v[0:1], off
	s_or_b64 exec, exec, s[4:5]
                                        ; implicit-def: $vgpr29
	s_and_saveexec_b64 s[48:49], s[34:35]
	s_cbranch_execnz .LBB100_18
	s_branch .LBB100_19
.LBB100_44:
	s_getpc_b64 s[4:5]
	s_add_u32 s4, s4, _ZN3c104guts5applyIRZZZN2at6native21polygamma_kernel_cudaERNS2_18TensorIteratorBaseElENKUlvE_clEvENKUlvE1_clEvEUlNS_4HalfEE_RSt5tupleIJS8_EEEEDaOT_OT0_@rel32@lo+4
	s_addc_u32 s5, s5, _ZN3c104guts5applyIRZZZN2at6native21polygamma_kernel_cudaERNS2_18TensorIteratorBaseElENKUlvE_clEvENKUlvE1_clEvEUlNS_4HalfEE_RSt5tupleIJS8_EEEEDaOT_OT0_@rel32@hi+12
	v_mov_b32_e32 v0, s36
	v_mov_b32_e32 v1, s37
	s_waitcnt vmcnt(0)
	v_mov_b32_e32 v2, v26
	s_swappc_b64 s[30:31], s[4:5]
	s_or_b64 exec, exec, s[48:49]
	s_and_saveexec_b64 s[4:5], s[34:35]
	s_xor_b64 s[4:5], exec, s[4:5]
	s_cbranch_execz .LBB100_33
.LBB100_45:
	v_mov_b32_e32 v33, 0
	s_waitcnt vmcnt(0)
	v_lshlrev_b64 v[1:2], 1, v[32:33]
	v_mov_b32_e32 v3, s39
	v_add_co_u32_e32 v1, vcc, s38, v1
	v_addc_co_u32_e32 v2, vcc, v3, v2, vcc
	v_mov_b32_e32 v22, v34
	global_store_short v[1:2], v29, off
	s_or_b64 exec, exec, s[4:5]
	v_cmp_gt_i32_e32 vcc, s33, v22
	s_and_saveexec_b64 s[4:5], vcc
	s_cbranch_execz .LBB100_34
.LBB100_46:
	v_add_u32_e32 v1, s46, v22
	s_waitcnt vmcnt(0)
	v_mov_b32_e32 v2, 0
	v_lshlrev_b64 v[1:2], 1, v[1:2]
	v_mov_b32_e32 v3, s39
	v_add_co_u32_e32 v1, vcc, s38, v1
	v_addc_co_u32_e32 v2, vcc, v3, v2, vcc
	v_add_u32_e32 v22, 0x100, v22
	global_store_short v[1:2], v30, off
	s_or_b64 exec, exec, s[4:5]
	v_cmp_gt_i32_e32 vcc, s33, v22
	s_and_saveexec_b64 s[4:5], vcc
	s_cbranch_execz .LBB100_35
.LBB100_47:
	v_add_u32_e32 v1, s46, v22
	s_waitcnt vmcnt(0)
	v_mov_b32_e32 v2, 0
	v_lshlrev_b64 v[1:2], 1, v[1:2]
	v_mov_b32_e32 v3, s39
	v_add_co_u32_e32 v1, vcc, s38, v1
	v_addc_co_u32_e32 v2, vcc, v3, v2, vcc
	v_add_u32_e32 v22, 0x100, v22
	global_store_short v[1:2], v23, off
	s_or_b64 exec, exec, s[4:5]
	v_cmp_gt_i32_e32 vcc, s33, v22
	s_and_saveexec_b64 s[4:5], vcc
	s_cbranch_execz .LBB100_36
.LBB100_48:
	v_add_u32_e32 v1, s46, v22
	s_waitcnt vmcnt(0)
	v_mov_b32_e32 v2, 0
	v_lshlrev_b64 v[1:2], 1, v[1:2]
	v_mov_b32_e32 v3, s39
	v_add_co_u32_e32 v1, vcc, s38, v1
	v_addc_co_u32_e32 v2, vcc, v3, v2, vcc
	v_add_u32_e32 v22, 0x100, v22
	global_store_short v[1:2], v27, off
	s_or_b64 exec, exec, s[4:5]
	v_cmp_gt_i32_e32 vcc, s33, v22
	s_and_saveexec_b64 s[4:5], vcc
	s_cbranch_execz .LBB100_37
.LBB100_49:
	v_add_u32_e32 v1, s46, v22
	s_waitcnt vmcnt(0)
	v_mov_b32_e32 v2, 0
	v_lshlrev_b64 v[1:2], 1, v[1:2]
	v_mov_b32_e32 v3, s39
	v_add_co_u32_e32 v1, vcc, s38, v1
	v_addc_co_u32_e32 v2, vcc, v3, v2, vcc
	v_add_u32_e32 v22, 0x100, v22
	global_store_short v[1:2], v24, off
	s_or_b64 exec, exec, s[4:5]
	v_cmp_gt_i32_e32 vcc, s33, v22
	s_and_saveexec_b64 s[4:5], vcc
	s_cbranch_execz .LBB100_38
.LBB100_50:
	v_add_u32_e32 v1, s46, v22
	s_waitcnt vmcnt(0)
	v_mov_b32_e32 v2, 0
	v_lshlrev_b64 v[1:2], 1, v[1:2]
	v_mov_b32_e32 v3, s39
	v_add_co_u32_e32 v1, vcc, s38, v1
	v_addc_co_u32_e32 v2, vcc, v3, v2, vcc
	v_add_u32_e32 v22, 0x100, v22
	global_store_short v[1:2], v28, off
	s_or_b64 exec, exec, s[4:5]
	v_cmp_gt_i32_e32 vcc, s33, v22
	s_and_saveexec_b64 s[4:5], vcc
	s_cbranch_execz .LBB100_39
.LBB100_51:
	v_add_u32_e32 v1, s46, v22
	s_waitcnt vmcnt(0)
	v_mov_b32_e32 v2, 0
	v_lshlrev_b64 v[1:2], 1, v[1:2]
	v_mov_b32_e32 v3, s39
	v_add_co_u32_e32 v1, vcc, s38, v1
	v_addc_co_u32_e32 v2, vcc, v3, v2, vcc
	v_add_u32_e32 v22, 0x100, v22
	global_store_short v[1:2], v25, off
	s_or_b64 exec, exec, s[4:5]
	v_cmp_gt_i32_e32 vcc, s33, v22
	s_and_saveexec_b64 s[4:5], vcc
	s_cbranch_execnz .LBB100_40
	s_branch .LBB100_41
	.section	.rodata,"a",@progbits
	.p2align	6, 0x0
	.amdhsa_kernel _ZN2at6native29vectorized_elementwise_kernelILi16EZZZNS0_21polygamma_kernel_cudaERNS_18TensorIteratorBaseElENKUlvE_clEvENKUlvE1_clEvEUlN3c104HalfEE_St5arrayIPcLm2EEEEviT0_T1_
		.amdhsa_group_segment_fixed_size 0
		.amdhsa_private_segment_fixed_size 0
		.amdhsa_kernarg_size 32
		.amdhsa_user_sgpr_count 6
		.amdhsa_user_sgpr_private_segment_buffer 1
		.amdhsa_user_sgpr_dispatch_ptr 0
		.amdhsa_user_sgpr_queue_ptr 0
		.amdhsa_user_sgpr_kernarg_segment_ptr 1
		.amdhsa_user_sgpr_dispatch_id 0
		.amdhsa_user_sgpr_flat_scratch_init 0
		.amdhsa_user_sgpr_private_segment_size 0
		.amdhsa_uses_dynamic_stack 0
		.amdhsa_system_sgpr_private_segment_wavefront_offset 0
		.amdhsa_system_sgpr_workgroup_id_x 1
		.amdhsa_system_sgpr_workgroup_id_y 0
		.amdhsa_system_sgpr_workgroup_id_z 0
		.amdhsa_system_sgpr_workgroup_info 0
		.amdhsa_system_vgpr_workitem_id 0
		.amdhsa_next_free_vgpr 35
		.amdhsa_next_free_sgpr 52
		.amdhsa_reserve_vcc 1
		.amdhsa_reserve_flat_scratch 0
		.amdhsa_float_round_mode_32 0
		.amdhsa_float_round_mode_16_64 0
		.amdhsa_float_denorm_mode_32 3
		.amdhsa_float_denorm_mode_16_64 3
		.amdhsa_dx10_clamp 1
		.amdhsa_ieee_mode 1
		.amdhsa_fp16_overflow 0
		.amdhsa_exception_fp_ieee_invalid_op 0
		.amdhsa_exception_fp_denorm_src 0
		.amdhsa_exception_fp_ieee_div_zero 0
		.amdhsa_exception_fp_ieee_overflow 0
		.amdhsa_exception_fp_ieee_underflow 0
		.amdhsa_exception_fp_ieee_inexact 0
		.amdhsa_exception_int_div_zero 0
	.end_amdhsa_kernel
	.section	.text._ZN2at6native29vectorized_elementwise_kernelILi16EZZZNS0_21polygamma_kernel_cudaERNS_18TensorIteratorBaseElENKUlvE_clEvENKUlvE1_clEvEUlN3c104HalfEE_St5arrayIPcLm2EEEEviT0_T1_,"axG",@progbits,_ZN2at6native29vectorized_elementwise_kernelILi16EZZZNS0_21polygamma_kernel_cudaERNS_18TensorIteratorBaseElENKUlvE_clEvENKUlvE1_clEvEUlN3c104HalfEE_St5arrayIPcLm2EEEEviT0_T1_,comdat
.Lfunc_end100:
	.size	_ZN2at6native29vectorized_elementwise_kernelILi16EZZZNS0_21polygamma_kernel_cudaERNS_18TensorIteratorBaseElENKUlvE_clEvENKUlvE1_clEvEUlN3c104HalfEE_St5arrayIPcLm2EEEEviT0_T1_, .Lfunc_end100-_ZN2at6native29vectorized_elementwise_kernelILi16EZZZNS0_21polygamma_kernel_cudaERNS_18TensorIteratorBaseElENKUlvE_clEvENKUlvE1_clEvEUlN3c104HalfEE_St5arrayIPcLm2EEEEviT0_T1_
                                        ; -- End function
	.set _ZN2at6native29vectorized_elementwise_kernelILi16EZZZNS0_21polygamma_kernel_cudaERNS_18TensorIteratorBaseElENKUlvE_clEvENKUlvE1_clEvEUlN3c104HalfEE_St5arrayIPcLm2EEEEviT0_T1_.num_vgpr, max(35, .L_ZN3c104guts5applyIRZZZN2at6native21polygamma_kernel_cudaERNS2_18TensorIteratorBaseElENKUlvE_clEvENKUlvE1_clEvEUlNS_4HalfEE_RSt5tupleIJS8_EEEEDaOT_OT0_.num_vgpr)
	.set _ZN2at6native29vectorized_elementwise_kernelILi16EZZZNS0_21polygamma_kernel_cudaERNS_18TensorIteratorBaseElENKUlvE_clEvENKUlvE1_clEvEUlN3c104HalfEE_St5arrayIPcLm2EEEEviT0_T1_.num_agpr, max(0, .L_ZN3c104guts5applyIRZZZN2at6native21polygamma_kernel_cudaERNS2_18TensorIteratorBaseElENKUlvE_clEvENKUlvE1_clEvEUlNS_4HalfEE_RSt5tupleIJS8_EEEEDaOT_OT0_.num_agpr)
	.set _ZN2at6native29vectorized_elementwise_kernelILi16EZZZNS0_21polygamma_kernel_cudaERNS_18TensorIteratorBaseElENKUlvE_clEvENKUlvE1_clEvEUlN3c104HalfEE_St5arrayIPcLm2EEEEviT0_T1_.numbered_sgpr, max(52, .L_ZN3c104guts5applyIRZZZN2at6native21polygamma_kernel_cudaERNS2_18TensorIteratorBaseElENKUlvE_clEvENKUlvE1_clEvEUlNS_4HalfEE_RSt5tupleIJS8_EEEEDaOT_OT0_.numbered_sgpr)
	.set _ZN2at6native29vectorized_elementwise_kernelILi16EZZZNS0_21polygamma_kernel_cudaERNS_18TensorIteratorBaseElENKUlvE_clEvENKUlvE1_clEvEUlN3c104HalfEE_St5arrayIPcLm2EEEEviT0_T1_.num_named_barrier, max(0, .L_ZN3c104guts5applyIRZZZN2at6native21polygamma_kernel_cudaERNS2_18TensorIteratorBaseElENKUlvE_clEvENKUlvE1_clEvEUlNS_4HalfEE_RSt5tupleIJS8_EEEEDaOT_OT0_.num_named_barrier)
	.set _ZN2at6native29vectorized_elementwise_kernelILi16EZZZNS0_21polygamma_kernel_cudaERNS_18TensorIteratorBaseElENKUlvE_clEvENKUlvE1_clEvEUlN3c104HalfEE_St5arrayIPcLm2EEEEviT0_T1_.private_seg_size, 0+max(.L_ZN3c104guts5applyIRZZZN2at6native21polygamma_kernel_cudaERNS2_18TensorIteratorBaseElENKUlvE_clEvENKUlvE1_clEvEUlNS_4HalfEE_RSt5tupleIJS8_EEEEDaOT_OT0_.private_seg_size)
	.set _ZN2at6native29vectorized_elementwise_kernelILi16EZZZNS0_21polygamma_kernel_cudaERNS_18TensorIteratorBaseElENKUlvE_clEvENKUlvE1_clEvEUlN3c104HalfEE_St5arrayIPcLm2EEEEviT0_T1_.uses_vcc, or(1, .L_ZN3c104guts5applyIRZZZN2at6native21polygamma_kernel_cudaERNS2_18TensorIteratorBaseElENKUlvE_clEvENKUlvE1_clEvEUlNS_4HalfEE_RSt5tupleIJS8_EEEEDaOT_OT0_.uses_vcc)
	.set _ZN2at6native29vectorized_elementwise_kernelILi16EZZZNS0_21polygamma_kernel_cudaERNS_18TensorIteratorBaseElENKUlvE_clEvENKUlvE1_clEvEUlN3c104HalfEE_St5arrayIPcLm2EEEEviT0_T1_.uses_flat_scratch, or(0, .L_ZN3c104guts5applyIRZZZN2at6native21polygamma_kernel_cudaERNS2_18TensorIteratorBaseElENKUlvE_clEvENKUlvE1_clEvEUlNS_4HalfEE_RSt5tupleIJS8_EEEEDaOT_OT0_.uses_flat_scratch)
	.set _ZN2at6native29vectorized_elementwise_kernelILi16EZZZNS0_21polygamma_kernel_cudaERNS_18TensorIteratorBaseElENKUlvE_clEvENKUlvE1_clEvEUlN3c104HalfEE_St5arrayIPcLm2EEEEviT0_T1_.has_dyn_sized_stack, or(0, .L_ZN3c104guts5applyIRZZZN2at6native21polygamma_kernel_cudaERNS2_18TensorIteratorBaseElENKUlvE_clEvENKUlvE1_clEvEUlNS_4HalfEE_RSt5tupleIJS8_EEEEDaOT_OT0_.has_dyn_sized_stack)
	.set _ZN2at6native29vectorized_elementwise_kernelILi16EZZZNS0_21polygamma_kernel_cudaERNS_18TensorIteratorBaseElENKUlvE_clEvENKUlvE1_clEvEUlN3c104HalfEE_St5arrayIPcLm2EEEEviT0_T1_.has_recursion, or(0, .L_ZN3c104guts5applyIRZZZN2at6native21polygamma_kernel_cudaERNS2_18TensorIteratorBaseElENKUlvE_clEvENKUlvE1_clEvEUlNS_4HalfEE_RSt5tupleIJS8_EEEEDaOT_OT0_.has_recursion)
	.set _ZN2at6native29vectorized_elementwise_kernelILi16EZZZNS0_21polygamma_kernel_cudaERNS_18TensorIteratorBaseElENKUlvE_clEvENKUlvE1_clEvEUlN3c104HalfEE_St5arrayIPcLm2EEEEviT0_T1_.has_indirect_call, or(0, .L_ZN3c104guts5applyIRZZZN2at6native21polygamma_kernel_cudaERNS2_18TensorIteratorBaseElENKUlvE_clEvENKUlvE1_clEvEUlNS_4HalfEE_RSt5tupleIJS8_EEEEDaOT_OT0_.has_indirect_call)
	.section	.AMDGPU.csdata,"",@progbits
; Kernel info:
; codeLenInByte = 2048
; TotalNumSgprs: 56
; NumVgprs: 35
; ScratchSize: 0
; MemoryBound: 0
; FloatMode: 240
; IeeeMode: 1
; LDSByteSize: 0 bytes/workgroup (compile time only)
; SGPRBlocks: 6
; VGPRBlocks: 8
; NumSGPRsForWavesPerEU: 56
; NumVGPRsForWavesPerEU: 35
; Occupancy: 7
; WaveLimiterHint : 0
; COMPUTE_PGM_RSRC2:SCRATCH_EN: 0
; COMPUTE_PGM_RSRC2:USER_SGPR: 6
; COMPUTE_PGM_RSRC2:TRAP_HANDLER: 0
; COMPUTE_PGM_RSRC2:TGID_X_EN: 1
; COMPUTE_PGM_RSRC2:TGID_Y_EN: 0
; COMPUTE_PGM_RSRC2:TGID_Z_EN: 0
; COMPUTE_PGM_RSRC2:TIDIG_COMP_CNT: 0
	.section	.text._ZN2at6native29vectorized_elementwise_kernelILi8EZZZNS0_21polygamma_kernel_cudaERNS_18TensorIteratorBaseElENKUlvE_clEvENKUlvE1_clEvEUlN3c104HalfEE_St5arrayIPcLm2EEEEviT0_T1_,"axG",@progbits,_ZN2at6native29vectorized_elementwise_kernelILi8EZZZNS0_21polygamma_kernel_cudaERNS_18TensorIteratorBaseElENKUlvE_clEvENKUlvE1_clEvEUlN3c104HalfEE_St5arrayIPcLm2EEEEviT0_T1_,comdat
	.globl	_ZN2at6native29vectorized_elementwise_kernelILi8EZZZNS0_21polygamma_kernel_cudaERNS_18TensorIteratorBaseElENKUlvE_clEvENKUlvE1_clEvEUlN3c104HalfEE_St5arrayIPcLm2EEEEviT0_T1_ ; -- Begin function _ZN2at6native29vectorized_elementwise_kernelILi8EZZZNS0_21polygamma_kernel_cudaERNS_18TensorIteratorBaseElENKUlvE_clEvENKUlvE1_clEvEUlN3c104HalfEE_St5arrayIPcLm2EEEEviT0_T1_
	.p2align	8
	.type	_ZN2at6native29vectorized_elementwise_kernelILi8EZZZNS0_21polygamma_kernel_cudaERNS_18TensorIteratorBaseElENKUlvE_clEvENKUlvE1_clEvEUlN3c104HalfEE_St5arrayIPcLm2EEEEviT0_T1_,@function
_ZN2at6native29vectorized_elementwise_kernelILi8EZZZNS0_21polygamma_kernel_cudaERNS_18TensorIteratorBaseElENKUlvE_clEvENKUlvE1_clEvEUlN3c104HalfEE_St5arrayIPcLm2EEEEviT0_T1_: ; @_ZN2at6native29vectorized_elementwise_kernelILi8EZZZNS0_21polygamma_kernel_cudaERNS_18TensorIteratorBaseElENKUlvE_clEvENKUlvE1_clEvEUlN3c104HalfEE_St5arrayIPcLm2EEEEviT0_T1_
; %bb.0:
	s_add_u32 s0, s0, s7
	s_load_dword s7, s[4:5], 0x0
	s_load_dwordx4 s[36:39], s[4:5], 0x8
	s_load_dwordx2 s[48:49], s[4:5], 0x18
	s_addc_u32 s1, s1, 0
	s_lshl_b32 s46, s6, 11
	s_waitcnt lgkmcnt(0)
	s_sub_i32 s33, s7, s46
	v_mov_b32_e32 v22, v0
	s_cmpk_gt_i32 s33, 0x7ff
	s_mov_b64 s[4:5], -1
	s_mov_b32 s32, 0
	s_cbranch_scc0 .LBB101_2
; %bb.1:
	s_ashr_i32 s47, s46, 31
	s_lshl_b64 s[34:35], s[46:47], 1
	s_add_u32 s4, s48, s34
	s_addc_u32 s5, s49, s35
	v_lshlrev_b32_e32 v31, 4, v22
	global_load_dwordx4 v[23:26], v31, s[4:5]
	s_getpc_b64 s[50:51]
	s_add_u32 s50, s50, _ZN3c104guts5applyIRZZZN2at6native21polygamma_kernel_cudaERNS2_18TensorIteratorBaseElENKUlvE_clEvENKUlvE1_clEvEUlNS_4HalfEE_RSt5tupleIJS8_EEEEDaOT_OT0_@rel32@lo+4
	s_addc_u32 s51, s51, _ZN3c104guts5applyIRZZZN2at6native21polygamma_kernel_cudaERNS2_18TensorIteratorBaseElENKUlvE_clEvENKUlvE1_clEvEUlNS_4HalfEE_RSt5tupleIJS8_EEEEDaOT_OT0_@rel32@hi+12
	v_mov_b32_e32 v0, s36
	v_mov_b32_e32 v1, s37
	s_waitcnt vmcnt(0)
	v_mov_b32_e32 v2, v23
	v_lshrrev_b32_e32 v27, 16, v23
	v_lshrrev_b32_e32 v28, 16, v24
	v_lshrrev_b32_e32 v29, 16, v25
	v_lshrrev_b32_e32 v30, 16, v26
	s_swappc_b64 s[30:31], s[50:51]
	v_mov_b32_e32 v23, v0
	v_mov_b32_e32 v0, s36
	v_mov_b32_e32 v1, s37
	v_mov_b32_e32 v2, v27
	s_swappc_b64 s[30:31], s[50:51]
	v_mov_b32_e32 v27, v0
	v_mov_b32_e32 v0, s36
	v_mov_b32_e32 v1, s37
	v_mov_b32_e32 v2, v24
	;; [unrolled: 5-line block ×7, first 2 shown]
	s_swappc_b64 s[30:31], s[50:51]
	s_add_u32 s4, s38, s34
	s_mov_b32 s6, 0x5040100
	s_addc_u32 s5, s39, s35
	v_perm_b32 v1, v27, v23, s6
	v_perm_b32 v2, v28, v24, s6
	;; [unrolled: 1-line block ×4, first 2 shown]
	global_store_dwordx4 v31, v[1:4], s[4:5]
	s_mov_b64 s[4:5], 0
.LBB101_2:
	s_andn2_b64 vcc, exec, s[4:5]
	s_cbranch_vccnz .LBB101_41
; %bb.3:
	v_cmp_gt_i32_e64 s[34:35], s33, v22
	v_mov_b32_e32 v23, 0
	v_or_b32_e32 v32, s46, v22
	v_mov_b32_e32 v2, 0
	v_mov_b32_e32 v0, v22
	s_and_saveexec_b64 s[4:5], s[34:35]
	s_cbranch_execz .LBB101_5
; %bb.4:
	v_mov_b32_e32 v33, 0
	v_lshlrev_b64 v[0:1], 1, v[32:33]
	v_mov_b32_e32 v2, s49
	v_add_co_u32_e32 v0, vcc, s48, v0
	v_addc_co_u32_e32 v1, vcc, v2, v1, vcc
	global_load_ushort v2, v[0:1], off
	v_or_b32_e32 v0, 0x100, v22
.LBB101_5:
	s_or_b64 exec, exec, s[4:5]
	v_cmp_gt_i32_e32 vcc, s33, v0
	s_and_saveexec_b64 s[4:5], vcc
	s_cbranch_execz .LBB101_7
; %bb.6:
	v_add_u32_e32 v3, s46, v0
	v_mov_b32_e32 v4, 0
	v_lshlrev_b64 v[3:4], 1, v[3:4]
	v_mov_b32_e32 v1, s49
	v_add_co_u32_e32 v3, vcc, s48, v3
	v_addc_co_u32_e32 v4, vcc, v1, v4, vcc
	global_load_ushort v23, v[3:4], off
	v_add_u32_e32 v0, 0x100, v0
.LBB101_7:
	s_or_b64 exec, exec, s[4:5]
	v_cmp_gt_i32_e32 vcc, s33, v0
	v_mov_b32_e32 v24, 0
	v_mov_b32_e32 v27, 0
	s_and_saveexec_b64 s[4:5], vcc
	s_cbranch_execz .LBB101_9
; %bb.8:
	v_add_u32_e32 v3, s46, v0
	v_mov_b32_e32 v4, 0
	v_lshlrev_b64 v[3:4], 1, v[3:4]
	v_mov_b32_e32 v1, s49
	v_add_co_u32_e32 v3, vcc, s48, v3
	v_addc_co_u32_e32 v4, vcc, v1, v4, vcc
	global_load_ushort v27, v[3:4], off
	v_add_u32_e32 v0, 0x100, v0
.LBB101_9:
	s_or_b64 exec, exec, s[4:5]
	v_cmp_gt_i32_e32 vcc, s33, v0
	s_and_saveexec_b64 s[4:5], vcc
	s_cbranch_execz .LBB101_11
; %bb.10:
	v_add_u32_e32 v3, s46, v0
	v_mov_b32_e32 v4, 0
	v_lshlrev_b64 v[3:4], 1, v[3:4]
	v_mov_b32_e32 v1, s49
	v_add_co_u32_e32 v3, vcc, s48, v3
	v_addc_co_u32_e32 v4, vcc, v1, v4, vcc
	global_load_ushort v24, v[3:4], off
	v_add_u32_e32 v0, 0x100, v0
.LBB101_11:
	s_or_b64 exec, exec, s[4:5]
	v_cmp_gt_i32_e32 vcc, s33, v0
	v_mov_b32_e32 v25, 0
	v_mov_b32_e32 v28, 0
	s_and_saveexec_b64 s[4:5], vcc
	s_cbranch_execz .LBB101_13
; %bb.12:
	v_add_u32_e32 v3, s46, v0
	v_mov_b32_e32 v4, 0
	v_lshlrev_b64 v[3:4], 1, v[3:4]
	v_mov_b32_e32 v1, s49
	v_add_co_u32_e32 v3, vcc, s48, v3
	v_addc_co_u32_e32 v4, vcc, v1, v4, vcc
	global_load_ushort v28, v[3:4], off
	v_add_u32_e32 v0, 0x100, v0
.LBB101_13:
	s_or_b64 exec, exec, s[4:5]
	v_cmp_gt_i32_e32 vcc, s33, v0
	s_and_saveexec_b64 s[4:5], vcc
	s_cbranch_execz .LBB101_15
; %bb.14:
	v_add_u32_e32 v3, s46, v0
	v_mov_b32_e32 v4, 0
	v_lshlrev_b64 v[3:4], 1, v[3:4]
	v_mov_b32_e32 v1, s49
	v_add_co_u32_e32 v3, vcc, s48, v3
	v_addc_co_u32_e32 v4, vcc, v1, v4, vcc
	global_load_ushort v25, v[3:4], off
	v_add_u32_e32 v0, 0x100, v0
.LBB101_15:
	s_or_b64 exec, exec, s[4:5]
	v_cmp_gt_i32_e32 vcc, s33, v0
	v_mov_b32_e32 v26, 0
	v_mov_b32_e32 v31, 0
	s_and_saveexec_b64 s[4:5], vcc
	s_cbranch_execnz .LBB101_42
; %bb.16:
	s_or_b64 exec, exec, s[4:5]
	v_cmp_gt_i32_e32 vcc, s33, v0
	s_and_saveexec_b64 s[4:5], vcc
	s_cbranch_execnz .LBB101_43
.LBB101_17:
	s_or_b64 exec, exec, s[4:5]
                                        ; implicit-def: $vgpr29
	s_and_saveexec_b64 s[48:49], s[34:35]
	s_cbranch_execz .LBB101_19
.LBB101_18:
	s_getpc_b64 s[4:5]
	s_add_u32 s4, s4, _ZN3c104guts5applyIRZZZN2at6native21polygamma_kernel_cudaERNS2_18TensorIteratorBaseElENKUlvE_clEvENKUlvE1_clEvEUlNS_4HalfEE_RSt5tupleIJS8_EEEEDaOT_OT0_@rel32@lo+4
	s_addc_u32 s5, s5, _ZN3c104guts5applyIRZZZN2at6native21polygamma_kernel_cudaERNS2_18TensorIteratorBaseElENKUlvE_clEvENKUlvE1_clEvEUlNS_4HalfEE_RSt5tupleIJS8_EEEEDaOT_OT0_@rel32@hi+12
	v_mov_b32_e32 v0, s36
	v_mov_b32_e32 v1, s37
	s_swappc_b64 s[30:31], s[4:5]
	v_mov_b32_e32 v29, v0
.LBB101_19:
	s_or_b64 exec, exec, s[48:49]
	v_or_b32_e32 v34, 0x100, v22
	v_cmp_gt_i32_e32 vcc, s33, v34
                                        ; implicit-def: $vgpr30
	s_and_saveexec_b64 s[48:49], vcc
	s_cbranch_execz .LBB101_21
; %bb.20:
	s_getpc_b64 s[4:5]
	s_add_u32 s4, s4, _ZN3c104guts5applyIRZZZN2at6native21polygamma_kernel_cudaERNS2_18TensorIteratorBaseElENKUlvE_clEvENKUlvE1_clEvEUlNS_4HalfEE_RSt5tupleIJS8_EEEEDaOT_OT0_@rel32@lo+4
	s_addc_u32 s5, s5, _ZN3c104guts5applyIRZZZN2at6native21polygamma_kernel_cudaERNS2_18TensorIteratorBaseElENKUlvE_clEvENKUlvE1_clEvEUlNS_4HalfEE_RSt5tupleIJS8_EEEEDaOT_OT0_@rel32@hi+12
	v_mov_b32_e32 v0, s36
	v_mov_b32_e32 v1, s37
	s_waitcnt vmcnt(0)
	v_mov_b32_e32 v2, v23
	s_swappc_b64 s[30:31], s[4:5]
	v_mov_b32_e32 v30, v0
.LBB101_21:
	s_or_b64 exec, exec, s[48:49]
	v_or_b32_e32 v0, 0x200, v22
	v_cmp_gt_i32_e32 vcc, s33, v0
                                        ; implicit-def: $vgpr23
	s_and_saveexec_b64 s[48:49], vcc
	s_cbranch_execz .LBB101_23
; %bb.22:
	s_getpc_b64 s[4:5]
	s_add_u32 s4, s4, _ZN3c104guts5applyIRZZZN2at6native21polygamma_kernel_cudaERNS2_18TensorIteratorBaseElENKUlvE_clEvENKUlvE1_clEvEUlNS_4HalfEE_RSt5tupleIJS8_EEEEDaOT_OT0_@rel32@lo+4
	s_addc_u32 s5, s5, _ZN3c104guts5applyIRZZZN2at6native21polygamma_kernel_cudaERNS2_18TensorIteratorBaseElENKUlvE_clEvENKUlvE1_clEvEUlNS_4HalfEE_RSt5tupleIJS8_EEEEDaOT_OT0_@rel32@hi+12
	v_mov_b32_e32 v0, s36
	v_mov_b32_e32 v1, s37
	s_waitcnt vmcnt(0)
	v_mov_b32_e32 v2, v27
	s_swappc_b64 s[30:31], s[4:5]
	v_mov_b32_e32 v23, v0
.LBB101_23:
	s_or_b64 exec, exec, s[48:49]
	v_or_b32_e32 v0, 0x300, v22
	v_cmp_gt_i32_e32 vcc, s33, v0
                                        ; implicit-def: $vgpr27
	s_and_saveexec_b64 s[48:49], vcc
	s_cbranch_execz .LBB101_25
; %bb.24:
	s_getpc_b64 s[4:5]
	s_add_u32 s4, s4, _ZN3c104guts5applyIRZZZN2at6native21polygamma_kernel_cudaERNS2_18TensorIteratorBaseElENKUlvE_clEvENKUlvE1_clEvEUlNS_4HalfEE_RSt5tupleIJS8_EEEEDaOT_OT0_@rel32@lo+4
	s_addc_u32 s5, s5, _ZN3c104guts5applyIRZZZN2at6native21polygamma_kernel_cudaERNS2_18TensorIteratorBaseElENKUlvE_clEvENKUlvE1_clEvEUlNS_4HalfEE_RSt5tupleIJS8_EEEEDaOT_OT0_@rel32@hi+12
	v_mov_b32_e32 v0, s36
	v_mov_b32_e32 v1, s37
	s_waitcnt vmcnt(0)
	v_mov_b32_e32 v2, v24
	s_swappc_b64 s[30:31], s[4:5]
	v_mov_b32_e32 v27, v0
.LBB101_25:
	s_or_b64 exec, exec, s[48:49]
	v_or_b32_e32 v0, 0x400, v22
	v_cmp_gt_i32_e32 vcc, s33, v0
                                        ; implicit-def: $vgpr24
	s_and_saveexec_b64 s[48:49], vcc
	s_cbranch_execz .LBB101_27
; %bb.26:
	s_getpc_b64 s[4:5]
	s_add_u32 s4, s4, _ZN3c104guts5applyIRZZZN2at6native21polygamma_kernel_cudaERNS2_18TensorIteratorBaseElENKUlvE_clEvENKUlvE1_clEvEUlNS_4HalfEE_RSt5tupleIJS8_EEEEDaOT_OT0_@rel32@lo+4
	s_addc_u32 s5, s5, _ZN3c104guts5applyIRZZZN2at6native21polygamma_kernel_cudaERNS2_18TensorIteratorBaseElENKUlvE_clEvENKUlvE1_clEvEUlNS_4HalfEE_RSt5tupleIJS8_EEEEDaOT_OT0_@rel32@hi+12
	v_mov_b32_e32 v0, s36
	v_mov_b32_e32 v1, s37
	s_waitcnt vmcnt(0)
	v_mov_b32_e32 v2, v28
	s_swappc_b64 s[30:31], s[4:5]
	v_mov_b32_e32 v24, v0
.LBB101_27:
	s_or_b64 exec, exec, s[48:49]
	v_or_b32_e32 v0, 0x500, v22
	v_cmp_gt_i32_e32 vcc, s33, v0
                                        ; implicit-def: $vgpr28
	s_and_saveexec_b64 s[48:49], vcc
	s_cbranch_execz .LBB101_29
; %bb.28:
	s_getpc_b64 s[4:5]
	s_add_u32 s4, s4, _ZN3c104guts5applyIRZZZN2at6native21polygamma_kernel_cudaERNS2_18TensorIteratorBaseElENKUlvE_clEvENKUlvE1_clEvEUlNS_4HalfEE_RSt5tupleIJS8_EEEEDaOT_OT0_@rel32@lo+4
	s_addc_u32 s5, s5, _ZN3c104guts5applyIRZZZN2at6native21polygamma_kernel_cudaERNS2_18TensorIteratorBaseElENKUlvE_clEvENKUlvE1_clEvEUlNS_4HalfEE_RSt5tupleIJS8_EEEEDaOT_OT0_@rel32@hi+12
	v_mov_b32_e32 v0, s36
	v_mov_b32_e32 v1, s37
	s_waitcnt vmcnt(0)
	v_mov_b32_e32 v2, v25
	s_swappc_b64 s[30:31], s[4:5]
	v_mov_b32_e32 v28, v0
.LBB101_29:
	s_or_b64 exec, exec, s[48:49]
	v_or_b32_e32 v0, 0x600, v22
	v_cmp_gt_i32_e32 vcc, s33, v0
                                        ; implicit-def: $vgpr25
	s_and_saveexec_b64 s[48:49], vcc
	s_cbranch_execz .LBB101_31
; %bb.30:
	s_getpc_b64 s[4:5]
	s_add_u32 s4, s4, _ZN3c104guts5applyIRZZZN2at6native21polygamma_kernel_cudaERNS2_18TensorIteratorBaseElENKUlvE_clEvENKUlvE1_clEvEUlNS_4HalfEE_RSt5tupleIJS8_EEEEDaOT_OT0_@rel32@lo+4
	s_addc_u32 s5, s5, _ZN3c104guts5applyIRZZZN2at6native21polygamma_kernel_cudaERNS2_18TensorIteratorBaseElENKUlvE_clEvENKUlvE1_clEvEUlNS_4HalfEE_RSt5tupleIJS8_EEEEDaOT_OT0_@rel32@hi+12
	v_mov_b32_e32 v0, s36
	v_mov_b32_e32 v1, s37
	s_waitcnt vmcnt(0)
	v_mov_b32_e32 v2, v31
	s_swappc_b64 s[30:31], s[4:5]
	v_mov_b32_e32 v25, v0
.LBB101_31:
	s_or_b64 exec, exec, s[48:49]
	v_or_b32_e32 v0, 0x700, v22
	v_cmp_gt_i32_e32 vcc, s33, v0
                                        ; implicit-def: $vgpr0
	s_and_saveexec_b64 s[48:49], vcc
	s_cbranch_execnz .LBB101_44
; %bb.32:
	s_or_b64 exec, exec, s[48:49]
	s_and_saveexec_b64 s[4:5], s[34:35]
	s_xor_b64 s[4:5], exec, s[4:5]
	s_cbranch_execnz .LBB101_45
.LBB101_33:
	s_or_b64 exec, exec, s[4:5]
	v_cmp_gt_i32_e32 vcc, s33, v22
	s_and_saveexec_b64 s[4:5], vcc
	s_cbranch_execnz .LBB101_46
.LBB101_34:
	s_or_b64 exec, exec, s[4:5]
	v_cmp_gt_i32_e32 vcc, s33, v22
	s_and_saveexec_b64 s[4:5], vcc
	s_cbranch_execnz .LBB101_47
.LBB101_35:
	s_or_b64 exec, exec, s[4:5]
	v_cmp_gt_i32_e32 vcc, s33, v22
	s_and_saveexec_b64 s[4:5], vcc
	s_cbranch_execnz .LBB101_48
.LBB101_36:
	s_or_b64 exec, exec, s[4:5]
	v_cmp_gt_i32_e32 vcc, s33, v22
	s_and_saveexec_b64 s[4:5], vcc
	s_cbranch_execnz .LBB101_49
.LBB101_37:
	s_or_b64 exec, exec, s[4:5]
	v_cmp_gt_i32_e32 vcc, s33, v22
	s_and_saveexec_b64 s[4:5], vcc
	s_cbranch_execnz .LBB101_50
.LBB101_38:
	s_or_b64 exec, exec, s[4:5]
	v_cmp_gt_i32_e32 vcc, s33, v22
	s_and_saveexec_b64 s[4:5], vcc
	s_cbranch_execnz .LBB101_51
.LBB101_39:
	s_or_b64 exec, exec, s[4:5]
	v_cmp_gt_i32_e32 vcc, s33, v22
	s_and_saveexec_b64 s[4:5], vcc
	s_cbranch_execz .LBB101_41
.LBB101_40:
	v_add_u32_e32 v1, s46, v22
	s_waitcnt vmcnt(0)
	v_mov_b32_e32 v2, 0
	v_lshlrev_b64 v[1:2], 1, v[1:2]
	v_mov_b32_e32 v3, s39
	v_add_co_u32_e32 v1, vcc, s38, v1
	v_addc_co_u32_e32 v2, vcc, v3, v2, vcc
	global_store_short v[1:2], v0, off
.LBB101_41:
	s_endpgm
.LBB101_42:
	v_add_u32_e32 v3, s46, v0
	v_mov_b32_e32 v4, 0
	v_lshlrev_b64 v[3:4], 1, v[3:4]
	v_mov_b32_e32 v1, s49
	v_add_co_u32_e32 v3, vcc, s48, v3
	v_addc_co_u32_e32 v4, vcc, v1, v4, vcc
	global_load_ushort v31, v[3:4], off
	v_add_u32_e32 v0, 0x100, v0
	s_or_b64 exec, exec, s[4:5]
	v_cmp_gt_i32_e32 vcc, s33, v0
	s_and_saveexec_b64 s[4:5], vcc
	s_cbranch_execz .LBB101_17
.LBB101_43:
	v_add_u32_e32 v0, s46, v0
	v_mov_b32_e32 v1, 0
	v_lshlrev_b64 v[0:1], 1, v[0:1]
	v_mov_b32_e32 v3, s49
	v_add_co_u32_e32 v0, vcc, s48, v0
	v_addc_co_u32_e32 v1, vcc, v3, v1, vcc
	global_load_ushort v26, v[0:1], off
	s_or_b64 exec, exec, s[4:5]
                                        ; implicit-def: $vgpr29
	s_and_saveexec_b64 s[48:49], s[34:35]
	s_cbranch_execnz .LBB101_18
	s_branch .LBB101_19
.LBB101_44:
	s_getpc_b64 s[4:5]
	s_add_u32 s4, s4, _ZN3c104guts5applyIRZZZN2at6native21polygamma_kernel_cudaERNS2_18TensorIteratorBaseElENKUlvE_clEvENKUlvE1_clEvEUlNS_4HalfEE_RSt5tupleIJS8_EEEEDaOT_OT0_@rel32@lo+4
	s_addc_u32 s5, s5, _ZN3c104guts5applyIRZZZN2at6native21polygamma_kernel_cudaERNS2_18TensorIteratorBaseElENKUlvE_clEvENKUlvE1_clEvEUlNS_4HalfEE_RSt5tupleIJS8_EEEEDaOT_OT0_@rel32@hi+12
	v_mov_b32_e32 v0, s36
	v_mov_b32_e32 v1, s37
	s_waitcnt vmcnt(0)
	v_mov_b32_e32 v2, v26
	s_swappc_b64 s[30:31], s[4:5]
	s_or_b64 exec, exec, s[48:49]
	s_and_saveexec_b64 s[4:5], s[34:35]
	s_xor_b64 s[4:5], exec, s[4:5]
	s_cbranch_execz .LBB101_33
.LBB101_45:
	v_mov_b32_e32 v33, 0
	s_waitcnt vmcnt(0)
	v_lshlrev_b64 v[1:2], 1, v[32:33]
	v_mov_b32_e32 v3, s39
	v_add_co_u32_e32 v1, vcc, s38, v1
	v_addc_co_u32_e32 v2, vcc, v3, v2, vcc
	v_mov_b32_e32 v22, v34
	global_store_short v[1:2], v29, off
	s_or_b64 exec, exec, s[4:5]
	v_cmp_gt_i32_e32 vcc, s33, v22
	s_and_saveexec_b64 s[4:5], vcc
	s_cbranch_execz .LBB101_34
.LBB101_46:
	v_add_u32_e32 v1, s46, v22
	s_waitcnt vmcnt(0)
	v_mov_b32_e32 v2, 0
	v_lshlrev_b64 v[1:2], 1, v[1:2]
	v_mov_b32_e32 v3, s39
	v_add_co_u32_e32 v1, vcc, s38, v1
	v_addc_co_u32_e32 v2, vcc, v3, v2, vcc
	v_add_u32_e32 v22, 0x100, v22
	global_store_short v[1:2], v30, off
	s_or_b64 exec, exec, s[4:5]
	v_cmp_gt_i32_e32 vcc, s33, v22
	s_and_saveexec_b64 s[4:5], vcc
	s_cbranch_execz .LBB101_35
.LBB101_47:
	v_add_u32_e32 v1, s46, v22
	s_waitcnt vmcnt(0)
	v_mov_b32_e32 v2, 0
	v_lshlrev_b64 v[1:2], 1, v[1:2]
	v_mov_b32_e32 v3, s39
	v_add_co_u32_e32 v1, vcc, s38, v1
	v_addc_co_u32_e32 v2, vcc, v3, v2, vcc
	v_add_u32_e32 v22, 0x100, v22
	global_store_short v[1:2], v23, off
	s_or_b64 exec, exec, s[4:5]
	v_cmp_gt_i32_e32 vcc, s33, v22
	s_and_saveexec_b64 s[4:5], vcc
	s_cbranch_execz .LBB101_36
.LBB101_48:
	v_add_u32_e32 v1, s46, v22
	s_waitcnt vmcnt(0)
	v_mov_b32_e32 v2, 0
	v_lshlrev_b64 v[1:2], 1, v[1:2]
	v_mov_b32_e32 v3, s39
	v_add_co_u32_e32 v1, vcc, s38, v1
	v_addc_co_u32_e32 v2, vcc, v3, v2, vcc
	v_add_u32_e32 v22, 0x100, v22
	global_store_short v[1:2], v27, off
	s_or_b64 exec, exec, s[4:5]
	v_cmp_gt_i32_e32 vcc, s33, v22
	s_and_saveexec_b64 s[4:5], vcc
	s_cbranch_execz .LBB101_37
.LBB101_49:
	v_add_u32_e32 v1, s46, v22
	s_waitcnt vmcnt(0)
	v_mov_b32_e32 v2, 0
	v_lshlrev_b64 v[1:2], 1, v[1:2]
	v_mov_b32_e32 v3, s39
	v_add_co_u32_e32 v1, vcc, s38, v1
	v_addc_co_u32_e32 v2, vcc, v3, v2, vcc
	v_add_u32_e32 v22, 0x100, v22
	global_store_short v[1:2], v24, off
	s_or_b64 exec, exec, s[4:5]
	v_cmp_gt_i32_e32 vcc, s33, v22
	s_and_saveexec_b64 s[4:5], vcc
	s_cbranch_execz .LBB101_38
.LBB101_50:
	v_add_u32_e32 v1, s46, v22
	s_waitcnt vmcnt(0)
	v_mov_b32_e32 v2, 0
	v_lshlrev_b64 v[1:2], 1, v[1:2]
	v_mov_b32_e32 v3, s39
	v_add_co_u32_e32 v1, vcc, s38, v1
	v_addc_co_u32_e32 v2, vcc, v3, v2, vcc
	v_add_u32_e32 v22, 0x100, v22
	global_store_short v[1:2], v28, off
	s_or_b64 exec, exec, s[4:5]
	v_cmp_gt_i32_e32 vcc, s33, v22
	s_and_saveexec_b64 s[4:5], vcc
	s_cbranch_execz .LBB101_39
.LBB101_51:
	v_add_u32_e32 v1, s46, v22
	s_waitcnt vmcnt(0)
	v_mov_b32_e32 v2, 0
	v_lshlrev_b64 v[1:2], 1, v[1:2]
	v_mov_b32_e32 v3, s39
	v_add_co_u32_e32 v1, vcc, s38, v1
	v_addc_co_u32_e32 v2, vcc, v3, v2, vcc
	v_add_u32_e32 v22, 0x100, v22
	global_store_short v[1:2], v25, off
	s_or_b64 exec, exec, s[4:5]
	v_cmp_gt_i32_e32 vcc, s33, v22
	s_and_saveexec_b64 s[4:5], vcc
	s_cbranch_execnz .LBB101_40
	s_branch .LBB101_41
	.section	.rodata,"a",@progbits
	.p2align	6, 0x0
	.amdhsa_kernel _ZN2at6native29vectorized_elementwise_kernelILi8EZZZNS0_21polygamma_kernel_cudaERNS_18TensorIteratorBaseElENKUlvE_clEvENKUlvE1_clEvEUlN3c104HalfEE_St5arrayIPcLm2EEEEviT0_T1_
		.amdhsa_group_segment_fixed_size 0
		.amdhsa_private_segment_fixed_size 0
		.amdhsa_kernarg_size 32
		.amdhsa_user_sgpr_count 6
		.amdhsa_user_sgpr_private_segment_buffer 1
		.amdhsa_user_sgpr_dispatch_ptr 0
		.amdhsa_user_sgpr_queue_ptr 0
		.amdhsa_user_sgpr_kernarg_segment_ptr 1
		.amdhsa_user_sgpr_dispatch_id 0
		.amdhsa_user_sgpr_flat_scratch_init 0
		.amdhsa_user_sgpr_private_segment_size 0
		.amdhsa_uses_dynamic_stack 0
		.amdhsa_system_sgpr_private_segment_wavefront_offset 0
		.amdhsa_system_sgpr_workgroup_id_x 1
		.amdhsa_system_sgpr_workgroup_id_y 0
		.amdhsa_system_sgpr_workgroup_id_z 0
		.amdhsa_system_sgpr_workgroup_info 0
		.amdhsa_system_vgpr_workitem_id 0
		.amdhsa_next_free_vgpr 35
		.amdhsa_next_free_sgpr 52
		.amdhsa_reserve_vcc 1
		.amdhsa_reserve_flat_scratch 0
		.amdhsa_float_round_mode_32 0
		.amdhsa_float_round_mode_16_64 0
		.amdhsa_float_denorm_mode_32 3
		.amdhsa_float_denorm_mode_16_64 3
		.amdhsa_dx10_clamp 1
		.amdhsa_ieee_mode 1
		.amdhsa_fp16_overflow 0
		.amdhsa_exception_fp_ieee_invalid_op 0
		.amdhsa_exception_fp_denorm_src 0
		.amdhsa_exception_fp_ieee_div_zero 0
		.amdhsa_exception_fp_ieee_overflow 0
		.amdhsa_exception_fp_ieee_underflow 0
		.amdhsa_exception_fp_ieee_inexact 0
		.amdhsa_exception_int_div_zero 0
	.end_amdhsa_kernel
	.section	.text._ZN2at6native29vectorized_elementwise_kernelILi8EZZZNS0_21polygamma_kernel_cudaERNS_18TensorIteratorBaseElENKUlvE_clEvENKUlvE1_clEvEUlN3c104HalfEE_St5arrayIPcLm2EEEEviT0_T1_,"axG",@progbits,_ZN2at6native29vectorized_elementwise_kernelILi8EZZZNS0_21polygamma_kernel_cudaERNS_18TensorIteratorBaseElENKUlvE_clEvENKUlvE1_clEvEUlN3c104HalfEE_St5arrayIPcLm2EEEEviT0_T1_,comdat
.Lfunc_end101:
	.size	_ZN2at6native29vectorized_elementwise_kernelILi8EZZZNS0_21polygamma_kernel_cudaERNS_18TensorIteratorBaseElENKUlvE_clEvENKUlvE1_clEvEUlN3c104HalfEE_St5arrayIPcLm2EEEEviT0_T1_, .Lfunc_end101-_ZN2at6native29vectorized_elementwise_kernelILi8EZZZNS0_21polygamma_kernel_cudaERNS_18TensorIteratorBaseElENKUlvE_clEvENKUlvE1_clEvEUlN3c104HalfEE_St5arrayIPcLm2EEEEviT0_T1_
                                        ; -- End function
	.set _ZN2at6native29vectorized_elementwise_kernelILi8EZZZNS0_21polygamma_kernel_cudaERNS_18TensorIteratorBaseElENKUlvE_clEvENKUlvE1_clEvEUlN3c104HalfEE_St5arrayIPcLm2EEEEviT0_T1_.num_vgpr, max(35, .L_ZN3c104guts5applyIRZZZN2at6native21polygamma_kernel_cudaERNS2_18TensorIteratorBaseElENKUlvE_clEvENKUlvE1_clEvEUlNS_4HalfEE_RSt5tupleIJS8_EEEEDaOT_OT0_.num_vgpr)
	.set _ZN2at6native29vectorized_elementwise_kernelILi8EZZZNS0_21polygamma_kernel_cudaERNS_18TensorIteratorBaseElENKUlvE_clEvENKUlvE1_clEvEUlN3c104HalfEE_St5arrayIPcLm2EEEEviT0_T1_.num_agpr, max(0, .L_ZN3c104guts5applyIRZZZN2at6native21polygamma_kernel_cudaERNS2_18TensorIteratorBaseElENKUlvE_clEvENKUlvE1_clEvEUlNS_4HalfEE_RSt5tupleIJS8_EEEEDaOT_OT0_.num_agpr)
	.set _ZN2at6native29vectorized_elementwise_kernelILi8EZZZNS0_21polygamma_kernel_cudaERNS_18TensorIteratorBaseElENKUlvE_clEvENKUlvE1_clEvEUlN3c104HalfEE_St5arrayIPcLm2EEEEviT0_T1_.numbered_sgpr, max(52, .L_ZN3c104guts5applyIRZZZN2at6native21polygamma_kernel_cudaERNS2_18TensorIteratorBaseElENKUlvE_clEvENKUlvE1_clEvEUlNS_4HalfEE_RSt5tupleIJS8_EEEEDaOT_OT0_.numbered_sgpr)
	.set _ZN2at6native29vectorized_elementwise_kernelILi8EZZZNS0_21polygamma_kernel_cudaERNS_18TensorIteratorBaseElENKUlvE_clEvENKUlvE1_clEvEUlN3c104HalfEE_St5arrayIPcLm2EEEEviT0_T1_.num_named_barrier, max(0, .L_ZN3c104guts5applyIRZZZN2at6native21polygamma_kernel_cudaERNS2_18TensorIteratorBaseElENKUlvE_clEvENKUlvE1_clEvEUlNS_4HalfEE_RSt5tupleIJS8_EEEEDaOT_OT0_.num_named_barrier)
	.set _ZN2at6native29vectorized_elementwise_kernelILi8EZZZNS0_21polygamma_kernel_cudaERNS_18TensorIteratorBaseElENKUlvE_clEvENKUlvE1_clEvEUlN3c104HalfEE_St5arrayIPcLm2EEEEviT0_T1_.private_seg_size, 0+max(.L_ZN3c104guts5applyIRZZZN2at6native21polygamma_kernel_cudaERNS2_18TensorIteratorBaseElENKUlvE_clEvENKUlvE1_clEvEUlNS_4HalfEE_RSt5tupleIJS8_EEEEDaOT_OT0_.private_seg_size)
	.set _ZN2at6native29vectorized_elementwise_kernelILi8EZZZNS0_21polygamma_kernel_cudaERNS_18TensorIteratorBaseElENKUlvE_clEvENKUlvE1_clEvEUlN3c104HalfEE_St5arrayIPcLm2EEEEviT0_T1_.uses_vcc, or(1, .L_ZN3c104guts5applyIRZZZN2at6native21polygamma_kernel_cudaERNS2_18TensorIteratorBaseElENKUlvE_clEvENKUlvE1_clEvEUlNS_4HalfEE_RSt5tupleIJS8_EEEEDaOT_OT0_.uses_vcc)
	.set _ZN2at6native29vectorized_elementwise_kernelILi8EZZZNS0_21polygamma_kernel_cudaERNS_18TensorIteratorBaseElENKUlvE_clEvENKUlvE1_clEvEUlN3c104HalfEE_St5arrayIPcLm2EEEEviT0_T1_.uses_flat_scratch, or(0, .L_ZN3c104guts5applyIRZZZN2at6native21polygamma_kernel_cudaERNS2_18TensorIteratorBaseElENKUlvE_clEvENKUlvE1_clEvEUlNS_4HalfEE_RSt5tupleIJS8_EEEEDaOT_OT0_.uses_flat_scratch)
	.set _ZN2at6native29vectorized_elementwise_kernelILi8EZZZNS0_21polygamma_kernel_cudaERNS_18TensorIteratorBaseElENKUlvE_clEvENKUlvE1_clEvEUlN3c104HalfEE_St5arrayIPcLm2EEEEviT0_T1_.has_dyn_sized_stack, or(0, .L_ZN3c104guts5applyIRZZZN2at6native21polygamma_kernel_cudaERNS2_18TensorIteratorBaseElENKUlvE_clEvENKUlvE1_clEvEUlNS_4HalfEE_RSt5tupleIJS8_EEEEDaOT_OT0_.has_dyn_sized_stack)
	.set _ZN2at6native29vectorized_elementwise_kernelILi8EZZZNS0_21polygamma_kernel_cudaERNS_18TensorIteratorBaseElENKUlvE_clEvENKUlvE1_clEvEUlN3c104HalfEE_St5arrayIPcLm2EEEEviT0_T1_.has_recursion, or(0, .L_ZN3c104guts5applyIRZZZN2at6native21polygamma_kernel_cudaERNS2_18TensorIteratorBaseElENKUlvE_clEvENKUlvE1_clEvEUlNS_4HalfEE_RSt5tupleIJS8_EEEEDaOT_OT0_.has_recursion)
	.set _ZN2at6native29vectorized_elementwise_kernelILi8EZZZNS0_21polygamma_kernel_cudaERNS_18TensorIteratorBaseElENKUlvE_clEvENKUlvE1_clEvEUlN3c104HalfEE_St5arrayIPcLm2EEEEviT0_T1_.has_indirect_call, or(0, .L_ZN3c104guts5applyIRZZZN2at6native21polygamma_kernel_cudaERNS2_18TensorIteratorBaseElENKUlvE_clEvENKUlvE1_clEvEUlNS_4HalfEE_RSt5tupleIJS8_EEEEDaOT_OT0_.has_indirect_call)
	.section	.AMDGPU.csdata,"",@progbits
; Kernel info:
; codeLenInByte = 2048
; TotalNumSgprs: 56
; NumVgprs: 35
; ScratchSize: 0
; MemoryBound: 0
; FloatMode: 240
; IeeeMode: 1
; LDSByteSize: 0 bytes/workgroup (compile time only)
; SGPRBlocks: 6
; VGPRBlocks: 8
; NumSGPRsForWavesPerEU: 56
; NumVGPRsForWavesPerEU: 35
; Occupancy: 7
; WaveLimiterHint : 0
; COMPUTE_PGM_RSRC2:SCRATCH_EN: 0
; COMPUTE_PGM_RSRC2:USER_SGPR: 6
; COMPUTE_PGM_RSRC2:TRAP_HANDLER: 0
; COMPUTE_PGM_RSRC2:TGID_X_EN: 1
; COMPUTE_PGM_RSRC2:TGID_Y_EN: 0
; COMPUTE_PGM_RSRC2:TGID_Z_EN: 0
; COMPUTE_PGM_RSRC2:TIDIG_COMP_CNT: 0
	.section	.text._ZN2at6native29vectorized_elementwise_kernelILi4EZZZNS0_21polygamma_kernel_cudaERNS_18TensorIteratorBaseElENKUlvE_clEvENKUlvE1_clEvEUlN3c104HalfEE_St5arrayIPcLm2EEEEviT0_T1_,"axG",@progbits,_ZN2at6native29vectorized_elementwise_kernelILi4EZZZNS0_21polygamma_kernel_cudaERNS_18TensorIteratorBaseElENKUlvE_clEvENKUlvE1_clEvEUlN3c104HalfEE_St5arrayIPcLm2EEEEviT0_T1_,comdat
	.globl	_ZN2at6native29vectorized_elementwise_kernelILi4EZZZNS0_21polygamma_kernel_cudaERNS_18TensorIteratorBaseElENKUlvE_clEvENKUlvE1_clEvEUlN3c104HalfEE_St5arrayIPcLm2EEEEviT0_T1_ ; -- Begin function _ZN2at6native29vectorized_elementwise_kernelILi4EZZZNS0_21polygamma_kernel_cudaERNS_18TensorIteratorBaseElENKUlvE_clEvENKUlvE1_clEvEUlN3c104HalfEE_St5arrayIPcLm2EEEEviT0_T1_
	.p2align	8
	.type	_ZN2at6native29vectorized_elementwise_kernelILi4EZZZNS0_21polygamma_kernel_cudaERNS_18TensorIteratorBaseElENKUlvE_clEvENKUlvE1_clEvEUlN3c104HalfEE_St5arrayIPcLm2EEEEviT0_T1_,@function
_ZN2at6native29vectorized_elementwise_kernelILi4EZZZNS0_21polygamma_kernel_cudaERNS_18TensorIteratorBaseElENKUlvE_clEvENKUlvE1_clEvEUlN3c104HalfEE_St5arrayIPcLm2EEEEviT0_T1_: ; @_ZN2at6native29vectorized_elementwise_kernelILi4EZZZNS0_21polygamma_kernel_cudaERNS_18TensorIteratorBaseElENKUlvE_clEvENKUlvE1_clEvEUlN3c104HalfEE_St5arrayIPcLm2EEEEviT0_T1_
; %bb.0:
	s_add_u32 s0, s0, s7
	s_load_dword s7, s[4:5], 0x0
	s_load_dwordx4 s[36:39], s[4:5], 0x8
	s_load_dwordx2 s[48:49], s[4:5], 0x18
	s_addc_u32 s1, s1, 0
	s_lshl_b32 s46, s6, 11
	s_waitcnt lgkmcnt(0)
	s_sub_i32 s33, s7, s46
	v_mov_b32_e32 v22, v0
	s_cmpk_gt_i32 s33, 0x7ff
	s_mov_b64 s[4:5], -1
	s_mov_b32 s32, 0
	s_cbranch_scc0 .LBB102_2
; %bb.1:
	s_ashr_i32 s47, s46, 31
	s_lshl_b64 s[34:35], s[46:47], 1
	s_add_u32 s4, s48, s34
	s_addc_u32 s5, s49, s35
	v_lshlrev_b32_e32 v27, 3, v22
	global_load_dwordx2 v[23:24], v27, s[4:5]
	global_load_dwordx2 v[25:26], v27, s[4:5] offset:2048
	s_getpc_b64 s[50:51]
	s_add_u32 s50, s50, _ZN3c104guts5applyIRZZZN2at6native21polygamma_kernel_cudaERNS2_18TensorIteratorBaseElENKUlvE_clEvENKUlvE1_clEvEUlNS_4HalfEE_RSt5tupleIJS8_EEEEDaOT_OT0_@rel32@lo+4
	s_addc_u32 s51, s51, _ZN3c104guts5applyIRZZZN2at6native21polygamma_kernel_cudaERNS2_18TensorIteratorBaseElENKUlvE_clEvENKUlvE1_clEvEUlNS_4HalfEE_RSt5tupleIJS8_EEEEDaOT_OT0_@rel32@hi+12
	v_mov_b32_e32 v0, s36
	v_mov_b32_e32 v1, s37
	s_waitcnt vmcnt(1)
	v_mov_b32_e32 v2, v23
	s_swappc_b64 s[30:31], s[50:51]
	v_and_b32_e32 v28, 0xffff, v0
	v_lshrrev_b32_e32 v2, 16, v23
	v_mov_b32_e32 v0, s36
	v_mov_b32_e32 v1, s37
	s_swappc_b64 s[30:31], s[50:51]
	v_lshlrev_b32_e32 v0, 16, v0
	v_or_b32_e32 v23, v0, v28
	v_mov_b32_e32 v0, s36
	v_mov_b32_e32 v1, s37
	;; [unrolled: 1-line block ×3, first 2 shown]
	s_swappc_b64 s[30:31], s[50:51]
	v_and_b32_e32 v28, 0xffff, v0
	v_lshrrev_b32_e32 v2, 16, v24
	v_mov_b32_e32 v0, s36
	v_mov_b32_e32 v1, s37
	s_swappc_b64 s[30:31], s[50:51]
	v_lshlrev_b32_e32 v0, 16, v0
	v_or3_b32 v24, 0, v28, v0
	v_mov_b32_e32 v0, s36
	v_mov_b32_e32 v1, s37
	;; [unrolled: 1-line block ×3, first 2 shown]
	v_or3_b32 v23, v23, 0, 0
	s_swappc_b64 s[30:31], s[50:51]
	v_and_b32_e32 v28, 0xffff, v0
	v_lshrrev_b32_e32 v2, 16, v25
	v_mov_b32_e32 v0, s36
	v_mov_b32_e32 v1, s37
	s_swappc_b64 s[30:31], s[50:51]
	v_lshlrev_b32_e32 v0, 16, v0
	v_or_b32_e32 v25, v0, v28
	v_mov_b32_e32 v0, s36
	v_mov_b32_e32 v1, s37
	;; [unrolled: 1-line block ×3, first 2 shown]
	s_swappc_b64 s[30:31], s[50:51]
	v_and_b32_e32 v28, 0xffff, v0
	v_lshrrev_b32_e32 v2, 16, v26
	v_mov_b32_e32 v0, s36
	v_mov_b32_e32 v1, s37
	s_swappc_b64 s[30:31], s[50:51]
	s_add_u32 s4, s38, s34
	v_lshlrev_b32_e32 v0, 16, v0
	s_addc_u32 s5, s39, s35
	v_or3_b32 v1, 0, v28, v0
	v_or3_b32 v0, v25, 0, 0
	global_store_dwordx2 v27, v[23:24], s[4:5]
	global_store_dwordx2 v27, v[0:1], s[4:5] offset:2048
	s_mov_b64 s[4:5], 0
.LBB102_2:
	s_andn2_b64 vcc, exec, s[4:5]
	s_cbranch_vccnz .LBB102_41
; %bb.3:
	v_cmp_gt_i32_e64 s[34:35], s33, v22
	v_mov_b32_e32 v23, 0
	v_or_b32_e32 v32, s46, v22
	v_mov_b32_e32 v2, 0
	v_mov_b32_e32 v0, v22
	s_and_saveexec_b64 s[4:5], s[34:35]
	s_cbranch_execz .LBB102_5
; %bb.4:
	v_mov_b32_e32 v33, 0
	v_lshlrev_b64 v[0:1], 1, v[32:33]
	v_mov_b32_e32 v2, s49
	v_add_co_u32_e32 v0, vcc, s48, v0
	v_addc_co_u32_e32 v1, vcc, v2, v1, vcc
	global_load_ushort v2, v[0:1], off
	v_or_b32_e32 v0, 0x100, v22
.LBB102_5:
	s_or_b64 exec, exec, s[4:5]
	v_cmp_gt_i32_e32 vcc, s33, v0
	s_and_saveexec_b64 s[4:5], vcc
	s_cbranch_execz .LBB102_7
; %bb.6:
	v_add_u32_e32 v3, s46, v0
	v_mov_b32_e32 v4, 0
	v_lshlrev_b64 v[3:4], 1, v[3:4]
	v_mov_b32_e32 v1, s49
	v_add_co_u32_e32 v3, vcc, s48, v3
	v_addc_co_u32_e32 v4, vcc, v1, v4, vcc
	global_load_ushort v23, v[3:4], off
	v_add_u32_e32 v0, 0x100, v0
.LBB102_7:
	s_or_b64 exec, exec, s[4:5]
	v_cmp_gt_i32_e32 vcc, s33, v0
	v_mov_b32_e32 v24, 0
	v_mov_b32_e32 v27, 0
	s_and_saveexec_b64 s[4:5], vcc
	s_cbranch_execz .LBB102_9
; %bb.8:
	v_add_u32_e32 v3, s46, v0
	v_mov_b32_e32 v4, 0
	v_lshlrev_b64 v[3:4], 1, v[3:4]
	v_mov_b32_e32 v1, s49
	v_add_co_u32_e32 v3, vcc, s48, v3
	v_addc_co_u32_e32 v4, vcc, v1, v4, vcc
	global_load_ushort v27, v[3:4], off
	v_add_u32_e32 v0, 0x100, v0
.LBB102_9:
	s_or_b64 exec, exec, s[4:5]
	v_cmp_gt_i32_e32 vcc, s33, v0
	s_and_saveexec_b64 s[4:5], vcc
	s_cbranch_execz .LBB102_11
; %bb.10:
	v_add_u32_e32 v3, s46, v0
	v_mov_b32_e32 v4, 0
	v_lshlrev_b64 v[3:4], 1, v[3:4]
	v_mov_b32_e32 v1, s49
	v_add_co_u32_e32 v3, vcc, s48, v3
	v_addc_co_u32_e32 v4, vcc, v1, v4, vcc
	global_load_ushort v24, v[3:4], off
	v_add_u32_e32 v0, 0x100, v0
.LBB102_11:
	s_or_b64 exec, exec, s[4:5]
	v_cmp_gt_i32_e32 vcc, s33, v0
	v_mov_b32_e32 v25, 0
	v_mov_b32_e32 v28, 0
	s_and_saveexec_b64 s[4:5], vcc
	s_cbranch_execz .LBB102_13
; %bb.12:
	v_add_u32_e32 v3, s46, v0
	v_mov_b32_e32 v4, 0
	v_lshlrev_b64 v[3:4], 1, v[3:4]
	v_mov_b32_e32 v1, s49
	v_add_co_u32_e32 v3, vcc, s48, v3
	v_addc_co_u32_e32 v4, vcc, v1, v4, vcc
	global_load_ushort v28, v[3:4], off
	v_add_u32_e32 v0, 0x100, v0
.LBB102_13:
	s_or_b64 exec, exec, s[4:5]
	v_cmp_gt_i32_e32 vcc, s33, v0
	s_and_saveexec_b64 s[4:5], vcc
	s_cbranch_execz .LBB102_15
; %bb.14:
	v_add_u32_e32 v3, s46, v0
	v_mov_b32_e32 v4, 0
	v_lshlrev_b64 v[3:4], 1, v[3:4]
	v_mov_b32_e32 v1, s49
	v_add_co_u32_e32 v3, vcc, s48, v3
	v_addc_co_u32_e32 v4, vcc, v1, v4, vcc
	global_load_ushort v25, v[3:4], off
	v_add_u32_e32 v0, 0x100, v0
.LBB102_15:
	s_or_b64 exec, exec, s[4:5]
	v_cmp_gt_i32_e32 vcc, s33, v0
	v_mov_b32_e32 v26, 0
	v_mov_b32_e32 v31, 0
	s_and_saveexec_b64 s[4:5], vcc
	s_cbranch_execnz .LBB102_42
; %bb.16:
	s_or_b64 exec, exec, s[4:5]
	v_cmp_gt_i32_e32 vcc, s33, v0
	s_and_saveexec_b64 s[4:5], vcc
	s_cbranch_execnz .LBB102_43
.LBB102_17:
	s_or_b64 exec, exec, s[4:5]
                                        ; implicit-def: $vgpr29
	s_and_saveexec_b64 s[48:49], s[34:35]
	s_cbranch_execz .LBB102_19
.LBB102_18:
	s_getpc_b64 s[4:5]
	s_add_u32 s4, s4, _ZN3c104guts5applyIRZZZN2at6native21polygamma_kernel_cudaERNS2_18TensorIteratorBaseElENKUlvE_clEvENKUlvE1_clEvEUlNS_4HalfEE_RSt5tupleIJS8_EEEEDaOT_OT0_@rel32@lo+4
	s_addc_u32 s5, s5, _ZN3c104guts5applyIRZZZN2at6native21polygamma_kernel_cudaERNS2_18TensorIteratorBaseElENKUlvE_clEvENKUlvE1_clEvEUlNS_4HalfEE_RSt5tupleIJS8_EEEEDaOT_OT0_@rel32@hi+12
	v_mov_b32_e32 v0, s36
	v_mov_b32_e32 v1, s37
	s_swappc_b64 s[30:31], s[4:5]
	v_mov_b32_e32 v29, v0
.LBB102_19:
	s_or_b64 exec, exec, s[48:49]
	v_or_b32_e32 v34, 0x100, v22
	v_cmp_gt_i32_e32 vcc, s33, v34
                                        ; implicit-def: $vgpr30
	s_and_saveexec_b64 s[48:49], vcc
	s_cbranch_execz .LBB102_21
; %bb.20:
	s_getpc_b64 s[4:5]
	s_add_u32 s4, s4, _ZN3c104guts5applyIRZZZN2at6native21polygamma_kernel_cudaERNS2_18TensorIteratorBaseElENKUlvE_clEvENKUlvE1_clEvEUlNS_4HalfEE_RSt5tupleIJS8_EEEEDaOT_OT0_@rel32@lo+4
	s_addc_u32 s5, s5, _ZN3c104guts5applyIRZZZN2at6native21polygamma_kernel_cudaERNS2_18TensorIteratorBaseElENKUlvE_clEvENKUlvE1_clEvEUlNS_4HalfEE_RSt5tupleIJS8_EEEEDaOT_OT0_@rel32@hi+12
	v_mov_b32_e32 v0, s36
	v_mov_b32_e32 v1, s37
	s_waitcnt vmcnt(0)
	v_mov_b32_e32 v2, v23
	s_swappc_b64 s[30:31], s[4:5]
	v_mov_b32_e32 v30, v0
.LBB102_21:
	s_or_b64 exec, exec, s[48:49]
	v_or_b32_e32 v0, 0x200, v22
	v_cmp_gt_i32_e32 vcc, s33, v0
                                        ; implicit-def: $vgpr23
	s_and_saveexec_b64 s[48:49], vcc
	s_cbranch_execz .LBB102_23
; %bb.22:
	s_getpc_b64 s[4:5]
	s_add_u32 s4, s4, _ZN3c104guts5applyIRZZZN2at6native21polygamma_kernel_cudaERNS2_18TensorIteratorBaseElENKUlvE_clEvENKUlvE1_clEvEUlNS_4HalfEE_RSt5tupleIJS8_EEEEDaOT_OT0_@rel32@lo+4
	s_addc_u32 s5, s5, _ZN3c104guts5applyIRZZZN2at6native21polygamma_kernel_cudaERNS2_18TensorIteratorBaseElENKUlvE_clEvENKUlvE1_clEvEUlNS_4HalfEE_RSt5tupleIJS8_EEEEDaOT_OT0_@rel32@hi+12
	v_mov_b32_e32 v0, s36
	v_mov_b32_e32 v1, s37
	s_waitcnt vmcnt(0)
	v_mov_b32_e32 v2, v27
	s_swappc_b64 s[30:31], s[4:5]
	v_mov_b32_e32 v23, v0
.LBB102_23:
	s_or_b64 exec, exec, s[48:49]
	v_or_b32_e32 v0, 0x300, v22
	v_cmp_gt_i32_e32 vcc, s33, v0
                                        ; implicit-def: $vgpr27
	s_and_saveexec_b64 s[48:49], vcc
	s_cbranch_execz .LBB102_25
; %bb.24:
	s_getpc_b64 s[4:5]
	s_add_u32 s4, s4, _ZN3c104guts5applyIRZZZN2at6native21polygamma_kernel_cudaERNS2_18TensorIteratorBaseElENKUlvE_clEvENKUlvE1_clEvEUlNS_4HalfEE_RSt5tupleIJS8_EEEEDaOT_OT0_@rel32@lo+4
	s_addc_u32 s5, s5, _ZN3c104guts5applyIRZZZN2at6native21polygamma_kernel_cudaERNS2_18TensorIteratorBaseElENKUlvE_clEvENKUlvE1_clEvEUlNS_4HalfEE_RSt5tupleIJS8_EEEEDaOT_OT0_@rel32@hi+12
	v_mov_b32_e32 v0, s36
	v_mov_b32_e32 v1, s37
	s_waitcnt vmcnt(0)
	v_mov_b32_e32 v2, v24
	s_swappc_b64 s[30:31], s[4:5]
	v_mov_b32_e32 v27, v0
.LBB102_25:
	s_or_b64 exec, exec, s[48:49]
	v_or_b32_e32 v0, 0x400, v22
	v_cmp_gt_i32_e32 vcc, s33, v0
                                        ; implicit-def: $vgpr24
	s_and_saveexec_b64 s[48:49], vcc
	s_cbranch_execz .LBB102_27
; %bb.26:
	s_getpc_b64 s[4:5]
	s_add_u32 s4, s4, _ZN3c104guts5applyIRZZZN2at6native21polygamma_kernel_cudaERNS2_18TensorIteratorBaseElENKUlvE_clEvENKUlvE1_clEvEUlNS_4HalfEE_RSt5tupleIJS8_EEEEDaOT_OT0_@rel32@lo+4
	s_addc_u32 s5, s5, _ZN3c104guts5applyIRZZZN2at6native21polygamma_kernel_cudaERNS2_18TensorIteratorBaseElENKUlvE_clEvENKUlvE1_clEvEUlNS_4HalfEE_RSt5tupleIJS8_EEEEDaOT_OT0_@rel32@hi+12
	v_mov_b32_e32 v0, s36
	v_mov_b32_e32 v1, s37
	s_waitcnt vmcnt(0)
	v_mov_b32_e32 v2, v28
	s_swappc_b64 s[30:31], s[4:5]
	v_mov_b32_e32 v24, v0
.LBB102_27:
	s_or_b64 exec, exec, s[48:49]
	v_or_b32_e32 v0, 0x500, v22
	v_cmp_gt_i32_e32 vcc, s33, v0
                                        ; implicit-def: $vgpr28
	s_and_saveexec_b64 s[48:49], vcc
	s_cbranch_execz .LBB102_29
; %bb.28:
	s_getpc_b64 s[4:5]
	s_add_u32 s4, s4, _ZN3c104guts5applyIRZZZN2at6native21polygamma_kernel_cudaERNS2_18TensorIteratorBaseElENKUlvE_clEvENKUlvE1_clEvEUlNS_4HalfEE_RSt5tupleIJS8_EEEEDaOT_OT0_@rel32@lo+4
	s_addc_u32 s5, s5, _ZN3c104guts5applyIRZZZN2at6native21polygamma_kernel_cudaERNS2_18TensorIteratorBaseElENKUlvE_clEvENKUlvE1_clEvEUlNS_4HalfEE_RSt5tupleIJS8_EEEEDaOT_OT0_@rel32@hi+12
	v_mov_b32_e32 v0, s36
	v_mov_b32_e32 v1, s37
	s_waitcnt vmcnt(0)
	v_mov_b32_e32 v2, v25
	s_swappc_b64 s[30:31], s[4:5]
	v_mov_b32_e32 v28, v0
.LBB102_29:
	s_or_b64 exec, exec, s[48:49]
	v_or_b32_e32 v0, 0x600, v22
	v_cmp_gt_i32_e32 vcc, s33, v0
                                        ; implicit-def: $vgpr25
	s_and_saveexec_b64 s[48:49], vcc
	s_cbranch_execz .LBB102_31
; %bb.30:
	s_getpc_b64 s[4:5]
	s_add_u32 s4, s4, _ZN3c104guts5applyIRZZZN2at6native21polygamma_kernel_cudaERNS2_18TensorIteratorBaseElENKUlvE_clEvENKUlvE1_clEvEUlNS_4HalfEE_RSt5tupleIJS8_EEEEDaOT_OT0_@rel32@lo+4
	s_addc_u32 s5, s5, _ZN3c104guts5applyIRZZZN2at6native21polygamma_kernel_cudaERNS2_18TensorIteratorBaseElENKUlvE_clEvENKUlvE1_clEvEUlNS_4HalfEE_RSt5tupleIJS8_EEEEDaOT_OT0_@rel32@hi+12
	v_mov_b32_e32 v0, s36
	v_mov_b32_e32 v1, s37
	s_waitcnt vmcnt(0)
	v_mov_b32_e32 v2, v31
	s_swappc_b64 s[30:31], s[4:5]
	v_mov_b32_e32 v25, v0
.LBB102_31:
	s_or_b64 exec, exec, s[48:49]
	v_or_b32_e32 v0, 0x700, v22
	v_cmp_gt_i32_e32 vcc, s33, v0
                                        ; implicit-def: $vgpr0
	s_and_saveexec_b64 s[48:49], vcc
	s_cbranch_execnz .LBB102_44
; %bb.32:
	s_or_b64 exec, exec, s[48:49]
	s_and_saveexec_b64 s[4:5], s[34:35]
	s_xor_b64 s[4:5], exec, s[4:5]
	s_cbranch_execnz .LBB102_45
.LBB102_33:
	s_or_b64 exec, exec, s[4:5]
	v_cmp_gt_i32_e32 vcc, s33, v22
	s_and_saveexec_b64 s[4:5], vcc
	s_cbranch_execnz .LBB102_46
.LBB102_34:
	s_or_b64 exec, exec, s[4:5]
	v_cmp_gt_i32_e32 vcc, s33, v22
	s_and_saveexec_b64 s[4:5], vcc
	s_cbranch_execnz .LBB102_47
.LBB102_35:
	s_or_b64 exec, exec, s[4:5]
	v_cmp_gt_i32_e32 vcc, s33, v22
	s_and_saveexec_b64 s[4:5], vcc
	s_cbranch_execnz .LBB102_48
.LBB102_36:
	s_or_b64 exec, exec, s[4:5]
	v_cmp_gt_i32_e32 vcc, s33, v22
	s_and_saveexec_b64 s[4:5], vcc
	s_cbranch_execnz .LBB102_49
.LBB102_37:
	s_or_b64 exec, exec, s[4:5]
	v_cmp_gt_i32_e32 vcc, s33, v22
	s_and_saveexec_b64 s[4:5], vcc
	s_cbranch_execnz .LBB102_50
.LBB102_38:
	s_or_b64 exec, exec, s[4:5]
	v_cmp_gt_i32_e32 vcc, s33, v22
	s_and_saveexec_b64 s[4:5], vcc
	s_cbranch_execnz .LBB102_51
.LBB102_39:
	s_or_b64 exec, exec, s[4:5]
	v_cmp_gt_i32_e32 vcc, s33, v22
	s_and_saveexec_b64 s[4:5], vcc
	s_cbranch_execz .LBB102_41
.LBB102_40:
	v_add_u32_e32 v1, s46, v22
	s_waitcnt vmcnt(0)
	v_mov_b32_e32 v2, 0
	v_lshlrev_b64 v[1:2], 1, v[1:2]
	v_mov_b32_e32 v3, s39
	v_add_co_u32_e32 v1, vcc, s38, v1
	v_addc_co_u32_e32 v2, vcc, v3, v2, vcc
	global_store_short v[1:2], v0, off
.LBB102_41:
	s_endpgm
.LBB102_42:
	v_add_u32_e32 v3, s46, v0
	v_mov_b32_e32 v4, 0
	v_lshlrev_b64 v[3:4], 1, v[3:4]
	v_mov_b32_e32 v1, s49
	v_add_co_u32_e32 v3, vcc, s48, v3
	v_addc_co_u32_e32 v4, vcc, v1, v4, vcc
	global_load_ushort v31, v[3:4], off
	v_add_u32_e32 v0, 0x100, v0
	s_or_b64 exec, exec, s[4:5]
	v_cmp_gt_i32_e32 vcc, s33, v0
	s_and_saveexec_b64 s[4:5], vcc
	s_cbranch_execz .LBB102_17
.LBB102_43:
	v_add_u32_e32 v0, s46, v0
	v_mov_b32_e32 v1, 0
	v_lshlrev_b64 v[0:1], 1, v[0:1]
	v_mov_b32_e32 v3, s49
	v_add_co_u32_e32 v0, vcc, s48, v0
	v_addc_co_u32_e32 v1, vcc, v3, v1, vcc
	global_load_ushort v26, v[0:1], off
	s_or_b64 exec, exec, s[4:5]
                                        ; implicit-def: $vgpr29
	s_and_saveexec_b64 s[48:49], s[34:35]
	s_cbranch_execnz .LBB102_18
	s_branch .LBB102_19
.LBB102_44:
	s_getpc_b64 s[4:5]
	s_add_u32 s4, s4, _ZN3c104guts5applyIRZZZN2at6native21polygamma_kernel_cudaERNS2_18TensorIteratorBaseElENKUlvE_clEvENKUlvE1_clEvEUlNS_4HalfEE_RSt5tupleIJS8_EEEEDaOT_OT0_@rel32@lo+4
	s_addc_u32 s5, s5, _ZN3c104guts5applyIRZZZN2at6native21polygamma_kernel_cudaERNS2_18TensorIteratorBaseElENKUlvE_clEvENKUlvE1_clEvEUlNS_4HalfEE_RSt5tupleIJS8_EEEEDaOT_OT0_@rel32@hi+12
	v_mov_b32_e32 v0, s36
	v_mov_b32_e32 v1, s37
	s_waitcnt vmcnt(0)
	v_mov_b32_e32 v2, v26
	s_swappc_b64 s[30:31], s[4:5]
	s_or_b64 exec, exec, s[48:49]
	s_and_saveexec_b64 s[4:5], s[34:35]
	s_xor_b64 s[4:5], exec, s[4:5]
	s_cbranch_execz .LBB102_33
.LBB102_45:
	v_mov_b32_e32 v33, 0
	s_waitcnt vmcnt(0)
	v_lshlrev_b64 v[1:2], 1, v[32:33]
	v_mov_b32_e32 v3, s39
	v_add_co_u32_e32 v1, vcc, s38, v1
	v_addc_co_u32_e32 v2, vcc, v3, v2, vcc
	v_mov_b32_e32 v22, v34
	global_store_short v[1:2], v29, off
	s_or_b64 exec, exec, s[4:5]
	v_cmp_gt_i32_e32 vcc, s33, v22
	s_and_saveexec_b64 s[4:5], vcc
	s_cbranch_execz .LBB102_34
.LBB102_46:
	v_add_u32_e32 v1, s46, v22
	s_waitcnt vmcnt(0)
	v_mov_b32_e32 v2, 0
	v_lshlrev_b64 v[1:2], 1, v[1:2]
	v_mov_b32_e32 v3, s39
	v_add_co_u32_e32 v1, vcc, s38, v1
	v_addc_co_u32_e32 v2, vcc, v3, v2, vcc
	v_add_u32_e32 v22, 0x100, v22
	global_store_short v[1:2], v30, off
	s_or_b64 exec, exec, s[4:5]
	v_cmp_gt_i32_e32 vcc, s33, v22
	s_and_saveexec_b64 s[4:5], vcc
	s_cbranch_execz .LBB102_35
.LBB102_47:
	v_add_u32_e32 v1, s46, v22
	s_waitcnt vmcnt(0)
	v_mov_b32_e32 v2, 0
	v_lshlrev_b64 v[1:2], 1, v[1:2]
	v_mov_b32_e32 v3, s39
	v_add_co_u32_e32 v1, vcc, s38, v1
	v_addc_co_u32_e32 v2, vcc, v3, v2, vcc
	v_add_u32_e32 v22, 0x100, v22
	global_store_short v[1:2], v23, off
	s_or_b64 exec, exec, s[4:5]
	v_cmp_gt_i32_e32 vcc, s33, v22
	s_and_saveexec_b64 s[4:5], vcc
	s_cbranch_execz .LBB102_36
.LBB102_48:
	v_add_u32_e32 v1, s46, v22
	s_waitcnt vmcnt(0)
	v_mov_b32_e32 v2, 0
	v_lshlrev_b64 v[1:2], 1, v[1:2]
	v_mov_b32_e32 v3, s39
	v_add_co_u32_e32 v1, vcc, s38, v1
	v_addc_co_u32_e32 v2, vcc, v3, v2, vcc
	v_add_u32_e32 v22, 0x100, v22
	global_store_short v[1:2], v27, off
	s_or_b64 exec, exec, s[4:5]
	v_cmp_gt_i32_e32 vcc, s33, v22
	s_and_saveexec_b64 s[4:5], vcc
	s_cbranch_execz .LBB102_37
.LBB102_49:
	v_add_u32_e32 v1, s46, v22
	s_waitcnt vmcnt(0)
	v_mov_b32_e32 v2, 0
	v_lshlrev_b64 v[1:2], 1, v[1:2]
	v_mov_b32_e32 v3, s39
	v_add_co_u32_e32 v1, vcc, s38, v1
	v_addc_co_u32_e32 v2, vcc, v3, v2, vcc
	v_add_u32_e32 v22, 0x100, v22
	global_store_short v[1:2], v24, off
	s_or_b64 exec, exec, s[4:5]
	v_cmp_gt_i32_e32 vcc, s33, v22
	s_and_saveexec_b64 s[4:5], vcc
	s_cbranch_execz .LBB102_38
.LBB102_50:
	v_add_u32_e32 v1, s46, v22
	s_waitcnt vmcnt(0)
	v_mov_b32_e32 v2, 0
	v_lshlrev_b64 v[1:2], 1, v[1:2]
	v_mov_b32_e32 v3, s39
	v_add_co_u32_e32 v1, vcc, s38, v1
	v_addc_co_u32_e32 v2, vcc, v3, v2, vcc
	v_add_u32_e32 v22, 0x100, v22
	global_store_short v[1:2], v28, off
	s_or_b64 exec, exec, s[4:5]
	v_cmp_gt_i32_e32 vcc, s33, v22
	s_and_saveexec_b64 s[4:5], vcc
	s_cbranch_execz .LBB102_39
.LBB102_51:
	v_add_u32_e32 v1, s46, v22
	s_waitcnt vmcnt(0)
	v_mov_b32_e32 v2, 0
	v_lshlrev_b64 v[1:2], 1, v[1:2]
	v_mov_b32_e32 v3, s39
	v_add_co_u32_e32 v1, vcc, s38, v1
	v_addc_co_u32_e32 v2, vcc, v3, v2, vcc
	v_add_u32_e32 v22, 0x100, v22
	global_store_short v[1:2], v25, off
	s_or_b64 exec, exec, s[4:5]
	v_cmp_gt_i32_e32 vcc, s33, v22
	s_and_saveexec_b64 s[4:5], vcc
	s_cbranch_execnz .LBB102_40
	s_branch .LBB102_41
	.section	.rodata,"a",@progbits
	.p2align	6, 0x0
	.amdhsa_kernel _ZN2at6native29vectorized_elementwise_kernelILi4EZZZNS0_21polygamma_kernel_cudaERNS_18TensorIteratorBaseElENKUlvE_clEvENKUlvE1_clEvEUlN3c104HalfEE_St5arrayIPcLm2EEEEviT0_T1_
		.amdhsa_group_segment_fixed_size 0
		.amdhsa_private_segment_fixed_size 0
		.amdhsa_kernarg_size 32
		.amdhsa_user_sgpr_count 6
		.amdhsa_user_sgpr_private_segment_buffer 1
		.amdhsa_user_sgpr_dispatch_ptr 0
		.amdhsa_user_sgpr_queue_ptr 0
		.amdhsa_user_sgpr_kernarg_segment_ptr 1
		.amdhsa_user_sgpr_dispatch_id 0
		.amdhsa_user_sgpr_flat_scratch_init 0
		.amdhsa_user_sgpr_private_segment_size 0
		.amdhsa_uses_dynamic_stack 0
		.amdhsa_system_sgpr_private_segment_wavefront_offset 0
		.amdhsa_system_sgpr_workgroup_id_x 1
		.amdhsa_system_sgpr_workgroup_id_y 0
		.amdhsa_system_sgpr_workgroup_id_z 0
		.amdhsa_system_sgpr_workgroup_info 0
		.amdhsa_system_vgpr_workitem_id 0
		.amdhsa_next_free_vgpr 35
		.amdhsa_next_free_sgpr 52
		.amdhsa_reserve_vcc 1
		.amdhsa_reserve_flat_scratch 0
		.amdhsa_float_round_mode_32 0
		.amdhsa_float_round_mode_16_64 0
		.amdhsa_float_denorm_mode_32 3
		.amdhsa_float_denorm_mode_16_64 3
		.amdhsa_dx10_clamp 1
		.amdhsa_ieee_mode 1
		.amdhsa_fp16_overflow 0
		.amdhsa_exception_fp_ieee_invalid_op 0
		.amdhsa_exception_fp_denorm_src 0
		.amdhsa_exception_fp_ieee_div_zero 0
		.amdhsa_exception_fp_ieee_overflow 0
		.amdhsa_exception_fp_ieee_underflow 0
		.amdhsa_exception_fp_ieee_inexact 0
		.amdhsa_exception_int_div_zero 0
	.end_amdhsa_kernel
	.section	.text._ZN2at6native29vectorized_elementwise_kernelILi4EZZZNS0_21polygamma_kernel_cudaERNS_18TensorIteratorBaseElENKUlvE_clEvENKUlvE1_clEvEUlN3c104HalfEE_St5arrayIPcLm2EEEEviT0_T1_,"axG",@progbits,_ZN2at6native29vectorized_elementwise_kernelILi4EZZZNS0_21polygamma_kernel_cudaERNS_18TensorIteratorBaseElENKUlvE_clEvENKUlvE1_clEvEUlN3c104HalfEE_St5arrayIPcLm2EEEEviT0_T1_,comdat
.Lfunc_end102:
	.size	_ZN2at6native29vectorized_elementwise_kernelILi4EZZZNS0_21polygamma_kernel_cudaERNS_18TensorIteratorBaseElENKUlvE_clEvENKUlvE1_clEvEUlN3c104HalfEE_St5arrayIPcLm2EEEEviT0_T1_, .Lfunc_end102-_ZN2at6native29vectorized_elementwise_kernelILi4EZZZNS0_21polygamma_kernel_cudaERNS_18TensorIteratorBaseElENKUlvE_clEvENKUlvE1_clEvEUlN3c104HalfEE_St5arrayIPcLm2EEEEviT0_T1_
                                        ; -- End function
	.set _ZN2at6native29vectorized_elementwise_kernelILi4EZZZNS0_21polygamma_kernel_cudaERNS_18TensorIteratorBaseElENKUlvE_clEvENKUlvE1_clEvEUlN3c104HalfEE_St5arrayIPcLm2EEEEviT0_T1_.num_vgpr, max(35, .L_ZN3c104guts5applyIRZZZN2at6native21polygamma_kernel_cudaERNS2_18TensorIteratorBaseElENKUlvE_clEvENKUlvE1_clEvEUlNS_4HalfEE_RSt5tupleIJS8_EEEEDaOT_OT0_.num_vgpr)
	.set _ZN2at6native29vectorized_elementwise_kernelILi4EZZZNS0_21polygamma_kernel_cudaERNS_18TensorIteratorBaseElENKUlvE_clEvENKUlvE1_clEvEUlN3c104HalfEE_St5arrayIPcLm2EEEEviT0_T1_.num_agpr, max(0, .L_ZN3c104guts5applyIRZZZN2at6native21polygamma_kernel_cudaERNS2_18TensorIteratorBaseElENKUlvE_clEvENKUlvE1_clEvEUlNS_4HalfEE_RSt5tupleIJS8_EEEEDaOT_OT0_.num_agpr)
	.set _ZN2at6native29vectorized_elementwise_kernelILi4EZZZNS0_21polygamma_kernel_cudaERNS_18TensorIteratorBaseElENKUlvE_clEvENKUlvE1_clEvEUlN3c104HalfEE_St5arrayIPcLm2EEEEviT0_T1_.numbered_sgpr, max(52, .L_ZN3c104guts5applyIRZZZN2at6native21polygamma_kernel_cudaERNS2_18TensorIteratorBaseElENKUlvE_clEvENKUlvE1_clEvEUlNS_4HalfEE_RSt5tupleIJS8_EEEEDaOT_OT0_.numbered_sgpr)
	.set _ZN2at6native29vectorized_elementwise_kernelILi4EZZZNS0_21polygamma_kernel_cudaERNS_18TensorIteratorBaseElENKUlvE_clEvENKUlvE1_clEvEUlN3c104HalfEE_St5arrayIPcLm2EEEEviT0_T1_.num_named_barrier, max(0, .L_ZN3c104guts5applyIRZZZN2at6native21polygamma_kernel_cudaERNS2_18TensorIteratorBaseElENKUlvE_clEvENKUlvE1_clEvEUlNS_4HalfEE_RSt5tupleIJS8_EEEEDaOT_OT0_.num_named_barrier)
	.set _ZN2at6native29vectorized_elementwise_kernelILi4EZZZNS0_21polygamma_kernel_cudaERNS_18TensorIteratorBaseElENKUlvE_clEvENKUlvE1_clEvEUlN3c104HalfEE_St5arrayIPcLm2EEEEviT0_T1_.private_seg_size, 0+max(.L_ZN3c104guts5applyIRZZZN2at6native21polygamma_kernel_cudaERNS2_18TensorIteratorBaseElENKUlvE_clEvENKUlvE1_clEvEUlNS_4HalfEE_RSt5tupleIJS8_EEEEDaOT_OT0_.private_seg_size)
	.set _ZN2at6native29vectorized_elementwise_kernelILi4EZZZNS0_21polygamma_kernel_cudaERNS_18TensorIteratorBaseElENKUlvE_clEvENKUlvE1_clEvEUlN3c104HalfEE_St5arrayIPcLm2EEEEviT0_T1_.uses_vcc, or(1, .L_ZN3c104guts5applyIRZZZN2at6native21polygamma_kernel_cudaERNS2_18TensorIteratorBaseElENKUlvE_clEvENKUlvE1_clEvEUlNS_4HalfEE_RSt5tupleIJS8_EEEEDaOT_OT0_.uses_vcc)
	.set _ZN2at6native29vectorized_elementwise_kernelILi4EZZZNS0_21polygamma_kernel_cudaERNS_18TensorIteratorBaseElENKUlvE_clEvENKUlvE1_clEvEUlN3c104HalfEE_St5arrayIPcLm2EEEEviT0_T1_.uses_flat_scratch, or(0, .L_ZN3c104guts5applyIRZZZN2at6native21polygamma_kernel_cudaERNS2_18TensorIteratorBaseElENKUlvE_clEvENKUlvE1_clEvEUlNS_4HalfEE_RSt5tupleIJS8_EEEEDaOT_OT0_.uses_flat_scratch)
	.set _ZN2at6native29vectorized_elementwise_kernelILi4EZZZNS0_21polygamma_kernel_cudaERNS_18TensorIteratorBaseElENKUlvE_clEvENKUlvE1_clEvEUlN3c104HalfEE_St5arrayIPcLm2EEEEviT0_T1_.has_dyn_sized_stack, or(0, .L_ZN3c104guts5applyIRZZZN2at6native21polygamma_kernel_cudaERNS2_18TensorIteratorBaseElENKUlvE_clEvENKUlvE1_clEvEUlNS_4HalfEE_RSt5tupleIJS8_EEEEDaOT_OT0_.has_dyn_sized_stack)
	.set _ZN2at6native29vectorized_elementwise_kernelILi4EZZZNS0_21polygamma_kernel_cudaERNS_18TensorIteratorBaseElENKUlvE_clEvENKUlvE1_clEvEUlN3c104HalfEE_St5arrayIPcLm2EEEEviT0_T1_.has_recursion, or(0, .L_ZN3c104guts5applyIRZZZN2at6native21polygamma_kernel_cudaERNS2_18TensorIteratorBaseElENKUlvE_clEvENKUlvE1_clEvEUlNS_4HalfEE_RSt5tupleIJS8_EEEEDaOT_OT0_.has_recursion)
	.set _ZN2at6native29vectorized_elementwise_kernelILi4EZZZNS0_21polygamma_kernel_cudaERNS_18TensorIteratorBaseElENKUlvE_clEvENKUlvE1_clEvEUlN3c104HalfEE_St5arrayIPcLm2EEEEviT0_T1_.has_indirect_call, or(0, .L_ZN3c104guts5applyIRZZZN2at6native21polygamma_kernel_cudaERNS2_18TensorIteratorBaseElENKUlvE_clEvENKUlvE1_clEvEUlNS_4HalfEE_RSt5tupleIJS8_EEEEDaOT_OT0_.has_indirect_call)
	.section	.AMDGPU.csdata,"",@progbits
; Kernel info:
; codeLenInByte = 2068
; TotalNumSgprs: 56
; NumVgprs: 35
; ScratchSize: 0
; MemoryBound: 0
; FloatMode: 240
; IeeeMode: 1
; LDSByteSize: 0 bytes/workgroup (compile time only)
; SGPRBlocks: 6
; VGPRBlocks: 8
; NumSGPRsForWavesPerEU: 56
; NumVGPRsForWavesPerEU: 35
; Occupancy: 7
; WaveLimiterHint : 0
; COMPUTE_PGM_RSRC2:SCRATCH_EN: 0
; COMPUTE_PGM_RSRC2:USER_SGPR: 6
; COMPUTE_PGM_RSRC2:TRAP_HANDLER: 0
; COMPUTE_PGM_RSRC2:TGID_X_EN: 1
; COMPUTE_PGM_RSRC2:TGID_Y_EN: 0
; COMPUTE_PGM_RSRC2:TGID_Z_EN: 0
; COMPUTE_PGM_RSRC2:TIDIG_COMP_CNT: 0
	.section	.text._ZN2at6native29vectorized_elementwise_kernelILi2EZZZNS0_21polygamma_kernel_cudaERNS_18TensorIteratorBaseElENKUlvE_clEvENKUlvE1_clEvEUlN3c104HalfEE_St5arrayIPcLm2EEEEviT0_T1_,"axG",@progbits,_ZN2at6native29vectorized_elementwise_kernelILi2EZZZNS0_21polygamma_kernel_cudaERNS_18TensorIteratorBaseElENKUlvE_clEvENKUlvE1_clEvEUlN3c104HalfEE_St5arrayIPcLm2EEEEviT0_T1_,comdat
	.globl	_ZN2at6native29vectorized_elementwise_kernelILi2EZZZNS0_21polygamma_kernel_cudaERNS_18TensorIteratorBaseElENKUlvE_clEvENKUlvE1_clEvEUlN3c104HalfEE_St5arrayIPcLm2EEEEviT0_T1_ ; -- Begin function _ZN2at6native29vectorized_elementwise_kernelILi2EZZZNS0_21polygamma_kernel_cudaERNS_18TensorIteratorBaseElENKUlvE_clEvENKUlvE1_clEvEUlN3c104HalfEE_St5arrayIPcLm2EEEEviT0_T1_
	.p2align	8
	.type	_ZN2at6native29vectorized_elementwise_kernelILi2EZZZNS0_21polygamma_kernel_cudaERNS_18TensorIteratorBaseElENKUlvE_clEvENKUlvE1_clEvEUlN3c104HalfEE_St5arrayIPcLm2EEEEviT0_T1_,@function
_ZN2at6native29vectorized_elementwise_kernelILi2EZZZNS0_21polygamma_kernel_cudaERNS_18TensorIteratorBaseElENKUlvE_clEvENKUlvE1_clEvEUlN3c104HalfEE_St5arrayIPcLm2EEEEviT0_T1_: ; @_ZN2at6native29vectorized_elementwise_kernelILi2EZZZNS0_21polygamma_kernel_cudaERNS_18TensorIteratorBaseElENKUlvE_clEvENKUlvE1_clEvEUlN3c104HalfEE_St5arrayIPcLm2EEEEviT0_T1_
; %bb.0:
	s_add_u32 s0, s0, s7
	s_load_dword s7, s[4:5], 0x0
	s_load_dwordx4 s[36:39], s[4:5], 0x8
	s_load_dwordx2 s[48:49], s[4:5], 0x18
	s_addc_u32 s1, s1, 0
	s_lshl_b32 s46, s6, 11
	s_waitcnt lgkmcnt(0)
	s_sub_i32 s33, s7, s46
	v_mov_b32_e32 v22, v0
	s_cmpk_gt_i32 s33, 0x7ff
	s_mov_b64 s[4:5], -1
	s_mov_b32 s32, 0
	s_cbranch_scc0 .LBB103_2
; %bb.1:
	s_ashr_i32 s47, s46, 31
	s_lshl_b64 s[34:35], s[46:47], 1
	s_add_u32 s4, s48, s34
	s_addc_u32 s5, s49, s35
	v_lshlrev_b32_e32 v28, 2, v22
	global_load_dword v23, v28, s[4:5]
	global_load_dword v24, v28, s[4:5] offset:1024
	global_load_dword v25, v28, s[4:5] offset:2048
	;; [unrolled: 1-line block ×3, first 2 shown]
	s_getpc_b64 s[50:51]
	s_add_u32 s50, s50, _ZN3c104guts5applyIRZZZN2at6native21polygamma_kernel_cudaERNS2_18TensorIteratorBaseElENKUlvE_clEvENKUlvE1_clEvEUlNS_4HalfEE_RSt5tupleIJS8_EEEEDaOT_OT0_@rel32@lo+4
	s_addc_u32 s51, s51, _ZN3c104guts5applyIRZZZN2at6native21polygamma_kernel_cudaERNS2_18TensorIteratorBaseElENKUlvE_clEvENKUlvE1_clEvEUlNS_4HalfEE_RSt5tupleIJS8_EEEEDaOT_OT0_@rel32@hi+12
	v_mov_b32_e32 v0, s36
	v_mov_b32_e32 v1, s37
	s_waitcnt vmcnt(3)
	v_mov_b32_e32 v2, v23
	s_swappc_b64 s[30:31], s[50:51]
	v_mov_b32_e32 v27, v0
	v_lshrrev_b32_e32 v2, 16, v23
	v_mov_b32_e32 v0, s36
	v_mov_b32_e32 v1, s37
	s_swappc_b64 s[30:31], s[50:51]
	v_lshlrev_b32_e32 v0, 16, v0
	v_or_b32_sdwa v27, v0, v27 dst_sel:DWORD dst_unused:UNUSED_PAD src0_sel:DWORD src1_sel:WORD_0
	v_mov_b32_e32 v0, s36
	v_mov_b32_e32 v1, s37
	v_mov_b32_e32 v2, v24
	s_swappc_b64 s[30:31], s[50:51]
	v_mov_b32_e32 v23, v0
	v_lshrrev_b32_e32 v2, 16, v24
	v_mov_b32_e32 v0, s36
	v_mov_b32_e32 v1, s37
	s_swappc_b64 s[30:31], s[50:51]
	v_lshlrev_b32_e32 v0, 16, v0
	v_or_b32_sdwa v24, v0, v23 dst_sel:DWORD dst_unused:UNUSED_PAD src0_sel:DWORD src1_sel:WORD_0
	v_mov_b32_e32 v0, s36
	v_mov_b32_e32 v1, s37
	v_mov_b32_e32 v2, v25
	s_swappc_b64 s[30:31], s[50:51]
	v_mov_b32_e32 v23, v0
	v_lshrrev_b32_e32 v2, 16, v25
	v_mov_b32_e32 v0, s36
	v_mov_b32_e32 v1, s37
	s_swappc_b64 s[30:31], s[50:51]
	v_lshlrev_b32_e32 v0, 16, v0
	v_or_b32_sdwa v25, v0, v23 dst_sel:DWORD dst_unused:UNUSED_PAD src0_sel:DWORD src1_sel:WORD_0
	v_mov_b32_e32 v0, s36
	v_mov_b32_e32 v1, s37
	v_mov_b32_e32 v2, v26
	s_swappc_b64 s[30:31], s[50:51]
	v_mov_b32_e32 v23, v0
	v_lshrrev_b32_e32 v2, 16, v26
	v_mov_b32_e32 v0, s36
	v_mov_b32_e32 v1, s37
	s_swappc_b64 s[30:31], s[50:51]
	s_add_u32 s4, s38, s34
	v_lshlrev_b32_e32 v0, 16, v0
	s_addc_u32 s5, s39, s35
	v_or_b32_sdwa v0, v0, v23 dst_sel:DWORD dst_unused:UNUSED_PAD src0_sel:DWORD src1_sel:WORD_0
	global_store_dword v28, v27, s[4:5]
	global_store_dword v28, v24, s[4:5] offset:1024
	global_store_dword v28, v25, s[4:5] offset:2048
	global_store_dword v28, v0, s[4:5] offset:3072
	s_mov_b64 s[4:5], 0
.LBB103_2:
	s_andn2_b64 vcc, exec, s[4:5]
	s_cbranch_vccnz .LBB103_41
; %bb.3:
	v_cmp_gt_i32_e64 s[34:35], s33, v22
	v_mov_b32_e32 v23, 0
	v_or_b32_e32 v32, s46, v22
	v_mov_b32_e32 v2, 0
	v_mov_b32_e32 v0, v22
	s_and_saveexec_b64 s[4:5], s[34:35]
	s_cbranch_execz .LBB103_5
; %bb.4:
	v_mov_b32_e32 v33, 0
	v_lshlrev_b64 v[0:1], 1, v[32:33]
	v_mov_b32_e32 v2, s49
	v_add_co_u32_e32 v0, vcc, s48, v0
	v_addc_co_u32_e32 v1, vcc, v2, v1, vcc
	global_load_ushort v2, v[0:1], off
	v_or_b32_e32 v0, 0x100, v22
.LBB103_5:
	s_or_b64 exec, exec, s[4:5]
	v_cmp_gt_i32_e32 vcc, s33, v0
	s_and_saveexec_b64 s[4:5], vcc
	s_cbranch_execz .LBB103_7
; %bb.6:
	v_add_u32_e32 v3, s46, v0
	v_mov_b32_e32 v4, 0
	v_lshlrev_b64 v[3:4], 1, v[3:4]
	v_mov_b32_e32 v1, s49
	v_add_co_u32_e32 v3, vcc, s48, v3
	v_addc_co_u32_e32 v4, vcc, v1, v4, vcc
	global_load_ushort v23, v[3:4], off
	v_add_u32_e32 v0, 0x100, v0
.LBB103_7:
	s_or_b64 exec, exec, s[4:5]
	v_cmp_gt_i32_e32 vcc, s33, v0
	v_mov_b32_e32 v24, 0
	v_mov_b32_e32 v27, 0
	s_and_saveexec_b64 s[4:5], vcc
	s_cbranch_execz .LBB103_9
; %bb.8:
	v_add_u32_e32 v3, s46, v0
	v_mov_b32_e32 v4, 0
	v_lshlrev_b64 v[3:4], 1, v[3:4]
	v_mov_b32_e32 v1, s49
	v_add_co_u32_e32 v3, vcc, s48, v3
	v_addc_co_u32_e32 v4, vcc, v1, v4, vcc
	global_load_ushort v27, v[3:4], off
	v_add_u32_e32 v0, 0x100, v0
.LBB103_9:
	s_or_b64 exec, exec, s[4:5]
	v_cmp_gt_i32_e32 vcc, s33, v0
	s_and_saveexec_b64 s[4:5], vcc
	s_cbranch_execz .LBB103_11
; %bb.10:
	v_add_u32_e32 v3, s46, v0
	v_mov_b32_e32 v4, 0
	v_lshlrev_b64 v[3:4], 1, v[3:4]
	v_mov_b32_e32 v1, s49
	v_add_co_u32_e32 v3, vcc, s48, v3
	v_addc_co_u32_e32 v4, vcc, v1, v4, vcc
	global_load_ushort v24, v[3:4], off
	v_add_u32_e32 v0, 0x100, v0
.LBB103_11:
	s_or_b64 exec, exec, s[4:5]
	v_cmp_gt_i32_e32 vcc, s33, v0
	v_mov_b32_e32 v25, 0
	v_mov_b32_e32 v28, 0
	s_and_saveexec_b64 s[4:5], vcc
	s_cbranch_execz .LBB103_13
; %bb.12:
	v_add_u32_e32 v3, s46, v0
	v_mov_b32_e32 v4, 0
	v_lshlrev_b64 v[3:4], 1, v[3:4]
	v_mov_b32_e32 v1, s49
	v_add_co_u32_e32 v3, vcc, s48, v3
	v_addc_co_u32_e32 v4, vcc, v1, v4, vcc
	global_load_ushort v28, v[3:4], off
	v_add_u32_e32 v0, 0x100, v0
.LBB103_13:
	s_or_b64 exec, exec, s[4:5]
	v_cmp_gt_i32_e32 vcc, s33, v0
	s_and_saveexec_b64 s[4:5], vcc
	s_cbranch_execz .LBB103_15
; %bb.14:
	v_add_u32_e32 v3, s46, v0
	v_mov_b32_e32 v4, 0
	v_lshlrev_b64 v[3:4], 1, v[3:4]
	v_mov_b32_e32 v1, s49
	v_add_co_u32_e32 v3, vcc, s48, v3
	v_addc_co_u32_e32 v4, vcc, v1, v4, vcc
	global_load_ushort v25, v[3:4], off
	v_add_u32_e32 v0, 0x100, v0
.LBB103_15:
	s_or_b64 exec, exec, s[4:5]
	v_cmp_gt_i32_e32 vcc, s33, v0
	v_mov_b32_e32 v26, 0
	v_mov_b32_e32 v31, 0
	s_and_saveexec_b64 s[4:5], vcc
	s_cbranch_execnz .LBB103_42
; %bb.16:
	s_or_b64 exec, exec, s[4:5]
	v_cmp_gt_i32_e32 vcc, s33, v0
	s_and_saveexec_b64 s[4:5], vcc
	s_cbranch_execnz .LBB103_43
.LBB103_17:
	s_or_b64 exec, exec, s[4:5]
                                        ; implicit-def: $vgpr29
	s_and_saveexec_b64 s[48:49], s[34:35]
	s_cbranch_execz .LBB103_19
.LBB103_18:
	s_getpc_b64 s[4:5]
	s_add_u32 s4, s4, _ZN3c104guts5applyIRZZZN2at6native21polygamma_kernel_cudaERNS2_18TensorIteratorBaseElENKUlvE_clEvENKUlvE1_clEvEUlNS_4HalfEE_RSt5tupleIJS8_EEEEDaOT_OT0_@rel32@lo+4
	s_addc_u32 s5, s5, _ZN3c104guts5applyIRZZZN2at6native21polygamma_kernel_cudaERNS2_18TensorIteratorBaseElENKUlvE_clEvENKUlvE1_clEvEUlNS_4HalfEE_RSt5tupleIJS8_EEEEDaOT_OT0_@rel32@hi+12
	v_mov_b32_e32 v0, s36
	v_mov_b32_e32 v1, s37
	s_swappc_b64 s[30:31], s[4:5]
	v_mov_b32_e32 v29, v0
.LBB103_19:
	s_or_b64 exec, exec, s[48:49]
	v_or_b32_e32 v34, 0x100, v22
	v_cmp_gt_i32_e32 vcc, s33, v34
                                        ; implicit-def: $vgpr30
	s_and_saveexec_b64 s[48:49], vcc
	s_cbranch_execz .LBB103_21
; %bb.20:
	s_getpc_b64 s[4:5]
	s_add_u32 s4, s4, _ZN3c104guts5applyIRZZZN2at6native21polygamma_kernel_cudaERNS2_18TensorIteratorBaseElENKUlvE_clEvENKUlvE1_clEvEUlNS_4HalfEE_RSt5tupleIJS8_EEEEDaOT_OT0_@rel32@lo+4
	s_addc_u32 s5, s5, _ZN3c104guts5applyIRZZZN2at6native21polygamma_kernel_cudaERNS2_18TensorIteratorBaseElENKUlvE_clEvENKUlvE1_clEvEUlNS_4HalfEE_RSt5tupleIJS8_EEEEDaOT_OT0_@rel32@hi+12
	v_mov_b32_e32 v0, s36
	v_mov_b32_e32 v1, s37
	s_waitcnt vmcnt(0)
	v_mov_b32_e32 v2, v23
	s_swappc_b64 s[30:31], s[4:5]
	v_mov_b32_e32 v30, v0
.LBB103_21:
	s_or_b64 exec, exec, s[48:49]
	v_or_b32_e32 v0, 0x200, v22
	v_cmp_gt_i32_e32 vcc, s33, v0
                                        ; implicit-def: $vgpr23
	s_and_saveexec_b64 s[48:49], vcc
	s_cbranch_execz .LBB103_23
; %bb.22:
	s_getpc_b64 s[4:5]
	s_add_u32 s4, s4, _ZN3c104guts5applyIRZZZN2at6native21polygamma_kernel_cudaERNS2_18TensorIteratorBaseElENKUlvE_clEvENKUlvE1_clEvEUlNS_4HalfEE_RSt5tupleIJS8_EEEEDaOT_OT0_@rel32@lo+4
	s_addc_u32 s5, s5, _ZN3c104guts5applyIRZZZN2at6native21polygamma_kernel_cudaERNS2_18TensorIteratorBaseElENKUlvE_clEvENKUlvE1_clEvEUlNS_4HalfEE_RSt5tupleIJS8_EEEEDaOT_OT0_@rel32@hi+12
	v_mov_b32_e32 v0, s36
	v_mov_b32_e32 v1, s37
	s_waitcnt vmcnt(0)
	v_mov_b32_e32 v2, v27
	s_swappc_b64 s[30:31], s[4:5]
	v_mov_b32_e32 v23, v0
.LBB103_23:
	s_or_b64 exec, exec, s[48:49]
	v_or_b32_e32 v0, 0x300, v22
	v_cmp_gt_i32_e32 vcc, s33, v0
                                        ; implicit-def: $vgpr27
	s_and_saveexec_b64 s[48:49], vcc
	s_cbranch_execz .LBB103_25
; %bb.24:
	s_getpc_b64 s[4:5]
	s_add_u32 s4, s4, _ZN3c104guts5applyIRZZZN2at6native21polygamma_kernel_cudaERNS2_18TensorIteratorBaseElENKUlvE_clEvENKUlvE1_clEvEUlNS_4HalfEE_RSt5tupleIJS8_EEEEDaOT_OT0_@rel32@lo+4
	s_addc_u32 s5, s5, _ZN3c104guts5applyIRZZZN2at6native21polygamma_kernel_cudaERNS2_18TensorIteratorBaseElENKUlvE_clEvENKUlvE1_clEvEUlNS_4HalfEE_RSt5tupleIJS8_EEEEDaOT_OT0_@rel32@hi+12
	v_mov_b32_e32 v0, s36
	v_mov_b32_e32 v1, s37
	s_waitcnt vmcnt(0)
	v_mov_b32_e32 v2, v24
	s_swappc_b64 s[30:31], s[4:5]
	v_mov_b32_e32 v27, v0
.LBB103_25:
	s_or_b64 exec, exec, s[48:49]
	v_or_b32_e32 v0, 0x400, v22
	v_cmp_gt_i32_e32 vcc, s33, v0
                                        ; implicit-def: $vgpr24
	s_and_saveexec_b64 s[48:49], vcc
	s_cbranch_execz .LBB103_27
; %bb.26:
	s_getpc_b64 s[4:5]
	s_add_u32 s4, s4, _ZN3c104guts5applyIRZZZN2at6native21polygamma_kernel_cudaERNS2_18TensorIteratorBaseElENKUlvE_clEvENKUlvE1_clEvEUlNS_4HalfEE_RSt5tupleIJS8_EEEEDaOT_OT0_@rel32@lo+4
	s_addc_u32 s5, s5, _ZN3c104guts5applyIRZZZN2at6native21polygamma_kernel_cudaERNS2_18TensorIteratorBaseElENKUlvE_clEvENKUlvE1_clEvEUlNS_4HalfEE_RSt5tupleIJS8_EEEEDaOT_OT0_@rel32@hi+12
	v_mov_b32_e32 v0, s36
	v_mov_b32_e32 v1, s37
	s_waitcnt vmcnt(0)
	v_mov_b32_e32 v2, v28
	s_swappc_b64 s[30:31], s[4:5]
	v_mov_b32_e32 v24, v0
.LBB103_27:
	s_or_b64 exec, exec, s[48:49]
	v_or_b32_e32 v0, 0x500, v22
	v_cmp_gt_i32_e32 vcc, s33, v0
                                        ; implicit-def: $vgpr28
	s_and_saveexec_b64 s[48:49], vcc
	s_cbranch_execz .LBB103_29
; %bb.28:
	s_getpc_b64 s[4:5]
	s_add_u32 s4, s4, _ZN3c104guts5applyIRZZZN2at6native21polygamma_kernel_cudaERNS2_18TensorIteratorBaseElENKUlvE_clEvENKUlvE1_clEvEUlNS_4HalfEE_RSt5tupleIJS8_EEEEDaOT_OT0_@rel32@lo+4
	s_addc_u32 s5, s5, _ZN3c104guts5applyIRZZZN2at6native21polygamma_kernel_cudaERNS2_18TensorIteratorBaseElENKUlvE_clEvENKUlvE1_clEvEUlNS_4HalfEE_RSt5tupleIJS8_EEEEDaOT_OT0_@rel32@hi+12
	v_mov_b32_e32 v0, s36
	v_mov_b32_e32 v1, s37
	s_waitcnt vmcnt(0)
	v_mov_b32_e32 v2, v25
	s_swappc_b64 s[30:31], s[4:5]
	v_mov_b32_e32 v28, v0
.LBB103_29:
	s_or_b64 exec, exec, s[48:49]
	v_or_b32_e32 v0, 0x600, v22
	v_cmp_gt_i32_e32 vcc, s33, v0
                                        ; implicit-def: $vgpr25
	s_and_saveexec_b64 s[48:49], vcc
	s_cbranch_execz .LBB103_31
; %bb.30:
	s_getpc_b64 s[4:5]
	s_add_u32 s4, s4, _ZN3c104guts5applyIRZZZN2at6native21polygamma_kernel_cudaERNS2_18TensorIteratorBaseElENKUlvE_clEvENKUlvE1_clEvEUlNS_4HalfEE_RSt5tupleIJS8_EEEEDaOT_OT0_@rel32@lo+4
	s_addc_u32 s5, s5, _ZN3c104guts5applyIRZZZN2at6native21polygamma_kernel_cudaERNS2_18TensorIteratorBaseElENKUlvE_clEvENKUlvE1_clEvEUlNS_4HalfEE_RSt5tupleIJS8_EEEEDaOT_OT0_@rel32@hi+12
	v_mov_b32_e32 v0, s36
	v_mov_b32_e32 v1, s37
	s_waitcnt vmcnt(0)
	v_mov_b32_e32 v2, v31
	s_swappc_b64 s[30:31], s[4:5]
	v_mov_b32_e32 v25, v0
.LBB103_31:
	s_or_b64 exec, exec, s[48:49]
	v_or_b32_e32 v0, 0x700, v22
	v_cmp_gt_i32_e32 vcc, s33, v0
                                        ; implicit-def: $vgpr0
	s_and_saveexec_b64 s[48:49], vcc
	s_cbranch_execnz .LBB103_44
; %bb.32:
	s_or_b64 exec, exec, s[48:49]
	s_and_saveexec_b64 s[4:5], s[34:35]
	s_xor_b64 s[4:5], exec, s[4:5]
	s_cbranch_execnz .LBB103_45
.LBB103_33:
	s_or_b64 exec, exec, s[4:5]
	v_cmp_gt_i32_e32 vcc, s33, v22
	s_and_saveexec_b64 s[4:5], vcc
	s_cbranch_execnz .LBB103_46
.LBB103_34:
	s_or_b64 exec, exec, s[4:5]
	v_cmp_gt_i32_e32 vcc, s33, v22
	s_and_saveexec_b64 s[4:5], vcc
	s_cbranch_execnz .LBB103_47
.LBB103_35:
	s_or_b64 exec, exec, s[4:5]
	v_cmp_gt_i32_e32 vcc, s33, v22
	s_and_saveexec_b64 s[4:5], vcc
	s_cbranch_execnz .LBB103_48
.LBB103_36:
	s_or_b64 exec, exec, s[4:5]
	v_cmp_gt_i32_e32 vcc, s33, v22
	s_and_saveexec_b64 s[4:5], vcc
	s_cbranch_execnz .LBB103_49
.LBB103_37:
	s_or_b64 exec, exec, s[4:5]
	v_cmp_gt_i32_e32 vcc, s33, v22
	s_and_saveexec_b64 s[4:5], vcc
	s_cbranch_execnz .LBB103_50
.LBB103_38:
	s_or_b64 exec, exec, s[4:5]
	v_cmp_gt_i32_e32 vcc, s33, v22
	s_and_saveexec_b64 s[4:5], vcc
	s_cbranch_execnz .LBB103_51
.LBB103_39:
	s_or_b64 exec, exec, s[4:5]
	v_cmp_gt_i32_e32 vcc, s33, v22
	s_and_saveexec_b64 s[4:5], vcc
	s_cbranch_execz .LBB103_41
.LBB103_40:
	v_add_u32_e32 v1, s46, v22
	s_waitcnt vmcnt(0)
	v_mov_b32_e32 v2, 0
	v_lshlrev_b64 v[1:2], 1, v[1:2]
	v_mov_b32_e32 v3, s39
	v_add_co_u32_e32 v1, vcc, s38, v1
	v_addc_co_u32_e32 v2, vcc, v3, v2, vcc
	global_store_short v[1:2], v0, off
.LBB103_41:
	s_endpgm
.LBB103_42:
	v_add_u32_e32 v3, s46, v0
	v_mov_b32_e32 v4, 0
	v_lshlrev_b64 v[3:4], 1, v[3:4]
	v_mov_b32_e32 v1, s49
	v_add_co_u32_e32 v3, vcc, s48, v3
	v_addc_co_u32_e32 v4, vcc, v1, v4, vcc
	global_load_ushort v31, v[3:4], off
	v_add_u32_e32 v0, 0x100, v0
	s_or_b64 exec, exec, s[4:5]
	v_cmp_gt_i32_e32 vcc, s33, v0
	s_and_saveexec_b64 s[4:5], vcc
	s_cbranch_execz .LBB103_17
.LBB103_43:
	v_add_u32_e32 v0, s46, v0
	v_mov_b32_e32 v1, 0
	v_lshlrev_b64 v[0:1], 1, v[0:1]
	v_mov_b32_e32 v3, s49
	v_add_co_u32_e32 v0, vcc, s48, v0
	v_addc_co_u32_e32 v1, vcc, v3, v1, vcc
	global_load_ushort v26, v[0:1], off
	s_or_b64 exec, exec, s[4:5]
                                        ; implicit-def: $vgpr29
	s_and_saveexec_b64 s[48:49], s[34:35]
	s_cbranch_execnz .LBB103_18
	s_branch .LBB103_19
.LBB103_44:
	s_getpc_b64 s[4:5]
	s_add_u32 s4, s4, _ZN3c104guts5applyIRZZZN2at6native21polygamma_kernel_cudaERNS2_18TensorIteratorBaseElENKUlvE_clEvENKUlvE1_clEvEUlNS_4HalfEE_RSt5tupleIJS8_EEEEDaOT_OT0_@rel32@lo+4
	s_addc_u32 s5, s5, _ZN3c104guts5applyIRZZZN2at6native21polygamma_kernel_cudaERNS2_18TensorIteratorBaseElENKUlvE_clEvENKUlvE1_clEvEUlNS_4HalfEE_RSt5tupleIJS8_EEEEDaOT_OT0_@rel32@hi+12
	v_mov_b32_e32 v0, s36
	v_mov_b32_e32 v1, s37
	s_waitcnt vmcnt(0)
	v_mov_b32_e32 v2, v26
	s_swappc_b64 s[30:31], s[4:5]
	s_or_b64 exec, exec, s[48:49]
	s_and_saveexec_b64 s[4:5], s[34:35]
	s_xor_b64 s[4:5], exec, s[4:5]
	s_cbranch_execz .LBB103_33
.LBB103_45:
	v_mov_b32_e32 v33, 0
	s_waitcnt vmcnt(0)
	v_lshlrev_b64 v[1:2], 1, v[32:33]
	v_mov_b32_e32 v3, s39
	v_add_co_u32_e32 v1, vcc, s38, v1
	v_addc_co_u32_e32 v2, vcc, v3, v2, vcc
	v_mov_b32_e32 v22, v34
	global_store_short v[1:2], v29, off
	s_or_b64 exec, exec, s[4:5]
	v_cmp_gt_i32_e32 vcc, s33, v22
	s_and_saveexec_b64 s[4:5], vcc
	s_cbranch_execz .LBB103_34
.LBB103_46:
	v_add_u32_e32 v1, s46, v22
	s_waitcnt vmcnt(0)
	v_mov_b32_e32 v2, 0
	v_lshlrev_b64 v[1:2], 1, v[1:2]
	v_mov_b32_e32 v3, s39
	v_add_co_u32_e32 v1, vcc, s38, v1
	v_addc_co_u32_e32 v2, vcc, v3, v2, vcc
	v_add_u32_e32 v22, 0x100, v22
	global_store_short v[1:2], v30, off
	s_or_b64 exec, exec, s[4:5]
	v_cmp_gt_i32_e32 vcc, s33, v22
	s_and_saveexec_b64 s[4:5], vcc
	s_cbranch_execz .LBB103_35
.LBB103_47:
	v_add_u32_e32 v1, s46, v22
	s_waitcnt vmcnt(0)
	v_mov_b32_e32 v2, 0
	v_lshlrev_b64 v[1:2], 1, v[1:2]
	v_mov_b32_e32 v3, s39
	v_add_co_u32_e32 v1, vcc, s38, v1
	v_addc_co_u32_e32 v2, vcc, v3, v2, vcc
	v_add_u32_e32 v22, 0x100, v22
	global_store_short v[1:2], v23, off
	s_or_b64 exec, exec, s[4:5]
	v_cmp_gt_i32_e32 vcc, s33, v22
	s_and_saveexec_b64 s[4:5], vcc
	s_cbranch_execz .LBB103_36
.LBB103_48:
	v_add_u32_e32 v1, s46, v22
	s_waitcnt vmcnt(0)
	v_mov_b32_e32 v2, 0
	v_lshlrev_b64 v[1:2], 1, v[1:2]
	v_mov_b32_e32 v3, s39
	v_add_co_u32_e32 v1, vcc, s38, v1
	v_addc_co_u32_e32 v2, vcc, v3, v2, vcc
	v_add_u32_e32 v22, 0x100, v22
	global_store_short v[1:2], v27, off
	s_or_b64 exec, exec, s[4:5]
	v_cmp_gt_i32_e32 vcc, s33, v22
	s_and_saveexec_b64 s[4:5], vcc
	s_cbranch_execz .LBB103_37
.LBB103_49:
	v_add_u32_e32 v1, s46, v22
	s_waitcnt vmcnt(0)
	v_mov_b32_e32 v2, 0
	v_lshlrev_b64 v[1:2], 1, v[1:2]
	v_mov_b32_e32 v3, s39
	v_add_co_u32_e32 v1, vcc, s38, v1
	v_addc_co_u32_e32 v2, vcc, v3, v2, vcc
	v_add_u32_e32 v22, 0x100, v22
	global_store_short v[1:2], v24, off
	s_or_b64 exec, exec, s[4:5]
	v_cmp_gt_i32_e32 vcc, s33, v22
	s_and_saveexec_b64 s[4:5], vcc
	s_cbranch_execz .LBB103_38
.LBB103_50:
	v_add_u32_e32 v1, s46, v22
	s_waitcnt vmcnt(0)
	v_mov_b32_e32 v2, 0
	v_lshlrev_b64 v[1:2], 1, v[1:2]
	v_mov_b32_e32 v3, s39
	v_add_co_u32_e32 v1, vcc, s38, v1
	v_addc_co_u32_e32 v2, vcc, v3, v2, vcc
	v_add_u32_e32 v22, 0x100, v22
	global_store_short v[1:2], v28, off
	s_or_b64 exec, exec, s[4:5]
	v_cmp_gt_i32_e32 vcc, s33, v22
	s_and_saveexec_b64 s[4:5], vcc
	s_cbranch_execz .LBB103_39
.LBB103_51:
	v_add_u32_e32 v1, s46, v22
	s_waitcnt vmcnt(0)
	v_mov_b32_e32 v2, 0
	v_lshlrev_b64 v[1:2], 1, v[1:2]
	v_mov_b32_e32 v3, s39
	v_add_co_u32_e32 v1, vcc, s38, v1
	v_addc_co_u32_e32 v2, vcc, v3, v2, vcc
	v_add_u32_e32 v22, 0x100, v22
	global_store_short v[1:2], v25, off
	s_or_b64 exec, exec, s[4:5]
	v_cmp_gt_i32_e32 vcc, s33, v22
	s_and_saveexec_b64 s[4:5], vcc
	s_cbranch_execnz .LBB103_40
	s_branch .LBB103_41
	.section	.rodata,"a",@progbits
	.p2align	6, 0x0
	.amdhsa_kernel _ZN2at6native29vectorized_elementwise_kernelILi2EZZZNS0_21polygamma_kernel_cudaERNS_18TensorIteratorBaseElENKUlvE_clEvENKUlvE1_clEvEUlN3c104HalfEE_St5arrayIPcLm2EEEEviT0_T1_
		.amdhsa_group_segment_fixed_size 0
		.amdhsa_private_segment_fixed_size 0
		.amdhsa_kernarg_size 32
		.amdhsa_user_sgpr_count 6
		.amdhsa_user_sgpr_private_segment_buffer 1
		.amdhsa_user_sgpr_dispatch_ptr 0
		.amdhsa_user_sgpr_queue_ptr 0
		.amdhsa_user_sgpr_kernarg_segment_ptr 1
		.amdhsa_user_sgpr_dispatch_id 0
		.amdhsa_user_sgpr_flat_scratch_init 0
		.amdhsa_user_sgpr_private_segment_size 0
		.amdhsa_uses_dynamic_stack 0
		.amdhsa_system_sgpr_private_segment_wavefront_offset 0
		.amdhsa_system_sgpr_workgroup_id_x 1
		.amdhsa_system_sgpr_workgroup_id_y 0
		.amdhsa_system_sgpr_workgroup_id_z 0
		.amdhsa_system_sgpr_workgroup_info 0
		.amdhsa_system_vgpr_workitem_id 0
		.amdhsa_next_free_vgpr 35
		.amdhsa_next_free_sgpr 52
		.amdhsa_reserve_vcc 1
		.amdhsa_reserve_flat_scratch 0
		.amdhsa_float_round_mode_32 0
		.amdhsa_float_round_mode_16_64 0
		.amdhsa_float_denorm_mode_32 3
		.amdhsa_float_denorm_mode_16_64 3
		.amdhsa_dx10_clamp 1
		.amdhsa_ieee_mode 1
		.amdhsa_fp16_overflow 0
		.amdhsa_exception_fp_ieee_invalid_op 0
		.amdhsa_exception_fp_denorm_src 0
		.amdhsa_exception_fp_ieee_div_zero 0
		.amdhsa_exception_fp_ieee_overflow 0
		.amdhsa_exception_fp_ieee_underflow 0
		.amdhsa_exception_fp_ieee_inexact 0
		.amdhsa_exception_int_div_zero 0
	.end_amdhsa_kernel
	.section	.text._ZN2at6native29vectorized_elementwise_kernelILi2EZZZNS0_21polygamma_kernel_cudaERNS_18TensorIteratorBaseElENKUlvE_clEvENKUlvE1_clEvEUlN3c104HalfEE_St5arrayIPcLm2EEEEviT0_T1_,"axG",@progbits,_ZN2at6native29vectorized_elementwise_kernelILi2EZZZNS0_21polygamma_kernel_cudaERNS_18TensorIteratorBaseElENKUlvE_clEvENKUlvE1_clEvEUlN3c104HalfEE_St5arrayIPcLm2EEEEviT0_T1_,comdat
.Lfunc_end103:
	.size	_ZN2at6native29vectorized_elementwise_kernelILi2EZZZNS0_21polygamma_kernel_cudaERNS_18TensorIteratorBaseElENKUlvE_clEvENKUlvE1_clEvEUlN3c104HalfEE_St5arrayIPcLm2EEEEviT0_T1_, .Lfunc_end103-_ZN2at6native29vectorized_elementwise_kernelILi2EZZZNS0_21polygamma_kernel_cudaERNS_18TensorIteratorBaseElENKUlvE_clEvENKUlvE1_clEvEUlN3c104HalfEE_St5arrayIPcLm2EEEEviT0_T1_
                                        ; -- End function
	.set _ZN2at6native29vectorized_elementwise_kernelILi2EZZZNS0_21polygamma_kernel_cudaERNS_18TensorIteratorBaseElENKUlvE_clEvENKUlvE1_clEvEUlN3c104HalfEE_St5arrayIPcLm2EEEEviT0_T1_.num_vgpr, max(35, .L_ZN3c104guts5applyIRZZZN2at6native21polygamma_kernel_cudaERNS2_18TensorIteratorBaseElENKUlvE_clEvENKUlvE1_clEvEUlNS_4HalfEE_RSt5tupleIJS8_EEEEDaOT_OT0_.num_vgpr)
	.set _ZN2at6native29vectorized_elementwise_kernelILi2EZZZNS0_21polygamma_kernel_cudaERNS_18TensorIteratorBaseElENKUlvE_clEvENKUlvE1_clEvEUlN3c104HalfEE_St5arrayIPcLm2EEEEviT0_T1_.num_agpr, max(0, .L_ZN3c104guts5applyIRZZZN2at6native21polygamma_kernel_cudaERNS2_18TensorIteratorBaseElENKUlvE_clEvENKUlvE1_clEvEUlNS_4HalfEE_RSt5tupleIJS8_EEEEDaOT_OT0_.num_agpr)
	.set _ZN2at6native29vectorized_elementwise_kernelILi2EZZZNS0_21polygamma_kernel_cudaERNS_18TensorIteratorBaseElENKUlvE_clEvENKUlvE1_clEvEUlN3c104HalfEE_St5arrayIPcLm2EEEEviT0_T1_.numbered_sgpr, max(52, .L_ZN3c104guts5applyIRZZZN2at6native21polygamma_kernel_cudaERNS2_18TensorIteratorBaseElENKUlvE_clEvENKUlvE1_clEvEUlNS_4HalfEE_RSt5tupleIJS8_EEEEDaOT_OT0_.numbered_sgpr)
	.set _ZN2at6native29vectorized_elementwise_kernelILi2EZZZNS0_21polygamma_kernel_cudaERNS_18TensorIteratorBaseElENKUlvE_clEvENKUlvE1_clEvEUlN3c104HalfEE_St5arrayIPcLm2EEEEviT0_T1_.num_named_barrier, max(0, .L_ZN3c104guts5applyIRZZZN2at6native21polygamma_kernel_cudaERNS2_18TensorIteratorBaseElENKUlvE_clEvENKUlvE1_clEvEUlNS_4HalfEE_RSt5tupleIJS8_EEEEDaOT_OT0_.num_named_barrier)
	.set _ZN2at6native29vectorized_elementwise_kernelILi2EZZZNS0_21polygamma_kernel_cudaERNS_18TensorIteratorBaseElENKUlvE_clEvENKUlvE1_clEvEUlN3c104HalfEE_St5arrayIPcLm2EEEEviT0_T1_.private_seg_size, 0+max(.L_ZN3c104guts5applyIRZZZN2at6native21polygamma_kernel_cudaERNS2_18TensorIteratorBaseElENKUlvE_clEvENKUlvE1_clEvEUlNS_4HalfEE_RSt5tupleIJS8_EEEEDaOT_OT0_.private_seg_size)
	.set _ZN2at6native29vectorized_elementwise_kernelILi2EZZZNS0_21polygamma_kernel_cudaERNS_18TensorIteratorBaseElENKUlvE_clEvENKUlvE1_clEvEUlN3c104HalfEE_St5arrayIPcLm2EEEEviT0_T1_.uses_vcc, or(1, .L_ZN3c104guts5applyIRZZZN2at6native21polygamma_kernel_cudaERNS2_18TensorIteratorBaseElENKUlvE_clEvENKUlvE1_clEvEUlNS_4HalfEE_RSt5tupleIJS8_EEEEDaOT_OT0_.uses_vcc)
	.set _ZN2at6native29vectorized_elementwise_kernelILi2EZZZNS0_21polygamma_kernel_cudaERNS_18TensorIteratorBaseElENKUlvE_clEvENKUlvE1_clEvEUlN3c104HalfEE_St5arrayIPcLm2EEEEviT0_T1_.uses_flat_scratch, or(0, .L_ZN3c104guts5applyIRZZZN2at6native21polygamma_kernel_cudaERNS2_18TensorIteratorBaseElENKUlvE_clEvENKUlvE1_clEvEUlNS_4HalfEE_RSt5tupleIJS8_EEEEDaOT_OT0_.uses_flat_scratch)
	.set _ZN2at6native29vectorized_elementwise_kernelILi2EZZZNS0_21polygamma_kernel_cudaERNS_18TensorIteratorBaseElENKUlvE_clEvENKUlvE1_clEvEUlN3c104HalfEE_St5arrayIPcLm2EEEEviT0_T1_.has_dyn_sized_stack, or(0, .L_ZN3c104guts5applyIRZZZN2at6native21polygamma_kernel_cudaERNS2_18TensorIteratorBaseElENKUlvE_clEvENKUlvE1_clEvEUlNS_4HalfEE_RSt5tupleIJS8_EEEEDaOT_OT0_.has_dyn_sized_stack)
	.set _ZN2at6native29vectorized_elementwise_kernelILi2EZZZNS0_21polygamma_kernel_cudaERNS_18TensorIteratorBaseElENKUlvE_clEvENKUlvE1_clEvEUlN3c104HalfEE_St5arrayIPcLm2EEEEviT0_T1_.has_recursion, or(0, .L_ZN3c104guts5applyIRZZZN2at6native21polygamma_kernel_cudaERNS2_18TensorIteratorBaseElENKUlvE_clEvENKUlvE1_clEvEUlNS_4HalfEE_RSt5tupleIJS8_EEEEDaOT_OT0_.has_recursion)
	.set _ZN2at6native29vectorized_elementwise_kernelILi2EZZZNS0_21polygamma_kernel_cudaERNS_18TensorIteratorBaseElENKUlvE_clEvENKUlvE1_clEvEUlN3c104HalfEE_St5arrayIPcLm2EEEEviT0_T1_.has_indirect_call, or(0, .L_ZN3c104guts5applyIRZZZN2at6native21polygamma_kernel_cudaERNS2_18TensorIteratorBaseElENKUlvE_clEvENKUlvE1_clEvEUlNS_4HalfEE_RSt5tupleIJS8_EEEEDaOT_OT0_.has_indirect_call)
	.section	.AMDGPU.csdata,"",@progbits
; Kernel info:
; codeLenInByte = 2076
; TotalNumSgprs: 56
; NumVgprs: 35
; ScratchSize: 0
; MemoryBound: 0
; FloatMode: 240
; IeeeMode: 1
; LDSByteSize: 0 bytes/workgroup (compile time only)
; SGPRBlocks: 6
; VGPRBlocks: 8
; NumSGPRsForWavesPerEU: 56
; NumVGPRsForWavesPerEU: 35
; Occupancy: 7
; WaveLimiterHint : 0
; COMPUTE_PGM_RSRC2:SCRATCH_EN: 0
; COMPUTE_PGM_RSRC2:USER_SGPR: 6
; COMPUTE_PGM_RSRC2:TRAP_HANDLER: 0
; COMPUTE_PGM_RSRC2:TGID_X_EN: 1
; COMPUTE_PGM_RSRC2:TGID_Y_EN: 0
; COMPUTE_PGM_RSRC2:TGID_Z_EN: 0
; COMPUTE_PGM_RSRC2:TIDIG_COMP_CNT: 0
	.section	.text._ZN2at6native27unrolled_elementwise_kernelIZZZNS0_21polygamma_kernel_cudaERNS_18TensorIteratorBaseElENKUlvE_clEvENKUlvE1_clEvEUlN3c104HalfEE_St5arrayIPcLm2EELi4E23TrivialOffsetCalculatorILi1EjESD_NS0_6memory15LoadWithoutCastENSE_16StoreWithoutCastEEEviT_T0_T2_T3_T4_T5_,"axG",@progbits,_ZN2at6native27unrolled_elementwise_kernelIZZZNS0_21polygamma_kernel_cudaERNS_18TensorIteratorBaseElENKUlvE_clEvENKUlvE1_clEvEUlN3c104HalfEE_St5arrayIPcLm2EELi4E23TrivialOffsetCalculatorILi1EjESD_NS0_6memory15LoadWithoutCastENSE_16StoreWithoutCastEEEviT_T0_T2_T3_T4_T5_,comdat
	.globl	_ZN2at6native27unrolled_elementwise_kernelIZZZNS0_21polygamma_kernel_cudaERNS_18TensorIteratorBaseElENKUlvE_clEvENKUlvE1_clEvEUlN3c104HalfEE_St5arrayIPcLm2EELi4E23TrivialOffsetCalculatorILi1EjESD_NS0_6memory15LoadWithoutCastENSE_16StoreWithoutCastEEEviT_T0_T2_T3_T4_T5_ ; -- Begin function _ZN2at6native27unrolled_elementwise_kernelIZZZNS0_21polygamma_kernel_cudaERNS_18TensorIteratorBaseElENKUlvE_clEvENKUlvE1_clEvEUlN3c104HalfEE_St5arrayIPcLm2EELi4E23TrivialOffsetCalculatorILi1EjESD_NS0_6memory15LoadWithoutCastENSE_16StoreWithoutCastEEEviT_T0_T2_T3_T4_T5_
	.p2align	8
	.type	_ZN2at6native27unrolled_elementwise_kernelIZZZNS0_21polygamma_kernel_cudaERNS_18TensorIteratorBaseElENKUlvE_clEvENKUlvE1_clEvEUlN3c104HalfEE_St5arrayIPcLm2EELi4E23TrivialOffsetCalculatorILi1EjESD_NS0_6memory15LoadWithoutCastENSE_16StoreWithoutCastEEEviT_T0_T2_T3_T4_T5_,@function
_ZN2at6native27unrolled_elementwise_kernelIZZZNS0_21polygamma_kernel_cudaERNS_18TensorIteratorBaseElENKUlvE_clEvENKUlvE1_clEvEUlN3c104HalfEE_St5arrayIPcLm2EELi4E23TrivialOffsetCalculatorILi1EjESD_NS0_6memory15LoadWithoutCastENSE_16StoreWithoutCastEEEviT_T0_T2_T3_T4_T5_: ; @_ZN2at6native27unrolled_elementwise_kernelIZZZNS0_21polygamma_kernel_cudaERNS_18TensorIteratorBaseElENKUlvE_clEvENKUlvE1_clEvEUlN3c104HalfEE_St5arrayIPcLm2EELi4E23TrivialOffsetCalculatorILi1EjESD_NS0_6memory15LoadWithoutCastENSE_16StoreWithoutCastEEEviT_T0_T2_T3_T4_T5_
; %bb.0:
	s_add_u32 s0, s0, s7
	s_load_dword s7, s[4:5], 0x0
	s_load_dwordx2 s[8:9], s[4:5], 0x18
	s_addc_u32 s1, s1, 0
	s_lshl_b32 s33, s6, 10
	v_mov_b32_e32 v22, v0
	s_waitcnt lgkmcnt(0)
	s_sub_i32 s48, s7, s33
	v_cmp_gt_i32_e64 s[34:35], s48, v22
	v_mov_b32_e32 v23, 0
	v_or_b32_e32 v28, s33, v22
	v_mov_b32_e32 v2, 0
	s_mov_b32 s32, 0
	s_and_saveexec_b64 s[6:7], s[34:35]
	s_cbranch_execz .LBB104_2
; %bb.1:
	v_mov_b32_e32 v29, 0
	v_lshlrev_b64 v[0:1], 1, v[28:29]
	v_mov_b32_e32 v2, s9
	v_add_co_u32_e32 v0, vcc, s8, v0
	v_addc_co_u32_e32 v1, vcc, v2, v1, vcc
	global_load_ushort v2, v[0:1], off
	v_or_b32_e32 v0, 0x100, v22
.LBB104_2:
	s_or_b64 exec, exec, s[6:7]
	s_load_dwordx4 s[36:39], s[4:5], 0x8
	v_cmp_gt_i32_e32 vcc, s48, v0
	s_and_saveexec_b64 s[4:5], vcc
	s_cbranch_execz .LBB104_4
; %bb.3:
	v_add_u32_e32 v3, s33, v0
	v_mov_b32_e32 v4, 0
	v_lshlrev_b64 v[3:4], 1, v[3:4]
	v_mov_b32_e32 v1, s9
	v_add_co_u32_e32 v3, vcc, s8, v3
	v_addc_co_u32_e32 v4, vcc, v1, v4, vcc
	global_load_ushort v23, v[3:4], off
	v_add_u32_e32 v0, 0x100, v0
.LBB104_4:
	s_or_b64 exec, exec, s[4:5]
	v_cmp_gt_i32_e32 vcc, s48, v0
	v_mov_b32_e32 v24, 0
	v_mov_b32_e32 v27, 0
	s_and_saveexec_b64 s[4:5], vcc
	s_cbranch_execnz .LBB104_18
; %bb.5:
	s_or_b64 exec, exec, s[4:5]
	v_cmp_gt_i32_e32 vcc, s48, v0
	s_and_saveexec_b64 s[4:5], vcc
	s_cbranch_execnz .LBB104_19
.LBB104_6:
	s_or_b64 exec, exec, s[4:5]
                                        ; implicit-def: $vgpr25
	s_and_saveexec_b64 s[46:47], s[34:35]
	s_cbranch_execz .LBB104_8
.LBB104_7:
	s_getpc_b64 s[4:5]
	s_add_u32 s4, s4, _ZN3c104guts5applyIRZZZN2at6native21polygamma_kernel_cudaERNS2_18TensorIteratorBaseElENKUlvE_clEvENKUlvE1_clEvEUlNS_4HalfEE_RSt5tupleIJS8_EEEEDaOT_OT0_@rel32@lo+4
	s_addc_u32 s5, s5, _ZN3c104guts5applyIRZZZN2at6native21polygamma_kernel_cudaERNS2_18TensorIteratorBaseElENKUlvE_clEvENKUlvE1_clEvEUlNS_4HalfEE_RSt5tupleIJS8_EEEEDaOT_OT0_@rel32@hi+12
	s_waitcnt lgkmcnt(0)
	v_mov_b32_e32 v0, s36
	v_mov_b32_e32 v1, s37
	s_swappc_b64 s[30:31], s[4:5]
	v_mov_b32_e32 v25, v0
.LBB104_8:
	s_or_b64 exec, exec, s[46:47]
	v_or_b32_e32 v30, 0x100, v22
	v_cmp_gt_i32_e32 vcc, s48, v30
                                        ; implicit-def: $vgpr26
	s_and_saveexec_b64 s[46:47], vcc
	s_cbranch_execz .LBB104_10
; %bb.9:
	s_getpc_b64 s[4:5]
	s_add_u32 s4, s4, _ZN3c104guts5applyIRZZZN2at6native21polygamma_kernel_cudaERNS2_18TensorIteratorBaseElENKUlvE_clEvENKUlvE1_clEvEUlNS_4HalfEE_RSt5tupleIJS8_EEEEDaOT_OT0_@rel32@lo+4
	s_addc_u32 s5, s5, _ZN3c104guts5applyIRZZZN2at6native21polygamma_kernel_cudaERNS2_18TensorIteratorBaseElENKUlvE_clEvENKUlvE1_clEvEUlNS_4HalfEE_RSt5tupleIJS8_EEEEDaOT_OT0_@rel32@hi+12
	s_waitcnt lgkmcnt(0)
	v_mov_b32_e32 v0, s36
	v_mov_b32_e32 v1, s37
	s_waitcnt vmcnt(0)
	v_mov_b32_e32 v2, v23
	s_swappc_b64 s[30:31], s[4:5]
	v_mov_b32_e32 v26, v0
.LBB104_10:
	s_or_b64 exec, exec, s[46:47]
	v_or_b32_e32 v0, 0x200, v22
	v_cmp_gt_i32_e32 vcc, s48, v0
                                        ; implicit-def: $vgpr23
	s_and_saveexec_b64 s[46:47], vcc
	s_cbranch_execz .LBB104_12
; %bb.11:
	s_getpc_b64 s[4:5]
	s_add_u32 s4, s4, _ZN3c104guts5applyIRZZZN2at6native21polygamma_kernel_cudaERNS2_18TensorIteratorBaseElENKUlvE_clEvENKUlvE1_clEvEUlNS_4HalfEE_RSt5tupleIJS8_EEEEDaOT_OT0_@rel32@lo+4
	s_addc_u32 s5, s5, _ZN3c104guts5applyIRZZZN2at6native21polygamma_kernel_cudaERNS2_18TensorIteratorBaseElENKUlvE_clEvENKUlvE1_clEvEUlNS_4HalfEE_RSt5tupleIJS8_EEEEDaOT_OT0_@rel32@hi+12
	s_waitcnt lgkmcnt(0)
	v_mov_b32_e32 v0, s36
	v_mov_b32_e32 v1, s37
	s_waitcnt vmcnt(0)
	v_mov_b32_e32 v2, v27
	s_swappc_b64 s[30:31], s[4:5]
	v_mov_b32_e32 v23, v0
.LBB104_12:
	s_or_b64 exec, exec, s[46:47]
	v_or_b32_e32 v0, 0x300, v22
	v_cmp_gt_i32_e32 vcc, s48, v0
                                        ; implicit-def: $vgpr0
	s_and_saveexec_b64 s[46:47], vcc
	s_cbranch_execnz .LBB104_20
; %bb.13:
	s_or_b64 exec, exec, s[46:47]
	s_and_saveexec_b64 s[4:5], s[34:35]
	s_xor_b64 s[4:5], exec, s[4:5]
	s_cbranch_execnz .LBB104_21
.LBB104_14:
	s_or_b64 exec, exec, s[4:5]
	v_cmp_gt_i32_e32 vcc, s48, v22
	s_and_saveexec_b64 s[4:5], vcc
	s_cbranch_execnz .LBB104_22
.LBB104_15:
	s_or_b64 exec, exec, s[4:5]
	v_cmp_gt_i32_e32 vcc, s48, v22
	s_and_saveexec_b64 s[4:5], vcc
	s_cbranch_execnz .LBB104_23
.LBB104_16:
	s_or_b64 exec, exec, s[4:5]
	v_cmp_gt_i32_e32 vcc, s48, v22
	s_and_saveexec_b64 s[4:5], vcc
	s_cbranch_execnz .LBB104_24
.LBB104_17:
	s_endpgm
.LBB104_18:
	v_add_u32_e32 v3, s33, v0
	v_mov_b32_e32 v4, 0
	v_lshlrev_b64 v[3:4], 1, v[3:4]
	v_mov_b32_e32 v1, s9
	v_add_co_u32_e32 v3, vcc, s8, v3
	v_addc_co_u32_e32 v4, vcc, v1, v4, vcc
	global_load_ushort v27, v[3:4], off
	v_add_u32_e32 v0, 0x100, v0
	s_or_b64 exec, exec, s[4:5]
	v_cmp_gt_i32_e32 vcc, s48, v0
	s_and_saveexec_b64 s[4:5], vcc
	s_cbranch_execz .LBB104_6
.LBB104_19:
	v_add_u32_e32 v0, s33, v0
	v_mov_b32_e32 v1, 0
	v_lshlrev_b64 v[0:1], 1, v[0:1]
	v_mov_b32_e32 v3, s9
	v_add_co_u32_e32 v0, vcc, s8, v0
	v_addc_co_u32_e32 v1, vcc, v3, v1, vcc
	global_load_ushort v24, v[0:1], off
	s_or_b64 exec, exec, s[4:5]
                                        ; implicit-def: $vgpr25
	s_and_saveexec_b64 s[46:47], s[34:35]
	s_cbranch_execnz .LBB104_7
	s_branch .LBB104_8
.LBB104_20:
	s_getpc_b64 s[4:5]
	s_add_u32 s4, s4, _ZN3c104guts5applyIRZZZN2at6native21polygamma_kernel_cudaERNS2_18TensorIteratorBaseElENKUlvE_clEvENKUlvE1_clEvEUlNS_4HalfEE_RSt5tupleIJS8_EEEEDaOT_OT0_@rel32@lo+4
	s_addc_u32 s5, s5, _ZN3c104guts5applyIRZZZN2at6native21polygamma_kernel_cudaERNS2_18TensorIteratorBaseElENKUlvE_clEvENKUlvE1_clEvEUlNS_4HalfEE_RSt5tupleIJS8_EEEEDaOT_OT0_@rel32@hi+12
	s_waitcnt lgkmcnt(0)
	v_mov_b32_e32 v0, s36
	v_mov_b32_e32 v1, s37
	s_waitcnt vmcnt(0)
	v_mov_b32_e32 v2, v24
	s_swappc_b64 s[30:31], s[4:5]
	s_or_b64 exec, exec, s[46:47]
	s_and_saveexec_b64 s[4:5], s[34:35]
	s_xor_b64 s[4:5], exec, s[4:5]
	s_cbranch_execz .LBB104_14
.LBB104_21:
	v_mov_b32_e32 v29, 0
	s_waitcnt vmcnt(0)
	v_lshlrev_b64 v[1:2], 1, v[28:29]
	s_waitcnt lgkmcnt(0)
	v_mov_b32_e32 v3, s39
	v_add_co_u32_e32 v1, vcc, s38, v1
	v_addc_co_u32_e32 v2, vcc, v3, v2, vcc
	v_mov_b32_e32 v22, v30
	global_store_short v[1:2], v25, off
	s_or_b64 exec, exec, s[4:5]
	v_cmp_gt_i32_e32 vcc, s48, v22
	s_and_saveexec_b64 s[4:5], vcc
	s_cbranch_execz .LBB104_15
.LBB104_22:
	v_add_u32_e32 v1, s33, v22
	s_waitcnt vmcnt(0)
	v_mov_b32_e32 v2, 0
	v_lshlrev_b64 v[1:2], 1, v[1:2]
	v_add_u32_e32 v3, 0x100, v22
	s_waitcnt lgkmcnt(0)
	v_mov_b32_e32 v4, s39
	v_add_co_u32_e32 v1, vcc, s38, v1
	v_addc_co_u32_e32 v2, vcc, v4, v2, vcc
	v_mov_b32_e32 v22, v3
	global_store_short v[1:2], v26, off
	s_or_b64 exec, exec, s[4:5]
	v_cmp_gt_i32_e32 vcc, s48, v22
	s_and_saveexec_b64 s[4:5], vcc
	s_cbranch_execz .LBB104_16
.LBB104_23:
	v_add_u32_e32 v1, s33, v22
	s_waitcnt vmcnt(0)
	v_mov_b32_e32 v2, 0
	v_lshlrev_b64 v[1:2], 1, v[1:2]
	v_add_u32_e32 v3, 0x100, v22
	s_waitcnt lgkmcnt(0)
	v_mov_b32_e32 v4, s39
	v_add_co_u32_e32 v1, vcc, s38, v1
	v_addc_co_u32_e32 v2, vcc, v4, v2, vcc
	v_mov_b32_e32 v22, v3
	global_store_short v[1:2], v23, off
	s_or_b64 exec, exec, s[4:5]
	v_cmp_gt_i32_e32 vcc, s48, v22
	s_and_saveexec_b64 s[4:5], vcc
	s_cbranch_execz .LBB104_17
.LBB104_24:
	v_add_u32_e32 v1, s33, v22
	s_waitcnt vmcnt(0)
	v_mov_b32_e32 v2, 0
	v_lshlrev_b64 v[1:2], 1, v[1:2]
	s_waitcnt lgkmcnt(0)
	v_mov_b32_e32 v3, s39
	v_add_co_u32_e32 v1, vcc, s38, v1
	v_addc_co_u32_e32 v2, vcc, v3, v2, vcc
	global_store_short v[1:2], v0, off
	s_endpgm
	.section	.rodata,"a",@progbits
	.p2align	6, 0x0
	.amdhsa_kernel _ZN2at6native27unrolled_elementwise_kernelIZZZNS0_21polygamma_kernel_cudaERNS_18TensorIteratorBaseElENKUlvE_clEvENKUlvE1_clEvEUlN3c104HalfEE_St5arrayIPcLm2EELi4E23TrivialOffsetCalculatorILi1EjESD_NS0_6memory15LoadWithoutCastENSE_16StoreWithoutCastEEEviT_T0_T2_T3_T4_T5_
		.amdhsa_group_segment_fixed_size 0
		.amdhsa_private_segment_fixed_size 0
		.amdhsa_kernarg_size 36
		.amdhsa_user_sgpr_count 6
		.amdhsa_user_sgpr_private_segment_buffer 1
		.amdhsa_user_sgpr_dispatch_ptr 0
		.amdhsa_user_sgpr_queue_ptr 0
		.amdhsa_user_sgpr_kernarg_segment_ptr 1
		.amdhsa_user_sgpr_dispatch_id 0
		.amdhsa_user_sgpr_flat_scratch_init 0
		.amdhsa_user_sgpr_private_segment_size 0
		.amdhsa_uses_dynamic_stack 0
		.amdhsa_system_sgpr_private_segment_wavefront_offset 0
		.amdhsa_system_sgpr_workgroup_id_x 1
		.amdhsa_system_sgpr_workgroup_id_y 0
		.amdhsa_system_sgpr_workgroup_id_z 0
		.amdhsa_system_sgpr_workgroup_info 0
		.amdhsa_system_vgpr_workitem_id 0
		.amdhsa_next_free_vgpr 31
		.amdhsa_next_free_sgpr 49
		.amdhsa_reserve_vcc 1
		.amdhsa_reserve_flat_scratch 0
		.amdhsa_float_round_mode_32 0
		.amdhsa_float_round_mode_16_64 0
		.amdhsa_float_denorm_mode_32 3
		.amdhsa_float_denorm_mode_16_64 3
		.amdhsa_dx10_clamp 1
		.amdhsa_ieee_mode 1
		.amdhsa_fp16_overflow 0
		.amdhsa_exception_fp_ieee_invalid_op 0
		.amdhsa_exception_fp_denorm_src 0
		.amdhsa_exception_fp_ieee_div_zero 0
		.amdhsa_exception_fp_ieee_overflow 0
		.amdhsa_exception_fp_ieee_underflow 0
		.amdhsa_exception_fp_ieee_inexact 0
		.amdhsa_exception_int_div_zero 0
	.end_amdhsa_kernel
	.section	.text._ZN2at6native27unrolled_elementwise_kernelIZZZNS0_21polygamma_kernel_cudaERNS_18TensorIteratorBaseElENKUlvE_clEvENKUlvE1_clEvEUlN3c104HalfEE_St5arrayIPcLm2EELi4E23TrivialOffsetCalculatorILi1EjESD_NS0_6memory15LoadWithoutCastENSE_16StoreWithoutCastEEEviT_T0_T2_T3_T4_T5_,"axG",@progbits,_ZN2at6native27unrolled_elementwise_kernelIZZZNS0_21polygamma_kernel_cudaERNS_18TensorIteratorBaseElENKUlvE_clEvENKUlvE1_clEvEUlN3c104HalfEE_St5arrayIPcLm2EELi4E23TrivialOffsetCalculatorILi1EjESD_NS0_6memory15LoadWithoutCastENSE_16StoreWithoutCastEEEviT_T0_T2_T3_T4_T5_,comdat
.Lfunc_end104:
	.size	_ZN2at6native27unrolled_elementwise_kernelIZZZNS0_21polygamma_kernel_cudaERNS_18TensorIteratorBaseElENKUlvE_clEvENKUlvE1_clEvEUlN3c104HalfEE_St5arrayIPcLm2EELi4E23TrivialOffsetCalculatorILi1EjESD_NS0_6memory15LoadWithoutCastENSE_16StoreWithoutCastEEEviT_T0_T2_T3_T4_T5_, .Lfunc_end104-_ZN2at6native27unrolled_elementwise_kernelIZZZNS0_21polygamma_kernel_cudaERNS_18TensorIteratorBaseElENKUlvE_clEvENKUlvE1_clEvEUlN3c104HalfEE_St5arrayIPcLm2EELi4E23TrivialOffsetCalculatorILi1EjESD_NS0_6memory15LoadWithoutCastENSE_16StoreWithoutCastEEEviT_T0_T2_T3_T4_T5_
                                        ; -- End function
	.set _ZN2at6native27unrolled_elementwise_kernelIZZZNS0_21polygamma_kernel_cudaERNS_18TensorIteratorBaseElENKUlvE_clEvENKUlvE1_clEvEUlN3c104HalfEE_St5arrayIPcLm2EELi4E23TrivialOffsetCalculatorILi1EjESD_NS0_6memory15LoadWithoutCastENSE_16StoreWithoutCastEEEviT_T0_T2_T3_T4_T5_.num_vgpr, max(31, .L_ZN3c104guts5applyIRZZZN2at6native21polygamma_kernel_cudaERNS2_18TensorIteratorBaseElENKUlvE_clEvENKUlvE1_clEvEUlNS_4HalfEE_RSt5tupleIJS8_EEEEDaOT_OT0_.num_vgpr)
	.set _ZN2at6native27unrolled_elementwise_kernelIZZZNS0_21polygamma_kernel_cudaERNS_18TensorIteratorBaseElENKUlvE_clEvENKUlvE1_clEvEUlN3c104HalfEE_St5arrayIPcLm2EELi4E23TrivialOffsetCalculatorILi1EjESD_NS0_6memory15LoadWithoutCastENSE_16StoreWithoutCastEEEviT_T0_T2_T3_T4_T5_.num_agpr, max(0, .L_ZN3c104guts5applyIRZZZN2at6native21polygamma_kernel_cudaERNS2_18TensorIteratorBaseElENKUlvE_clEvENKUlvE1_clEvEUlNS_4HalfEE_RSt5tupleIJS8_EEEEDaOT_OT0_.num_agpr)
	.set _ZN2at6native27unrolled_elementwise_kernelIZZZNS0_21polygamma_kernel_cudaERNS_18TensorIteratorBaseElENKUlvE_clEvENKUlvE1_clEvEUlN3c104HalfEE_St5arrayIPcLm2EELi4E23TrivialOffsetCalculatorILi1EjESD_NS0_6memory15LoadWithoutCastENSE_16StoreWithoutCastEEEviT_T0_T2_T3_T4_T5_.numbered_sgpr, max(49, .L_ZN3c104guts5applyIRZZZN2at6native21polygamma_kernel_cudaERNS2_18TensorIteratorBaseElENKUlvE_clEvENKUlvE1_clEvEUlNS_4HalfEE_RSt5tupleIJS8_EEEEDaOT_OT0_.numbered_sgpr)
	.set _ZN2at6native27unrolled_elementwise_kernelIZZZNS0_21polygamma_kernel_cudaERNS_18TensorIteratorBaseElENKUlvE_clEvENKUlvE1_clEvEUlN3c104HalfEE_St5arrayIPcLm2EELi4E23TrivialOffsetCalculatorILi1EjESD_NS0_6memory15LoadWithoutCastENSE_16StoreWithoutCastEEEviT_T0_T2_T3_T4_T5_.num_named_barrier, max(0, .L_ZN3c104guts5applyIRZZZN2at6native21polygamma_kernel_cudaERNS2_18TensorIteratorBaseElENKUlvE_clEvENKUlvE1_clEvEUlNS_4HalfEE_RSt5tupleIJS8_EEEEDaOT_OT0_.num_named_barrier)
	.set _ZN2at6native27unrolled_elementwise_kernelIZZZNS0_21polygamma_kernel_cudaERNS_18TensorIteratorBaseElENKUlvE_clEvENKUlvE1_clEvEUlN3c104HalfEE_St5arrayIPcLm2EELi4E23TrivialOffsetCalculatorILi1EjESD_NS0_6memory15LoadWithoutCastENSE_16StoreWithoutCastEEEviT_T0_T2_T3_T4_T5_.private_seg_size, 0+max(.L_ZN3c104guts5applyIRZZZN2at6native21polygamma_kernel_cudaERNS2_18TensorIteratorBaseElENKUlvE_clEvENKUlvE1_clEvEUlNS_4HalfEE_RSt5tupleIJS8_EEEEDaOT_OT0_.private_seg_size)
	.set _ZN2at6native27unrolled_elementwise_kernelIZZZNS0_21polygamma_kernel_cudaERNS_18TensorIteratorBaseElENKUlvE_clEvENKUlvE1_clEvEUlN3c104HalfEE_St5arrayIPcLm2EELi4E23TrivialOffsetCalculatorILi1EjESD_NS0_6memory15LoadWithoutCastENSE_16StoreWithoutCastEEEviT_T0_T2_T3_T4_T5_.uses_vcc, or(1, .L_ZN3c104guts5applyIRZZZN2at6native21polygamma_kernel_cudaERNS2_18TensorIteratorBaseElENKUlvE_clEvENKUlvE1_clEvEUlNS_4HalfEE_RSt5tupleIJS8_EEEEDaOT_OT0_.uses_vcc)
	.set _ZN2at6native27unrolled_elementwise_kernelIZZZNS0_21polygamma_kernel_cudaERNS_18TensorIteratorBaseElENKUlvE_clEvENKUlvE1_clEvEUlN3c104HalfEE_St5arrayIPcLm2EELi4E23TrivialOffsetCalculatorILi1EjESD_NS0_6memory15LoadWithoutCastENSE_16StoreWithoutCastEEEviT_T0_T2_T3_T4_T5_.uses_flat_scratch, or(0, .L_ZN3c104guts5applyIRZZZN2at6native21polygamma_kernel_cudaERNS2_18TensorIteratorBaseElENKUlvE_clEvENKUlvE1_clEvEUlNS_4HalfEE_RSt5tupleIJS8_EEEEDaOT_OT0_.uses_flat_scratch)
	.set _ZN2at6native27unrolled_elementwise_kernelIZZZNS0_21polygamma_kernel_cudaERNS_18TensorIteratorBaseElENKUlvE_clEvENKUlvE1_clEvEUlN3c104HalfEE_St5arrayIPcLm2EELi4E23TrivialOffsetCalculatorILi1EjESD_NS0_6memory15LoadWithoutCastENSE_16StoreWithoutCastEEEviT_T0_T2_T3_T4_T5_.has_dyn_sized_stack, or(0, .L_ZN3c104guts5applyIRZZZN2at6native21polygamma_kernel_cudaERNS2_18TensorIteratorBaseElENKUlvE_clEvENKUlvE1_clEvEUlNS_4HalfEE_RSt5tupleIJS8_EEEEDaOT_OT0_.has_dyn_sized_stack)
	.set _ZN2at6native27unrolled_elementwise_kernelIZZZNS0_21polygamma_kernel_cudaERNS_18TensorIteratorBaseElENKUlvE_clEvENKUlvE1_clEvEUlN3c104HalfEE_St5arrayIPcLm2EELi4E23TrivialOffsetCalculatorILi1EjESD_NS0_6memory15LoadWithoutCastENSE_16StoreWithoutCastEEEviT_T0_T2_T3_T4_T5_.has_recursion, or(0, .L_ZN3c104guts5applyIRZZZN2at6native21polygamma_kernel_cudaERNS2_18TensorIteratorBaseElENKUlvE_clEvENKUlvE1_clEvEUlNS_4HalfEE_RSt5tupleIJS8_EEEEDaOT_OT0_.has_recursion)
	.set _ZN2at6native27unrolled_elementwise_kernelIZZZNS0_21polygamma_kernel_cudaERNS_18TensorIteratorBaseElENKUlvE_clEvENKUlvE1_clEvEUlN3c104HalfEE_St5arrayIPcLm2EELi4E23TrivialOffsetCalculatorILi1EjESD_NS0_6memory15LoadWithoutCastENSE_16StoreWithoutCastEEEviT_T0_T2_T3_T4_T5_.has_indirect_call, or(0, .L_ZN3c104guts5applyIRZZZN2at6native21polygamma_kernel_cudaERNS2_18TensorIteratorBaseElENKUlvE_clEvENKUlvE1_clEvEUlNS_4HalfEE_RSt5tupleIJS8_EEEEDaOT_OT0_.has_indirect_call)
	.section	.AMDGPU.csdata,"",@progbits
; Kernel info:
; codeLenInByte = 932
; TotalNumSgprs: 53
; NumVgprs: 31
; ScratchSize: 0
; MemoryBound: 0
; FloatMode: 240
; IeeeMode: 1
; LDSByteSize: 0 bytes/workgroup (compile time only)
; SGPRBlocks: 6
; VGPRBlocks: 7
; NumSGPRsForWavesPerEU: 53
; NumVGPRsForWavesPerEU: 31
; Occupancy: 8
; WaveLimiterHint : 0
; COMPUTE_PGM_RSRC2:SCRATCH_EN: 0
; COMPUTE_PGM_RSRC2:USER_SGPR: 6
; COMPUTE_PGM_RSRC2:TRAP_HANDLER: 0
; COMPUTE_PGM_RSRC2:TGID_X_EN: 1
; COMPUTE_PGM_RSRC2:TGID_Y_EN: 0
; COMPUTE_PGM_RSRC2:TGID_Z_EN: 0
; COMPUTE_PGM_RSRC2:TIDIG_COMP_CNT: 0
	.text
	.p2align	2                               ; -- Begin function _ZN2at6native6invokeIZZZNS0_21polygamma_kernel_cudaERNS_18TensorIteratorBaseElENKUlvE_clEvENKUlvE1_clEvEUlN3c104HalfEE_j15function_traitsIS8_EEENT1_11result_typeERKT_PrKPcPKT0_i
	.type	_ZN2at6native6invokeIZZZNS0_21polygamma_kernel_cudaERNS_18TensorIteratorBaseElENKUlvE_clEvENKUlvE1_clEvEUlN3c104HalfEE_j15function_traitsIS8_EEENT1_11result_typeERKT_PrKPcPKT0_i,@function
_ZN2at6native6invokeIZZZNS0_21polygamma_kernel_cudaERNS_18TensorIteratorBaseElENKUlvE_clEvENKUlvE1_clEvEUlN3c104HalfEE_j15function_traitsIS8_EEENT1_11result_typeERKT_PrKPcPKT0_i: ; @_ZN2at6native6invokeIZZZNS0_21polygamma_kernel_cudaERNS_18TensorIteratorBaseElENKUlvE_clEvENKUlvE1_clEvEUlN3c104HalfEE_j15function_traitsIS8_EEENT1_11result_typeERKT_PrKPcPKT0_i
; %bb.0:
	s_waitcnt vmcnt(0) expcnt(0) lgkmcnt(0)
	v_add_co_u32_e32 v1, vcc, v2, v4
	v_addc_co_u32_e32 v2, vcc, 0, v3, vcc
	flat_load_ushort v3, v[1:2]
	v_cvt_f32_i32_e32 v1, v0
	s_mov_b32 s4, 0x3c800000
                                        ; implicit-def: $vgpr2
	v_cvt_f16_f32_e32 v1, v1
	v_add_f16_e32 v5, 1.0, v1
	v_cvt_f32_f16_e32 v1, v5
	v_and_b32_e32 v4, 0x7fffffff, v1
	v_cmp_nlt_f32_e64 s[4:5], |v1|, s4
	s_and_saveexec_b64 s[6:7], s[4:5]
	s_xor_b64 s[6:7], exec, s[6:7]
	s_cbranch_execz .LBB105_30
; %bb.1:
	v_cmp_nlt_f32_e64 s[4:5], |v1|, 2.0
                                        ; implicit-def: $vgpr2
	s_and_saveexec_b64 s[8:9], s[4:5]
	s_xor_b64 s[8:9], exec, s[8:9]
	s_cbranch_execz .LBB105_11
; %bb.2:
	s_mov_b32 s4, 0x41000000
	v_cmp_nlt_f32_e64 s[4:5], |v1|, s4
                                        ; implicit-def: $vgpr2
	s_and_saveexec_b64 s[10:11], s[4:5]
	s_xor_b64 s[10:11], exec, s[10:11]
	s_cbranch_execz .LBB105_8
; %bb.3:
	s_mov_b32 s4, 0x5c800000
	v_cmp_nlt_f32_e64 s[4:5], |v1|, s4
                                        ; implicit-def: $vgpr2
	s_and_saveexec_b64 s[12:13], s[4:5]
	s_xor_b64 s[12:13], exec, s[12:13]
	s_cbranch_execz .LBB105_5
; %bb.4:
	s_mov_b32 s4, 0x800000
	v_cmp_lt_f32_e64 vcc, |v1|, s4
	v_cndmask_b32_e64 v2, 0, 32, vcc
	v_ldexp_f32 v2, |v1|, v2
	v_log_f32_e32 v2, v2
	s_mov_b32 s4, 0x3f317217
	s_mov_b32 s5, 0x7f800000
	v_mul_f32_e32 v6, 0x3f317217, v2
	v_fma_f32 v7, v2, s4, -v6
	v_fmac_f32_e32 v7, 0x3377d1cf, v2
	v_add_f32_e32 v6, v6, v7
	v_cmp_lt_f32_e64 s[4:5], |v2|, s5
	v_cndmask_b32_e64 v2, v2, v6, s[4:5]
	v_mov_b32_e32 v6, 0x41b17218
	v_cndmask_b32_e32 v6, 0, v6, vcc
	v_sub_f32_e32 v2, v2, v6
	v_fma_f32 v2, |v1|, v2, -|v1|
.LBB105_5:
	s_andn2_saveexec_b64 s[12:13], s[12:13]
	s_cbranch_execz .LBB105_7
; %bb.6:
	v_rcp_f32_e64 v6, |v1|
	v_mov_b32_e32 v2, 0x3a5b3dd2
	v_mov_b32_e32 v7, 0xba1c065c
	;; [unrolled: 1-line block ×3, first 2 shown]
	v_mul_f32_e32 v9, v6, v6
	v_fmac_f32_e32 v2, 0xbad5c4e8, v9
	v_fmac_f32_e32 v7, v9, v2
	s_mov_b32 s4, 0x800000
	v_fmac_f32_e32 v8, v9, v7
	v_mov_b32_e32 v2, 0xbb360b61
	v_cmp_lt_f32_e64 vcc, |v1|, s4
	v_fmac_f32_e32 v2, v9, v8
	v_cndmask_b32_e64 v8, 0, 32, vcc
	v_ldexp_f32 v8, |v1|, v8
	v_log_f32_e32 v8, v8
	v_mov_b32_e32 v7, 0x3daaaaab
	v_fmac_f32_e32 v7, v9, v2
	v_mov_b32_e32 v2, 0x3ed67f1d
	v_fmac_f32_e32 v2, v6, v7
	s_mov_b32 s4, 0x3f317217
	v_mul_f32_e32 v7, 0x3f317217, v8
	v_fma_f32 v9, v8, s4, -v7
	v_fmac_f32_e32 v9, 0x3377d1cf, v8
	s_mov_b32 s4, 0x7f800000
	v_add_f32_e32 v7, v7, v9
	v_cmp_lt_f32_e64 s[4:5], |v8|, s4
	v_cndmask_b32_e64 v7, v8, v7, s[4:5]
	v_mov_b32_e32 v8, 0x41b17218
	v_cndmask_b32_e32 v8, 0, v8, vcc
	v_sub_f32_e32 v7, v7, v8
	v_add_f32_e64 v6, |v1|, -0.5
	v_add_f32_e32 v7, -1.0, v7
	v_fmac_f32_e32 v2, v6, v7
.LBB105_7:
	s_or_b64 exec, exec, s[12:13]
.LBB105_8:
	s_andn2_saveexec_b64 s[10:11], s[10:11]
	s_cbranch_execz .LBB105_10
; %bb.9:
	v_cvt_i32_f32_e32 v2, v4
	v_mov_b32_e32 v6, 0x3af135b4
	v_mov_b32_e32 v7, 0x3cda40e4
	;; [unrolled: 1-line block ×3, first 2 shown]
	v_cvt_f32_i32_e32 v9, v2
	v_mov_b32_e32 v10, 0x3ea6cc7a
	v_mov_b32_e32 v11, 0x3e5c245a
	v_cmp_lt_i32_e32 vcc, 2, v2
	v_sub_f32_e64 v9, |v1|, v9
	v_fmac_f32_e32 v6, 0x3805ff67, v9
	v_fmac_f32_e32 v7, v9, v6
	;; [unrolled: 1-line block ×3, first 2 shown]
	v_mov_b32_e32 v7, 0x3a4beed6
	v_fmac_f32_e32 v10, v9, v8
	v_fmac_f32_e32 v7, 0x36f5d7bd, v9
	v_mov_b32_e32 v8, 0x3c98bf54
	v_fmac_f32_e32 v8, v9, v7
	v_mov_b32_e32 v7, 0x3e300f6e
	;; [unrolled: 2-line block ×4, first 2 shown]
	v_fmac_f32_e32 v7, v9, v8
	v_add_f32_e32 v8, 2.0, v9
	v_mov_b32_e32 v12, 0xbd9e233f
	v_fmac_f32_e32 v11, v9, v10
	v_add_f32_e32 v10, 0x40400000, v9
	v_cndmask_b32_e32 v8, 1.0, v8, vcc
	v_cmp_lt_i32_e32 vcc, 3, v2
	v_fmac_f32_e32 v12, v9, v11
	v_add_f32_e32 v11, 4.0, v9
	v_cndmask_b32_e32 v10, 1.0, v10, vcc
	v_cmp_lt_i32_e32 vcc, 4, v2
	v_mul_f32_e32 v6, v9, v12
	v_add_f32_e32 v12, 0x40a00000, v9
	v_mul_f32_e32 v8, v8, v10
	v_cndmask_b32_e32 v10, 1.0, v11, vcc
	v_cmp_lt_i32_e32 vcc, 5, v2
	v_add_f32_e32 v13, 0x40c00000, v9
	v_mul_f32_e32 v8, v10, v8
	v_cndmask_b32_e32 v10, 1.0, v12, vcc
	v_cmp_lt_i32_e32 vcc, 6, v2
	v_mul_f32_e32 v8, v10, v8
	v_cndmask_b32_e32 v2, 1.0, v13, vcc
	v_mul_f32_e32 v2, v2, v8
	s_mov_b32 s4, 0x800000
	v_cmp_gt_f32_e32 vcc, s4, v2
	v_cndmask_b32_e64 v8, 0, 32, vcc
	v_fma_f32 v7, v9, v7, 1.0
	v_ldexp_f32 v2, v2, v8
	v_rcp_f32_e32 v7, v7
	v_log_f32_e32 v2, v2
	s_mov_b32 s4, 0x3f317217
	v_mul_f32_e32 v6, v6, v7
	v_mul_f32_e32 v7, 0x3f317217, v2
	v_fma_f32 v8, v2, s4, -v7
	v_fmac_f32_e32 v8, 0x3377d1cf, v2
	s_mov_b32 s4, 0x7f800000
	v_add_f32_e32 v7, v7, v8
	v_cmp_lt_f32_e64 s[4:5], |v2|, s4
	v_cndmask_b32_e64 v2, v2, v7, s[4:5]
	v_mov_b32_e32 v7, 0x41b17218
	v_cndmask_b32_e32 v7, 0, v7, vcc
	v_fmac_f32_e32 v6, 0.5, v9
	v_sub_f32_e32 v2, v2, v7
	v_add_f32_e32 v2, v2, v6
.LBB105_10:
	s_or_b64 exec, exec, s[10:11]
.LBB105_11:
	s_andn2_saveexec_b64 s[8:9], s[8:9]
	s_cbranch_execz .LBB105_29
; %bb.12:
	s_mov_b32 s4, 0x3f666666
	v_cmp_le_f32_e64 s[4:5], |v1|, s4
                                        ; implicit-def: $vgpr2
                                        ; implicit-def: $vgpr7
                                        ; implicit-def: $vgpr6
	s_and_saveexec_b64 s[10:11], s[4:5]
	s_xor_b64 s[10:11], exec, s[10:11]
	s_cbranch_execz .LBB105_14
; %bb.13:
	s_mov_b32 s4, 0x800000
	v_cmp_lt_f32_e64 vcc, |v1|, s4
	v_cndmask_b32_e64 v2, 0, 32, vcc
	v_ldexp_f32 v2, |v1|, v2
	v_log_f32_e32 v2, v2
	s_mov_b32 s4, 0x3f317217
	s_mov_b32 s5, 0x7f800000
	v_mul_f32_e32 v6, 0x3f317217, v2
	v_fma_f32 v7, v2, s4, -v6
	v_fmac_f32_e32 v7, 0x3377d1cf, v2
	v_add_f32_e32 v6, v6, v7
	v_cmp_lt_f32_e64 s[4:5], |v2|, s5
	v_cndmask_b32_e64 v2, v2, v6, s[4:5]
	v_mov_b32_e32 v6, 0x41b17218
	v_cndmask_b32_e32 v6, 0, v6, vcc
	s_mov_b32 s4, 0x3f3b4a23
	s_mov_b32 s5, 0xbeec5b0c
	v_sub_f32_e32 v2, v2, v6
	v_sub_f32_e64 v6, 1.0, |v1|
	v_add_f32_e64 v7, |v1|, s5
	v_cmp_lt_f32_e64 vcc, |v1|, s4
	s_mov_b32 s4, 0x3e6d3309
	v_cndmask_b32_e32 v6, v6, v7, vcc
	v_cndmask_b32_e64 v7, 0, 1, vcc
	v_cmp_lt_f32_e64 s[4:5], |v1|, s4
	v_xor_b32_e32 v2, 0x80000000, v2
	v_cndmask_b32_e64 v6, v6, |v1|, s[4:5]
	v_cndmask_b32_e64 v7, v7, 2, s[4:5]
.LBB105_14:
	s_andn2_saveexec_b64 s[4:5], s[10:11]
	s_cbranch_execz .LBB105_16
; %bb.15:
	s_mov_b32 s10, 0x3fdda512
	s_mov_b32 s11, 0xbfbb16c3
	v_sub_f32_e64 v2, 2.0, |v1|
	v_add_f32_e64 v6, |v1|, s11
	v_cmp_lt_f32_e64 vcc, |v1|, s10
	v_cndmask_b32_e32 v6, v2, v6, vcc
	v_cndmask_b32_e64 v2, v2, 1.0, vcc
	v_cvt_i32_f32_e32 v2, v2
	s_mov_b32 s10, 0x3f9d70a4
	v_add_f32_e64 v7, |v1|, -1.0
	v_cmp_lt_f32_e64 vcc, |v1|, s10
	v_cndmask_b32_e32 v6, v6, v7, vcc
	v_cndmask_b32_e64 v7, v2, 2, vcc
	v_mov_b32_e32 v2, 0
.LBB105_16:
	s_or_b64 exec, exec, s[4:5]
	v_cmp_lt_i32_e32 vcc, 0, v7
	s_and_saveexec_b64 s[4:5], vcc
	s_xor_b64 s[4:5], exec, s[4:5]
	s_cbranch_execz .LBB105_24
; %bb.17:
	v_cmp_lt_i32_e32 vcc, 1, v7
	s_and_saveexec_b64 s[10:11], vcc
	s_xor_b64 s[10:11], exec, s[10:11]
	s_cbranch_execz .LBB105_21
; %bb.18:
	v_cmp_eq_u32_e32 vcc, 2, v7
	s_and_saveexec_b64 s[12:13], vcc
	s_cbranch_execz .LBB105_20
; %bb.19:
	v_mov_b32_e32 v7, 0x3e6a7578
	v_fmac_f32_e32 v7, 0x3c5b3c5e, v6
	v_mov_b32_e32 v8, 0x3f7a4bb2
	v_fmac_f32_e32 v8, v6, v7
	;; [unrolled: 2-line block ×8, first 2 shown]
	v_fma_f32 v7, v6, v9, 1.0
	v_rcp_f32_e32 v7, v7
	v_mov_b32_e32 v9, 0xbd9e233f
	v_fmac_f32_e32 v9, v6, v8
	v_mul_f32_e32 v8, v6, v9
	v_mul_f32_e32 v7, v8, v7
	v_fmac_f32_e32 v7, -0.5, v6
	v_add_f32_e32 v2, v2, v7
.LBB105_20:
	s_or_b64 exec, exec, s[12:13]
                                        ; implicit-def: $vgpr6
.LBB105_21:
	s_andn2_saveexec_b64 s[10:11], s[10:11]
	s_cbranch_execz .LBB105_23
; %bb.22:
	v_mul_f32_e32 v7, v6, v6
	v_mul_f32_e32 v8, v6, v7
	v_mov_b32_e32 v9, 0xbab7f476
	v_fmac_f32_e32 v9, 0x39a57b6b, v8
	v_mov_b32_e32 v10, 0x3bc7e707
	v_fmac_f32_e32 v10, v8, v9
	;; [unrolled: 2-line block ×12, first 2 shown]
	v_fmac_f32_e32 v11, v6, v12
	s_mov_b32 s12, 0xa2863e55
	v_fma_f32 v6, v8, -v11, s12
	v_fma_f32 v6, v7, v10, -v6
	v_add_f32_e32 v6, 0xbdf8cdce, v6
	v_add_f32_e32 v2, v2, v6
.LBB105_23:
	s_or_b64 exec, exec, s[10:11]
                                        ; implicit-def: $vgpr7
                                        ; implicit-def: $vgpr6
.LBB105_24:
	s_andn2_saveexec_b64 s[4:5], s[4:5]
	s_cbranch_execz .LBB105_28
; %bb.25:
	v_cmp_eq_u32_e32 vcc, 0, v7
	s_and_saveexec_b64 s[10:11], vcc
	s_cbranch_execz .LBB105_27
; %bb.26:
	v_mul_f32_e32 v7, v6, v6
	v_mov_b32_e32 v8, 0x39679767
	v_fmac_f32_e32 v8, 0x37d383a2, v7
	v_mov_b32_e32 v9, 0x3a9c54a1
	v_fmac_f32_e32 v9, v7, v8
	;; [unrolled: 2-line block ×10, first 2 shown]
	v_mul_f32_e32 v7, v7, v9
	v_fmac_f32_e32 v7, v6, v8
	v_fmac_f32_e32 v7, -0.5, v6
	v_add_f32_e32 v2, v2, v7
.LBB105_27:
	s_or_b64 exec, exec, s[10:11]
.LBB105_28:
	s_or_b64 exec, exec, s[4:5]
.LBB105_29:
	s_or_b64 exec, exec, s[8:9]
.LBB105_30:
	s_andn2_saveexec_b64 s[6:7], s[6:7]
	s_cbranch_execz .LBB105_32
; %bb.31:
	s_mov_b32 s4, 0x3e8a8991
	v_mov_b32_e32 v2, 0xbecd26ab
	v_fma_f32 v2, |v1|, s4, v2
	s_mov_b32 s4, 0x3f528d33
	v_fma_f32 v2, |v1|, v2, s4
	s_mov_b32 s4, 0x800000
	v_cmp_lt_f32_e64 vcc, |v1|, s4
	v_cndmask_b32_e64 v6, 0, 32, vcc
	v_ldexp_f32 v6, |v1|, v6
	v_log_f32_e32 v6, v6
	s_mov_b32 s4, 0xbf13c468
	v_fma_f32 v2, |v1|, v2, s4
	s_mov_b32 s4, 0x3f317217
	v_mul_f32_e32 v7, 0x3f317217, v6
	v_fma_f32 v8, v6, s4, -v7
	v_fmac_f32_e32 v8, 0x3377d1cf, v6
	s_mov_b32 s4, 0x7f800000
	v_add_f32_e32 v7, v7, v8
	v_cmp_lt_f32_e64 s[4:5], |v6|, s4
	v_cndmask_b32_e64 v6, v6, v7, s[4:5]
	v_mov_b32_e32 v7, 0x41b17218
	v_cndmask_b32_e32 v7, 0, v7, vcc
	v_sub_f32_e32 v6, v6, v7
	v_fma_f32 v2, |v1|, v2, -v6
.LBB105_32:
	s_or_b64 exec, exec, s[6:7]
	v_cmp_le_f16_e64 s[4:5], 0, v5
	v_cmp_nle_f16_e32 vcc, 0, v5
	s_and_saveexec_b64 s[6:7], vcc
	s_xor_b64 s[8:9], exec, s[6:7]
	s_cbranch_execz .LBB105_36
; %bb.33:
	s_mov_b32 s6, 0x4b000000
	s_mov_b32 s10, 0x35000000
	v_cmp_lt_f32_e64 s[6:7], |v1|, s6
	v_cmp_gt_f32_e64 s[10:11], |v1|, s10
	s_and_b64 s[6:7], s[6:7], s[10:11]
	s_and_saveexec_b64 s[10:11], s[6:7]
	s_cbranch_execz .LBB105_35
; %bb.34:
	v_mul_f32_e64 v5, |v1|, 0.5
	v_fract_f32_e32 v6, v5
	s_mov_b32 s12, 0x7f800000
	v_add_f32_e32 v6, v6, v6
	v_cmp_neq_f32_e32 vcc, s12, v5
	v_cndmask_b32_e32 v5, 0, v6, vcc
	v_cmp_gt_f32_e64 s[6:7], |v1|, 1.0
	v_cndmask_b32_e64 v5, |v1|, v5, s[6:7]
	v_add_f32_e32 v6, v5, v5
	v_rndne_f32_e32 v6, v6
	v_fmac_f32_e32 v5, -0.5, v6
	v_mul_f32_e32 v7, v5, v5
	v_mov_b32_e32 v8, 0xbf1f24be
	v_fmac_f32_e32 v8, 0x3e75aa41, v7
	v_mov_b32_e32 v9, 0x40234736
	v_fmac_f32_e32 v9, v7, v8
	;; [unrolled: 2-line block ×3, first 2 shown]
	v_mul_f32_e32 v9, v5, v7
	v_mul_f32_e32 v8, v9, v8
	v_fmac_f32_e32 v8, 0x40490fdb, v5
	v_mov_b32_e32 v5, 0x3e642e9d
	v_cvt_i32_f32_e32 v6, v6
	v_fmac_f32_e32 v5, 0x3d4be544, v7
	v_mov_b32_e32 v9, 0xbfaad1da
	v_fmac_f32_e32 v9, v7, v5
	v_mov_b32_e32 v5, 0x4081e0d3
	;; [unrolled: 2-line block ×3, first 2 shown]
	v_fmac_f32_e32 v9, v7, v5
	v_fma_f32 v5, v7, v9, 1.0
	v_and_b32_e32 v7, 1, v6
	v_lshlrev_b32_e32 v6, 30, v6
	v_cmp_eq_u32_e32 vcc, 0, v7
	v_and_b32_e32 v6, 0x80000000, v6
	v_xor_b32_e32 v4, v4, v1
	v_cndmask_b32_e32 v5, v5, v8, vcc
	v_xor_b32_e32 v4, v4, v6
	v_xor_b32_e32 v4, v4, v5
	v_mul_f32_e32 v4, v1, v4
	v_frexp_mant_f32_e64 v5, |v4|
	v_rcp_f32_e32 v5, v5
	v_frexp_exp_i32_f32_e32 v4, v4
	v_sub_u32_e32 v4, 2, v4
	s_mov_b32 s6, 0x800000
	v_mul_f32_e32 v5, 0x3f490fdb, v5
	v_ldexp_f32 v4, v5, v4
	v_cmp_gt_f32_e32 vcc, s6, v4
	v_cndmask_b32_e64 v5, 0, 32, vcc
	v_ldexp_f32 v4, v4, v5
	v_log_f32_e32 v4, v4
	s_mov_b32 s6, 0x3f317217
	v_mul_f32_e32 v5, 0x3f317217, v4
	v_fma_f32 v6, v4, s6, -v5
	v_fmac_f32_e32 v6, 0x3377d1cf, v4
	v_add_f32_e32 v5, v5, v6
	v_cmp_lt_f32_e64 s[6:7], |v4|, s12
	v_cndmask_b32_e64 v4, v4, v5, s[6:7]
	v_mov_b32_e32 v5, 0x41b17218
	v_cndmask_b32_e32 v5, 0, v5, vcc
	v_sub_f32_e32 v4, v4, v5
	v_sub_f32_e32 v2, v4, v2
	v_fract_f32_e32 v4, v1
	v_mov_b32_e32 v5, 0x7f800000
	v_cmp_neq_f32_e32 vcc, 0, v4
	v_cndmask_b32_e32 v2, v5, v2, vcc
.LBB105_35:
	s_or_b64 exec, exec, s[10:11]
                                        ; implicit-def: $vgpr5
.LBB105_36:
	s_andn2_saveexec_b64 s[8:9], s[8:9]
; %bb.37:
	v_cmp_eq_f16_e32 vcc, 1.0, v5
	v_cmp_eq_f16_e64 s[6:7], 2.0, v5
	s_or_b64 s[6:7], vcc, s[6:7]
	v_cndmask_b32_e64 v2, v2, 0, s[6:7]
; %bb.38:
	s_or_b64 exec, exec, s[8:9]
	v_add_u32_e32 v4, 1, v0
	v_cvt_f32_i32_e32 v4, v4
	v_mov_b32_e32 v7, 0x7c00
	v_cvt_f16_f32_e32 v6, v4
	v_cmp_neq_f16_e32 vcc, 1.0, v6
	s_and_saveexec_b64 s[10:11], vcc
	s_cbranch_execz .LBB105_66
; %bb.39:
	v_cmp_lt_i32_e32 vcc, -1, v0
	v_mov_b32_e32 v7, 0x7e00
	s_and_saveexec_b64 s[12:13], vcc
	s_cbranch_execz .LBB105_65
; %bb.40:
	v_cvt_f32_f16_e32 v4, v6
	s_waitcnt vmcnt(0) lgkmcnt(0)
	v_cvt_f32_f16_e32 v5, v3
	v_cmp_ge_f16_e32 vcc, 0, v3
	s_mov_b64 s[8:9], -1
                                        ; implicit-def: $vgpr7
	s_and_saveexec_b64 s[6:7], vcc
	s_cbranch_execz .LBB105_44
; %bb.41:
	v_floor_f32_e32 v7, v5
	v_cmp_neq_f32_e32 vcc, v7, v5
	s_mov_b64 s[8:9], 0
	v_mov_b32_e32 v7, 0x7c00
	s_and_saveexec_b64 s[14:15], vcc
; %bb.42:
	v_floor_f32_e32 v7, v4
	v_cmp_eq_f32_e32 vcc, v7, v4
	v_mov_b32_e32 v7, 0x7e00
	s_and_b64 s[8:9], vcc, exec
; %bb.43:
	s_or_b64 exec, exec, s[14:15]
	s_orn2_b64 s[8:9], s[8:9], exec
.LBB105_44:
	s_or_b64 exec, exec, s[6:7]
	s_and_saveexec_b64 s[14:15], s[8:9]
	s_cbranch_execz .LBB105_64
; %bb.45:
	v_cvt_f32_f16_e64 v6, -v6
	v_frexp_mant_f32_e64 v7, |v5|
	s_mov_b32 s24, 0x3f2aaaab
	v_cmp_neq_f16_e32 vcc, 1.0, v3
	v_cndmask_b32_e32 v11, 1.0, v6, vcc
	v_cmp_gt_f32_e32 vcc, s24, v7
	v_cndmask_b32_e64 v8, 1.0, 2.0, vcc
	v_mul_f32_e32 v7, v7, v8
	v_add_f32_e32 v8, 1.0, v7
	v_rcp_f32_e32 v9, v8
	v_add_f32_e32 v10, -1.0, v7
	v_add_f32_e32 v12, -1.0, v8
	v_sub_f32_e32 v7, v7, v12
	v_mul_f32_e32 v12, v10, v9
	v_mul_f32_e32 v13, v8, v12
	v_fma_f32 v8, v12, v8, -v13
	v_fmac_f32_e32 v8, v12, v7
	v_add_f32_e32 v7, v13, v8
	v_sub_f32_e32 v14, v10, v7
	v_sub_f32_e32 v13, v7, v13
	;; [unrolled: 1-line block ×5, first 2 shown]
	v_add_f32_e32 v7, v8, v7
	v_add_f32_e32 v7, v14, v7
	v_mul_f32_e32 v7, v9, v7
	v_add_f32_e32 v10, v12, v7
	v_sub_f32_e32 v8, v10, v12
	v_sub_f32_e32 v12, v7, v8
	v_mul_f32_e32 v8, v10, v10
	v_fma_f32 v9, v10, v10, -v8
	v_add_f32_e32 v7, v12, v12
	v_fmac_f32_e32 v9, v10, v7
	v_add_f32_e32 v13, v8, v9
	v_sub_f32_e32 v8, v13, v8
	v_sub_f32_e32 v8, v9, v8
	v_mul_f32_e32 v9, v10, v13
	v_fma_f32 v15, v13, v10, -v9
	v_fmac_f32_e32 v15, v13, v12
	v_mov_b32_e32 v14, 0x3e91f4c4
	v_fmac_f32_e32 v15, v8, v10
	v_fmac_f32_e32 v14, 0x3e76c4e1, v13
	v_mov_b32_e32 v7, 0x3ecccdef
	v_add_f32_e32 v16, v9, v15
	v_fma_f32 v14, v13, v14, v7
	v_sub_f32_e32 v9, v16, v9
	v_sub_f32_e32 v15, v15, v9
	v_mul_f32_e32 v9, v13, v14
	v_fma_f32 v13, v13, v14, -v9
	v_fmac_f32_e32 v13, v8, v14
	v_add_f32_e32 v14, v9, v13
	v_sub_f32_e32 v8, v14, v9
	v_sub_f32_e32 v8, v13, v8
	v_add_f32_e32 v13, 0x31739010, v8
	v_cvt_f64_f32_e64 v[8:9], |v5|
	v_add_f32_e32 v17, 0x3f2aaaaa, v14
	v_add_f32_e32 v18, 0xbf2aaaaa, v17
	v_sub_f32_e32 v14, v14, v18
	v_frexp_exp_i32_f64_e32 v8, v[8:9]
	v_add_f32_e32 v13, v13, v14
	v_add_f32_e32 v9, v17, v13
	v_sub_f32_e32 v14, v17, v9
	v_add_f32_e32 v13, v13, v14
	v_mul_f32_e32 v14, v16, v9
	v_fma_f32 v17, v16, v9, -v14
	v_fmac_f32_e32 v17, v16, v13
	v_subbrev_co_u32_e32 v8, vcc, 0, v8, vcc
	v_cvt_f32_i32_e32 v8, v8
	v_fmac_f32_e32 v17, v15, v9
	s_mov_b32 s25, 0x3f317218
	v_ldexp_f32 v10, v10, 1
	v_mul_f32_e32 v9, 0x3f317218, v8
	v_fma_f32 v13, v8, s25, -v9
	v_fmac_f32_e32 v13, 0xb102e308, v8
	v_ldexp_f32 v8, v12, 1
	v_add_f32_e32 v12, v9, v13
	v_sub_f32_e32 v9, v12, v9
	v_sub_f32_e32 v9, v13, v9
	v_add_f32_e32 v13, v14, v17
	v_sub_f32_e32 v14, v13, v14
	v_add_f32_e32 v15, v10, v13
	v_sub_f32_e32 v14, v17, v14
	v_sub_f32_e32 v10, v15, v10
	;; [unrolled: 1-line block ×3, first 2 shown]
	v_add_f32_e32 v8, v8, v14
	v_add_f32_e32 v8, v8, v10
	;; [unrolled: 1-line block ×3, first 2 shown]
	v_sub_f32_e32 v13, v10, v15
	v_sub_f32_e32 v8, v8, v13
	v_add_f32_e32 v13, v12, v10
	v_sub_f32_e32 v14, v13, v12
	v_sub_f32_e32 v15, v13, v14
	v_sub_f32_e32 v12, v12, v15
	v_sub_f32_e32 v10, v10, v14
	v_add_f32_e32 v10, v10, v12
	v_add_f32_e32 v12, v9, v8
	v_sub_f32_e32 v14, v12, v9
	v_sub_f32_e32 v15, v12, v14
	;; [unrolled: 1-line block ×4, first 2 shown]
	v_add_f32_e32 v8, v8, v9
	v_add_f32_e32 v9, v12, v10
	;; [unrolled: 1-line block ×3, first 2 shown]
	v_sub_f32_e32 v12, v10, v13
	v_sub_f32_e32 v9, v9, v12
	v_add_f32_e32 v8, v8, v9
	v_add_f32_e32 v9, v10, v8
	v_sub_f32_e32 v10, v9, v10
	v_sub_f32_e32 v8, v8, v10
	v_mul_f32_e32 v10, v11, v9
	v_fma_f32 v9, v11, v9, -v10
	v_fmac_f32_e32 v9, v11, v8
	s_movk_i32 s27, 0x204
	v_add_f32_e32 v8, v10, v9
	v_cmp_class_f32_e64 vcc, v10, s27
	v_sub_f32_e32 v12, v8, v10
	v_cndmask_b32_e32 v10, v8, v10, vcc
	s_mov_b32 s29, 0x42b17218
	v_mov_b32_e32 v8, 0x37000000
	v_cmp_eq_f32_e32 vcc, s29, v10
	v_sub_f32_e32 v9, v9, v12
	v_cndmask_b32_e32 v12, 0, v8, vcc
	v_sub_f32_e32 v13, v10, v12
	s_mov_b32 s40, 0x3fb8aa3b
	v_mul_f32_e32 v14, 0x3fb8aa3b, v13
	v_fma_f32 v15, v13, s40, -v14
	v_rndne_f32_e32 v16, v14
	v_fmac_f32_e32 v15, 0x32a5705f, v13
	v_sub_f32_e32 v14, v14, v16
	v_add_f32_e32 v14, v14, v15
	v_exp_f32_e32 v14, v14
	v_cvt_i32_f32_e32 v15, v16
	s_mov_b32 s28, 0x7f800000
	v_cmp_neq_f32_e64 vcc, |v10|, s28
	v_cndmask_b32_e32 v9, 0, v9, vcc
	s_mov_b32 s41, 0xc2ce8ed0
	v_add_f32_e32 v10, v12, v9
	v_ldexp_f32 v9, v14, v15
	v_cmp_ngt_f32_e32 vcc, s41, v13
	v_cndmask_b32_e32 v12, 0, v9, vcc
	v_mov_b32_e32 v9, 0x7f800000
	v_cmp_nlt_f32_e32 vcc, s29, v13
	v_cndmask_b32_e32 v12, v9, v12, vcc
	v_fma_f32 v10, v12, v10, v12
	v_cmp_class_f32_e64 vcc, v12, s27
	v_trunc_f32_e32 v13, v11
	v_cndmask_b32_e32 v12, v10, v12, vcc
	v_cmp_eq_f32_e32 vcc, v13, v11
	v_mul_f32_e32 v13, 0.5, v11
	v_trunc_f32_e32 v14, v13
	v_cmp_neq_f32_e64 s[6:7], v14, v13
	s_and_b64 s[6:7], vcc, s[6:7]
	v_cndmask_b32_e64 v13, 1.0, v5, s[6:7]
	s_brev_b32 s42, -2
	v_mov_b32_e32 v10, 0x7fc00000
	v_bfi_b32 v12, s42, v12, v13
	v_cmp_neq_f32_e64 s[8:9], v11, |v11|
	v_cmp_lt_f32_e64 s[16:17], |v5|, 1.0
	v_cndmask_b32_e32 v13, v10, v12, vcc
	v_cmp_gt_f16_e32 vcc, 0, v3
	s_xor_b64 s[8:9], s[16:17], s[8:9]
	v_cndmask_b32_e32 v12, v12, v13, vcc
	v_cndmask_b32_e64 v13, v9, 0, s[8:9]
	v_cmp_neq_f32_e64 vcc, |v5|, 1.0
	v_cndmask_b32_e32 v13, 1.0, v13, vcc
	v_cmp_class_f32_e64 vcc, v11, s27
	v_cndmask_b32_e32 v12, v12, v13, vcc
	v_cmp_eq_f16_e32 vcc, 0, v3
	v_cmp_gt_f32_e64 s[8:9], 0, v11
	s_xor_b64 s[8:9], vcc, s[8:9]
	v_cmp_class_f32_e64 s[16:17], v5, s27
	v_cndmask_b32_e64 v11, v9, 0, s[8:9]
	v_cndmask_b32_e64 v13, 0, v5, s[6:7]
	v_bfi_b32 v11, s42, v11, v13
	s_or_b64 vcc, vcc, s[16:17]
	v_cndmask_b32_e32 v11, v12, v11, vcc
	v_cmp_o_f16_e32 vcc, v3, v3
	s_mov_b32 s26, 0
	v_cndmask_b32_e32 v3, v10, v11, vcc
	s_mov_b64 s[16:17], 0
	s_mov_b32 s43, 0x41100000
                                        ; implicit-def: $sgpr18_sgpr19
                                        ; implicit-def: $sgpr22_sgpr23
                                        ; implicit-def: $sgpr20_sgpr21
	s_branch .LBB105_47
.LBB105_46:                             ;   in Loop: Header=BB105_47 Depth=1
	s_or_b64 exec, exec, s[6:7]
	s_and_b64 s[6:7], exec, s[22:23]
	s_or_b64 s[16:17], s[6:7], s[16:17]
	s_andn2_b64 s[6:7], s[18:19], exec
	s_and_b64 s[8:9], s[20:21], exec
	s_or_b64 s[18:19], s[6:7], s[8:9]
	s_andn2_b64 exec, exec, s[16:17]
	s_cbranch_execz .LBB105_49
.LBB105_47:                             ; =>This Inner Loop Header: Depth=1
	v_add_f32_e32 v5, 1.0, v5
	v_cmp_neq_f32_e32 vcc, 1.0, v5
	v_frexp_mant_f32_e64 v12, |v5|
	v_cndmask_b32_e32 v11, 1.0, v6, vcc
	v_cmp_gt_f32_e32 vcc, s24, v12
	v_cndmask_b32_e64 v13, 1.0, 2.0, vcc
	v_mul_f32_e32 v12, v12, v13
	v_add_f32_e32 v13, 1.0, v12
	v_rcp_f32_e32 v14, v13
	v_add_f32_e32 v15, -1.0, v12
	v_add_f32_e32 v16, -1.0, v13
	v_sub_f32_e32 v12, v12, v16
	v_mul_f32_e32 v16, v15, v14
	v_mul_f32_e32 v17, v13, v16
	v_fma_f32 v13, v16, v13, -v17
	v_fmac_f32_e32 v13, v16, v12
	v_add_f32_e32 v12, v17, v13
	v_sub_f32_e32 v18, v15, v12
	v_sub_f32_e32 v17, v12, v17
	;; [unrolled: 1-line block ×5, first 2 shown]
	v_add_f32_e32 v12, v13, v12
	v_add_f32_e32 v12, v18, v12
	v_mul_f32_e32 v12, v14, v12
	v_add_f32_e32 v14, v16, v12
	v_sub_f32_e32 v13, v14, v16
	v_sub_f32_e32 v15, v12, v13
	v_mul_f32_e32 v12, v14, v14
	v_fma_f32 v13, v14, v14, -v12
	v_add_f32_e32 v16, v15, v15
	v_fmac_f32_e32 v13, v14, v16
	v_add_f32_e32 v16, v12, v13
	v_sub_f32_e32 v12, v16, v12
	v_sub_f32_e32 v12, v13, v12
	v_mul_f32_e32 v13, v14, v16
	v_fma_f32 v18, v16, v14, -v13
	v_fmac_f32_e32 v18, v16, v15
	v_mov_b32_e32 v17, 0x3e91f4c4
	v_fmac_f32_e32 v18, v12, v14
	v_fmac_f32_e32 v17, 0x3e76c4e1, v16
	v_add_f32_e32 v19, v13, v18
	v_fma_f32 v17, v16, v17, v7
	v_sub_f32_e32 v13, v19, v13
	v_sub_f32_e32 v18, v18, v13
	v_mul_f32_e32 v13, v16, v17
	v_fma_f32 v16, v16, v17, -v13
	v_fmac_f32_e32 v16, v12, v17
	v_add_f32_e32 v17, v13, v16
	v_sub_f32_e32 v21, v17, v13
	v_cvt_f64_f32_e64 v[12:13], |v5|
	v_add_f32_e32 v20, 0x3f2aaaaa, v17
	v_sub_f32_e32 v16, v16, v21
	v_add_f32_e32 v21, 0xbf2aaaaa, v20
	v_frexp_exp_i32_f64_e32 v12, v[12:13]
	v_add_f32_e32 v16, 0x31739010, v16
	v_sub_f32_e32 v13, v17, v21
	v_add_f32_e32 v13, v16, v13
	v_add_f32_e32 v16, v20, v13
	v_sub_f32_e32 v17, v20, v16
	v_add_f32_e32 v13, v13, v17
	v_mul_f32_e32 v17, v19, v16
	v_subbrev_co_u32_e32 v12, vcc, 0, v12, vcc
	v_cvt_f32_i32_e32 v12, v12
	v_fma_f32 v20, v19, v16, -v17
	v_fmac_f32_e32 v20, v19, v13
	v_fmac_f32_e32 v20, v18, v16
	v_mul_f32_e32 v13, 0x3f317218, v12
	v_fma_f32 v16, v12, s25, -v13
	v_fmac_f32_e32 v16, 0xb102e308, v12
	v_ldexp_f32 v12, v15, 1
	v_add_f32_e32 v15, v13, v16
	v_sub_f32_e32 v13, v15, v13
	v_ldexp_f32 v14, v14, 1
	v_sub_f32_e32 v13, v16, v13
	v_add_f32_e32 v16, v17, v20
	v_sub_f32_e32 v17, v16, v17
	v_add_f32_e32 v18, v14, v16
	v_sub_f32_e32 v17, v20, v17
	v_sub_f32_e32 v14, v18, v14
	;; [unrolled: 1-line block ×3, first 2 shown]
	v_add_f32_e32 v12, v12, v17
	v_add_f32_e32 v12, v12, v14
	;; [unrolled: 1-line block ×3, first 2 shown]
	v_sub_f32_e32 v16, v14, v18
	v_sub_f32_e32 v12, v12, v16
	v_add_f32_e32 v16, v15, v14
	v_sub_f32_e32 v17, v16, v15
	v_sub_f32_e32 v18, v16, v17
	;; [unrolled: 1-line block ×4, first 2 shown]
	v_add_f32_e32 v14, v14, v15
	v_add_f32_e32 v15, v13, v12
	v_sub_f32_e32 v17, v15, v13
	v_sub_f32_e32 v18, v15, v17
	;; [unrolled: 1-line block ×4, first 2 shown]
	v_add_f32_e32 v12, v12, v13
	v_add_f32_e32 v13, v15, v14
	;; [unrolled: 1-line block ×3, first 2 shown]
	v_sub_f32_e32 v15, v14, v16
	v_sub_f32_e32 v13, v13, v15
	v_add_f32_e32 v12, v12, v13
	v_add_f32_e32 v13, v14, v12
	v_sub_f32_e32 v14, v13, v14
	v_sub_f32_e32 v12, v12, v14
	v_mul_f32_e32 v14, v11, v13
	v_fma_f32 v13, v11, v13, -v14
	v_fmac_f32_e32 v13, v11, v12
	v_add_f32_e32 v12, v14, v13
	v_cmp_class_f32_e64 vcc, v14, s27
	v_sub_f32_e32 v15, v12, v14
	v_cndmask_b32_e32 v12, v12, v14, vcc
	v_cmp_eq_f32_e32 vcc, s29, v12
	v_cndmask_b32_e32 v14, 0, v8, vcc
	v_sub_f32_e32 v13, v13, v15
	v_sub_f32_e32 v15, v12, v14
	v_mul_f32_e32 v16, 0x3fb8aa3b, v15
	v_fma_f32 v17, v15, s40, -v16
	v_rndne_f32_e32 v18, v16
	v_fmac_f32_e32 v17, 0x32a5705f, v15
	v_sub_f32_e32 v16, v16, v18
	v_add_f32_e32 v16, v16, v17
	v_exp_f32_e32 v16, v16
	v_cvt_i32_f32_e32 v17, v18
	v_cmp_neq_f32_e64 vcc, |v12|, s28
	v_cndmask_b32_e32 v12, 0, v13, vcc
	v_cmp_ngt_f32_e32 vcc, s41, v15
	v_ldexp_f32 v13, v16, v17
	v_cndmask_b32_e32 v13, 0, v13, vcc
	v_cmp_nlt_f32_e32 vcc, s29, v15
	v_add_f32_e32 v12, v14, v12
	v_cndmask_b32_e32 v13, v9, v13, vcc
	v_fma_f32 v12, v13, v12, v13
	v_cmp_class_f32_e64 vcc, v13, s27
	v_cndmask_b32_e32 v12, v12, v13, vcc
	v_trunc_f32_e32 v13, v11
	v_cmp_eq_f32_e32 vcc, v13, v11
	v_mul_f32_e32 v13, 0.5, v11
	v_trunc_f32_e32 v14, v13
	v_cmp_neq_f32_e64 s[6:7], v14, v13
	s_and_b64 s[6:7], vcc, s[6:7]
	v_cndmask_b32_e64 v13, 1.0, v5, s[6:7]
	v_bfi_b32 v12, s42, v12, v13
	v_cmp_neq_f32_e64 s[8:9], v11, |v11|
	v_cmp_lt_f32_e64 s[44:45], |v5|, 1.0
	v_cndmask_b32_e32 v13, v10, v12, vcc
	v_cmp_gt_f32_e32 vcc, 0, v5
	s_xor_b64 s[8:9], s[44:45], s[8:9]
	v_cndmask_b32_e32 v12, v12, v13, vcc
	v_cndmask_b32_e64 v13, v9, 0, s[8:9]
	v_cmp_neq_f32_e64 vcc, |v5|, 1.0
	v_cndmask_b32_e32 v13, 1.0, v13, vcc
	v_cmp_class_f32_e64 vcc, v11, s27
	v_cndmask_b32_e32 v12, v12, v13, vcc
	v_cmp_eq_f32_e32 vcc, 0, v5
	v_cmp_gt_f32_e64 s[8:9], 0, v11
	s_xor_b64 s[8:9], vcc, s[8:9]
	v_cmp_class_f32_e64 s[44:45], v5, s27
	v_cndmask_b32_e64 v11, v9, 0, s[8:9]
	v_cndmask_b32_e64 v13, 0, v5, s[6:7]
	v_bfi_b32 v11, s42, v11, v13
	s_or_b64 vcc, vcc, s[44:45]
	v_cndmask_b32_e32 v11, v12, v11, vcc
	v_cmp_o_f32_e32 vcc, v5, v5
	v_cndmask_b32_e32 v11, v10, v11, vcc
	v_add_f32_e32 v3, v3, v11
	v_mul_f32_e32 v12, 0xa5000000, v3
	v_cmp_nlt_f32_e32 vcc, v12, v11
	v_mul_f32_e32 v12, 0x25000000, v3
	v_cmp_nlt_f32_e64 s[6:7], v11, v12
	s_or_b64 s[8:9], vcc, s[6:7]
	s_or_b64 s[20:21], s[20:21], exec
	s_or_b64 s[22:23], s[22:23], exec
	s_and_saveexec_b64 s[6:7], s[8:9]
	s_cbranch_execz .LBB105_46
; %bb.48:                               ;   in Loop: Header=BB105_47 Depth=1
	s_add_i32 s44, s26, 1
	s_cmp_gt_u32 s26, 7
	s_cselect_b64 s[8:9], -1, 0
	v_cmp_nge_f32_e32 vcc, s43, v5
	s_and_b64 s[8:9], s[8:9], vcc
	s_andn2_b64 s[22:23], s[22:23], exec
	s_and_b64 s[8:9], s[8:9], exec
	s_andn2_b64 s[20:21], s[20:21], exec
	s_or_b64 s[22:23], s[22:23], s[8:9]
	s_mov_b32 s26, s44
	s_branch .LBB105_46
.LBB105_49:
	s_or_b64 exec, exec, s[16:17]
	s_xor_b64 s[6:7], s[18:19], -1
                                        ; implicit-def: $vgpr7
	s_and_saveexec_b64 s[8:9], s[6:7]
	s_xor_b64 s[6:7], exec, s[8:9]
	s_cbranch_execz .LBB105_61
; %bb.50:
	v_mul_f32_e32 v6, v5, v11
	v_add_f32_e32 v9, -1.0, v4
	v_div_scale_f32 v7, s[8:9], v9, v9, v6
	v_div_scale_f32 v8, vcc, v6, v9, v6
	s_mov_b64 s[8:9], 0
	s_mov_b32 s42, 0x25000000
	s_mov_b64 s[22:23], 0
                                        ; implicit-def: $sgpr16_sgpr17
                                        ; implicit-def: $sgpr18_sgpr19
                                        ; implicit-def: $sgpr20_sgpr21
	v_rcp_f32_e32 v10, v7
	v_fma_f32 v12, -v7, v10, 1.0
	v_fmac_f32_e32 v10, v12, v10
	v_mul_f32_e32 v12, v8, v10
	v_fma_f32 v13, -v7, v12, v8
	v_fmac_f32_e32 v12, v13, v10
	v_fma_f32 v7, -v7, v12, v8
	v_div_fmas_f32 v10, v7, v10, v12
	v_mov_b32_e32 v8, 1.0
	v_mov_b32_e32 v7, 0
	v_div_fixup_f32 v6, v10, v9, v6
	v_add_f32_e32 v6, v3, v6
	v_fmac_f32_e32 v6, -0.5, v11
	s_branch .LBB105_53
.LBB105_51:                             ;   in Loop: Header=BB105_53 Depth=1
	s_or_b64 exec, exec, s[26:27]
	s_andn2_b64 s[20:21], s[20:21], exec
	s_and_b64 s[26:27], s[40:41], exec
	s_or_b64 s[20:21], s[20:21], s[26:27]
	s_andn2_b64 s[18:19], s[18:19], exec
	s_and_b64 s[26:27], s[28:29], exec
	s_or_b64 s[18:19], s[18:19], s[26:27]
.LBB105_52:                             ;   in Loop: Header=BB105_53 Depth=1
	s_or_b64 exec, exec, s[24:25]
	s_and_b64 s[24:25], exec, s[18:19]
	s_or_b64 s[8:9], s[24:25], s[8:9]
	s_andn2_b64 s[16:17], s[16:17], exec
	s_and_b64 s[24:25], s[20:21], exec
	s_or_b64 s[16:17], s[16:17], s[24:25]
	s_andn2_b64 exec, exec, s[8:9]
	s_cbranch_execz .LBB105_56
.LBB105_53:                             ; =>This Inner Loop Header: Depth=1
	v_div_scale_f32 v9, s[24:25], v5, v5, v11
	v_div_scale_f32 v10, vcc, v11, v5, v11
	s_getpc_b64 s[24:25]
	s_add_u32 s24, s24, _ZZ4zetaIN3c104HalfELb1EET_S2_S2_E1A@rel32@lo+4
	s_addc_u32 s25, s25, _ZZ4zetaIN3c104HalfELb1EET_S2_S2_E1A@rel32@hi+12
	s_add_u32 s24, s24, s22
	s_addc_u32 s25, s25, s23
	s_load_dword s26, s[24:25], 0x0
	s_or_b64 s[20:21], s[20:21], exec
	s_or_b64 s[18:19], s[18:19], exec
	v_rcp_f32_e32 v12, v9
	v_fma_f32 v13, -v9, v12, 1.0
	v_fmac_f32_e32 v12, v13, v12
	v_mul_f32_e32 v13, v10, v12
	v_fma_f32 v14, -v9, v13, v10
	v_fmac_f32_e32 v13, v14, v12
	v_fma_f32 v9, -v9, v13, v10
	v_div_fmas_f32 v10, v9, v12, v13
	v_add_f32_e32 v9, v7, v4
	v_mul_f32_e32 v9, v8, v9
	v_div_fixup_f32 v10, v10, v5, v11
	v_mul_f32_e32 v8, v10, v9
	s_waitcnt lgkmcnt(0)
	v_div_scale_f32 v11, s[24:25], s26, s26, v8
	v_div_scale_f32 v12, vcc, v8, s26, v8
	v_rcp_f32_e32 v13, v11
	v_fma_f32 v14, -v11, v13, 1.0
	v_fmac_f32_e32 v13, v14, v13
	v_mul_f32_e32 v14, v12, v13
	v_fma_f32 v15, -v11, v14, v12
	v_fmac_f32_e32 v14, v15, v13
	v_fma_f32 v11, -v11, v14, v12
	v_div_fmas_f32 v11, v11, v13, v14
	v_div_fixup_f32 v8, v11, s26, v8
	v_add_f32_e32 v6, v6, v8
	v_div_scale_f32 v11, s[24:25], v6, v6, v8
	v_div_scale_f32 v12, vcc, v8, v6, v8
	v_rcp_f32_e32 v13, v11
	v_fma_f32 v14, -v11, v13, 1.0
	v_fmac_f32_e32 v13, v14, v13
	v_mul_f32_e32 v14, v12, v13
	v_fma_f32 v15, -v11, v14, v12
	v_fmac_f32_e32 v14, v15, v13
	v_fma_f32 v11, -v11, v14, v12
	v_div_fmas_f32 v11, v11, v13, v14
	v_div_fixup_f32 v8, v11, v6, v8
	v_cmp_nlt_f32_e64 s[26:27], |v8|, s42
                                        ; implicit-def: $vgpr11
                                        ; implicit-def: $vgpr8
	s_and_saveexec_b64 s[24:25], s[26:27]
	s_cbranch_execz .LBB105_52
; %bb.54:                               ;   in Loop: Header=BB105_53 Depth=1
	v_div_scale_f32 v8, s[26:27], v5, v5, v10
	v_div_scale_f32 v11, vcc, v10, v5, v10
	v_add_f32_e32 v7, 1.0, v7
	s_mov_b64 s[40:41], -1
	v_rcp_f32_e32 v12, v8
	v_fma_f32 v13, -v8, v12, 1.0
	v_fmac_f32_e32 v12, v13, v12
	v_mul_f32_e32 v13, v11, v12
	v_fma_f32 v14, -v8, v13, v11
	v_fmac_f32_e32 v13, v14, v12
	v_fma_f32 v8, -v8, v13, v11
	v_div_fmas_f32 v8, v8, v12, v13
	v_div_fixup_f32 v8, v8, v5, v10
	v_div_scale_f32 v10, s[26:27], v5, v5, v8
	v_div_scale_f32 v11, vcc, v8, v5, v8
	s_getpc_b64 s[26:27]
	s_add_u32 s26, s26, _ZZ4zetaIN3c104HalfELb1EET_S2_S2_E1A@rel32@lo+8
	s_addc_u32 s27, s27, _ZZ4zetaIN3c104HalfELb1EET_S2_S2_E1A@rel32@hi+16
	s_add_u32 s26, s26, s22
	s_addc_u32 s27, s27, s23
	s_load_dword s28, s[26:27], 0x0
	v_rcp_f32_e32 v12, v10
	v_fma_f32 v13, -v10, v12, 1.0
	v_fmac_f32_e32 v12, v13, v12
	v_mul_f32_e32 v13, v11, v12
	v_fma_f32 v14, -v10, v13, v11
	v_fmac_f32_e32 v13, v14, v12
	v_fma_f32 v10, -v10, v13, v11
	v_div_fmas_f32 v11, v10, v12, v13
	v_add_f32_e32 v12, v7, v4
	v_add_f32_e32 v10, 1.0, v7
	v_mul_f32_e32 v7, v12, v9
	v_add_f32_e32 v9, v10, v4
	v_mul_f32_e32 v12, v7, v9
	v_div_fixup_f32 v9, v11, v5, v8
	v_mul_f32_e32 v7, v9, v12
	s_waitcnt lgkmcnt(0)
	v_div_scale_f32 v8, s[26:27], s28, s28, v7
	v_div_scale_f32 v11, vcc, v7, s28, v7
	v_rcp_f32_e32 v13, v8
	v_fma_f32 v14, -v8, v13, 1.0
	v_fmac_f32_e32 v13, v14, v13
	v_mul_f32_e32 v14, v11, v13
	v_fma_f32 v15, -v8, v14, v11
	v_fmac_f32_e32 v14, v15, v13
	v_fma_f32 v8, -v8, v14, v11
	v_div_fmas_f32 v8, v8, v13, v14
	v_div_fixup_f32 v7, v8, s28, v7
	v_add_f32_e32 v6, v6, v7
	v_div_scale_f32 v8, s[26:27], v6, v6, v7
	v_div_scale_f32 v11, vcc, v7, v6, v7
	s_mov_b64 s[28:29], -1
	v_rcp_f32_e32 v13, v8
	v_fma_f32 v14, -v8, v13, 1.0
	v_fmac_f32_e32 v13, v14, v13
	v_mul_f32_e32 v14, v11, v13
	v_fma_f32 v15, -v8, v14, v11
	v_fmac_f32_e32 v14, v15, v13
	v_fma_f32 v8, -v8, v14, v11
	v_div_fmas_f32 v8, v8, v13, v14
                                        ; implicit-def: $vgpr11
	v_div_fixup_f32 v7, v8, v6, v7
	v_cmp_nlt_f32_e64 s[44:45], |v7|, s42
                                        ; implicit-def: $vgpr7
                                        ; implicit-def: $vgpr8
	s_and_saveexec_b64 s[26:27], s[44:45]
	s_cbranch_execz .LBB105_51
; %bb.55:                               ;   in Loop: Header=BB105_53 Depth=1
	v_div_scale_f32 v7, s[28:29], v5, v5, v9
	v_div_scale_f32 v8, vcc, v9, v5, v9
	s_add_u32 s22, s22, 8
	s_addc_u32 s23, s23, 0
	s_cmp_eq_u32 s22, 48
	s_cselect_b64 s[28:29], -1, 0
	s_xor_b64 s[40:41], exec, -1
	s_orn2_b64 s[28:29], s[28:29], exec
	v_rcp_f32_e32 v11, v7
	v_fma_f32 v13, -v7, v11, 1.0
	v_fmac_f32_e32 v11, v13, v11
	v_mul_f32_e32 v13, v8, v11
	v_fma_f32 v14, -v7, v13, v8
	v_fmac_f32_e32 v13, v14, v11
	v_fma_f32 v7, -v7, v13, v8
	v_div_fmas_f32 v11, v7, v11, v13
	v_add_f32_e32 v7, 1.0, v10
	v_add_f32_e32 v8, v7, v4
	v_add_f32_e32 v7, 1.0, v7
	v_mul_f32_e32 v8, v8, v12
	v_div_fixup_f32 v11, v11, v5, v9
	s_branch .LBB105_51
.LBB105_56:
	s_or_b64 exec, exec, s[8:9]
	s_xor_b64 s[8:9], s[16:17], -1
                                        ; implicit-def: $vgpr7
	s_and_saveexec_b64 s[16:17], s[8:9]
	s_xor_b64 s[8:9], exec, s[16:17]
; %bb.57:
	v_cvt_f16_f32_e32 v7, v6
; %bb.58:
	s_andn2_saveexec_b64 s[8:9], s[8:9]
; %bb.59:
	v_cvt_f16_f32_e32 v7, v6
; %bb.60:
	s_or_b64 exec, exec, s[8:9]
.LBB105_61:
	s_andn2_saveexec_b64 s[6:7], s[6:7]
; %bb.62:
	v_cvt_f16_f32_e32 v7, v3
; %bb.63:
	s_or_b64 exec, exec, s[6:7]
.LBB105_64:
	s_or_b64 exec, exec, s[14:15]
.LBB105_65:
	s_or_b64 exec, exec, s[12:13]
.LBB105_66:
	s_or_b64 exec, exec, s[10:11]
	s_mov_b32 s6, 0x4b000000
	v_cmp_lt_f32_e64 s[6:7], |v1|, s6
	s_waitcnt vmcnt(0) lgkmcnt(0)
	v_mov_b32_e32 v3, 0x244
	v_mov_b32_e32 v4, 0x7f800000
	s_or_b64 vcc, s[4:5], s[6:7]
	v_cndmask_b32_e32 v2, v4, v2, vcc
	v_cmp_class_f32_e32 vcc, v1, v3
	v_cndmask_b32_e32 v1, v2, v4, vcc
	s_mov_b32 s4, 0x3fb8aa3b
	v_mul_f32_e32 v2, 0x3fb8aa3b, v1
	v_fma_f32 v3, v1, s4, -v2
	v_rndne_f32_e32 v5, v2
	v_fmac_f32_e32 v3, 0x32a5705f, v1
	v_sub_f32_e32 v2, v2, v5
	v_add_f32_e32 v2, v2, v3
	v_exp_f32_e32 v2, v2
	v_cvt_i32_f32_e32 v3, v5
	s_mov_b32 s4, 0xc2ce8ed0
	v_cmp_ngt_f32_e32 vcc, s4, v1
	s_mov_b32 s4, 0x42b17218
	v_ldexp_f32 v2, v2, v3
	v_cndmask_b32_e32 v2, 0, v2, vcc
	v_cmp_nlt_f32_e32 vcc, s4, v1
	v_and_b32_e32 v0, 1, v0
	v_cndmask_b32_e32 v1, v4, v2, vcc
	v_cmp_eq_u32_e32 vcc, 0, v0
	v_cndmask_b32_e64 v0, v1, -v1, vcc
	v_fma_mixlo_f16 v0, v0, v7, 0 op_sel_hi:[0,1,0]
	s_setpc_b64 s[30:31]
.Lfunc_end105:
	.size	_ZN2at6native6invokeIZZZNS0_21polygamma_kernel_cudaERNS_18TensorIteratorBaseElENKUlvE_clEvENKUlvE1_clEvEUlN3c104HalfEE_j15function_traitsIS8_EEENT1_11result_typeERKT_PrKPcPKT0_i, .Lfunc_end105-_ZN2at6native6invokeIZZZNS0_21polygamma_kernel_cudaERNS_18TensorIteratorBaseElENKUlvE_clEvENKUlvE1_clEvEUlN3c104HalfEE_j15function_traitsIS8_EEENT1_11result_typeERKT_PrKPcPKT0_i
                                        ; -- End function
	.set .L_ZN2at6native6invokeIZZZNS0_21polygamma_kernel_cudaERNS_18TensorIteratorBaseElENKUlvE_clEvENKUlvE1_clEvEUlN3c104HalfEE_j15function_traitsIS8_EEENT1_11result_typeERKT_PrKPcPKT0_i.num_vgpr, 22
	.set .L_ZN2at6native6invokeIZZZNS0_21polygamma_kernel_cudaERNS_18TensorIteratorBaseElENKUlvE_clEvENKUlvE1_clEvEUlN3c104HalfEE_j15function_traitsIS8_EEENT1_11result_typeERKT_PrKPcPKT0_i.num_agpr, 0
	.set .L_ZN2at6native6invokeIZZZNS0_21polygamma_kernel_cudaERNS_18TensorIteratorBaseElENKUlvE_clEvENKUlvE1_clEvEUlN3c104HalfEE_j15function_traitsIS8_EEENT1_11result_typeERKT_PrKPcPKT0_i.numbered_sgpr, 46
	.set .L_ZN2at6native6invokeIZZZNS0_21polygamma_kernel_cudaERNS_18TensorIteratorBaseElENKUlvE_clEvENKUlvE1_clEvEUlN3c104HalfEE_j15function_traitsIS8_EEENT1_11result_typeERKT_PrKPcPKT0_i.num_named_barrier, 0
	.set .L_ZN2at6native6invokeIZZZNS0_21polygamma_kernel_cudaERNS_18TensorIteratorBaseElENKUlvE_clEvENKUlvE1_clEvEUlN3c104HalfEE_j15function_traitsIS8_EEENT1_11result_typeERKT_PrKPcPKT0_i.private_seg_size, 0
	.set .L_ZN2at6native6invokeIZZZNS0_21polygamma_kernel_cudaERNS_18TensorIteratorBaseElENKUlvE_clEvENKUlvE1_clEvEUlN3c104HalfEE_j15function_traitsIS8_EEENT1_11result_typeERKT_PrKPcPKT0_i.uses_vcc, 1
	.set .L_ZN2at6native6invokeIZZZNS0_21polygamma_kernel_cudaERNS_18TensorIteratorBaseElENKUlvE_clEvENKUlvE1_clEvEUlN3c104HalfEE_j15function_traitsIS8_EEENT1_11result_typeERKT_PrKPcPKT0_i.uses_flat_scratch, 0
	.set .L_ZN2at6native6invokeIZZZNS0_21polygamma_kernel_cudaERNS_18TensorIteratorBaseElENKUlvE_clEvENKUlvE1_clEvEUlN3c104HalfEE_j15function_traitsIS8_EEENT1_11result_typeERKT_PrKPcPKT0_i.has_dyn_sized_stack, 0
	.set .L_ZN2at6native6invokeIZZZNS0_21polygamma_kernel_cudaERNS_18TensorIteratorBaseElENKUlvE_clEvENKUlvE1_clEvEUlN3c104HalfEE_j15function_traitsIS8_EEENT1_11result_typeERKT_PrKPcPKT0_i.has_recursion, 0
	.set .L_ZN2at6native6invokeIZZZNS0_21polygamma_kernel_cudaERNS_18TensorIteratorBaseElENKUlvE_clEvENKUlvE1_clEvEUlN3c104HalfEE_j15function_traitsIS8_EEENT1_11result_typeERKT_PrKPcPKT0_i.has_indirect_call, 0
	.section	.AMDGPU.csdata,"",@progbits
; Function info:
; codeLenInByte = 5760
; TotalNumSgprs: 50
; NumVgprs: 22
; ScratchSize: 0
; MemoryBound: 0
	.section	.text._ZN2at6native32elementwise_kernel_manual_unrollILi128ELi8EZNS0_22gpu_kernel_impl_nocastIZZZNS0_21polygamma_kernel_cudaERNS_18TensorIteratorBaseElENKUlvE_clEvENKUlvE1_clEvEUlN3c104HalfEE_EEvS4_RKT_EUlibE_EEviT1_,"axG",@progbits,_ZN2at6native32elementwise_kernel_manual_unrollILi128ELi8EZNS0_22gpu_kernel_impl_nocastIZZZNS0_21polygamma_kernel_cudaERNS_18TensorIteratorBaseElENKUlvE_clEvENKUlvE1_clEvEUlN3c104HalfEE_EEvS4_RKT_EUlibE_EEviT1_,comdat
	.globl	_ZN2at6native32elementwise_kernel_manual_unrollILi128ELi8EZNS0_22gpu_kernel_impl_nocastIZZZNS0_21polygamma_kernel_cudaERNS_18TensorIteratorBaseElENKUlvE_clEvENKUlvE1_clEvEUlN3c104HalfEE_EEvS4_RKT_EUlibE_EEviT1_ ; -- Begin function _ZN2at6native32elementwise_kernel_manual_unrollILi128ELi8EZNS0_22gpu_kernel_impl_nocastIZZZNS0_21polygamma_kernel_cudaERNS_18TensorIteratorBaseElENKUlvE_clEvENKUlvE1_clEvEUlN3c104HalfEE_EEvS4_RKT_EUlibE_EEviT1_
	.p2align	8
	.type	_ZN2at6native32elementwise_kernel_manual_unrollILi128ELi8EZNS0_22gpu_kernel_impl_nocastIZZZNS0_21polygamma_kernel_cudaERNS_18TensorIteratorBaseElENKUlvE_clEvENKUlvE1_clEvEUlN3c104HalfEE_EEvS4_RKT_EUlibE_EEviT1_,@function
_ZN2at6native32elementwise_kernel_manual_unrollILi128ELi8EZNS0_22gpu_kernel_impl_nocastIZZZNS0_21polygamma_kernel_cudaERNS_18TensorIteratorBaseElENKUlvE_clEvENKUlvE1_clEvEUlN3c104HalfEE_EEvS4_RKT_EUlibE_EEviT1_: ; @_ZN2at6native32elementwise_kernel_manual_unrollILi128ELi8EZNS0_22gpu_kernel_impl_nocastIZZZNS0_21polygamma_kernel_cudaERNS_18TensorIteratorBaseElENKUlvE_clEvENKUlvE1_clEvEUlN3c104HalfEE_EEvS4_RKT_EUlibE_EEviT1_
; %bb.0:
	s_load_dword s71, s[4:5], 0x0
	s_load_dword s33, s[4:5], 0x8
	s_add_u32 s0, s0, s7
	s_addc_u32 s1, s1, 0
	s_add_u32 s34, s4, 8
	s_addc_u32 s35, s5, 0
	v_lshl_or_b32 v28, s6, 10, v0
	s_waitcnt lgkmcnt(0)
	s_add_i32 s70, s33, -1
	v_or_b32_e32 v0, 0x380, v28
	s_cmp_gt_u32 s70, 1
	v_cmp_le_i32_e32 vcc, s71, v0
	s_cselect_b64 s[46:47], -1, 0
	s_mov_b32 s32, 0
	s_and_saveexec_b64 s[4:5], vcc
	s_xor_b64 s[56:57], exec, s[4:5]
	s_cbranch_execz .LBB106_7
; %bb.1:
	s_load_dwordx4 s[48:51], s[34:35], 0x4
	s_load_dwordx2 s[60:61], s[34:35], 0x14
	s_load_dwordx2 s[58:59], s[34:35], 0x158
	s_load_dwordx4 s[52:55], s[34:35], 0xc4
	s_load_dwordx4 s[36:39], s[34:35], 0x148
	s_cmp_lg_u32 s33, 0
	s_cselect_b64 s[66:67], -1, 0
	s_add_u32 s64, s34, 0xc4
	s_addc_u32 s65, s35, 0
	s_min_u32 s72, s70, 15
	s_cmp_gt_u32 s33, 1
	s_cselect_b64 s[62:63], -1, 0
	v_cmp_gt_i32_e32 vcc, s71, v28
	s_and_saveexec_b64 s[68:69], vcc
	s_cbranch_execz .LBB106_14
; %bb.2:
	s_andn2_b64 vcc, exec, s[46:47]
	s_cbranch_vccnz .LBB106_21
; %bb.3:
	s_andn2_b64 vcc, exec, s[66:67]
	s_cbranch_vccnz .LBB106_129
; %bb.4:
	s_add_i32 s29, s72, 1
	s_cmp_eq_u32 s70, 2
	s_cbranch_scc1 .LBB106_131
; %bb.5:
	s_and_b32 s28, s29, 28
	v_mov_b32_e32 v4, 0
	s_mov_b32 s30, 0
	s_mov_b64 s[24:25], s[34:35]
	s_mov_b64 s[26:27], s[64:65]
	v_mov_b32_e32 v22, 0
	v_mov_b32_e32 v0, v28
.LBB106_6:                              ; =>This Inner Loop Header: Depth=1
	s_load_dwordx8 s[12:19], s[24:25], 0x4
	s_load_dwordx4 s[20:23], s[24:25], 0x24
	s_load_dwordx8 s[4:11], s[26:27], 0x0
	s_add_u32 s24, s24, 48
	s_addc_u32 s25, s25, 0
	s_waitcnt lgkmcnt(0)
	v_mul_hi_u32 v1, s13, v0
	s_add_i32 s30, s30, 4
	s_add_u32 s26, s26, 32
	s_addc_u32 s27, s27, 0
	v_add_u32_e32 v1, v0, v1
	v_lshrrev_b32_e32 v1, s14, v1
	v_mul_lo_u32 v2, v1, s12
	v_mul_hi_u32 v3, s16, v1
	s_cmp_lg_u32 s28, s30
	v_sub_u32_e32 v0, v0, v2
	v_add_u32_e32 v2, v1, v3
	v_mul_lo_u32 v3, v0, s4
	v_mul_lo_u32 v5, v0, s5
	v_lshrrev_b32_e32 v0, s17, v2
	v_mul_lo_u32 v2, v0, s15
	v_mul_hi_u32 v6, s19, v0
	v_sub_u32_e32 v1, v1, v2
	v_add_u32_e32 v2, v0, v6
	v_lshrrev_b32_e32 v2, s20, v2
	v_mul_hi_u32 v7, s22, v2
	v_mul_lo_u32 v8, v2, s18
	v_mul_lo_u32 v6, v1, s6
	;; [unrolled: 1-line block ×3, first 2 shown]
	v_sub_u32_e32 v8, v0, v8
	v_add_u32_e32 v0, v2, v7
	v_lshrrev_b32_e32 v0, s23, v0
	v_mul_lo_u32 v7, v0, s21
	v_mul_lo_u32 v9, v8, s8
	;; [unrolled: 1-line block ×3, first 2 shown]
	v_add3_u32 v3, v3, v22, v6
	v_sub_u32_e32 v2, v2, v7
	v_mul_lo_u32 v7, v2, s10
	v_mul_lo_u32 v2, v2, s11
	v_add3_u32 v1, v5, v4, v1
	v_add3_u32 v22, v9, v3, v7
	;; [unrolled: 1-line block ×3, first 2 shown]
	s_cbranch_scc1 .LBB106_6
	s_branch .LBB106_132
.LBB106_7:
	s_andn2_saveexec_b64 s[4:5], s[56:57]
	s_cbranch_execz .LBB106_221
.LBB106_8:
	v_cndmask_b32_e64 v1, 0, 1, s[46:47]
	v_cmp_ne_u32_e64 s[4:5], 1, v1
	s_andn2_b64 vcc, exec, s[46:47]
	s_cbranch_vccnz .LBB106_20
; %bb.9:
	s_cmp_lg_u32 s33, 0
	s_mov_b32 s30, 0
	s_cbranch_scc0 .LBB106_23
; %bb.10:
	s_min_u32 s31, s70, 15
	s_add_i32 s31, s31, 1
	s_cmp_eq_u32 s70, 2
	s_cbranch_scc1 .LBB106_24
; %bb.11:
	s_and_b32 s30, s31, 28
	s_add_u32 s6, s34, 0xc4
	s_addc_u32 s7, s35, 0
	v_mov_b32_e32 v4, 0
	s_waitcnt lgkmcnt(0)
	s_mov_b32 s36, 0
	s_mov_b64 s[28:29], s[34:35]
	v_mov_b32_e32 v30, 0
	v_mov_b32_e32 v1, v28
.LBB106_12:                             ; =>This Inner Loop Header: Depth=1
	s_load_dwordx8 s[16:23], s[28:29], 0x4
	s_load_dwordx4 s[24:27], s[28:29], 0x24
	s_load_dwordx8 s[8:15], s[6:7], 0x0
	s_add_u32 s28, s28, 48
	s_addc_u32 s29, s29, 0
	s_waitcnt lgkmcnt(0)
	v_mul_hi_u32 v2, s17, v1
	s_add_i32 s36, s36, 4
	s_add_u32 s6, s6, 32
	s_addc_u32 s7, s7, 0
	v_add_u32_e32 v2, v1, v2
	v_lshrrev_b32_e32 v2, s18, v2
	v_mul_lo_u32 v3, v2, s16
	v_mul_hi_u32 v5, s20, v2
	s_cmp_lg_u32 s30, s36
	v_sub_u32_e32 v1, v1, v3
	v_add_u32_e32 v3, v2, v5
	v_mul_lo_u32 v5, v1, s8
	v_mul_lo_u32 v6, v1, s9
	v_lshrrev_b32_e32 v1, s21, v3
	v_mul_lo_u32 v3, v1, s19
	v_mul_hi_u32 v7, s23, v1
	v_sub_u32_e32 v2, v2, v3
	v_add_u32_e32 v3, v1, v7
	v_lshrrev_b32_e32 v3, s24, v3
	v_mul_hi_u32 v8, s26, v3
	v_mul_lo_u32 v9, v3, s22
	v_mul_lo_u32 v7, v2, s10
	;; [unrolled: 1-line block ×3, first 2 shown]
	v_sub_u32_e32 v9, v1, v9
	v_add_u32_e32 v1, v3, v8
	v_lshrrev_b32_e32 v1, s27, v1
	v_mul_lo_u32 v8, v1, s25
	v_mul_lo_u32 v10, v9, s12
	;; [unrolled: 1-line block ×3, first 2 shown]
	v_add3_u32 v5, v5, v30, v7
	v_sub_u32_e32 v3, v3, v8
	v_mul_lo_u32 v8, v3, s14
	v_mul_lo_u32 v3, v3, s15
	v_add3_u32 v2, v6, v4, v2
	v_add3_u32 v30, v10, v5, v8
	;; [unrolled: 1-line block ×3, first 2 shown]
	s_cbranch_scc1 .LBB106_12
; %bb.13:
	s_and_b32 s10, s31, 3
	s_cmp_eq_u32 s10, 0
	s_cbranch_scc0 .LBB106_25
	s_branch .LBB106_27
.LBB106_14:
	s_or_b64 exec, exec, s[68:69]
	v_cmp_gt_i32_e32 vcc, s71, v28
	s_and_saveexec_b64 s[68:69], vcc
	s_cbranch_execz .LBB106_139
.LBB106_15:
	s_andn2_b64 vcc, exec, s[46:47]
	s_cbranch_vccnz .LBB106_22
; %bb.16:
	s_andn2_b64 vcc, exec, s[66:67]
	s_cbranch_vccnz .LBB106_130
; %bb.17:
	s_add_i32 s29, s72, 1
	s_cmp_eq_u32 s70, 2
	s_cbranch_scc1 .LBB106_147
; %bb.18:
	s_and_b32 s28, s29, 28
	v_mov_b32_e32 v4, 0
	s_mov_b32 s30, 0
	s_mov_b64 s[24:25], s[34:35]
	s_mov_b64 s[26:27], s[64:65]
	v_mov_b32_e32 v22, 0
	v_mov_b32_e32 v0, v28
.LBB106_19:                             ; =>This Inner Loop Header: Depth=1
	s_load_dwordx8 s[12:19], s[24:25], 0x4
	s_load_dwordx4 s[20:23], s[24:25], 0x24
	s_load_dwordx8 s[4:11], s[26:27], 0x0
	s_add_u32 s24, s24, 48
	s_addc_u32 s25, s25, 0
	s_waitcnt lgkmcnt(0)
	v_mul_hi_u32 v1, s13, v0
	s_add_i32 s30, s30, 4
	s_add_u32 s26, s26, 32
	s_addc_u32 s27, s27, 0
	v_add_u32_e32 v1, v0, v1
	v_lshrrev_b32_e32 v1, s14, v1
	v_mul_lo_u32 v2, v1, s12
	v_mul_hi_u32 v3, s16, v1
	s_cmp_eq_u32 s28, s30
	v_sub_u32_e32 v0, v0, v2
	v_add_u32_e32 v2, v1, v3
	v_mul_lo_u32 v3, v0, s4
	v_mul_lo_u32 v5, v0, s5
	v_lshrrev_b32_e32 v0, s17, v2
	v_mul_lo_u32 v2, v0, s15
	v_mul_hi_u32 v6, s19, v0
	v_sub_u32_e32 v1, v1, v2
	v_add_u32_e32 v2, v0, v6
	v_lshrrev_b32_e32 v2, s20, v2
	v_mul_hi_u32 v7, s22, v2
	v_mul_lo_u32 v8, v2, s18
	v_mul_lo_u32 v6, v1, s6
	;; [unrolled: 1-line block ×3, first 2 shown]
	v_sub_u32_e32 v8, v0, v8
	v_add_u32_e32 v0, v2, v7
	v_lshrrev_b32_e32 v0, s23, v0
	v_mul_lo_u32 v7, v0, s21
	v_mul_lo_u32 v9, v8, s8
	v_mul_lo_u32 v8, v8, s9
	v_add3_u32 v3, v3, v22, v6
	v_sub_u32_e32 v2, v2, v7
	v_mul_lo_u32 v7, v2, s10
	v_mul_lo_u32 v2, v2, s11
	v_add3_u32 v1, v5, v4, v1
	v_add3_u32 v22, v9, v3, v7
	v_add3_u32 v4, v8, v1, v2
	s_cbranch_scc0 .LBB106_19
	s_branch .LBB106_148
.LBB106_20:
                                        ; implicit-def: $vgpr30
                                        ; implicit-def: $vgpr4
	s_branch .LBB106_28
.LBB106_21:
                                        ; implicit-def: $vgpr22
                                        ; implicit-def: $vgpr4
	s_branch .LBB106_136
.LBB106_22:
                                        ; implicit-def: $vgpr22
                                        ; implicit-def: $vgpr4
	s_branch .LBB106_152
.LBB106_23:
	v_mov_b32_e32 v30, 0
	v_mov_b32_e32 v4, 0
	s_branch .LBB106_27
.LBB106_24:
	v_mov_b32_e32 v30, 0
	v_mov_b32_e32 v4, 0
	;; [unrolled: 1-line block ×3, first 2 shown]
	s_and_b32 s10, s31, 3
	s_cmp_eq_u32 s10, 0
	s_cbranch_scc1 .LBB106_27
.LBB106_25:
	s_lshl_b32 s6, s30, 3
	s_add_u32 s6, s34, s6
	s_addc_u32 s7, s35, 0
	s_add_u32 s6, s6, 0xc4
	s_addc_u32 s7, s7, 0
	s_mul_i32 s8, s30, 12
	s_add_u32 s8, s34, s8
	s_addc_u32 s9, s35, 0
.LBB106_26:                             ; =>This Inner Loop Header: Depth=1
	s_load_dwordx2 s[12:13], s[8:9], 0x4
	s_load_dword s11, s[8:9], 0xc
	s_load_dwordx2 s[14:15], s[6:7], 0x0
	s_add_u32 s8, s8, 12
	s_addc_u32 s9, s9, 0
	s_waitcnt lgkmcnt(0)
	v_mul_hi_u32 v2, s13, v1
	s_add_u32 s6, s6, 8
	s_addc_u32 s7, s7, 0
	s_add_i32 s10, s10, -1
	v_add_u32_e32 v2, v1, v2
	v_lshrrev_b32_e32 v2, s11, v2
	v_mul_lo_u32 v3, v2, s12
	s_cmp_lg_u32 s10, 0
	v_sub_u32_e32 v1, v1, v3
	v_mad_u64_u32 v[30:31], s[12:13], v1, s14, v[30:31]
	v_mad_u64_u32 v[4:5], s[12:13], v1, s15, v[4:5]
	v_mov_b32_e32 v1, v2
	s_cbranch_scc1 .LBB106_26
.LBB106_27:
	s_cbranch_execnz .LBB106_30
.LBB106_28:
	s_load_dwordx4 s[8:11], s[34:35], 0x4
	s_load_dwordx2 s[6:7], s[34:35], 0xc4
	s_cmp_lt_u32 s33, 2
	s_waitcnt lgkmcnt(0)
	v_mul_hi_u32 v1, s9, v28
	v_add_u32_e32 v1, v28, v1
	v_lshrrev_b32_e32 v1, s10, v1
	v_mul_lo_u32 v2, v1, s8
	v_sub_u32_e32 v2, v28, v2
	v_mul_lo_u32 v30, v2, s6
	v_mul_lo_u32 v4, v2, s7
	s_cbranch_scc1 .LBB106_30
; %bb.29:
	s_load_dwordx4 s[8:11], s[34:35], 0x10
	s_load_dwordx2 s[6:7], s[34:35], 0xcc
	s_waitcnt lgkmcnt(0)
	v_mul_hi_u32 v2, s9, v1
	v_add_u32_e32 v2, v1, v2
	v_lshrrev_b32_e32 v2, s10, v2
	v_mul_lo_u32 v2, v2, s8
	v_sub_u32_e32 v1, v1, v2
	v_mad_u64_u32 v[30:31], s[8:9], v1, s6, v[30:31]
	v_mad_u64_u32 v[4:5], s[6:7], v1, s7, v[4:5]
.LBB106_30:
	s_and_b64 vcc, exec, s[4:5]
	v_add_u32_e32 v1, 0x80, v28
	s_cbranch_vccnz .LBB106_36
; %bb.31:
	s_cmp_lg_u32 s33, 0
	s_mov_b32 s30, 0
	s_cbranch_scc0 .LBB106_37
; %bb.32:
	s_min_u32 s31, s70, 15
	s_add_i32 s31, s31, 1
	s_cmp_eq_u32 s70, 2
	s_cbranch_scc1 .LBB106_38
; %bb.33:
	s_and_b32 s30, s31, 28
	s_add_u32 s6, s34, 0xc4
	s_addc_u32 s7, s35, 0
	v_mov_b32_e32 v22, 0
	s_waitcnt lgkmcnt(0)
	s_mov_b32 s36, 0
	s_mov_b64 s[28:29], s[34:35]
	v_mov_b32_e32 v31, 0
	v_mov_b32_e32 v2, v1
.LBB106_34:                             ; =>This Inner Loop Header: Depth=1
	s_load_dwordx8 s[16:23], s[28:29], 0x4
	s_load_dwordx4 s[24:27], s[28:29], 0x24
	s_load_dwordx8 s[8:15], s[6:7], 0x0
	s_add_u32 s28, s28, 48
	s_addc_u32 s29, s29, 0
	s_waitcnt lgkmcnt(0)
	v_mul_hi_u32 v3, s17, v2
	s_add_i32 s36, s36, 4
	s_add_u32 s6, s6, 32
	s_addc_u32 s7, s7, 0
	v_add_u32_e32 v3, v2, v3
	v_lshrrev_b32_e32 v3, s18, v3
	v_mul_lo_u32 v5, v3, s16
	v_mul_hi_u32 v6, s20, v3
	s_cmp_lg_u32 s30, s36
	v_sub_u32_e32 v2, v2, v5
	v_add_u32_e32 v5, v3, v6
	v_mul_lo_u32 v6, v2, s8
	v_mul_lo_u32 v7, v2, s9
	v_lshrrev_b32_e32 v2, s21, v5
	v_mul_lo_u32 v5, v2, s19
	v_mul_hi_u32 v8, s23, v2
	v_sub_u32_e32 v3, v3, v5
	v_add_u32_e32 v5, v2, v8
	v_lshrrev_b32_e32 v5, s24, v5
	v_mul_hi_u32 v9, s26, v5
	v_mul_lo_u32 v10, v5, s22
	v_mul_lo_u32 v8, v3, s10
	;; [unrolled: 1-line block ×3, first 2 shown]
	v_sub_u32_e32 v10, v2, v10
	v_add_u32_e32 v2, v5, v9
	v_lshrrev_b32_e32 v2, s27, v2
	v_mul_lo_u32 v9, v2, s25
	v_mul_lo_u32 v11, v10, s12
	;; [unrolled: 1-line block ×3, first 2 shown]
	v_add3_u32 v6, v6, v31, v8
	v_sub_u32_e32 v5, v5, v9
	v_mul_lo_u32 v9, v5, s14
	v_mul_lo_u32 v5, v5, s15
	v_add3_u32 v3, v7, v22, v3
	v_add3_u32 v31, v11, v6, v9
	v_add3_u32 v22, v10, v3, v5
	s_cbranch_scc1 .LBB106_34
; %bb.35:
	s_and_b32 s10, s31, 3
	s_cmp_eq_u32 s10, 0
	s_cbranch_scc0 .LBB106_39
	s_branch .LBB106_41
.LBB106_36:
                                        ; implicit-def: $vgpr31
                                        ; implicit-def: $vgpr22
	s_branch .LBB106_42
.LBB106_37:
	v_mov_b32_e32 v31, 0
	v_mov_b32_e32 v22, 0
	s_branch .LBB106_41
.LBB106_38:
	v_mov_b32_e32 v31, 0
	v_mov_b32_e32 v22, 0
	;; [unrolled: 1-line block ×3, first 2 shown]
	s_and_b32 s10, s31, 3
	s_cmp_eq_u32 s10, 0
	s_cbranch_scc1 .LBB106_41
.LBB106_39:
	s_lshl_b32 s6, s30, 3
	s_add_u32 s6, s34, s6
	s_addc_u32 s7, s35, 0
	s_add_u32 s6, s6, 0xc4
	s_addc_u32 s7, s7, 0
	s_mul_i32 s8, s30, 12
	s_add_u32 s8, s34, s8
	s_addc_u32 s9, s35, 0
.LBB106_40:                             ; =>This Inner Loop Header: Depth=1
	s_load_dwordx2 s[12:13], s[8:9], 0x4
	s_load_dword s11, s[8:9], 0xc
	s_load_dwordx2 s[14:15], s[6:7], 0x0
	s_add_u32 s8, s8, 12
	s_addc_u32 s9, s9, 0
	s_waitcnt lgkmcnt(0)
	v_mul_hi_u32 v3, s13, v2
	s_add_u32 s6, s6, 8
	s_addc_u32 s7, s7, 0
	s_add_i32 s10, s10, -1
	v_add_u32_e32 v3, v2, v3
	v_lshrrev_b32_e32 v3, s11, v3
	v_mul_lo_u32 v5, v3, s12
	s_cmp_lg_u32 s10, 0
	v_sub_u32_e32 v2, v2, v5
	v_mad_u64_u32 v[31:32], s[12:13], v2, s14, v[31:32]
	v_mad_u64_u32 v[22:23], s[12:13], v2, s15, v[22:23]
	v_mov_b32_e32 v2, v3
	s_cbranch_scc1 .LBB106_40
.LBB106_41:
	s_cbranch_execnz .LBB106_44
.LBB106_42:
	s_load_dwordx4 s[8:11], s[34:35], 0x4
	s_load_dwordx2 s[6:7], s[34:35], 0xc4
	s_cmp_lt_u32 s33, 2
	s_waitcnt lgkmcnt(0)
	v_mul_hi_u32 v2, s9, v1
	v_add_u32_e32 v2, v1, v2
	v_lshrrev_b32_e32 v2, s10, v2
	v_mul_lo_u32 v3, v2, s8
	v_sub_u32_e32 v1, v1, v3
	v_mul_lo_u32 v31, v1, s6
	v_mul_lo_u32 v22, v1, s7
	s_cbranch_scc1 .LBB106_44
; %bb.43:
	s_load_dwordx4 s[8:11], s[34:35], 0x10
	s_load_dwordx2 s[6:7], s[34:35], 0xcc
	s_waitcnt lgkmcnt(0)
	v_mul_hi_u32 v1, s9, v2
	v_add_u32_e32 v1, v2, v1
	v_lshrrev_b32_e32 v1, s10, v1
	v_mul_lo_u32 v1, v1, s8
	v_sub_u32_e32 v1, v2, v1
	v_mad_u64_u32 v[31:32], s[8:9], v1, s6, v[31:32]
	v_mad_u64_u32 v[22:23], s[6:7], v1, s7, v[22:23]
.LBB106_44:
	s_and_b64 vcc, exec, s[4:5]
	v_add_u32_e32 v1, 0x100, v28
	s_cbranch_vccnz .LBB106_50
; %bb.45:
	s_cmp_lg_u32 s33, 0
	s_mov_b32 s30, 0
	s_cbranch_scc0 .LBB106_51
; %bb.46:
	s_min_u32 s31, s70, 15
	s_add_i32 s31, s31, 1
	s_cmp_eq_u32 s70, 2
	s_cbranch_scc1 .LBB106_52
; %bb.47:
	s_and_b32 s30, s31, 28
	s_add_u32 s6, s34, 0xc4
	s_addc_u32 s7, s35, 0
	v_mov_b32_e32 v23, 0
	s_waitcnt lgkmcnt(0)
	s_mov_b32 s36, 0
	s_mov_b64 s[28:29], s[34:35]
	v_mov_b32_e32 v32, 0
	v_mov_b32_e32 v2, v1
.LBB106_48:                             ; =>This Inner Loop Header: Depth=1
	s_load_dwordx8 s[16:23], s[28:29], 0x4
	s_load_dwordx4 s[24:27], s[28:29], 0x24
	s_load_dwordx8 s[8:15], s[6:7], 0x0
	s_add_u32 s28, s28, 48
	s_addc_u32 s29, s29, 0
	s_waitcnt lgkmcnt(0)
	v_mul_hi_u32 v3, s17, v2
	s_add_i32 s36, s36, 4
	s_add_u32 s6, s6, 32
	s_addc_u32 s7, s7, 0
	v_add_u32_e32 v3, v2, v3
	v_lshrrev_b32_e32 v3, s18, v3
	v_mul_lo_u32 v5, v3, s16
	v_mul_hi_u32 v6, s20, v3
	s_cmp_lg_u32 s30, s36
	v_sub_u32_e32 v2, v2, v5
	v_add_u32_e32 v5, v3, v6
	v_mul_lo_u32 v6, v2, s8
	v_mul_lo_u32 v7, v2, s9
	v_lshrrev_b32_e32 v2, s21, v5
	v_mul_lo_u32 v5, v2, s19
	v_mul_hi_u32 v8, s23, v2
	v_sub_u32_e32 v3, v3, v5
	v_add_u32_e32 v5, v2, v8
	v_lshrrev_b32_e32 v5, s24, v5
	v_mul_hi_u32 v9, s26, v5
	v_mul_lo_u32 v10, v5, s22
	v_mul_lo_u32 v8, v3, s10
	;; [unrolled: 1-line block ×3, first 2 shown]
	v_sub_u32_e32 v10, v2, v10
	v_add_u32_e32 v2, v5, v9
	v_lshrrev_b32_e32 v2, s27, v2
	v_mul_lo_u32 v9, v2, s25
	v_mul_lo_u32 v11, v10, s12
	;; [unrolled: 1-line block ×3, first 2 shown]
	v_add3_u32 v6, v6, v32, v8
	v_sub_u32_e32 v5, v5, v9
	v_mul_lo_u32 v9, v5, s14
	v_mul_lo_u32 v5, v5, s15
	v_add3_u32 v3, v7, v23, v3
	v_add3_u32 v32, v11, v6, v9
	;; [unrolled: 1-line block ×3, first 2 shown]
	s_cbranch_scc1 .LBB106_48
; %bb.49:
	s_and_b32 s10, s31, 3
	s_cmp_eq_u32 s10, 0
	s_cbranch_scc0 .LBB106_53
	s_branch .LBB106_55
.LBB106_50:
                                        ; implicit-def: $vgpr32
                                        ; implicit-def: $vgpr23
	s_branch .LBB106_56
.LBB106_51:
	v_mov_b32_e32 v32, 0
	v_mov_b32_e32 v23, 0
	s_branch .LBB106_55
.LBB106_52:
	v_mov_b32_e32 v32, 0
	v_mov_b32_e32 v23, 0
	;; [unrolled: 1-line block ×3, first 2 shown]
	s_and_b32 s10, s31, 3
	s_cmp_eq_u32 s10, 0
	s_cbranch_scc1 .LBB106_55
.LBB106_53:
	s_lshl_b32 s6, s30, 3
	s_add_u32 s6, s34, s6
	s_addc_u32 s7, s35, 0
	s_add_u32 s6, s6, 0xc4
	s_addc_u32 s7, s7, 0
	s_mul_i32 s8, s30, 12
	s_add_u32 s8, s34, s8
	s_addc_u32 s9, s35, 0
.LBB106_54:                             ; =>This Inner Loop Header: Depth=1
	s_load_dwordx2 s[12:13], s[8:9], 0x4
	s_load_dword s11, s[8:9], 0xc
	s_load_dwordx2 s[14:15], s[6:7], 0x0
	s_add_u32 s8, s8, 12
	s_addc_u32 s9, s9, 0
	s_waitcnt lgkmcnt(0)
	v_mul_hi_u32 v3, s13, v2
	s_add_u32 s6, s6, 8
	s_addc_u32 s7, s7, 0
	s_add_i32 s10, s10, -1
	v_add_u32_e32 v3, v2, v3
	v_lshrrev_b32_e32 v3, s11, v3
	v_mul_lo_u32 v5, v3, s12
	s_cmp_lg_u32 s10, 0
	v_sub_u32_e32 v2, v2, v5
	v_mad_u64_u32 v[32:33], s[12:13], v2, s14, v[32:33]
	v_mad_u64_u32 v[23:24], s[12:13], v2, s15, v[23:24]
	v_mov_b32_e32 v2, v3
	s_cbranch_scc1 .LBB106_54
.LBB106_55:
	s_cbranch_execnz .LBB106_58
.LBB106_56:
	s_load_dwordx4 s[8:11], s[34:35], 0x4
	s_load_dwordx2 s[6:7], s[34:35], 0xc4
	s_cmp_lt_u32 s33, 2
	s_waitcnt lgkmcnt(0)
	v_mul_hi_u32 v2, s9, v1
	v_add_u32_e32 v2, v1, v2
	v_lshrrev_b32_e32 v2, s10, v2
	v_mul_lo_u32 v3, v2, s8
	v_sub_u32_e32 v1, v1, v3
	v_mul_lo_u32 v32, v1, s6
	v_mul_lo_u32 v23, v1, s7
	s_cbranch_scc1 .LBB106_58
; %bb.57:
	s_load_dwordx4 s[8:11], s[34:35], 0x10
	s_load_dwordx2 s[6:7], s[34:35], 0xcc
	s_waitcnt lgkmcnt(0)
	v_mul_hi_u32 v1, s9, v2
	v_add_u32_e32 v1, v2, v1
	v_lshrrev_b32_e32 v1, s10, v1
	v_mul_lo_u32 v1, v1, s8
	v_sub_u32_e32 v1, v2, v1
	v_mad_u64_u32 v[32:33], s[8:9], v1, s6, v[32:33]
	v_mad_u64_u32 v[23:24], s[6:7], v1, s7, v[23:24]
.LBB106_58:
	s_and_b64 vcc, exec, s[4:5]
	v_add_u32_e32 v1, 0x180, v28
	s_cbranch_vccnz .LBB106_64
; %bb.59:
	s_cmp_lg_u32 s33, 0
	s_mov_b32 s30, 0
	s_cbranch_scc0 .LBB106_65
; %bb.60:
	s_min_u32 s31, s70, 15
	s_add_i32 s31, s31, 1
	s_cmp_eq_u32 s70, 2
	s_cbranch_scc1 .LBB106_66
; %bb.61:
	s_and_b32 s30, s31, 28
	s_add_u32 s6, s34, 0xc4
	s_addc_u32 s7, s35, 0
	v_mov_b32_e32 v24, 0
	s_waitcnt lgkmcnt(0)
	s_mov_b32 s36, 0
	s_mov_b64 s[28:29], s[34:35]
	v_mov_b32_e32 v33, 0
	v_mov_b32_e32 v2, v1
.LBB106_62:                             ; =>This Inner Loop Header: Depth=1
	s_load_dwordx8 s[16:23], s[28:29], 0x4
	s_load_dwordx4 s[24:27], s[28:29], 0x24
	s_load_dwordx8 s[8:15], s[6:7], 0x0
	s_add_u32 s28, s28, 48
	s_addc_u32 s29, s29, 0
	s_waitcnt lgkmcnt(0)
	v_mul_hi_u32 v3, s17, v2
	s_add_i32 s36, s36, 4
	s_add_u32 s6, s6, 32
	s_addc_u32 s7, s7, 0
	v_add_u32_e32 v3, v2, v3
	v_lshrrev_b32_e32 v3, s18, v3
	v_mul_lo_u32 v5, v3, s16
	v_mul_hi_u32 v6, s20, v3
	s_cmp_lg_u32 s30, s36
	v_sub_u32_e32 v2, v2, v5
	v_add_u32_e32 v5, v3, v6
	v_mul_lo_u32 v6, v2, s8
	v_mul_lo_u32 v7, v2, s9
	v_lshrrev_b32_e32 v2, s21, v5
	v_mul_lo_u32 v5, v2, s19
	v_mul_hi_u32 v8, s23, v2
	v_sub_u32_e32 v3, v3, v5
	v_add_u32_e32 v5, v2, v8
	v_lshrrev_b32_e32 v5, s24, v5
	v_mul_hi_u32 v9, s26, v5
	v_mul_lo_u32 v10, v5, s22
	v_mul_lo_u32 v8, v3, s10
	;; [unrolled: 1-line block ×3, first 2 shown]
	v_sub_u32_e32 v10, v2, v10
	v_add_u32_e32 v2, v5, v9
	v_lshrrev_b32_e32 v2, s27, v2
	v_mul_lo_u32 v9, v2, s25
	v_mul_lo_u32 v11, v10, s12
	;; [unrolled: 1-line block ×3, first 2 shown]
	v_add3_u32 v6, v6, v33, v8
	v_sub_u32_e32 v5, v5, v9
	v_mul_lo_u32 v9, v5, s14
	v_mul_lo_u32 v5, v5, s15
	v_add3_u32 v3, v7, v24, v3
	v_add3_u32 v33, v11, v6, v9
	;; [unrolled: 1-line block ×3, first 2 shown]
	s_cbranch_scc1 .LBB106_62
; %bb.63:
	s_and_b32 s10, s31, 3
	s_cmp_eq_u32 s10, 0
	s_cbranch_scc0 .LBB106_67
	s_branch .LBB106_69
.LBB106_64:
                                        ; implicit-def: $vgpr33
                                        ; implicit-def: $vgpr24
	s_branch .LBB106_70
.LBB106_65:
	v_mov_b32_e32 v33, 0
	v_mov_b32_e32 v24, 0
	s_branch .LBB106_69
.LBB106_66:
	v_mov_b32_e32 v33, 0
	v_mov_b32_e32 v24, 0
	;; [unrolled: 1-line block ×3, first 2 shown]
	s_and_b32 s10, s31, 3
	s_cmp_eq_u32 s10, 0
	s_cbranch_scc1 .LBB106_69
.LBB106_67:
	s_lshl_b32 s6, s30, 3
	s_add_u32 s6, s34, s6
	s_addc_u32 s7, s35, 0
	s_add_u32 s6, s6, 0xc4
	s_addc_u32 s7, s7, 0
	s_mul_i32 s8, s30, 12
	s_add_u32 s8, s34, s8
	s_addc_u32 s9, s35, 0
.LBB106_68:                             ; =>This Inner Loop Header: Depth=1
	s_load_dwordx2 s[12:13], s[8:9], 0x4
	s_load_dword s11, s[8:9], 0xc
	s_load_dwordx2 s[14:15], s[6:7], 0x0
	s_add_u32 s8, s8, 12
	s_addc_u32 s9, s9, 0
	s_waitcnt lgkmcnt(0)
	v_mul_hi_u32 v3, s13, v2
	s_add_u32 s6, s6, 8
	s_addc_u32 s7, s7, 0
	s_add_i32 s10, s10, -1
	v_add_u32_e32 v3, v2, v3
	v_lshrrev_b32_e32 v3, s11, v3
	v_mul_lo_u32 v5, v3, s12
	s_cmp_lg_u32 s10, 0
	v_sub_u32_e32 v2, v2, v5
	v_mad_u64_u32 v[33:34], s[12:13], v2, s14, v[33:34]
	v_mad_u64_u32 v[24:25], s[12:13], v2, s15, v[24:25]
	v_mov_b32_e32 v2, v3
	s_cbranch_scc1 .LBB106_68
.LBB106_69:
	s_cbranch_execnz .LBB106_72
.LBB106_70:
	s_load_dwordx4 s[8:11], s[34:35], 0x4
	s_load_dwordx2 s[6:7], s[34:35], 0xc4
	s_cmp_lt_u32 s33, 2
	s_waitcnt lgkmcnt(0)
	v_mul_hi_u32 v2, s9, v1
	v_add_u32_e32 v2, v1, v2
	v_lshrrev_b32_e32 v2, s10, v2
	v_mul_lo_u32 v3, v2, s8
	v_sub_u32_e32 v1, v1, v3
	v_mul_lo_u32 v33, v1, s6
	v_mul_lo_u32 v24, v1, s7
	s_cbranch_scc1 .LBB106_72
; %bb.71:
	s_load_dwordx4 s[8:11], s[34:35], 0x10
	s_load_dwordx2 s[6:7], s[34:35], 0xcc
	s_waitcnt lgkmcnt(0)
	v_mul_hi_u32 v1, s9, v2
	v_add_u32_e32 v1, v2, v1
	v_lshrrev_b32_e32 v1, s10, v1
	v_mul_lo_u32 v1, v1, s8
	v_sub_u32_e32 v1, v2, v1
	v_mad_u64_u32 v[33:34], s[8:9], v1, s6, v[33:34]
	v_mad_u64_u32 v[24:25], s[6:7], v1, s7, v[24:25]
.LBB106_72:
	s_and_b64 vcc, exec, s[4:5]
	v_add_u32_e32 v1, 0x200, v28
	s_cbranch_vccnz .LBB106_78
; %bb.73:
	s_cmp_lg_u32 s33, 0
	s_mov_b32 s30, 0
	s_cbranch_scc0 .LBB106_79
; %bb.74:
	s_min_u32 s31, s70, 15
	s_add_i32 s31, s31, 1
	s_cmp_eq_u32 s70, 2
	s_cbranch_scc1 .LBB106_80
; %bb.75:
	s_and_b32 s30, s31, 28
	s_add_u32 s6, s34, 0xc4
	s_addc_u32 s7, s35, 0
	v_mov_b32_e32 v25, 0
	s_waitcnt lgkmcnt(0)
	s_mov_b32 s36, 0
	s_mov_b64 s[28:29], s[34:35]
	v_mov_b32_e32 v34, 0
	v_mov_b32_e32 v2, v1
.LBB106_76:                             ; =>This Inner Loop Header: Depth=1
	s_load_dwordx8 s[16:23], s[28:29], 0x4
	s_load_dwordx4 s[24:27], s[28:29], 0x24
	s_load_dwordx8 s[8:15], s[6:7], 0x0
	s_add_u32 s28, s28, 48
	s_addc_u32 s29, s29, 0
	s_waitcnt lgkmcnt(0)
	v_mul_hi_u32 v3, s17, v2
	s_add_i32 s36, s36, 4
	s_add_u32 s6, s6, 32
	s_addc_u32 s7, s7, 0
	v_add_u32_e32 v3, v2, v3
	v_lshrrev_b32_e32 v3, s18, v3
	v_mul_lo_u32 v5, v3, s16
	v_mul_hi_u32 v6, s20, v3
	s_cmp_lg_u32 s30, s36
	v_sub_u32_e32 v2, v2, v5
	v_add_u32_e32 v5, v3, v6
	v_mul_lo_u32 v6, v2, s8
	v_mul_lo_u32 v7, v2, s9
	v_lshrrev_b32_e32 v2, s21, v5
	v_mul_lo_u32 v5, v2, s19
	v_mul_hi_u32 v8, s23, v2
	v_sub_u32_e32 v3, v3, v5
	v_add_u32_e32 v5, v2, v8
	v_lshrrev_b32_e32 v5, s24, v5
	v_mul_hi_u32 v9, s26, v5
	v_mul_lo_u32 v10, v5, s22
	v_mul_lo_u32 v8, v3, s10
	v_mul_lo_u32 v3, v3, s11
	v_sub_u32_e32 v10, v2, v10
	v_add_u32_e32 v2, v5, v9
	v_lshrrev_b32_e32 v2, s27, v2
	v_mul_lo_u32 v9, v2, s25
	v_mul_lo_u32 v11, v10, s12
	v_mul_lo_u32 v10, v10, s13
	v_add3_u32 v6, v6, v34, v8
	v_sub_u32_e32 v5, v5, v9
	v_mul_lo_u32 v9, v5, s14
	v_mul_lo_u32 v5, v5, s15
	v_add3_u32 v3, v7, v25, v3
	v_add3_u32 v34, v11, v6, v9
	;; [unrolled: 1-line block ×3, first 2 shown]
	s_cbranch_scc1 .LBB106_76
; %bb.77:
	s_and_b32 s10, s31, 3
	s_cmp_eq_u32 s10, 0
	s_cbranch_scc0 .LBB106_81
	s_branch .LBB106_83
.LBB106_78:
                                        ; implicit-def: $vgpr34
                                        ; implicit-def: $vgpr25
	s_branch .LBB106_84
.LBB106_79:
	v_mov_b32_e32 v34, 0
	v_mov_b32_e32 v25, 0
	s_branch .LBB106_83
.LBB106_80:
	v_mov_b32_e32 v34, 0
	v_mov_b32_e32 v25, 0
	;; [unrolled: 1-line block ×3, first 2 shown]
	s_and_b32 s10, s31, 3
	s_cmp_eq_u32 s10, 0
	s_cbranch_scc1 .LBB106_83
.LBB106_81:
	s_lshl_b32 s6, s30, 3
	s_add_u32 s6, s34, s6
	s_addc_u32 s7, s35, 0
	s_add_u32 s6, s6, 0xc4
	s_addc_u32 s7, s7, 0
	s_mul_i32 s8, s30, 12
	s_add_u32 s8, s34, s8
	s_addc_u32 s9, s35, 0
.LBB106_82:                             ; =>This Inner Loop Header: Depth=1
	s_load_dwordx2 s[12:13], s[8:9], 0x4
	s_load_dword s11, s[8:9], 0xc
	s_load_dwordx2 s[14:15], s[6:7], 0x0
	s_add_u32 s8, s8, 12
	s_addc_u32 s9, s9, 0
	s_waitcnt lgkmcnt(0)
	v_mul_hi_u32 v3, s13, v2
	s_add_u32 s6, s6, 8
	s_addc_u32 s7, s7, 0
	s_add_i32 s10, s10, -1
	v_add_u32_e32 v3, v2, v3
	v_lshrrev_b32_e32 v3, s11, v3
	v_mul_lo_u32 v5, v3, s12
	s_cmp_lg_u32 s10, 0
	v_sub_u32_e32 v2, v2, v5
	v_mad_u64_u32 v[34:35], s[12:13], v2, s14, v[34:35]
	v_mad_u64_u32 v[25:26], s[12:13], v2, s15, v[25:26]
	v_mov_b32_e32 v2, v3
	s_cbranch_scc1 .LBB106_82
.LBB106_83:
	s_cbranch_execnz .LBB106_86
.LBB106_84:
	s_load_dwordx4 s[8:11], s[34:35], 0x4
	s_load_dwordx2 s[6:7], s[34:35], 0xc4
	s_cmp_lt_u32 s33, 2
	s_waitcnt lgkmcnt(0)
	v_mul_hi_u32 v2, s9, v1
	v_add_u32_e32 v2, v1, v2
	v_lshrrev_b32_e32 v2, s10, v2
	v_mul_lo_u32 v3, v2, s8
	v_sub_u32_e32 v1, v1, v3
	v_mul_lo_u32 v34, v1, s6
	v_mul_lo_u32 v25, v1, s7
	s_cbranch_scc1 .LBB106_86
; %bb.85:
	s_load_dwordx4 s[8:11], s[34:35], 0x10
	s_load_dwordx2 s[6:7], s[34:35], 0xcc
	s_waitcnt lgkmcnt(0)
	v_mul_hi_u32 v1, s9, v2
	v_add_u32_e32 v1, v2, v1
	v_lshrrev_b32_e32 v1, s10, v1
	v_mul_lo_u32 v1, v1, s8
	v_sub_u32_e32 v1, v2, v1
	v_mad_u64_u32 v[34:35], s[8:9], v1, s6, v[34:35]
	v_mad_u64_u32 v[25:26], s[6:7], v1, s7, v[25:26]
.LBB106_86:
	s_and_b64 vcc, exec, s[4:5]
	v_add_u32_e32 v1, 0x280, v28
	s_cbranch_vccnz .LBB106_92
; %bb.87:
	s_cmp_lg_u32 s33, 0
	s_mov_b32 s30, 0
	s_cbranch_scc0 .LBB106_93
; %bb.88:
	s_min_u32 s31, s70, 15
	s_add_i32 s31, s31, 1
	s_cmp_eq_u32 s70, 2
	s_cbranch_scc1 .LBB106_94
; %bb.89:
	s_and_b32 s30, s31, 28
	s_add_u32 s6, s34, 0xc4
	s_addc_u32 s7, s35, 0
	v_mov_b32_e32 v26, 0
	s_waitcnt lgkmcnt(0)
	s_mov_b32 s36, 0
	s_mov_b64 s[28:29], s[34:35]
	v_mov_b32_e32 v35, 0
	v_mov_b32_e32 v2, v1
.LBB106_90:                             ; =>This Inner Loop Header: Depth=1
	s_load_dwordx8 s[16:23], s[28:29], 0x4
	s_load_dwordx4 s[24:27], s[28:29], 0x24
	s_load_dwordx8 s[8:15], s[6:7], 0x0
	s_add_u32 s28, s28, 48
	s_addc_u32 s29, s29, 0
	s_waitcnt lgkmcnt(0)
	v_mul_hi_u32 v3, s17, v2
	s_add_i32 s36, s36, 4
	s_add_u32 s6, s6, 32
	s_addc_u32 s7, s7, 0
	v_add_u32_e32 v3, v2, v3
	v_lshrrev_b32_e32 v3, s18, v3
	v_mul_lo_u32 v5, v3, s16
	v_mul_hi_u32 v6, s20, v3
	s_cmp_lg_u32 s30, s36
	v_sub_u32_e32 v2, v2, v5
	v_add_u32_e32 v5, v3, v6
	v_mul_lo_u32 v6, v2, s8
	v_mul_lo_u32 v7, v2, s9
	v_lshrrev_b32_e32 v2, s21, v5
	v_mul_lo_u32 v5, v2, s19
	v_mul_hi_u32 v8, s23, v2
	v_sub_u32_e32 v3, v3, v5
	v_add_u32_e32 v5, v2, v8
	v_lshrrev_b32_e32 v5, s24, v5
	v_mul_hi_u32 v9, s26, v5
	v_mul_lo_u32 v10, v5, s22
	v_mul_lo_u32 v8, v3, s10
	;; [unrolled: 1-line block ×3, first 2 shown]
	v_sub_u32_e32 v10, v2, v10
	v_add_u32_e32 v2, v5, v9
	v_lshrrev_b32_e32 v2, s27, v2
	v_mul_lo_u32 v9, v2, s25
	v_mul_lo_u32 v11, v10, s12
	;; [unrolled: 1-line block ×3, first 2 shown]
	v_add3_u32 v6, v6, v35, v8
	v_sub_u32_e32 v5, v5, v9
	v_mul_lo_u32 v9, v5, s14
	v_mul_lo_u32 v5, v5, s15
	v_add3_u32 v3, v7, v26, v3
	v_add3_u32 v35, v11, v6, v9
	;; [unrolled: 1-line block ×3, first 2 shown]
	s_cbranch_scc1 .LBB106_90
; %bb.91:
	s_and_b32 s10, s31, 3
	s_cmp_eq_u32 s10, 0
	s_cbranch_scc0 .LBB106_95
	s_branch .LBB106_97
.LBB106_92:
                                        ; implicit-def: $vgpr35
                                        ; implicit-def: $vgpr26
	s_branch .LBB106_98
.LBB106_93:
	v_mov_b32_e32 v35, 0
	v_mov_b32_e32 v26, 0
	s_branch .LBB106_97
.LBB106_94:
	v_mov_b32_e32 v35, 0
	v_mov_b32_e32 v26, 0
	;; [unrolled: 1-line block ×3, first 2 shown]
	s_and_b32 s10, s31, 3
	s_cmp_eq_u32 s10, 0
	s_cbranch_scc1 .LBB106_97
.LBB106_95:
	s_lshl_b32 s6, s30, 3
	s_add_u32 s6, s34, s6
	s_addc_u32 s7, s35, 0
	s_add_u32 s6, s6, 0xc4
	s_addc_u32 s7, s7, 0
	s_mul_i32 s8, s30, 12
	s_add_u32 s8, s34, s8
	s_addc_u32 s9, s35, 0
.LBB106_96:                             ; =>This Inner Loop Header: Depth=1
	s_load_dwordx2 s[12:13], s[8:9], 0x4
	s_load_dword s11, s[8:9], 0xc
	s_load_dwordx2 s[14:15], s[6:7], 0x0
	s_add_u32 s8, s8, 12
	s_addc_u32 s9, s9, 0
	s_waitcnt lgkmcnt(0)
	v_mul_hi_u32 v3, s13, v2
	s_add_u32 s6, s6, 8
	s_addc_u32 s7, s7, 0
	s_add_i32 s10, s10, -1
	v_add_u32_e32 v3, v2, v3
	v_lshrrev_b32_e32 v3, s11, v3
	v_mul_lo_u32 v5, v3, s12
	s_cmp_lg_u32 s10, 0
	v_sub_u32_e32 v2, v2, v5
	v_mad_u64_u32 v[35:36], s[12:13], v2, s14, v[35:36]
	v_mad_u64_u32 v[26:27], s[12:13], v2, s15, v[26:27]
	v_mov_b32_e32 v2, v3
	s_cbranch_scc1 .LBB106_96
.LBB106_97:
	s_cbranch_execnz .LBB106_100
.LBB106_98:
	s_load_dwordx4 s[8:11], s[34:35], 0x4
	s_load_dwordx2 s[6:7], s[34:35], 0xc4
	s_cmp_lt_u32 s33, 2
	s_waitcnt lgkmcnt(0)
	v_mul_hi_u32 v2, s9, v1
	v_add_u32_e32 v2, v1, v2
	v_lshrrev_b32_e32 v2, s10, v2
	v_mul_lo_u32 v3, v2, s8
	v_sub_u32_e32 v1, v1, v3
	v_mul_lo_u32 v35, v1, s6
	v_mul_lo_u32 v26, v1, s7
	s_cbranch_scc1 .LBB106_100
; %bb.99:
	s_load_dwordx4 s[8:11], s[34:35], 0x10
	s_load_dwordx2 s[6:7], s[34:35], 0xcc
	s_waitcnt lgkmcnt(0)
	v_mul_hi_u32 v1, s9, v2
	v_add_u32_e32 v1, v2, v1
	v_lshrrev_b32_e32 v1, s10, v1
	v_mul_lo_u32 v1, v1, s8
	v_sub_u32_e32 v1, v2, v1
	v_mad_u64_u32 v[35:36], s[8:9], v1, s6, v[35:36]
	v_mad_u64_u32 v[26:27], s[6:7], v1, s7, v[26:27]
.LBB106_100:
	s_and_b64 vcc, exec, s[4:5]
	v_add_u32_e32 v1, 0x300, v28
	s_cbranch_vccnz .LBB106_106
; %bb.101:
	s_cmp_lg_u32 s33, 0
	s_mov_b32 s30, 0
	s_cbranch_scc0 .LBB106_107
; %bb.102:
	s_min_u32 s31, s70, 15
	s_add_i32 s31, s31, 1
	s_cmp_eq_u32 s70, 2
	s_cbranch_scc1 .LBB106_108
; %bb.103:
	s_and_b32 s30, s31, 28
	s_add_u32 s6, s34, 0xc4
	s_addc_u32 s7, s35, 0
	v_mov_b32_e32 v27, 0
	s_waitcnt lgkmcnt(0)
	s_mov_b32 s36, 0
	s_mov_b64 s[28:29], s[34:35]
	v_mov_b32_e32 v36, 0
	v_mov_b32_e32 v2, v1
.LBB106_104:                            ; =>This Inner Loop Header: Depth=1
	s_load_dwordx8 s[16:23], s[28:29], 0x4
	s_load_dwordx4 s[24:27], s[28:29], 0x24
	s_load_dwordx8 s[8:15], s[6:7], 0x0
	s_add_u32 s28, s28, 48
	s_addc_u32 s29, s29, 0
	s_waitcnt lgkmcnt(0)
	v_mul_hi_u32 v3, s17, v2
	s_add_i32 s36, s36, 4
	s_add_u32 s6, s6, 32
	s_addc_u32 s7, s7, 0
	v_add_u32_e32 v3, v2, v3
	v_lshrrev_b32_e32 v3, s18, v3
	v_mul_lo_u32 v5, v3, s16
	v_mul_hi_u32 v6, s20, v3
	s_cmp_lg_u32 s30, s36
	v_sub_u32_e32 v2, v2, v5
	v_add_u32_e32 v5, v3, v6
	v_mul_lo_u32 v6, v2, s8
	v_mul_lo_u32 v7, v2, s9
	v_lshrrev_b32_e32 v2, s21, v5
	v_mul_lo_u32 v5, v2, s19
	v_mul_hi_u32 v8, s23, v2
	v_sub_u32_e32 v3, v3, v5
	v_add_u32_e32 v5, v2, v8
	v_lshrrev_b32_e32 v5, s24, v5
	v_mul_hi_u32 v9, s26, v5
	v_mul_lo_u32 v10, v5, s22
	v_mul_lo_u32 v8, v3, s10
	;; [unrolled: 1-line block ×3, first 2 shown]
	v_sub_u32_e32 v10, v2, v10
	v_add_u32_e32 v2, v5, v9
	v_lshrrev_b32_e32 v2, s27, v2
	v_mul_lo_u32 v9, v2, s25
	v_mul_lo_u32 v11, v10, s12
	;; [unrolled: 1-line block ×3, first 2 shown]
	v_add3_u32 v6, v6, v36, v8
	v_sub_u32_e32 v5, v5, v9
	v_mul_lo_u32 v9, v5, s14
	v_mul_lo_u32 v5, v5, s15
	v_add3_u32 v3, v7, v27, v3
	v_add3_u32 v36, v11, v6, v9
	;; [unrolled: 1-line block ×3, first 2 shown]
	s_cbranch_scc1 .LBB106_104
; %bb.105:
	s_and_b32 s10, s31, 3
	s_cmp_eq_u32 s10, 0
	s_cbranch_scc0 .LBB106_109
	s_branch .LBB106_111
.LBB106_106:
                                        ; implicit-def: $vgpr36
                                        ; implicit-def: $vgpr27
	s_branch .LBB106_112
.LBB106_107:
	v_mov_b32_e32 v36, 0
	v_mov_b32_e32 v27, 0
	s_branch .LBB106_111
.LBB106_108:
	v_mov_b32_e32 v36, 0
	v_mov_b32_e32 v27, 0
	;; [unrolled: 1-line block ×3, first 2 shown]
	s_and_b32 s10, s31, 3
	s_cmp_eq_u32 s10, 0
	s_cbranch_scc1 .LBB106_111
.LBB106_109:
	s_lshl_b32 s6, s30, 3
	s_add_u32 s6, s34, s6
	s_addc_u32 s7, s35, 0
	s_add_u32 s6, s6, 0xc4
	s_addc_u32 s7, s7, 0
	s_mul_i32 s8, s30, 12
	s_add_u32 s8, s34, s8
	s_addc_u32 s9, s35, 0
.LBB106_110:                            ; =>This Inner Loop Header: Depth=1
	s_load_dwordx2 s[12:13], s[8:9], 0x4
	s_load_dword s11, s[8:9], 0xc
	s_load_dwordx2 s[14:15], s[6:7], 0x0
	s_add_u32 s8, s8, 12
	s_addc_u32 s9, s9, 0
	s_waitcnt lgkmcnt(0)
	v_mul_hi_u32 v3, s13, v2
	s_add_u32 s6, s6, 8
	s_addc_u32 s7, s7, 0
	s_add_i32 s10, s10, -1
	v_add_u32_e32 v3, v2, v3
	v_lshrrev_b32_e32 v3, s11, v3
	v_mul_lo_u32 v5, v3, s12
	s_cmp_lg_u32 s10, 0
	v_sub_u32_e32 v2, v2, v5
	v_mad_u64_u32 v[36:37], s[12:13], v2, s14, v[36:37]
	v_mad_u64_u32 v[27:28], s[12:13], v2, s15, v[27:28]
	v_mov_b32_e32 v2, v3
	s_cbranch_scc1 .LBB106_110
.LBB106_111:
	s_cbranch_execnz .LBB106_114
.LBB106_112:
	s_load_dwordx4 s[8:11], s[34:35], 0x4
	s_load_dwordx2 s[6:7], s[34:35], 0xc4
	s_cmp_lt_u32 s33, 2
	s_waitcnt lgkmcnt(0)
	v_mul_hi_u32 v2, s9, v1
	v_add_u32_e32 v2, v1, v2
	v_lshrrev_b32_e32 v2, s10, v2
	v_mul_lo_u32 v3, v2, s8
	v_sub_u32_e32 v1, v1, v3
	v_mul_lo_u32 v36, v1, s6
	v_mul_lo_u32 v27, v1, s7
	s_cbranch_scc1 .LBB106_114
; %bb.113:
	s_load_dwordx4 s[8:11], s[34:35], 0x10
	s_load_dwordx2 s[6:7], s[34:35], 0xcc
	s_waitcnt lgkmcnt(0)
	v_mul_hi_u32 v1, s9, v2
	v_add_u32_e32 v1, v2, v1
	v_lshrrev_b32_e32 v1, s10, v1
	v_mul_lo_u32 v1, v1, s8
	v_sub_u32_e32 v1, v2, v1
	v_mad_u64_u32 v[36:37], s[8:9], v1, s6, v[36:37]
	v_mad_u64_u32 v[27:28], s[6:7], v1, s7, v[27:28]
.LBB106_114:
	s_and_b64 vcc, exec, s[4:5]
	s_cbranch_vccnz .LBB106_120
; %bb.115:
	s_cmp_lg_u32 s33, 0
	s_mov_b32 s28, 0
	s_cbranch_scc0 .LBB106_121
; %bb.116:
	s_min_u32 s29, s70, 15
	s_add_i32 s29, s29, 1
	s_cmp_eq_u32 s70, 2
	s_cbranch_scc1 .LBB106_122
; %bb.117:
	s_and_b32 s28, s29, 28
	s_add_u32 s24, s34, 0xc4
	s_addc_u32 s25, s35, 0
	v_mov_b32_e32 v28, 0
	s_mov_b32 s30, 0
	s_mov_b64 s[26:27], s[34:35]
	v_mov_b32_e32 v37, 0
	v_mov_b32_e32 v1, v0
.LBB106_118:                            ; =>This Inner Loop Header: Depth=1
	s_load_dwordx8 s[12:19], s[26:27], 0x4
	s_load_dwordx4 s[20:23], s[26:27], 0x24
	s_load_dwordx8 s[4:11], s[24:25], 0x0
	s_add_u32 s26, s26, 48
	s_addc_u32 s27, s27, 0
	s_waitcnt lgkmcnt(0)
	v_mul_hi_u32 v2, s13, v1
	s_add_i32 s30, s30, 4
	s_add_u32 s24, s24, 32
	s_addc_u32 s25, s25, 0
	v_add_u32_e32 v2, v1, v2
	v_lshrrev_b32_e32 v2, s14, v2
	v_mul_lo_u32 v3, v2, s12
	v_mul_hi_u32 v5, s16, v2
	s_cmp_lg_u32 s28, s30
	v_sub_u32_e32 v1, v1, v3
	v_add_u32_e32 v3, v2, v5
	v_mul_lo_u32 v5, v1, s4
	v_mul_lo_u32 v6, v1, s5
	v_lshrrev_b32_e32 v1, s17, v3
	v_mul_lo_u32 v3, v1, s15
	v_mul_hi_u32 v7, s19, v1
	v_sub_u32_e32 v2, v2, v3
	v_add_u32_e32 v3, v1, v7
	v_lshrrev_b32_e32 v3, s20, v3
	v_mul_hi_u32 v8, s22, v3
	v_mul_lo_u32 v9, v3, s18
	v_mul_lo_u32 v7, v2, s6
	;; [unrolled: 1-line block ×3, first 2 shown]
	v_sub_u32_e32 v9, v1, v9
	v_add_u32_e32 v1, v3, v8
	v_lshrrev_b32_e32 v1, s23, v1
	v_mul_lo_u32 v8, v1, s21
	v_mul_lo_u32 v10, v9, s8
	;; [unrolled: 1-line block ×3, first 2 shown]
	v_add3_u32 v5, v5, v37, v7
	v_sub_u32_e32 v3, v3, v8
	v_mul_lo_u32 v8, v3, s10
	v_mul_lo_u32 v3, v3, s11
	v_add3_u32 v2, v6, v28, v2
	v_add3_u32 v37, v10, v5, v8
	;; [unrolled: 1-line block ×3, first 2 shown]
	s_cbranch_scc1 .LBB106_118
; %bb.119:
	s_and_b32 s8, s29, 3
	s_cmp_eq_u32 s8, 0
	s_cbranch_scc0 .LBB106_123
	s_branch .LBB106_125
.LBB106_120:
                                        ; implicit-def: $vgpr37
                                        ; implicit-def: $vgpr28
	s_branch .LBB106_126
.LBB106_121:
	v_mov_b32_e32 v37, 0
	v_mov_b32_e32 v28, 0
	s_branch .LBB106_125
.LBB106_122:
	v_mov_b32_e32 v37, 0
	v_mov_b32_e32 v28, 0
	;; [unrolled: 1-line block ×3, first 2 shown]
	s_and_b32 s8, s29, 3
	s_cmp_eq_u32 s8, 0
	s_cbranch_scc1 .LBB106_125
.LBB106_123:
	s_lshl_b32 s4, s28, 3
	s_add_u32 s4, s34, s4
	s_addc_u32 s5, s35, 0
	s_add_u32 s4, s4, 0xc4
	s_addc_u32 s5, s5, 0
	s_mul_i32 s6, s28, 12
	s_add_u32 s6, s34, s6
	s_addc_u32 s7, s35, 0
.LBB106_124:                            ; =>This Inner Loop Header: Depth=1
	s_load_dwordx2 s[10:11], s[6:7], 0x4
	s_load_dword s9, s[6:7], 0xc
	s_load_dwordx2 s[12:13], s[4:5], 0x0
	s_add_u32 s6, s6, 12
	s_addc_u32 s7, s7, 0
	s_waitcnt lgkmcnt(0)
	v_mul_hi_u32 v2, s11, v1
	s_add_u32 s4, s4, 8
	s_addc_u32 s5, s5, 0
	s_add_i32 s8, s8, -1
	v_add_u32_e32 v2, v1, v2
	v_lshrrev_b32_e32 v2, s9, v2
	v_mul_lo_u32 v3, v2, s10
	s_cmp_lg_u32 s8, 0
	v_sub_u32_e32 v1, v1, v3
	v_mad_u64_u32 v[37:38], s[10:11], v1, s12, v[37:38]
	v_mad_u64_u32 v[28:29], s[10:11], v1, s13, v[28:29]
	v_mov_b32_e32 v1, v2
	s_cbranch_scc1 .LBB106_124
.LBB106_125:
	s_cbranch_execnz .LBB106_128
.LBB106_126:
	s_load_dwordx4 s[4:7], s[34:35], 0x4
	s_load_dwordx2 s[8:9], s[34:35], 0xc4
	s_cmp_lt_u32 s33, 2
	s_waitcnt lgkmcnt(0)
	v_mul_hi_u32 v1, s5, v0
	v_add_u32_e32 v1, v0, v1
	v_lshrrev_b32_e32 v1, s6, v1
	v_mul_lo_u32 v2, v1, s4
	v_sub_u32_e32 v0, v0, v2
	v_mul_lo_u32 v37, v0, s8
	v_mul_lo_u32 v28, v0, s9
	s_cbranch_scc1 .LBB106_128
; %bb.127:
	s_load_dwordx4 s[4:7], s[34:35], 0x10
	s_load_dwordx2 s[8:9], s[34:35], 0xcc
	s_waitcnt lgkmcnt(0)
	v_mul_hi_u32 v0, s5, v1
	v_add_u32_e32 v0, v1, v0
	v_lshrrev_b32_e32 v0, s6, v0
	v_mul_lo_u32 v0, v0, s4
	v_sub_u32_e32 v0, v1, v0
	v_mad_u64_u32 v[37:38], s[4:5], v0, s8, v[37:38]
	v_mad_u64_u32 v[28:29], s[4:5], v0, s9, v[28:29]
.LBB106_128:
	s_load_dwordx2 s[46:47], s[34:35], 0x158
	s_waitcnt lgkmcnt(0)
	s_load_dwordx4 s[36:39], s[34:35], 0x148
	s_getpc_b64 s[34:35]
	s_add_u32 s34, s34, _ZN2at6native6invokeIZZZNS0_21polygamma_kernel_cudaERNS_18TensorIteratorBaseElENKUlvE_clEvENKUlvE1_clEvEUlN3c104HalfEE_j15function_traitsIS8_EEENT1_11result_typeERKT_PrKPcPKT0_i@rel32@lo+4
	s_addc_u32 s35, s35, _ZN2at6native6invokeIZZZNS0_21polygamma_kernel_cudaERNS_18TensorIteratorBaseElENKUlvE_clEvENKUlvE1_clEvEUlN3c104HalfEE_j15function_traitsIS8_EEENT1_11result_typeERKT_PrKPcPKT0_i@rel32@hi+12
	v_mov_b32_e32 v0, s46
	v_mov_b32_e32 v1, s47
	s_waitcnt lgkmcnt(0)
	v_mov_b32_e32 v2, s38
	v_mov_b32_e32 v3, s39
	s_swappc_b64 s[30:31], s[34:35]
	v_mov_b32_e32 v29, v0
	v_mov_b32_e32 v0, s46
	v_mov_b32_e32 v1, s47
	v_mov_b32_e32 v2, s38
	v_mov_b32_e32 v3, s39
	v_mov_b32_e32 v4, v22
	s_swappc_b64 s[30:31], s[34:35]
	v_mov_b32_e32 v22, v0
	v_mov_b32_e32 v0, s46
	v_mov_b32_e32 v1, s47
	v_mov_b32_e32 v2, s38
	;; [unrolled: 7-line block ×7, first 2 shown]
	v_mov_b32_e32 v3, s39
	v_mov_b32_e32 v4, v28
	s_swappc_b64 s[30:31], s[34:35]
	global_store_short v30, v29, s[36:37]
	global_store_short v31, v22, s[36:37]
	;; [unrolled: 1-line block ×8, first 2 shown]
	s_endpgm
.LBB106_129:
	v_mov_b32_e32 v22, 0
	v_mov_b32_e32 v4, 0
	s_branch .LBB106_135
.LBB106_130:
	v_mov_b32_e32 v22, 0
	v_mov_b32_e32 v4, 0
	s_branch .LBB106_151
.LBB106_131:
	s_mov_b32 s28, 0
	v_mov_b32_e32 v22, 0
	v_mov_b32_e32 v4, 0
	v_mov_b32_e32 v0, v28
.LBB106_132:
	s_and_b32 s8, s29, 3
	s_cmp_eq_u32 s8, 0
	s_cbranch_scc1 .LBB106_135
; %bb.133:
	s_lshl_b32 s4, s28, 3
	s_add_u32 s4, s34, s4
	s_addc_u32 s5, s35, 0
	s_add_u32 s4, s4, 0xc4
	s_addc_u32 s5, s5, 0
	s_mul_i32 s6, s28, 12
	s_add_u32 s6, s34, s6
	s_addc_u32 s7, s35, 0
.LBB106_134:                            ; =>This Inner Loop Header: Depth=1
	s_load_dwordx2 s[10:11], s[6:7], 0x4
	s_load_dword s9, s[6:7], 0xc
	s_load_dwordx2 s[12:13], s[4:5], 0x0
	s_add_u32 s6, s6, 12
	s_addc_u32 s7, s7, 0
	s_waitcnt lgkmcnt(0)
	v_mul_hi_u32 v1, s11, v0
	s_add_u32 s4, s4, 8
	s_addc_u32 s5, s5, 0
	s_add_i32 s8, s8, -1
	v_add_u32_e32 v1, v0, v1
	v_lshrrev_b32_e32 v1, s9, v1
	v_mul_lo_u32 v2, v1, s10
	s_cmp_lg_u32 s8, 0
	v_sub_u32_e32 v0, v0, v2
	v_mad_u64_u32 v[22:23], s[10:11], v0, s12, v[22:23]
	v_mad_u64_u32 v[4:5], s[10:11], v0, s13, v[4:5]
	v_mov_b32_e32 v0, v1
	s_cbranch_scc1 .LBB106_134
.LBB106_135:
	s_cbranch_execnz .LBB106_138
.LBB106_136:
	s_waitcnt lgkmcnt(0)
	v_mul_hi_u32 v0, s49, v28
	s_andn2_b64 vcc, exec, s[62:63]
	v_add_u32_e32 v0, v28, v0
	v_lshrrev_b32_e32 v0, s50, v0
	v_mul_lo_u32 v1, v0, s48
	v_sub_u32_e32 v1, v28, v1
	v_mul_lo_u32 v22, v1, s52
	v_mul_lo_u32 v4, v1, s53
	s_cbranch_vccnz .LBB106_138
; %bb.137:
	v_mul_hi_u32 v1, s60, v0
	v_add_u32_e32 v1, v0, v1
	v_lshrrev_b32_e32 v1, s61, v1
	v_mul_lo_u32 v1, v1, s51
	v_sub_u32_e32 v0, v0, v1
	v_mad_u64_u32 v[22:23], s[4:5], v0, s54, v[22:23]
	v_mad_u64_u32 v[4:5], s[4:5], v0, s55, v[4:5]
.LBB106_138:
	s_getpc_b64 s[4:5]
	s_add_u32 s4, s4, _ZN2at6native6invokeIZZZNS0_21polygamma_kernel_cudaERNS_18TensorIteratorBaseElENKUlvE_clEvENKUlvE1_clEvEUlN3c104HalfEE_j15function_traitsIS8_EEENT1_11result_typeERKT_PrKPcPKT0_i@rel32@lo+4
	s_addc_u32 s5, s5, _ZN2at6native6invokeIZZZNS0_21polygamma_kernel_cudaERNS_18TensorIteratorBaseElENKUlvE_clEvENKUlvE1_clEvEUlN3c104HalfEE_j15function_traitsIS8_EEENT1_11result_typeERKT_PrKPcPKT0_i@rel32@hi+12
	s_waitcnt lgkmcnt(0)
	v_mov_b32_e32 v0, s58
	v_mov_b32_e32 v1, s59
	;; [unrolled: 1-line block ×4, first 2 shown]
	s_swappc_b64 s[30:31], s[4:5]
	v_add_u32_e32 v28, 0x80, v28
	global_store_short v22, v0, s[36:37]
	s_or_b64 exec, exec, s[68:69]
	v_cmp_gt_i32_e32 vcc, s71, v28
	s_and_saveexec_b64 s[68:69], vcc
	s_cbranch_execnz .LBB106_15
.LBB106_139:
	s_or_b64 exec, exec, s[68:69]
	v_cmp_gt_i32_e32 vcc, s71, v28
	s_and_saveexec_b64 s[68:69], vcc
	s_cbranch_execz .LBB106_155
.LBB106_140:
	s_andn2_b64 vcc, exec, s[46:47]
	s_cbranch_vccnz .LBB106_145
; %bb.141:
	s_andn2_b64 vcc, exec, s[66:67]
	s_cbranch_vccnz .LBB106_146
; %bb.142:
	s_add_i32 s29, s72, 1
	s_cmp_eq_u32 s70, 2
	s_cbranch_scc1 .LBB106_163
; %bb.143:
	s_and_b32 s28, s29, 28
	v_mov_b32_e32 v4, 0
	s_mov_b32 s30, 0
	s_mov_b64 s[24:25], s[34:35]
	s_mov_b64 s[26:27], s[64:65]
	v_mov_b32_e32 v22, 0
	v_mov_b32_e32 v0, v28
.LBB106_144:                            ; =>This Inner Loop Header: Depth=1
	s_load_dwordx8 s[12:19], s[24:25], 0x4
	s_load_dwordx4 s[20:23], s[24:25], 0x24
	s_load_dwordx8 s[4:11], s[26:27], 0x0
	s_add_u32 s24, s24, 48
	s_addc_u32 s25, s25, 0
	s_waitcnt lgkmcnt(0)
	v_mul_hi_u32 v1, s13, v0
	s_add_i32 s30, s30, 4
	s_add_u32 s26, s26, 32
	s_addc_u32 s27, s27, 0
	v_add_u32_e32 v1, v0, v1
	v_lshrrev_b32_e32 v1, s14, v1
	v_mul_lo_u32 v2, v1, s12
	v_mul_hi_u32 v3, s16, v1
	s_cmp_eq_u32 s28, s30
	v_sub_u32_e32 v0, v0, v2
	v_add_u32_e32 v2, v1, v3
	v_mul_lo_u32 v3, v0, s4
	v_mul_lo_u32 v5, v0, s5
	v_lshrrev_b32_e32 v0, s17, v2
	v_mul_lo_u32 v2, v0, s15
	v_mul_hi_u32 v6, s19, v0
	v_sub_u32_e32 v1, v1, v2
	v_add_u32_e32 v2, v0, v6
	v_lshrrev_b32_e32 v2, s20, v2
	v_mul_hi_u32 v7, s22, v2
	v_mul_lo_u32 v8, v2, s18
	v_mul_lo_u32 v6, v1, s6
	;; [unrolled: 1-line block ×3, first 2 shown]
	v_sub_u32_e32 v8, v0, v8
	v_add_u32_e32 v0, v2, v7
	v_lshrrev_b32_e32 v0, s23, v0
	v_mul_lo_u32 v7, v0, s21
	v_mul_lo_u32 v9, v8, s8
	;; [unrolled: 1-line block ×3, first 2 shown]
	v_add3_u32 v3, v3, v22, v6
	v_sub_u32_e32 v2, v2, v7
	v_mul_lo_u32 v7, v2, s10
	v_mul_lo_u32 v2, v2, s11
	v_add3_u32 v1, v5, v4, v1
	v_add3_u32 v22, v9, v3, v7
	;; [unrolled: 1-line block ×3, first 2 shown]
	s_cbranch_scc0 .LBB106_144
	s_branch .LBB106_164
.LBB106_145:
                                        ; implicit-def: $vgpr22
                                        ; implicit-def: $vgpr4
	s_branch .LBB106_168
.LBB106_146:
	v_mov_b32_e32 v22, 0
	v_mov_b32_e32 v4, 0
	s_branch .LBB106_167
.LBB106_147:
	s_mov_b32 s28, 0
	v_mov_b32_e32 v22, 0
	v_mov_b32_e32 v4, 0
	;; [unrolled: 1-line block ×3, first 2 shown]
.LBB106_148:
	s_and_b32 s8, s29, 3
	s_cmp_eq_u32 s8, 0
	s_cbranch_scc1 .LBB106_151
; %bb.149:
	s_lshl_b32 s4, s28, 3
	s_add_u32 s4, s34, s4
	s_addc_u32 s5, s35, 0
	s_add_u32 s4, s4, 0xc4
	s_addc_u32 s5, s5, 0
	s_mul_i32 s6, s28, 12
	s_add_u32 s6, s34, s6
	s_addc_u32 s7, s35, 0
.LBB106_150:                            ; =>This Inner Loop Header: Depth=1
	s_load_dwordx2 s[10:11], s[6:7], 0x4
	s_load_dword s9, s[6:7], 0xc
	s_load_dwordx2 s[12:13], s[4:5], 0x0
	s_add_u32 s6, s6, 12
	s_addc_u32 s7, s7, 0
	s_waitcnt lgkmcnt(0)
	v_mul_hi_u32 v1, s11, v0
	s_add_u32 s4, s4, 8
	s_addc_u32 s5, s5, 0
	s_add_i32 s8, s8, -1
	v_add_u32_e32 v1, v0, v1
	v_lshrrev_b32_e32 v1, s9, v1
	v_mul_lo_u32 v2, v1, s10
	s_cmp_lg_u32 s8, 0
	v_sub_u32_e32 v0, v0, v2
	v_mad_u64_u32 v[22:23], s[10:11], v0, s12, v[22:23]
	v_mad_u64_u32 v[4:5], s[10:11], v0, s13, v[4:5]
	v_mov_b32_e32 v0, v1
	s_cbranch_scc1 .LBB106_150
.LBB106_151:
	s_cbranch_execnz .LBB106_154
.LBB106_152:
	s_waitcnt lgkmcnt(0)
	v_mul_hi_u32 v0, s49, v28
	s_andn2_b64 vcc, exec, s[62:63]
	v_add_u32_e32 v0, v28, v0
	v_lshrrev_b32_e32 v0, s50, v0
	v_mul_lo_u32 v1, v0, s48
	v_sub_u32_e32 v1, v28, v1
	v_mul_lo_u32 v22, v1, s52
	v_mul_lo_u32 v4, v1, s53
	s_cbranch_vccnz .LBB106_154
; %bb.153:
	v_mul_hi_u32 v1, s60, v0
	v_add_u32_e32 v1, v0, v1
	v_lshrrev_b32_e32 v1, s61, v1
	v_mul_lo_u32 v1, v1, s51
	v_sub_u32_e32 v0, v0, v1
	v_mad_u64_u32 v[22:23], s[4:5], v0, s54, v[22:23]
	v_mad_u64_u32 v[4:5], s[4:5], v0, s55, v[4:5]
.LBB106_154:
	s_getpc_b64 s[4:5]
	s_add_u32 s4, s4, _ZN2at6native6invokeIZZZNS0_21polygamma_kernel_cudaERNS_18TensorIteratorBaseElENKUlvE_clEvENKUlvE1_clEvEUlN3c104HalfEE_j15function_traitsIS8_EEENT1_11result_typeERKT_PrKPcPKT0_i@rel32@lo+4
	s_addc_u32 s5, s5, _ZN2at6native6invokeIZZZNS0_21polygamma_kernel_cudaERNS_18TensorIteratorBaseElENKUlvE_clEvENKUlvE1_clEvEUlN3c104HalfEE_j15function_traitsIS8_EEENT1_11result_typeERKT_PrKPcPKT0_i@rel32@hi+12
	s_waitcnt lgkmcnt(0)
	v_mov_b32_e32 v0, s58
	v_mov_b32_e32 v1, s59
	;; [unrolled: 1-line block ×4, first 2 shown]
	s_swappc_b64 s[30:31], s[4:5]
	v_add_u32_e32 v28, 0x80, v28
	global_store_short v22, v0, s[36:37]
	s_or_b64 exec, exec, s[68:69]
	v_cmp_gt_i32_e32 vcc, s71, v28
	s_and_saveexec_b64 s[68:69], vcc
	s_cbranch_execnz .LBB106_140
.LBB106_155:
	s_or_b64 exec, exec, s[68:69]
	v_cmp_gt_i32_e32 vcc, s71, v28
	s_and_saveexec_b64 s[68:69], vcc
	s_cbranch_execz .LBB106_171
.LBB106_156:
	s_andn2_b64 vcc, exec, s[46:47]
	s_cbranch_vccnz .LBB106_161
; %bb.157:
	s_andn2_b64 vcc, exec, s[66:67]
	s_cbranch_vccnz .LBB106_162
; %bb.158:
	s_add_i32 s29, s72, 1
	s_cmp_eq_u32 s70, 2
	s_cbranch_scc1 .LBB106_179
; %bb.159:
	s_and_b32 s28, s29, 28
	v_mov_b32_e32 v4, 0
	s_mov_b32 s30, 0
	s_mov_b64 s[24:25], s[34:35]
	s_mov_b64 s[26:27], s[64:65]
	v_mov_b32_e32 v22, 0
	v_mov_b32_e32 v0, v28
.LBB106_160:                            ; =>This Inner Loop Header: Depth=1
	s_load_dwordx8 s[12:19], s[24:25], 0x4
	s_load_dwordx4 s[20:23], s[24:25], 0x24
	s_load_dwordx8 s[4:11], s[26:27], 0x0
	s_add_u32 s24, s24, 48
	s_addc_u32 s25, s25, 0
	s_waitcnt lgkmcnt(0)
	v_mul_hi_u32 v1, s13, v0
	s_add_i32 s30, s30, 4
	s_add_u32 s26, s26, 32
	s_addc_u32 s27, s27, 0
	v_add_u32_e32 v1, v0, v1
	v_lshrrev_b32_e32 v1, s14, v1
	v_mul_lo_u32 v2, v1, s12
	v_mul_hi_u32 v3, s16, v1
	s_cmp_eq_u32 s28, s30
	v_sub_u32_e32 v0, v0, v2
	v_add_u32_e32 v2, v1, v3
	v_mul_lo_u32 v3, v0, s4
	v_mul_lo_u32 v5, v0, s5
	v_lshrrev_b32_e32 v0, s17, v2
	v_mul_lo_u32 v2, v0, s15
	v_mul_hi_u32 v6, s19, v0
	v_sub_u32_e32 v1, v1, v2
	v_add_u32_e32 v2, v0, v6
	v_lshrrev_b32_e32 v2, s20, v2
	v_mul_hi_u32 v7, s22, v2
	v_mul_lo_u32 v8, v2, s18
	v_mul_lo_u32 v6, v1, s6
	;; [unrolled: 1-line block ×3, first 2 shown]
	v_sub_u32_e32 v8, v0, v8
	v_add_u32_e32 v0, v2, v7
	v_lshrrev_b32_e32 v0, s23, v0
	v_mul_lo_u32 v7, v0, s21
	v_mul_lo_u32 v9, v8, s8
	;; [unrolled: 1-line block ×3, first 2 shown]
	v_add3_u32 v3, v3, v22, v6
	v_sub_u32_e32 v2, v2, v7
	v_mul_lo_u32 v7, v2, s10
	v_mul_lo_u32 v2, v2, s11
	v_add3_u32 v1, v5, v4, v1
	v_add3_u32 v22, v9, v3, v7
	;; [unrolled: 1-line block ×3, first 2 shown]
	s_cbranch_scc0 .LBB106_160
	s_branch .LBB106_180
.LBB106_161:
                                        ; implicit-def: $vgpr22
                                        ; implicit-def: $vgpr4
	s_branch .LBB106_184
.LBB106_162:
	v_mov_b32_e32 v22, 0
	v_mov_b32_e32 v4, 0
	s_branch .LBB106_183
.LBB106_163:
	s_mov_b32 s28, 0
	v_mov_b32_e32 v22, 0
	v_mov_b32_e32 v4, 0
	;; [unrolled: 1-line block ×3, first 2 shown]
.LBB106_164:
	s_and_b32 s8, s29, 3
	s_cmp_eq_u32 s8, 0
	s_cbranch_scc1 .LBB106_167
; %bb.165:
	s_lshl_b32 s4, s28, 3
	s_add_u32 s4, s34, s4
	s_addc_u32 s5, s35, 0
	s_add_u32 s4, s4, 0xc4
	s_addc_u32 s5, s5, 0
	s_mul_i32 s6, s28, 12
	s_add_u32 s6, s34, s6
	s_addc_u32 s7, s35, 0
.LBB106_166:                            ; =>This Inner Loop Header: Depth=1
	s_load_dwordx2 s[10:11], s[6:7], 0x4
	s_load_dword s9, s[6:7], 0xc
	s_load_dwordx2 s[12:13], s[4:5], 0x0
	s_add_u32 s6, s6, 12
	s_addc_u32 s7, s7, 0
	s_waitcnt lgkmcnt(0)
	v_mul_hi_u32 v1, s11, v0
	s_add_u32 s4, s4, 8
	s_addc_u32 s5, s5, 0
	s_add_i32 s8, s8, -1
	v_add_u32_e32 v1, v0, v1
	v_lshrrev_b32_e32 v1, s9, v1
	v_mul_lo_u32 v2, v1, s10
	s_cmp_lg_u32 s8, 0
	v_sub_u32_e32 v0, v0, v2
	v_mad_u64_u32 v[22:23], s[10:11], v0, s12, v[22:23]
	v_mad_u64_u32 v[4:5], s[10:11], v0, s13, v[4:5]
	v_mov_b32_e32 v0, v1
	s_cbranch_scc1 .LBB106_166
.LBB106_167:
	s_cbranch_execnz .LBB106_170
.LBB106_168:
	s_waitcnt lgkmcnt(0)
	v_mul_hi_u32 v0, s49, v28
	s_andn2_b64 vcc, exec, s[62:63]
	v_add_u32_e32 v0, v28, v0
	v_lshrrev_b32_e32 v0, s50, v0
	v_mul_lo_u32 v1, v0, s48
	v_sub_u32_e32 v1, v28, v1
	v_mul_lo_u32 v22, v1, s52
	v_mul_lo_u32 v4, v1, s53
	s_cbranch_vccnz .LBB106_170
; %bb.169:
	v_mul_hi_u32 v1, s60, v0
	v_add_u32_e32 v1, v0, v1
	v_lshrrev_b32_e32 v1, s61, v1
	v_mul_lo_u32 v1, v1, s51
	v_sub_u32_e32 v0, v0, v1
	v_mad_u64_u32 v[22:23], s[4:5], v0, s54, v[22:23]
	v_mad_u64_u32 v[4:5], s[4:5], v0, s55, v[4:5]
.LBB106_170:
	s_getpc_b64 s[4:5]
	s_add_u32 s4, s4, _ZN2at6native6invokeIZZZNS0_21polygamma_kernel_cudaERNS_18TensorIteratorBaseElENKUlvE_clEvENKUlvE1_clEvEUlN3c104HalfEE_j15function_traitsIS8_EEENT1_11result_typeERKT_PrKPcPKT0_i@rel32@lo+4
	s_addc_u32 s5, s5, _ZN2at6native6invokeIZZZNS0_21polygamma_kernel_cudaERNS_18TensorIteratorBaseElENKUlvE_clEvENKUlvE1_clEvEUlN3c104HalfEE_j15function_traitsIS8_EEENT1_11result_typeERKT_PrKPcPKT0_i@rel32@hi+12
	s_waitcnt lgkmcnt(0)
	v_mov_b32_e32 v0, s58
	v_mov_b32_e32 v1, s59
	;; [unrolled: 1-line block ×4, first 2 shown]
	s_swappc_b64 s[30:31], s[4:5]
	v_add_u32_e32 v28, 0x80, v28
	global_store_short v22, v0, s[36:37]
	s_or_b64 exec, exec, s[68:69]
	v_cmp_gt_i32_e32 vcc, s71, v28
	s_and_saveexec_b64 s[68:69], vcc
	s_cbranch_execnz .LBB106_156
.LBB106_171:
	s_or_b64 exec, exec, s[68:69]
	v_cmp_gt_i32_e32 vcc, s71, v28
	s_and_saveexec_b64 s[68:69], vcc
	s_cbranch_execz .LBB106_187
.LBB106_172:
	s_andn2_b64 vcc, exec, s[46:47]
	s_cbranch_vccnz .LBB106_177
; %bb.173:
	s_andn2_b64 vcc, exec, s[66:67]
	s_cbranch_vccnz .LBB106_178
; %bb.174:
	s_add_i32 s29, s72, 1
	s_cmp_eq_u32 s70, 2
	s_cbranch_scc1 .LBB106_195
; %bb.175:
	s_and_b32 s28, s29, 28
	v_mov_b32_e32 v4, 0
	s_mov_b32 s30, 0
	s_mov_b64 s[24:25], s[34:35]
	s_mov_b64 s[26:27], s[64:65]
	v_mov_b32_e32 v22, 0
	v_mov_b32_e32 v0, v28
.LBB106_176:                            ; =>This Inner Loop Header: Depth=1
	s_load_dwordx8 s[12:19], s[24:25], 0x4
	s_load_dwordx4 s[20:23], s[24:25], 0x24
	s_load_dwordx8 s[4:11], s[26:27], 0x0
	s_add_u32 s24, s24, 48
	s_addc_u32 s25, s25, 0
	s_waitcnt lgkmcnt(0)
	v_mul_hi_u32 v1, s13, v0
	s_add_i32 s30, s30, 4
	s_add_u32 s26, s26, 32
	s_addc_u32 s27, s27, 0
	v_add_u32_e32 v1, v0, v1
	v_lshrrev_b32_e32 v1, s14, v1
	v_mul_lo_u32 v2, v1, s12
	v_mul_hi_u32 v3, s16, v1
	s_cmp_eq_u32 s28, s30
	v_sub_u32_e32 v0, v0, v2
	v_add_u32_e32 v2, v1, v3
	v_mul_lo_u32 v3, v0, s4
	v_mul_lo_u32 v5, v0, s5
	v_lshrrev_b32_e32 v0, s17, v2
	v_mul_lo_u32 v2, v0, s15
	v_mul_hi_u32 v6, s19, v0
	v_sub_u32_e32 v1, v1, v2
	v_add_u32_e32 v2, v0, v6
	v_lshrrev_b32_e32 v2, s20, v2
	v_mul_hi_u32 v7, s22, v2
	v_mul_lo_u32 v8, v2, s18
	v_mul_lo_u32 v6, v1, s6
	v_mul_lo_u32 v1, v1, s7
	v_sub_u32_e32 v8, v0, v8
	v_add_u32_e32 v0, v2, v7
	v_lshrrev_b32_e32 v0, s23, v0
	v_mul_lo_u32 v7, v0, s21
	v_mul_lo_u32 v9, v8, s8
	v_mul_lo_u32 v8, v8, s9
	v_add3_u32 v3, v3, v22, v6
	v_sub_u32_e32 v2, v2, v7
	v_mul_lo_u32 v7, v2, s10
	v_mul_lo_u32 v2, v2, s11
	v_add3_u32 v1, v5, v4, v1
	v_add3_u32 v22, v9, v3, v7
	;; [unrolled: 1-line block ×3, first 2 shown]
	s_cbranch_scc0 .LBB106_176
	s_branch .LBB106_196
.LBB106_177:
                                        ; implicit-def: $vgpr22
                                        ; implicit-def: $vgpr4
	s_branch .LBB106_200
.LBB106_178:
	v_mov_b32_e32 v22, 0
	v_mov_b32_e32 v4, 0
	s_branch .LBB106_199
.LBB106_179:
	s_mov_b32 s28, 0
	v_mov_b32_e32 v22, 0
	v_mov_b32_e32 v4, 0
	;; [unrolled: 1-line block ×3, first 2 shown]
.LBB106_180:
	s_and_b32 s8, s29, 3
	s_cmp_eq_u32 s8, 0
	s_cbranch_scc1 .LBB106_183
; %bb.181:
	s_lshl_b32 s4, s28, 3
	s_add_u32 s4, s34, s4
	s_addc_u32 s5, s35, 0
	s_add_u32 s4, s4, 0xc4
	s_addc_u32 s5, s5, 0
	s_mul_i32 s6, s28, 12
	s_add_u32 s6, s34, s6
	s_addc_u32 s7, s35, 0
.LBB106_182:                            ; =>This Inner Loop Header: Depth=1
	s_load_dwordx2 s[10:11], s[6:7], 0x4
	s_load_dword s9, s[6:7], 0xc
	s_load_dwordx2 s[12:13], s[4:5], 0x0
	s_add_u32 s6, s6, 12
	s_addc_u32 s7, s7, 0
	s_waitcnt lgkmcnt(0)
	v_mul_hi_u32 v1, s11, v0
	s_add_u32 s4, s4, 8
	s_addc_u32 s5, s5, 0
	s_add_i32 s8, s8, -1
	v_add_u32_e32 v1, v0, v1
	v_lshrrev_b32_e32 v1, s9, v1
	v_mul_lo_u32 v2, v1, s10
	s_cmp_lg_u32 s8, 0
	v_sub_u32_e32 v0, v0, v2
	v_mad_u64_u32 v[22:23], s[10:11], v0, s12, v[22:23]
	v_mad_u64_u32 v[4:5], s[10:11], v0, s13, v[4:5]
	v_mov_b32_e32 v0, v1
	s_cbranch_scc1 .LBB106_182
.LBB106_183:
	s_cbranch_execnz .LBB106_186
.LBB106_184:
	s_waitcnt lgkmcnt(0)
	v_mul_hi_u32 v0, s49, v28
	s_andn2_b64 vcc, exec, s[62:63]
	v_add_u32_e32 v0, v28, v0
	v_lshrrev_b32_e32 v0, s50, v0
	v_mul_lo_u32 v1, v0, s48
	v_sub_u32_e32 v1, v28, v1
	v_mul_lo_u32 v22, v1, s52
	v_mul_lo_u32 v4, v1, s53
	s_cbranch_vccnz .LBB106_186
; %bb.185:
	v_mul_hi_u32 v1, s60, v0
	v_add_u32_e32 v1, v0, v1
	v_lshrrev_b32_e32 v1, s61, v1
	v_mul_lo_u32 v1, v1, s51
	v_sub_u32_e32 v0, v0, v1
	v_mad_u64_u32 v[22:23], s[4:5], v0, s54, v[22:23]
	v_mad_u64_u32 v[4:5], s[4:5], v0, s55, v[4:5]
.LBB106_186:
	s_getpc_b64 s[4:5]
	s_add_u32 s4, s4, _ZN2at6native6invokeIZZZNS0_21polygamma_kernel_cudaERNS_18TensorIteratorBaseElENKUlvE_clEvENKUlvE1_clEvEUlN3c104HalfEE_j15function_traitsIS8_EEENT1_11result_typeERKT_PrKPcPKT0_i@rel32@lo+4
	s_addc_u32 s5, s5, _ZN2at6native6invokeIZZZNS0_21polygamma_kernel_cudaERNS_18TensorIteratorBaseElENKUlvE_clEvENKUlvE1_clEvEUlN3c104HalfEE_j15function_traitsIS8_EEENT1_11result_typeERKT_PrKPcPKT0_i@rel32@hi+12
	s_waitcnt lgkmcnt(0)
	v_mov_b32_e32 v0, s58
	v_mov_b32_e32 v1, s59
	v_mov_b32_e32 v2, s38
	v_mov_b32_e32 v3, s39
	s_swappc_b64 s[30:31], s[4:5]
	v_add_u32_e32 v28, 0x80, v28
	global_store_short v22, v0, s[36:37]
	s_or_b64 exec, exec, s[68:69]
	v_cmp_gt_i32_e32 vcc, s71, v28
	s_and_saveexec_b64 s[68:69], vcc
	s_cbranch_execnz .LBB106_172
.LBB106_187:
	s_or_b64 exec, exec, s[68:69]
	v_cmp_gt_i32_e32 vcc, s71, v28
	s_and_saveexec_b64 s[68:69], vcc
	s_cbranch_execz .LBB106_203
.LBB106_188:
	s_andn2_b64 vcc, exec, s[46:47]
	s_cbranch_vccnz .LBB106_193
; %bb.189:
	s_andn2_b64 vcc, exec, s[66:67]
	s_cbranch_vccnz .LBB106_194
; %bb.190:
	s_add_i32 s29, s72, 1
	s_cmp_eq_u32 s70, 2
	s_cbranch_scc1 .LBB106_211
; %bb.191:
	s_and_b32 s28, s29, 28
	v_mov_b32_e32 v4, 0
	s_mov_b32 s30, 0
	s_mov_b64 s[24:25], s[34:35]
	s_mov_b64 s[26:27], s[64:65]
	v_mov_b32_e32 v22, 0
	v_mov_b32_e32 v0, v28
.LBB106_192:                            ; =>This Inner Loop Header: Depth=1
	s_load_dwordx8 s[12:19], s[24:25], 0x4
	s_load_dwordx4 s[20:23], s[24:25], 0x24
	s_load_dwordx8 s[4:11], s[26:27], 0x0
	s_add_u32 s24, s24, 48
	s_addc_u32 s25, s25, 0
	s_waitcnt lgkmcnt(0)
	v_mul_hi_u32 v1, s13, v0
	s_add_i32 s30, s30, 4
	s_add_u32 s26, s26, 32
	s_addc_u32 s27, s27, 0
	v_add_u32_e32 v1, v0, v1
	v_lshrrev_b32_e32 v1, s14, v1
	v_mul_lo_u32 v2, v1, s12
	v_mul_hi_u32 v3, s16, v1
	s_cmp_eq_u32 s28, s30
	v_sub_u32_e32 v0, v0, v2
	v_add_u32_e32 v2, v1, v3
	v_mul_lo_u32 v3, v0, s4
	v_mul_lo_u32 v5, v0, s5
	v_lshrrev_b32_e32 v0, s17, v2
	v_mul_lo_u32 v2, v0, s15
	v_mul_hi_u32 v6, s19, v0
	v_sub_u32_e32 v1, v1, v2
	v_add_u32_e32 v2, v0, v6
	v_lshrrev_b32_e32 v2, s20, v2
	v_mul_hi_u32 v7, s22, v2
	v_mul_lo_u32 v8, v2, s18
	v_mul_lo_u32 v6, v1, s6
	;; [unrolled: 1-line block ×3, first 2 shown]
	v_sub_u32_e32 v8, v0, v8
	v_add_u32_e32 v0, v2, v7
	v_lshrrev_b32_e32 v0, s23, v0
	v_mul_lo_u32 v7, v0, s21
	v_mul_lo_u32 v9, v8, s8
	;; [unrolled: 1-line block ×3, first 2 shown]
	v_add3_u32 v3, v3, v22, v6
	v_sub_u32_e32 v2, v2, v7
	v_mul_lo_u32 v7, v2, s10
	v_mul_lo_u32 v2, v2, s11
	v_add3_u32 v1, v5, v4, v1
	v_add3_u32 v22, v9, v3, v7
	;; [unrolled: 1-line block ×3, first 2 shown]
	s_cbranch_scc0 .LBB106_192
	s_branch .LBB106_212
.LBB106_193:
                                        ; implicit-def: $vgpr22
                                        ; implicit-def: $vgpr4
	s_branch .LBB106_216
.LBB106_194:
	v_mov_b32_e32 v22, 0
	v_mov_b32_e32 v4, 0
	s_branch .LBB106_215
.LBB106_195:
	s_mov_b32 s28, 0
	v_mov_b32_e32 v22, 0
	v_mov_b32_e32 v4, 0
	v_mov_b32_e32 v0, v28
.LBB106_196:
	s_and_b32 s8, s29, 3
	s_cmp_eq_u32 s8, 0
	s_cbranch_scc1 .LBB106_199
; %bb.197:
	s_lshl_b32 s4, s28, 3
	s_add_u32 s4, s34, s4
	s_addc_u32 s5, s35, 0
	s_add_u32 s4, s4, 0xc4
	s_addc_u32 s5, s5, 0
	s_mul_i32 s6, s28, 12
	s_add_u32 s6, s34, s6
	s_addc_u32 s7, s35, 0
.LBB106_198:                            ; =>This Inner Loop Header: Depth=1
	s_load_dwordx2 s[10:11], s[6:7], 0x4
	s_load_dword s9, s[6:7], 0xc
	s_load_dwordx2 s[12:13], s[4:5], 0x0
	s_add_u32 s6, s6, 12
	s_addc_u32 s7, s7, 0
	s_waitcnt lgkmcnt(0)
	v_mul_hi_u32 v1, s11, v0
	s_add_u32 s4, s4, 8
	s_addc_u32 s5, s5, 0
	s_add_i32 s8, s8, -1
	v_add_u32_e32 v1, v0, v1
	v_lshrrev_b32_e32 v1, s9, v1
	v_mul_lo_u32 v2, v1, s10
	s_cmp_lg_u32 s8, 0
	v_sub_u32_e32 v0, v0, v2
	v_mad_u64_u32 v[22:23], s[10:11], v0, s12, v[22:23]
	v_mad_u64_u32 v[4:5], s[10:11], v0, s13, v[4:5]
	v_mov_b32_e32 v0, v1
	s_cbranch_scc1 .LBB106_198
.LBB106_199:
	s_cbranch_execnz .LBB106_202
.LBB106_200:
	s_waitcnt lgkmcnt(0)
	v_mul_hi_u32 v0, s49, v28
	s_andn2_b64 vcc, exec, s[62:63]
	v_add_u32_e32 v0, v28, v0
	v_lshrrev_b32_e32 v0, s50, v0
	v_mul_lo_u32 v1, v0, s48
	v_sub_u32_e32 v1, v28, v1
	v_mul_lo_u32 v22, v1, s52
	v_mul_lo_u32 v4, v1, s53
	s_cbranch_vccnz .LBB106_202
; %bb.201:
	v_mul_hi_u32 v1, s60, v0
	v_add_u32_e32 v1, v0, v1
	v_lshrrev_b32_e32 v1, s61, v1
	v_mul_lo_u32 v1, v1, s51
	v_sub_u32_e32 v0, v0, v1
	v_mad_u64_u32 v[22:23], s[4:5], v0, s54, v[22:23]
	v_mad_u64_u32 v[4:5], s[4:5], v0, s55, v[4:5]
.LBB106_202:
	s_getpc_b64 s[4:5]
	s_add_u32 s4, s4, _ZN2at6native6invokeIZZZNS0_21polygamma_kernel_cudaERNS_18TensorIteratorBaseElENKUlvE_clEvENKUlvE1_clEvEUlN3c104HalfEE_j15function_traitsIS8_EEENT1_11result_typeERKT_PrKPcPKT0_i@rel32@lo+4
	s_addc_u32 s5, s5, _ZN2at6native6invokeIZZZNS0_21polygamma_kernel_cudaERNS_18TensorIteratorBaseElENKUlvE_clEvENKUlvE1_clEvEUlN3c104HalfEE_j15function_traitsIS8_EEENT1_11result_typeERKT_PrKPcPKT0_i@rel32@hi+12
	s_waitcnt lgkmcnt(0)
	v_mov_b32_e32 v0, s58
	v_mov_b32_e32 v1, s59
	;; [unrolled: 1-line block ×4, first 2 shown]
	s_swappc_b64 s[30:31], s[4:5]
	v_add_u32_e32 v28, 0x80, v28
	global_store_short v22, v0, s[36:37]
	s_or_b64 exec, exec, s[68:69]
	v_cmp_gt_i32_e32 vcc, s71, v28
	s_and_saveexec_b64 s[68:69], vcc
	s_cbranch_execnz .LBB106_188
.LBB106_203:
	s_or_b64 exec, exec, s[68:69]
	v_cmp_gt_i32_e32 vcc, s71, v28
	s_and_saveexec_b64 s[68:69], vcc
	s_cbranch_execz .LBB106_219
.LBB106_204:
	s_andn2_b64 vcc, exec, s[46:47]
	s_cbranch_vccnz .LBB106_209
; %bb.205:
	s_andn2_b64 vcc, exec, s[66:67]
	s_cbranch_vccnz .LBB106_210
; %bb.206:
	s_add_i32 s29, s72, 1
	s_cmp_eq_u32 s70, 2
	s_cbranch_scc1 .LBB106_222
; %bb.207:
	s_and_b32 s28, s29, 28
	v_mov_b32_e32 v4, 0
	s_mov_b32 s30, 0
	s_mov_b64 s[24:25], s[34:35]
	s_mov_b64 s[26:27], s[64:65]
	v_mov_b32_e32 v22, 0
	v_mov_b32_e32 v0, v28
.LBB106_208:                            ; =>This Inner Loop Header: Depth=1
	s_load_dwordx8 s[12:19], s[24:25], 0x4
	s_load_dwordx4 s[20:23], s[24:25], 0x24
	s_load_dwordx8 s[4:11], s[26:27], 0x0
	s_add_u32 s24, s24, 48
	s_addc_u32 s25, s25, 0
	s_waitcnt lgkmcnt(0)
	v_mul_hi_u32 v1, s13, v0
	s_add_i32 s30, s30, 4
	s_add_u32 s26, s26, 32
	s_addc_u32 s27, s27, 0
	v_add_u32_e32 v1, v0, v1
	v_lshrrev_b32_e32 v1, s14, v1
	v_mul_lo_u32 v2, v1, s12
	v_mul_hi_u32 v3, s16, v1
	s_cmp_eq_u32 s28, s30
	v_sub_u32_e32 v0, v0, v2
	v_add_u32_e32 v2, v1, v3
	v_mul_lo_u32 v3, v0, s4
	v_mul_lo_u32 v5, v0, s5
	v_lshrrev_b32_e32 v0, s17, v2
	v_mul_lo_u32 v2, v0, s15
	v_mul_hi_u32 v6, s19, v0
	v_sub_u32_e32 v1, v1, v2
	v_add_u32_e32 v2, v0, v6
	v_lshrrev_b32_e32 v2, s20, v2
	v_mul_hi_u32 v7, s22, v2
	v_mul_lo_u32 v8, v2, s18
	v_mul_lo_u32 v6, v1, s6
	;; [unrolled: 1-line block ×3, first 2 shown]
	v_sub_u32_e32 v8, v0, v8
	v_add_u32_e32 v0, v2, v7
	v_lshrrev_b32_e32 v0, s23, v0
	v_mul_lo_u32 v7, v0, s21
	v_mul_lo_u32 v9, v8, s8
	;; [unrolled: 1-line block ×3, first 2 shown]
	v_add3_u32 v3, v3, v22, v6
	v_sub_u32_e32 v2, v2, v7
	v_mul_lo_u32 v7, v2, s10
	v_mul_lo_u32 v2, v2, s11
	v_add3_u32 v1, v5, v4, v1
	v_add3_u32 v22, v9, v3, v7
	v_add3_u32 v4, v8, v1, v2
	s_cbranch_scc0 .LBB106_208
	s_branch .LBB106_223
.LBB106_209:
                                        ; implicit-def: $vgpr22
                                        ; implicit-def: $vgpr4
	s_branch .LBB106_227
.LBB106_210:
	v_mov_b32_e32 v22, 0
	v_mov_b32_e32 v4, 0
	s_branch .LBB106_226
.LBB106_211:
	s_mov_b32 s28, 0
	v_mov_b32_e32 v22, 0
	v_mov_b32_e32 v4, 0
	;; [unrolled: 1-line block ×3, first 2 shown]
.LBB106_212:
	s_and_b32 s8, s29, 3
	s_cmp_eq_u32 s8, 0
	s_cbranch_scc1 .LBB106_215
; %bb.213:
	s_lshl_b32 s4, s28, 3
	s_add_u32 s4, s34, s4
	s_addc_u32 s5, s35, 0
	s_add_u32 s4, s4, 0xc4
	s_addc_u32 s5, s5, 0
	s_mul_i32 s6, s28, 12
	s_add_u32 s6, s34, s6
	s_addc_u32 s7, s35, 0
.LBB106_214:                            ; =>This Inner Loop Header: Depth=1
	s_load_dwordx2 s[10:11], s[6:7], 0x4
	s_load_dword s9, s[6:7], 0xc
	s_load_dwordx2 s[12:13], s[4:5], 0x0
	s_add_u32 s6, s6, 12
	s_addc_u32 s7, s7, 0
	s_waitcnt lgkmcnt(0)
	v_mul_hi_u32 v1, s11, v0
	s_add_u32 s4, s4, 8
	s_addc_u32 s5, s5, 0
	s_add_i32 s8, s8, -1
	v_add_u32_e32 v1, v0, v1
	v_lshrrev_b32_e32 v1, s9, v1
	v_mul_lo_u32 v2, v1, s10
	s_cmp_lg_u32 s8, 0
	v_sub_u32_e32 v0, v0, v2
	v_mad_u64_u32 v[22:23], s[10:11], v0, s12, v[22:23]
	v_mad_u64_u32 v[4:5], s[10:11], v0, s13, v[4:5]
	v_mov_b32_e32 v0, v1
	s_cbranch_scc1 .LBB106_214
.LBB106_215:
	s_cbranch_execnz .LBB106_218
.LBB106_216:
	s_waitcnt lgkmcnt(0)
	v_mul_hi_u32 v0, s49, v28
	s_andn2_b64 vcc, exec, s[62:63]
	v_add_u32_e32 v0, v28, v0
	v_lshrrev_b32_e32 v0, s50, v0
	v_mul_lo_u32 v1, v0, s48
	v_sub_u32_e32 v1, v28, v1
	v_mul_lo_u32 v22, v1, s52
	v_mul_lo_u32 v4, v1, s53
	s_cbranch_vccnz .LBB106_218
; %bb.217:
	v_mul_hi_u32 v1, s60, v0
	v_add_u32_e32 v1, v0, v1
	v_lshrrev_b32_e32 v1, s61, v1
	v_mul_lo_u32 v1, v1, s51
	v_sub_u32_e32 v0, v0, v1
	v_mad_u64_u32 v[22:23], s[4:5], v0, s54, v[22:23]
	v_mad_u64_u32 v[4:5], s[4:5], v0, s55, v[4:5]
.LBB106_218:
	s_getpc_b64 s[4:5]
	s_add_u32 s4, s4, _ZN2at6native6invokeIZZZNS0_21polygamma_kernel_cudaERNS_18TensorIteratorBaseElENKUlvE_clEvENKUlvE1_clEvEUlN3c104HalfEE_j15function_traitsIS8_EEENT1_11result_typeERKT_PrKPcPKT0_i@rel32@lo+4
	s_addc_u32 s5, s5, _ZN2at6native6invokeIZZZNS0_21polygamma_kernel_cudaERNS_18TensorIteratorBaseElENKUlvE_clEvENKUlvE1_clEvEUlN3c104HalfEE_j15function_traitsIS8_EEENT1_11result_typeERKT_PrKPcPKT0_i@rel32@hi+12
	s_waitcnt lgkmcnt(0)
	v_mov_b32_e32 v0, s58
	v_mov_b32_e32 v1, s59
	;; [unrolled: 1-line block ×4, first 2 shown]
	s_swappc_b64 s[30:31], s[4:5]
	v_add_u32_e32 v28, 0x80, v28
	global_store_short v22, v0, s[36:37]
	s_or_b64 exec, exec, s[68:69]
	v_cmp_gt_i32_e32 vcc, s71, v28
	s_and_saveexec_b64 s[68:69], vcc
	s_cbranch_execnz .LBB106_204
.LBB106_219:
	s_or_b64 exec, exec, s[68:69]
	v_cmp_gt_i32_e32 vcc, s71, v28
	s_and_saveexec_b64 s[68:69], vcc
	s_cbranch_execnz .LBB106_230
.LBB106_220:
	s_or_b64 exec, exec, s[68:69]
                                        ; implicit-def: $vgpr0
                                        ; implicit-def: $vgpr28
	s_andn2_saveexec_b64 s[4:5], s[56:57]
	s_cbranch_execnz .LBB106_8
.LBB106_221:
	s_endpgm
.LBB106_222:
	s_mov_b32 s28, 0
	v_mov_b32_e32 v22, 0
	v_mov_b32_e32 v4, 0
	;; [unrolled: 1-line block ×3, first 2 shown]
.LBB106_223:
	s_and_b32 s8, s29, 3
	s_cmp_eq_u32 s8, 0
	s_cbranch_scc1 .LBB106_226
; %bb.224:
	s_lshl_b32 s4, s28, 3
	s_add_u32 s4, s34, s4
	s_addc_u32 s5, s35, 0
	s_add_u32 s4, s4, 0xc4
	s_addc_u32 s5, s5, 0
	s_mul_i32 s6, s28, 12
	s_add_u32 s6, s34, s6
	s_addc_u32 s7, s35, 0
.LBB106_225:                            ; =>This Inner Loop Header: Depth=1
	s_load_dwordx2 s[10:11], s[6:7], 0x4
	s_load_dword s9, s[6:7], 0xc
	s_load_dwordx2 s[12:13], s[4:5], 0x0
	s_add_u32 s6, s6, 12
	s_addc_u32 s7, s7, 0
	s_waitcnt lgkmcnt(0)
	v_mul_hi_u32 v1, s11, v0
	s_add_u32 s4, s4, 8
	s_addc_u32 s5, s5, 0
	s_add_i32 s8, s8, -1
	v_add_u32_e32 v1, v0, v1
	v_lshrrev_b32_e32 v1, s9, v1
	v_mul_lo_u32 v2, v1, s10
	s_cmp_lg_u32 s8, 0
	v_sub_u32_e32 v0, v0, v2
	v_mad_u64_u32 v[22:23], s[10:11], v0, s12, v[22:23]
	v_mad_u64_u32 v[4:5], s[10:11], v0, s13, v[4:5]
	v_mov_b32_e32 v0, v1
	s_cbranch_scc1 .LBB106_225
.LBB106_226:
	s_cbranch_execnz .LBB106_229
.LBB106_227:
	s_waitcnt lgkmcnt(0)
	v_mul_hi_u32 v0, s49, v28
	s_andn2_b64 vcc, exec, s[62:63]
	v_add_u32_e32 v0, v28, v0
	v_lshrrev_b32_e32 v0, s50, v0
	v_mul_lo_u32 v1, v0, s48
	v_sub_u32_e32 v1, v28, v1
	v_mul_lo_u32 v22, v1, s52
	v_mul_lo_u32 v4, v1, s53
	s_cbranch_vccnz .LBB106_229
; %bb.228:
	v_mul_hi_u32 v1, s60, v0
	v_add_u32_e32 v1, v0, v1
	v_lshrrev_b32_e32 v1, s61, v1
	v_mul_lo_u32 v1, v1, s51
	v_sub_u32_e32 v0, v0, v1
	v_mad_u64_u32 v[22:23], s[4:5], v0, s54, v[22:23]
	v_mad_u64_u32 v[4:5], s[4:5], v0, s55, v[4:5]
.LBB106_229:
	s_getpc_b64 s[4:5]
	s_add_u32 s4, s4, _ZN2at6native6invokeIZZZNS0_21polygamma_kernel_cudaERNS_18TensorIteratorBaseElENKUlvE_clEvENKUlvE1_clEvEUlN3c104HalfEE_j15function_traitsIS8_EEENT1_11result_typeERKT_PrKPcPKT0_i@rel32@lo+4
	s_addc_u32 s5, s5, _ZN2at6native6invokeIZZZNS0_21polygamma_kernel_cudaERNS_18TensorIteratorBaseElENKUlvE_clEvENKUlvE1_clEvEUlN3c104HalfEE_j15function_traitsIS8_EEENT1_11result_typeERKT_PrKPcPKT0_i@rel32@hi+12
	s_waitcnt lgkmcnt(0)
	v_mov_b32_e32 v0, s58
	v_mov_b32_e32 v1, s59
	;; [unrolled: 1-line block ×4, first 2 shown]
	s_swappc_b64 s[30:31], s[4:5]
	v_add_u32_e32 v28, 0x80, v28
	global_store_short v22, v0, s[36:37]
	s_or_b64 exec, exec, s[68:69]
	v_cmp_gt_i32_e32 vcc, s71, v28
	s_and_saveexec_b64 s[68:69], vcc
	s_cbranch_execz .LBB106_220
.LBB106_230:
	s_andn2_b64 vcc, exec, s[46:47]
	s_cbranch_vccnz .LBB106_235
; %bb.231:
	s_andn2_b64 vcc, exec, s[66:67]
	s_cbranch_vccnz .LBB106_236
; %bb.232:
	s_add_i32 s72, s72, 1
	s_cmp_eq_u32 s70, 2
	s_cbranch_scc1 .LBB106_237
; %bb.233:
	s_and_b32 s26, s72, 28
	v_mov_b32_e32 v4, 0
	s_mov_b32 s27, 0
	s_mov_b64 s[24:25], s[34:35]
	v_mov_b32_e32 v22, 0
	v_mov_b32_e32 v0, v28
.LBB106_234:                            ; =>This Inner Loop Header: Depth=1
	s_load_dwordx8 s[12:19], s[24:25], 0x4
	s_load_dwordx4 s[20:23], s[24:25], 0x24
	s_load_dwordx8 s[4:11], s[64:65], 0x0
	s_add_u32 s24, s24, 48
	s_addc_u32 s25, s25, 0
	s_waitcnt lgkmcnt(0)
	v_mul_hi_u32 v1, s13, v0
	s_add_i32 s27, s27, 4
	s_add_u32 s64, s64, 32
	s_addc_u32 s65, s65, 0
	v_add_u32_e32 v1, v0, v1
	v_lshrrev_b32_e32 v1, s14, v1
	v_mul_lo_u32 v2, v1, s12
	v_mul_hi_u32 v3, s16, v1
	s_cmp_eq_u32 s26, s27
	v_sub_u32_e32 v0, v0, v2
	v_add_u32_e32 v2, v1, v3
	v_mul_lo_u32 v3, v0, s4
	v_mul_lo_u32 v5, v0, s5
	v_lshrrev_b32_e32 v0, s17, v2
	v_mul_lo_u32 v2, v0, s15
	v_mul_hi_u32 v6, s19, v0
	v_sub_u32_e32 v1, v1, v2
	v_add_u32_e32 v2, v0, v6
	v_lshrrev_b32_e32 v2, s20, v2
	v_mul_hi_u32 v7, s22, v2
	v_mul_lo_u32 v8, v2, s18
	v_mul_lo_u32 v6, v1, s6
	;; [unrolled: 1-line block ×3, first 2 shown]
	v_sub_u32_e32 v8, v0, v8
	v_add_u32_e32 v0, v2, v7
	v_lshrrev_b32_e32 v0, s23, v0
	v_mul_lo_u32 v7, v0, s21
	v_mul_lo_u32 v9, v8, s8
	;; [unrolled: 1-line block ×3, first 2 shown]
	v_add3_u32 v3, v3, v22, v6
	v_sub_u32_e32 v2, v2, v7
	v_mul_lo_u32 v7, v2, s10
	v_mul_lo_u32 v2, v2, s11
	v_add3_u32 v1, v5, v4, v1
	v_add3_u32 v22, v9, v3, v7
	;; [unrolled: 1-line block ×3, first 2 shown]
	s_cbranch_scc0 .LBB106_234
	s_branch .LBB106_238
.LBB106_235:
                                        ; implicit-def: $vgpr22
                                        ; implicit-def: $vgpr4
	s_branch .LBB106_242
.LBB106_236:
	v_mov_b32_e32 v22, 0
	v_mov_b32_e32 v4, 0
	s_branch .LBB106_241
.LBB106_237:
	s_mov_b32 s26, 0
	v_mov_b32_e32 v22, 0
	v_mov_b32_e32 v4, 0
	;; [unrolled: 1-line block ×3, first 2 shown]
.LBB106_238:
	s_and_b32 s8, s72, 3
	s_cmp_eq_u32 s8, 0
	s_cbranch_scc1 .LBB106_241
; %bb.239:
	s_lshl_b32 s4, s26, 3
	s_add_u32 s4, s34, s4
	s_addc_u32 s5, s35, 0
	s_add_u32 s4, s4, 0xc4
	s_addc_u32 s5, s5, 0
	s_mul_i32 s6, s26, 12
	s_add_u32 s6, s34, s6
	s_addc_u32 s7, s35, 0
.LBB106_240:                            ; =>This Inner Loop Header: Depth=1
	s_load_dwordx2 s[10:11], s[6:7], 0x4
	s_load_dword s9, s[6:7], 0xc
	s_load_dwordx2 s[12:13], s[4:5], 0x0
	s_add_u32 s6, s6, 12
	s_addc_u32 s7, s7, 0
	s_waitcnt lgkmcnt(0)
	v_mul_hi_u32 v1, s11, v0
	s_add_u32 s4, s4, 8
	s_addc_u32 s5, s5, 0
	s_add_i32 s8, s8, -1
	v_add_u32_e32 v1, v0, v1
	v_lshrrev_b32_e32 v1, s9, v1
	v_mul_lo_u32 v2, v1, s10
	s_cmp_lg_u32 s8, 0
	v_sub_u32_e32 v0, v0, v2
	v_mad_u64_u32 v[22:23], s[10:11], v0, s12, v[22:23]
	v_mad_u64_u32 v[4:5], s[10:11], v0, s13, v[4:5]
	v_mov_b32_e32 v0, v1
	s_cbranch_scc1 .LBB106_240
.LBB106_241:
	s_cbranch_execnz .LBB106_244
.LBB106_242:
	s_waitcnt lgkmcnt(0)
	v_mul_hi_u32 v0, s49, v28
	s_andn2_b64 vcc, exec, s[62:63]
	v_add_u32_e32 v0, v28, v0
	v_lshrrev_b32_e32 v0, s50, v0
	v_mul_lo_u32 v1, v0, s48
	v_sub_u32_e32 v1, v28, v1
	v_mul_lo_u32 v22, v1, s52
	v_mul_lo_u32 v4, v1, s53
	s_cbranch_vccnz .LBB106_244
; %bb.243:
	v_mul_hi_u32 v1, s60, v0
	v_add_u32_e32 v1, v0, v1
	v_lshrrev_b32_e32 v1, s61, v1
	v_mul_lo_u32 v1, v1, s51
	v_sub_u32_e32 v0, v0, v1
	v_mad_u64_u32 v[22:23], s[4:5], v0, s54, v[22:23]
	v_mad_u64_u32 v[4:5], s[4:5], v0, s55, v[4:5]
.LBB106_244:
	s_getpc_b64 s[4:5]
	s_add_u32 s4, s4, _ZN2at6native6invokeIZZZNS0_21polygamma_kernel_cudaERNS_18TensorIteratorBaseElENKUlvE_clEvENKUlvE1_clEvEUlN3c104HalfEE_j15function_traitsIS8_EEENT1_11result_typeERKT_PrKPcPKT0_i@rel32@lo+4
	s_addc_u32 s5, s5, _ZN2at6native6invokeIZZZNS0_21polygamma_kernel_cudaERNS_18TensorIteratorBaseElENKUlvE_clEvENKUlvE1_clEvEUlN3c104HalfEE_j15function_traitsIS8_EEENT1_11result_typeERKT_PrKPcPKT0_i@rel32@hi+12
	s_waitcnt lgkmcnt(0)
	v_mov_b32_e32 v0, s58
	v_mov_b32_e32 v1, s59
	;; [unrolled: 1-line block ×4, first 2 shown]
	s_swappc_b64 s[30:31], s[4:5]
	global_store_short v22, v0, s[36:37]
	s_or_b64 exec, exec, s[68:69]
                                        ; implicit-def: $vgpr0
                                        ; implicit-def: $vgpr28
	s_andn2_saveexec_b64 s[4:5], s[56:57]
	s_cbranch_execz .LBB106_221
	s_branch .LBB106_8
	.section	.rodata,"a",@progbits
	.p2align	6, 0x0
	.amdhsa_kernel _ZN2at6native32elementwise_kernel_manual_unrollILi128ELi8EZNS0_22gpu_kernel_impl_nocastIZZZNS0_21polygamma_kernel_cudaERNS_18TensorIteratorBaseElENKUlvE_clEvENKUlvE1_clEvEUlN3c104HalfEE_EEvS4_RKT_EUlibE_EEviT1_
		.amdhsa_group_segment_fixed_size 0
		.amdhsa_private_segment_fixed_size 0
		.amdhsa_kernarg_size 360
		.amdhsa_user_sgpr_count 6
		.amdhsa_user_sgpr_private_segment_buffer 1
		.amdhsa_user_sgpr_dispatch_ptr 0
		.amdhsa_user_sgpr_queue_ptr 0
		.amdhsa_user_sgpr_kernarg_segment_ptr 1
		.amdhsa_user_sgpr_dispatch_id 0
		.amdhsa_user_sgpr_flat_scratch_init 0
		.amdhsa_user_sgpr_private_segment_size 0
		.amdhsa_uses_dynamic_stack 0
		.amdhsa_system_sgpr_private_segment_wavefront_offset 0
		.amdhsa_system_sgpr_workgroup_id_x 1
		.amdhsa_system_sgpr_workgroup_id_y 0
		.amdhsa_system_sgpr_workgroup_id_z 0
		.amdhsa_system_sgpr_workgroup_info 0
		.amdhsa_system_vgpr_workitem_id 0
		.amdhsa_next_free_vgpr 39
		.amdhsa_next_free_sgpr 73
		.amdhsa_reserve_vcc 1
		.amdhsa_reserve_flat_scratch 0
		.amdhsa_float_round_mode_32 0
		.amdhsa_float_round_mode_16_64 0
		.amdhsa_float_denorm_mode_32 3
		.amdhsa_float_denorm_mode_16_64 3
		.amdhsa_dx10_clamp 1
		.amdhsa_ieee_mode 1
		.amdhsa_fp16_overflow 0
		.amdhsa_exception_fp_ieee_invalid_op 0
		.amdhsa_exception_fp_denorm_src 0
		.amdhsa_exception_fp_ieee_div_zero 0
		.amdhsa_exception_fp_ieee_overflow 0
		.amdhsa_exception_fp_ieee_underflow 0
		.amdhsa_exception_fp_ieee_inexact 0
		.amdhsa_exception_int_div_zero 0
	.end_amdhsa_kernel
	.section	.text._ZN2at6native32elementwise_kernel_manual_unrollILi128ELi8EZNS0_22gpu_kernel_impl_nocastIZZZNS0_21polygamma_kernel_cudaERNS_18TensorIteratorBaseElENKUlvE_clEvENKUlvE1_clEvEUlN3c104HalfEE_EEvS4_RKT_EUlibE_EEviT1_,"axG",@progbits,_ZN2at6native32elementwise_kernel_manual_unrollILi128ELi8EZNS0_22gpu_kernel_impl_nocastIZZZNS0_21polygamma_kernel_cudaERNS_18TensorIteratorBaseElENKUlvE_clEvENKUlvE1_clEvEUlN3c104HalfEE_EEvS4_RKT_EUlibE_EEviT1_,comdat
.Lfunc_end106:
	.size	_ZN2at6native32elementwise_kernel_manual_unrollILi128ELi8EZNS0_22gpu_kernel_impl_nocastIZZZNS0_21polygamma_kernel_cudaERNS_18TensorIteratorBaseElENKUlvE_clEvENKUlvE1_clEvEUlN3c104HalfEE_EEvS4_RKT_EUlibE_EEviT1_, .Lfunc_end106-_ZN2at6native32elementwise_kernel_manual_unrollILi128ELi8EZNS0_22gpu_kernel_impl_nocastIZZZNS0_21polygamma_kernel_cudaERNS_18TensorIteratorBaseElENKUlvE_clEvENKUlvE1_clEvEUlN3c104HalfEE_EEvS4_RKT_EUlibE_EEviT1_
                                        ; -- End function
	.set _ZN2at6native32elementwise_kernel_manual_unrollILi128ELi8EZNS0_22gpu_kernel_impl_nocastIZZZNS0_21polygamma_kernel_cudaERNS_18TensorIteratorBaseElENKUlvE_clEvENKUlvE1_clEvEUlN3c104HalfEE_EEvS4_RKT_EUlibE_EEviT1_.num_vgpr, max(39, .L_ZN2at6native6invokeIZZZNS0_21polygamma_kernel_cudaERNS_18TensorIteratorBaseElENKUlvE_clEvENKUlvE1_clEvEUlN3c104HalfEE_j15function_traitsIS8_EEENT1_11result_typeERKT_PrKPcPKT0_i.num_vgpr)
	.set _ZN2at6native32elementwise_kernel_manual_unrollILi128ELi8EZNS0_22gpu_kernel_impl_nocastIZZZNS0_21polygamma_kernel_cudaERNS_18TensorIteratorBaseElENKUlvE_clEvENKUlvE1_clEvEUlN3c104HalfEE_EEvS4_RKT_EUlibE_EEviT1_.num_agpr, max(0, .L_ZN2at6native6invokeIZZZNS0_21polygamma_kernel_cudaERNS_18TensorIteratorBaseElENKUlvE_clEvENKUlvE1_clEvEUlN3c104HalfEE_j15function_traitsIS8_EEENT1_11result_typeERKT_PrKPcPKT0_i.num_agpr)
	.set _ZN2at6native32elementwise_kernel_manual_unrollILi128ELi8EZNS0_22gpu_kernel_impl_nocastIZZZNS0_21polygamma_kernel_cudaERNS_18TensorIteratorBaseElENKUlvE_clEvENKUlvE1_clEvEUlN3c104HalfEE_EEvS4_RKT_EUlibE_EEviT1_.numbered_sgpr, max(73, .L_ZN2at6native6invokeIZZZNS0_21polygamma_kernel_cudaERNS_18TensorIteratorBaseElENKUlvE_clEvENKUlvE1_clEvEUlN3c104HalfEE_j15function_traitsIS8_EEENT1_11result_typeERKT_PrKPcPKT0_i.numbered_sgpr)
	.set _ZN2at6native32elementwise_kernel_manual_unrollILi128ELi8EZNS0_22gpu_kernel_impl_nocastIZZZNS0_21polygamma_kernel_cudaERNS_18TensorIteratorBaseElENKUlvE_clEvENKUlvE1_clEvEUlN3c104HalfEE_EEvS4_RKT_EUlibE_EEviT1_.num_named_barrier, max(0, .L_ZN2at6native6invokeIZZZNS0_21polygamma_kernel_cudaERNS_18TensorIteratorBaseElENKUlvE_clEvENKUlvE1_clEvEUlN3c104HalfEE_j15function_traitsIS8_EEENT1_11result_typeERKT_PrKPcPKT0_i.num_named_barrier)
	.set _ZN2at6native32elementwise_kernel_manual_unrollILi128ELi8EZNS0_22gpu_kernel_impl_nocastIZZZNS0_21polygamma_kernel_cudaERNS_18TensorIteratorBaseElENKUlvE_clEvENKUlvE1_clEvEUlN3c104HalfEE_EEvS4_RKT_EUlibE_EEviT1_.private_seg_size, 0+max(.L_ZN2at6native6invokeIZZZNS0_21polygamma_kernel_cudaERNS_18TensorIteratorBaseElENKUlvE_clEvENKUlvE1_clEvEUlN3c104HalfEE_j15function_traitsIS8_EEENT1_11result_typeERKT_PrKPcPKT0_i.private_seg_size)
	.set _ZN2at6native32elementwise_kernel_manual_unrollILi128ELi8EZNS0_22gpu_kernel_impl_nocastIZZZNS0_21polygamma_kernel_cudaERNS_18TensorIteratorBaseElENKUlvE_clEvENKUlvE1_clEvEUlN3c104HalfEE_EEvS4_RKT_EUlibE_EEviT1_.uses_vcc, or(1, .L_ZN2at6native6invokeIZZZNS0_21polygamma_kernel_cudaERNS_18TensorIteratorBaseElENKUlvE_clEvENKUlvE1_clEvEUlN3c104HalfEE_j15function_traitsIS8_EEENT1_11result_typeERKT_PrKPcPKT0_i.uses_vcc)
	.set _ZN2at6native32elementwise_kernel_manual_unrollILi128ELi8EZNS0_22gpu_kernel_impl_nocastIZZZNS0_21polygamma_kernel_cudaERNS_18TensorIteratorBaseElENKUlvE_clEvENKUlvE1_clEvEUlN3c104HalfEE_EEvS4_RKT_EUlibE_EEviT1_.uses_flat_scratch, or(0, .L_ZN2at6native6invokeIZZZNS0_21polygamma_kernel_cudaERNS_18TensorIteratorBaseElENKUlvE_clEvENKUlvE1_clEvEUlN3c104HalfEE_j15function_traitsIS8_EEENT1_11result_typeERKT_PrKPcPKT0_i.uses_flat_scratch)
	.set _ZN2at6native32elementwise_kernel_manual_unrollILi128ELi8EZNS0_22gpu_kernel_impl_nocastIZZZNS0_21polygamma_kernel_cudaERNS_18TensorIteratorBaseElENKUlvE_clEvENKUlvE1_clEvEUlN3c104HalfEE_EEvS4_RKT_EUlibE_EEviT1_.has_dyn_sized_stack, or(0, .L_ZN2at6native6invokeIZZZNS0_21polygamma_kernel_cudaERNS_18TensorIteratorBaseElENKUlvE_clEvENKUlvE1_clEvEUlN3c104HalfEE_j15function_traitsIS8_EEENT1_11result_typeERKT_PrKPcPKT0_i.has_dyn_sized_stack)
	.set _ZN2at6native32elementwise_kernel_manual_unrollILi128ELi8EZNS0_22gpu_kernel_impl_nocastIZZZNS0_21polygamma_kernel_cudaERNS_18TensorIteratorBaseElENKUlvE_clEvENKUlvE1_clEvEUlN3c104HalfEE_EEvS4_RKT_EUlibE_EEviT1_.has_recursion, or(0, .L_ZN2at6native6invokeIZZZNS0_21polygamma_kernel_cudaERNS_18TensorIteratorBaseElENKUlvE_clEvENKUlvE1_clEvEUlN3c104HalfEE_j15function_traitsIS8_EEENT1_11result_typeERKT_PrKPcPKT0_i.has_recursion)
	.set _ZN2at6native32elementwise_kernel_manual_unrollILi128ELi8EZNS0_22gpu_kernel_impl_nocastIZZZNS0_21polygamma_kernel_cudaERNS_18TensorIteratorBaseElENKUlvE_clEvENKUlvE1_clEvEUlN3c104HalfEE_EEvS4_RKT_EUlibE_EEviT1_.has_indirect_call, or(0, .L_ZN2at6native6invokeIZZZNS0_21polygamma_kernel_cudaERNS_18TensorIteratorBaseElENKUlvE_clEvENKUlvE1_clEvEUlN3c104HalfEE_j15function_traitsIS8_EEENT1_11result_typeERKT_PrKPcPKT0_i.has_indirect_call)
	.section	.AMDGPU.csdata,"",@progbits
; Kernel info:
; codeLenInByte = 11592
; TotalNumSgprs: 77
; NumVgprs: 39
; ScratchSize: 0
; MemoryBound: 0
; FloatMode: 240
; IeeeMode: 1
; LDSByteSize: 0 bytes/workgroup (compile time only)
; SGPRBlocks: 9
; VGPRBlocks: 9
; NumSGPRsForWavesPerEU: 77
; NumVGPRsForWavesPerEU: 39
; Occupancy: 6
; WaveLimiterHint : 1
; COMPUTE_PGM_RSRC2:SCRATCH_EN: 0
; COMPUTE_PGM_RSRC2:USER_SGPR: 6
; COMPUTE_PGM_RSRC2:TRAP_HANDLER: 0
; COMPUTE_PGM_RSRC2:TGID_X_EN: 1
; COMPUTE_PGM_RSRC2:TGID_Y_EN: 0
; COMPUTE_PGM_RSRC2:TGID_Z_EN: 0
; COMPUTE_PGM_RSRC2:TIDIG_COMP_CNT: 0
	.text
	.p2align	2                               ; -- Begin function _ZN2at6native6invokeIZZZNS0_21polygamma_kernel_cudaERNS_18TensorIteratorBaseElENKUlvE_clEvENKUlvE1_clEvEUlN3c104HalfEE_i15function_traitsIS8_EEENT1_11result_typeERKT_PrKPcPKT0_PKNS6_10ScalarTypeEi
	.type	_ZN2at6native6invokeIZZZNS0_21polygamma_kernel_cudaERNS_18TensorIteratorBaseElENKUlvE_clEvENKUlvE1_clEvEUlN3c104HalfEE_i15function_traitsIS8_EEENT1_11result_typeERKT_PrKPcPKT0_PKNS6_10ScalarTypeEi,@function
_ZN2at6native6invokeIZZZNS0_21polygamma_kernel_cudaERNS_18TensorIteratorBaseElENKUlvE_clEvENKUlvE1_clEvEUlN3c104HalfEE_i15function_traitsIS8_EEENT1_11result_typeERKT_PrKPcPKT0_PKNS6_10ScalarTypeEi: ; @_ZN2at6native6invokeIZZZNS0_21polygamma_kernel_cudaERNS_18TensorIteratorBaseElENKUlvE_clEvENKUlvE1_clEvEUlN3c104HalfEE_i15function_traitsIS8_EEENT1_11result_typeERKT_PrKPcPKT0_PKNS6_10ScalarTypeEi
; %bb.0:
	s_waitcnt vmcnt(0) expcnt(0) lgkmcnt(0)
	v_mul_lo_u32 v1, v6, v4
	s_mov_b64 s[6:7], 0
	v_ashrrev_i32_e32 v4, 31, v1
	v_add_co_u32_e32 v1, vcc, v2, v1
	v_addc_co_u32_e32 v2, vcc, v3, v4, vcc
	v_mov_b32_e32 v3, 10
	v_cmp_gt_i16_sdwa s[4:5], v5, v3 src0_sel:BYTE_0 src1_sel:DWORD
                                        ; implicit-def: $vgpr3
	s_and_saveexec_b64 s[8:9], s[4:5]
	s_xor_b64 s[4:5], exec, s[8:9]
	s_cbranch_execnz .LBB107_4
; %bb.1:
	s_andn2_saveexec_b64 s[4:5], s[4:5]
	s_cbranch_execnz .LBB107_10
.LBB107_2:
	s_or_b64 exec, exec, s[4:5]
                                        ; implicit-def: $vgpr1
	s_and_saveexec_b64 s[10:11], s[6:7]
	s_cbranch_execnz .LBB107_51
.LBB107_3:
	s_or_b64 exec, exec, s[10:11]
	v_mov_b32_e32 v0, v1
	s_waitcnt vmcnt(0) lgkmcnt(0)
	s_setpc_b64 s[30:31]
.LBB107_4:
	v_mov_b32_e32 v3, 25
	v_cmp_gt_i16_sdwa s[10:11], v5, v3 src0_sel:BYTE_0 src1_sel:DWORD
	s_mov_b64 s[12:13], 0
	s_mov_b64 s[8:9], 0
                                        ; implicit-def: $vgpr3
	s_and_saveexec_b64 s[14:15], s[10:11]
	s_xor_b64 s[10:11], exec, s[14:15]
	s_cbranch_execnz .LBB107_100
; %bb.5:
	s_andn2_saveexec_b64 s[10:11], s[10:11]
	s_cbranch_execnz .LBB107_131
.LBB107_6:
	s_or_b64 exec, exec, s[10:11]
	s_and_saveexec_b64 s[10:11], s[12:13]
	s_cbranch_execnz .LBB107_154
.LBB107_7:
	s_or_b64 exec, exec, s[10:11]
	s_and_saveexec_b64 s[10:11], s[6:7]
	s_xor_b64 s[6:7], exec, s[10:11]
	s_cbranch_execz .LBB107_9
.LBB107_8:
	flat_load_ubyte v1, v[1:2]
	v_mov_b32_e32 v2, 0x3c00
	s_or_b64 s[8:9], s[8:9], exec
	s_waitcnt vmcnt(0) lgkmcnt(0)
	v_cmp_ne_u16_e32 vcc, 0, v1
	v_cndmask_b32_e32 v3, 0, v2, vcc
.LBB107_9:
	s_or_b64 exec, exec, s[6:7]
	s_and_b64 s[6:7], s[8:9], exec
                                        ; implicit-def: $vgpr5
                                        ; implicit-def: $vgpr1_vgpr2
	s_andn2_saveexec_b64 s[4:5], s[4:5]
	s_cbranch_execz .LBB107_2
.LBB107_10:
	v_mov_b32_e32 v3, 4
	v_cmp_gt_i16_sdwa s[8:9], v5, v3 src0_sel:BYTE_0 src1_sel:DWORD
                                        ; implicit-def: $vgpr3
	s_and_saveexec_b64 s[10:11], s[8:9]
	s_xor_b64 s[8:9], exec, s[10:11]
	s_cbranch_execz .LBB107_32
; %bb.11:
	v_mov_b32_e32 v3, 7
	v_cmp_gt_i16_sdwa s[10:11], v5, v3 src0_sel:BYTE_0 src1_sel:DWORD
                                        ; implicit-def: $vgpr3
	s_and_saveexec_b64 s[12:13], s[10:11]
	s_xor_b64 s[10:11], exec, s[12:13]
	s_cbranch_execz .LBB107_21
; %bb.12:
	v_mov_b32_e32 v3, 8
	v_cmp_gt_i16_sdwa s[12:13], v5, v3 src0_sel:BYTE_0 src1_sel:DWORD
                                        ; implicit-def: $vgpr3
	s_and_saveexec_b64 s[14:15], s[12:13]
	s_xor_b64 s[12:13], exec, s[14:15]
	s_cbranch_execz .LBB107_18
; %bb.13:
	v_mov_b32_e32 v3, 9
	v_cmp_gt_i16_sdwa s[14:15], v5, v3 src0_sel:BYTE_0 src1_sel:DWORD
                                        ; implicit-def: $vgpr3
	s_and_saveexec_b64 s[16:17], s[14:15]
	s_xor_b64 s[14:15], exec, s[16:17]
	s_cbranch_execz .LBB107_15
; %bb.14:
	flat_load_dwordx2 v[1:2], v[1:2]
	s_movk_i32 s16, 0x1ff
	s_movk_i32 s17, 0xffe
	v_mov_b32_e32 v3, 0x7c00
	v_mov_b32_e32 v4, 0x7e00
	s_movk_i32 s18, 0x40f
	s_waitcnt vmcnt(0) lgkmcnt(0)
	v_and_or_b32 v1, v2, s16, v1
	v_cmp_ne_u32_e32 vcc, 0, v1
	v_lshrrev_b32_e32 v5, 8, v2
	v_bfe_u32 v6, v2, 20, 11
	v_cndmask_b32_e64 v1, 0, 1, vcc
	v_sub_u32_e32 v7, 0x3f1, v6
	v_and_or_b32 v1, v5, s17, v1
	v_add_u32_e32 v6, 0xfffffc10, v6
	v_med3_i32 v5, v7, 0, 13
	v_or_b32_e32 v7, 0x1000, v1
	v_cmp_ne_u32_e32 vcc, 0, v1
	v_lshl_or_b32 v8, v6, 12, v1
	v_cndmask_b32_e32 v1, v3, v4, vcc
	v_lshrrev_b32_e32 v4, v5, v7
	v_lshlrev_b32_e32 v5, v5, v4
	v_cmp_ne_u32_e32 vcc, v5, v7
	v_cndmask_b32_e64 v5, 0, 1, vcc
	v_or_b32_e32 v4, v4, v5
	v_cmp_gt_i32_e32 vcc, 1, v6
	v_cndmask_b32_e32 v4, v8, v4, vcc
	v_and_b32_e32 v5, 7, v4
	v_cmp_lt_i32_e32 vcc, 5, v5
	v_cndmask_b32_e64 v7, 0, 1, vcc
	v_cmp_eq_u32_e32 vcc, 3, v5
	v_cndmask_b32_e64 v5, 0, 1, vcc
	v_lshrrev_b32_e32 v4, 2, v4
	v_or_b32_e32 v5, v5, v7
	v_add_u32_e32 v4, v4, v5
	v_cmp_gt_i32_e32 vcc, 31, v6
	v_cndmask_b32_e32 v3, v3, v4, vcc
	v_cmp_eq_u32_e32 vcc, s18, v6
	v_lshrrev_b32_e32 v2, 16, v2
	v_cndmask_b32_e32 v1, v3, v1, vcc
	s_mov_b32 s16, 0x8000
	v_and_or_b32 v3, v2, s16, v1
                                        ; implicit-def: $vgpr1_vgpr2
.LBB107_15:
	s_andn2_saveexec_b64 s[14:15], s[14:15]
	s_cbranch_execz .LBB107_17
; %bb.16:
	flat_load_dword v1, v[1:2]
	s_waitcnt vmcnt(0) lgkmcnt(0)
	v_cvt_f16_f32_e32 v3, v1
.LBB107_17:
	s_or_b64 exec, exec, s[14:15]
                                        ; implicit-def: $vgpr1_vgpr2
.LBB107_18:
	s_andn2_saveexec_b64 s[12:13], s[12:13]
	s_cbranch_execz .LBB107_20
; %bb.19:
	flat_load_dword v3, v[1:2]
.LBB107_20:
	s_or_b64 exec, exec, s[12:13]
                                        ; implicit-def: $vgpr1_vgpr2
                                        ; implicit-def: $vgpr5
.LBB107_21:
	s_andn2_saveexec_b64 s[10:11], s[10:11]
	s_cbranch_execz .LBB107_31
; %bb.22:
	s_waitcnt vmcnt(0) lgkmcnt(0)
	v_mov_b32_e32 v3, 5
	v_cmp_gt_i16_sdwa s[12:13], v5, v3 src0_sel:BYTE_0 src1_sel:DWORD
                                        ; implicit-def: $vgpr3
	s_and_saveexec_b64 s[14:15], s[12:13]
	s_xor_b64 s[12:13], exec, s[14:15]
	s_cbranch_execz .LBB107_28
; %bb.23:
	v_mov_b32_e32 v3, 6
	v_cmp_gt_i16_sdwa s[14:15], v5, v3 src0_sel:BYTE_0 src1_sel:DWORD
                                        ; implicit-def: $vgpr3
	s_and_saveexec_b64 s[16:17], s[14:15]
	s_xor_b64 s[14:15], exec, s[16:17]
	s_cbranch_execz .LBB107_25
; %bb.24:
	flat_load_dwordx2 v[1:2], v[1:2]
	s_movk_i32 s16, 0x1ff
	s_movk_i32 s17, 0xffe
	v_mov_b32_e32 v3, 0x7c00
	v_mov_b32_e32 v4, 0x7e00
	s_movk_i32 s18, 0x40f
	s_waitcnt vmcnt(0) lgkmcnt(0)
	v_and_or_b32 v1, v2, s16, v1
	v_cmp_ne_u32_e32 vcc, 0, v1
	v_lshrrev_b32_e32 v5, 8, v2
	v_bfe_u32 v6, v2, 20, 11
	v_cndmask_b32_e64 v1, 0, 1, vcc
	v_sub_u32_e32 v7, 0x3f1, v6
	v_and_or_b32 v1, v5, s17, v1
	v_add_u32_e32 v6, 0xfffffc10, v6
	v_med3_i32 v5, v7, 0, 13
	v_or_b32_e32 v7, 0x1000, v1
	v_cmp_ne_u32_e32 vcc, 0, v1
	v_lshl_or_b32 v8, v6, 12, v1
	v_cndmask_b32_e32 v1, v3, v4, vcc
	v_lshrrev_b32_e32 v4, v5, v7
	v_lshlrev_b32_e32 v5, v5, v4
	v_cmp_ne_u32_e32 vcc, v5, v7
	v_cndmask_b32_e64 v5, 0, 1, vcc
	v_or_b32_e32 v4, v4, v5
	v_cmp_gt_i32_e32 vcc, 1, v6
	v_cndmask_b32_e32 v4, v8, v4, vcc
	v_and_b32_e32 v5, 7, v4
	v_cmp_lt_i32_e32 vcc, 5, v5
	v_cndmask_b32_e64 v7, 0, 1, vcc
	v_cmp_eq_u32_e32 vcc, 3, v5
	v_cndmask_b32_e64 v5, 0, 1, vcc
	v_lshrrev_b32_e32 v4, 2, v4
	v_or_b32_e32 v5, v5, v7
	v_add_u32_e32 v4, v4, v5
	v_cmp_gt_i32_e32 vcc, 31, v6
	v_cndmask_b32_e32 v3, v3, v4, vcc
	v_cmp_eq_u32_e32 vcc, s18, v6
	v_lshrrev_b32_e32 v2, 16, v2
	v_cndmask_b32_e32 v1, v3, v1, vcc
	s_mov_b32 s16, 0x8000
	v_and_or_b32 v3, v2, s16, v1
                                        ; implicit-def: $vgpr1_vgpr2
.LBB107_25:
	s_andn2_saveexec_b64 s[14:15], s[14:15]
	s_cbranch_execz .LBB107_27
; %bb.26:
	flat_load_dword v1, v[1:2]
	s_waitcnt vmcnt(0) lgkmcnt(0)
	v_cvt_f16_f32_e32 v3, v1
.LBB107_27:
	s_or_b64 exec, exec, s[14:15]
                                        ; implicit-def: $vgpr1_vgpr2
.LBB107_28:
	s_andn2_saveexec_b64 s[12:13], s[12:13]
	s_cbranch_execz .LBB107_30
; %bb.29:
	flat_load_ushort v3, v[1:2]
.LBB107_30:
	s_or_b64 exec, exec, s[12:13]
.LBB107_31:
	s_or_b64 exec, exec, s[10:11]
                                        ; implicit-def: $vgpr5
                                        ; implicit-def: $vgpr1_vgpr2
.LBB107_32:
	s_andn2_saveexec_b64 s[8:9], s[8:9]
	s_cbranch_execz .LBB107_50
; %bb.33:
	s_waitcnt vmcnt(0) lgkmcnt(0)
	v_mov_b32_e32 v3, 1
	v_cmp_gt_i16_sdwa s[10:11], v5, v3 src0_sel:BYTE_0 src1_sel:DWORD
                                        ; implicit-def: $vgpr3
	s_and_saveexec_b64 s[12:13], s[10:11]
	s_xor_b64 s[10:11], exec, s[12:13]
	s_cbranch_execz .LBB107_43
; %bb.34:
	v_mov_b32_e32 v3, 2
	v_cmp_gt_i16_sdwa s[12:13], v5, v3 src0_sel:BYTE_0 src1_sel:DWORD
                                        ; implicit-def: $vgpr3
	s_and_saveexec_b64 s[14:15], s[12:13]
	s_xor_b64 s[12:13], exec, s[14:15]
	s_cbranch_execz .LBB107_40
; %bb.35:
	;; [unrolled: 7-line block ×3, first 2 shown]
	flat_load_dwordx2 v[1:2], v[1:2]
	s_waitcnt vmcnt(0) lgkmcnt(0)
	v_xor_b32_e32 v4, v1, v2
	v_ffbh_i32_e32 v3, v2
	v_ashrrev_i32_e32 v4, 31, v4
	v_add_u32_e32 v3, -1, v3
	v_add_u32_e32 v4, 32, v4
	v_min_u32_e32 v3, v3, v4
	v_lshlrev_b64 v[1:2], v3, v[1:2]
	v_min_u32_e32 v1, 1, v1
	v_or_b32_e32 v1, v2, v1
	v_cvt_f32_i32_e32 v1, v1
	v_sub_u32_e32 v2, 32, v3
	v_ldexp_f32 v1, v1, v2
	v_cvt_f16_f32_e32 v3, v1
                                        ; implicit-def: $vgpr1_vgpr2
.LBB107_37:
	s_andn2_saveexec_b64 s[14:15], s[14:15]
	s_cbranch_execz .LBB107_39
; %bb.38:
	flat_load_dword v1, v[1:2]
	s_waitcnt vmcnt(0) lgkmcnt(0)
	v_cvt_f32_i32_e32 v1, v1
	v_cvt_f16_f32_e32 v3, v1
.LBB107_39:
	s_or_b64 exec, exec, s[14:15]
                                        ; implicit-def: $vgpr1_vgpr2
.LBB107_40:
	s_andn2_saveexec_b64 s[12:13], s[12:13]
	s_cbranch_execz .LBB107_42
; %bb.41:
	flat_load_ushort v1, v[1:2]
	s_waitcnt vmcnt(0) lgkmcnt(0)
	v_cvt_f16_i16_e32 v3, v1
.LBB107_42:
	s_or_b64 exec, exec, s[12:13]
                                        ; implicit-def: $vgpr1_vgpr2
                                        ; implicit-def: $vgpr5
.LBB107_43:
	s_andn2_saveexec_b64 s[10:11], s[10:11]
	s_cbranch_execz .LBB107_49
; %bb.44:
	v_mov_b32_e32 v3, 0
	v_cmp_gt_i16_sdwa s[12:13], v5, v3 src0_sel:BYTE_0 src1_sel:DWORD
                                        ; implicit-def: $vgpr3
	s_and_saveexec_b64 s[14:15], s[12:13]
	s_xor_b64 s[12:13], exec, s[14:15]
	s_cbranch_execz .LBB107_46
; %bb.45:
	flat_load_sbyte v1, v[1:2]
	s_waitcnt vmcnt(0) lgkmcnt(0)
	v_cvt_f16_i16_e32 v3, v1
                                        ; implicit-def: $vgpr1_vgpr2
.LBB107_46:
	s_andn2_saveexec_b64 s[12:13], s[12:13]
	s_cbranch_execz .LBB107_48
; %bb.47:
	flat_load_ubyte v1, v[1:2]
	s_waitcnt vmcnt(0) lgkmcnt(0)
	v_cvt_f16_u16_e32 v3, v1
.LBB107_48:
	s_or_b64 exec, exec, s[12:13]
.LBB107_49:
	s_or_b64 exec, exec, s[10:11]
.LBB107_50:
	s_or_b64 exec, exec, s[8:9]
	s_or_b64 s[6:7], s[6:7], exec
	s_or_b64 exec, exec, s[4:5]
                                        ; implicit-def: $vgpr1
	s_and_saveexec_b64 s[10:11], s[6:7]
	s_cbranch_execz .LBB107_3
.LBB107_51:
	v_cvt_f32_i32_e32 v1, v0
	s_mov_b32 s4, 0x3c800000
                                        ; implicit-def: $vgpr2
	v_cvt_f16_f32_e32 v1, v1
	v_add_f16_e32 v5, 1.0, v1
	v_cvt_f32_f16_e32 v1, v5
	v_and_b32_e32 v4, 0x7fffffff, v1
	v_cmp_nlt_f32_e64 s[4:5], |v1|, s4
	s_and_saveexec_b64 s[6:7], s[4:5]
	s_xor_b64 s[6:7], exec, s[6:7]
	s_cbranch_execz .LBB107_81
; %bb.52:
	v_cmp_nlt_f32_e64 s[4:5], |v1|, 2.0
                                        ; implicit-def: $vgpr2
	s_and_saveexec_b64 s[8:9], s[4:5]
	s_xor_b64 s[8:9], exec, s[8:9]
	s_cbranch_execz .LBB107_62
; %bb.53:
	s_mov_b32 s4, 0x41000000
	v_cmp_nlt_f32_e64 s[4:5], |v1|, s4
                                        ; implicit-def: $vgpr2
	s_and_saveexec_b64 s[12:13], s[4:5]
	s_xor_b64 s[12:13], exec, s[12:13]
	s_cbranch_execz .LBB107_59
; %bb.54:
	s_mov_b32 s4, 0x5c800000
	v_cmp_nlt_f32_e64 s[4:5], |v1|, s4
                                        ; implicit-def: $vgpr2
	s_and_saveexec_b64 s[14:15], s[4:5]
	s_xor_b64 s[14:15], exec, s[14:15]
	s_cbranch_execz .LBB107_56
; %bb.55:
	s_mov_b32 s4, 0x800000
	v_cmp_lt_f32_e64 vcc, |v1|, s4
	v_cndmask_b32_e64 v2, 0, 32, vcc
	v_ldexp_f32 v2, |v1|, v2
	v_log_f32_e32 v2, v2
	s_mov_b32 s4, 0x3f317217
	s_mov_b32 s5, 0x7f800000
	v_mul_f32_e32 v6, 0x3f317217, v2
	v_fma_f32 v7, v2, s4, -v6
	v_fmac_f32_e32 v7, 0x3377d1cf, v2
	v_add_f32_e32 v6, v6, v7
	v_cmp_lt_f32_e64 s[4:5], |v2|, s5
	v_cndmask_b32_e64 v2, v2, v6, s[4:5]
	v_mov_b32_e32 v6, 0x41b17218
	v_cndmask_b32_e32 v6, 0, v6, vcc
	v_sub_f32_e32 v2, v2, v6
	v_fma_f32 v2, |v1|, v2, -|v1|
.LBB107_56:
	s_andn2_saveexec_b64 s[14:15], s[14:15]
	s_cbranch_execz .LBB107_58
; %bb.57:
	v_rcp_f32_e64 v6, |v1|
	v_mov_b32_e32 v2, 0x3a5b3dd2
	v_mov_b32_e32 v7, 0xba1c065c
	;; [unrolled: 1-line block ×3, first 2 shown]
	v_mul_f32_e32 v9, v6, v6
	v_fmac_f32_e32 v2, 0xbad5c4e8, v9
	v_fmac_f32_e32 v7, v9, v2
	s_mov_b32 s4, 0x800000
	v_fmac_f32_e32 v8, v9, v7
	v_mov_b32_e32 v2, 0xbb360b61
	v_cmp_lt_f32_e64 vcc, |v1|, s4
	v_fmac_f32_e32 v2, v9, v8
	v_cndmask_b32_e64 v8, 0, 32, vcc
	v_ldexp_f32 v8, |v1|, v8
	v_log_f32_e32 v8, v8
	v_mov_b32_e32 v7, 0x3daaaaab
	v_fmac_f32_e32 v7, v9, v2
	v_mov_b32_e32 v2, 0x3ed67f1d
	v_fmac_f32_e32 v2, v6, v7
	s_mov_b32 s4, 0x3f317217
	v_mul_f32_e32 v7, 0x3f317217, v8
	v_fma_f32 v9, v8, s4, -v7
	v_fmac_f32_e32 v9, 0x3377d1cf, v8
	s_mov_b32 s4, 0x7f800000
	v_add_f32_e32 v7, v7, v9
	v_cmp_lt_f32_e64 s[4:5], |v8|, s4
	v_cndmask_b32_e64 v7, v8, v7, s[4:5]
	v_mov_b32_e32 v8, 0x41b17218
	v_cndmask_b32_e32 v8, 0, v8, vcc
	v_sub_f32_e32 v7, v7, v8
	v_add_f32_e64 v6, |v1|, -0.5
	v_add_f32_e32 v7, -1.0, v7
	v_fmac_f32_e32 v2, v6, v7
.LBB107_58:
	s_or_b64 exec, exec, s[14:15]
.LBB107_59:
	s_andn2_saveexec_b64 s[12:13], s[12:13]
	s_cbranch_execz .LBB107_61
; %bb.60:
	v_cvt_i32_f32_e32 v2, v4
	v_mov_b32_e32 v6, 0x3af135b4
	v_mov_b32_e32 v7, 0x3cda40e4
	;; [unrolled: 1-line block ×3, first 2 shown]
	v_cvt_f32_i32_e32 v9, v2
	v_mov_b32_e32 v10, 0x3ea6cc7a
	v_mov_b32_e32 v11, 0x3e5c245a
	v_cmp_lt_i32_e32 vcc, 2, v2
	v_sub_f32_e64 v9, |v1|, v9
	v_fmac_f32_e32 v6, 0x3805ff67, v9
	v_fmac_f32_e32 v7, v9, v6
	;; [unrolled: 1-line block ×3, first 2 shown]
	v_mov_b32_e32 v7, 0x3a4beed6
	v_fmac_f32_e32 v10, v9, v8
	v_fmac_f32_e32 v7, 0x36f5d7bd, v9
	v_mov_b32_e32 v8, 0x3c98bf54
	v_fmac_f32_e32 v8, v9, v7
	v_mov_b32_e32 v7, 0x3e300f6e
	v_fmac_f32_e32 v7, v9, v8
	v_mov_b32_e32 v8, 0x3f38d0c5
	v_fmac_f32_e32 v8, v9, v7
	v_mov_b32_e32 v7, 0x3fb22d3b
	v_fmac_f32_e32 v7, v9, v8
	v_add_f32_e32 v8, 2.0, v9
	v_mov_b32_e32 v12, 0xbd9e233f
	v_fmac_f32_e32 v11, v9, v10
	v_add_f32_e32 v10, 0x40400000, v9
	v_cndmask_b32_e32 v8, 1.0, v8, vcc
	v_cmp_lt_i32_e32 vcc, 3, v2
	v_fmac_f32_e32 v12, v9, v11
	v_add_f32_e32 v11, 4.0, v9
	v_cndmask_b32_e32 v10, 1.0, v10, vcc
	v_cmp_lt_i32_e32 vcc, 4, v2
	v_mul_f32_e32 v6, v9, v12
	v_add_f32_e32 v12, 0x40a00000, v9
	v_mul_f32_e32 v8, v8, v10
	v_cndmask_b32_e32 v10, 1.0, v11, vcc
	v_cmp_lt_i32_e32 vcc, 5, v2
	v_add_f32_e32 v13, 0x40c00000, v9
	v_mul_f32_e32 v8, v10, v8
	v_cndmask_b32_e32 v10, 1.0, v12, vcc
	v_cmp_lt_i32_e32 vcc, 6, v2
	v_mul_f32_e32 v8, v10, v8
	v_cndmask_b32_e32 v2, 1.0, v13, vcc
	v_mul_f32_e32 v2, v2, v8
	s_mov_b32 s4, 0x800000
	v_cmp_gt_f32_e32 vcc, s4, v2
	v_cndmask_b32_e64 v8, 0, 32, vcc
	v_fma_f32 v7, v9, v7, 1.0
	v_ldexp_f32 v2, v2, v8
	v_rcp_f32_e32 v7, v7
	v_log_f32_e32 v2, v2
	s_mov_b32 s4, 0x3f317217
	v_mul_f32_e32 v6, v6, v7
	v_mul_f32_e32 v7, 0x3f317217, v2
	v_fma_f32 v8, v2, s4, -v7
	v_fmac_f32_e32 v8, 0x3377d1cf, v2
	s_mov_b32 s4, 0x7f800000
	v_add_f32_e32 v7, v7, v8
	v_cmp_lt_f32_e64 s[4:5], |v2|, s4
	v_cndmask_b32_e64 v2, v2, v7, s[4:5]
	v_mov_b32_e32 v7, 0x41b17218
	v_cndmask_b32_e32 v7, 0, v7, vcc
	v_fmac_f32_e32 v6, 0.5, v9
	v_sub_f32_e32 v2, v2, v7
	v_add_f32_e32 v2, v2, v6
.LBB107_61:
	s_or_b64 exec, exec, s[12:13]
.LBB107_62:
	s_andn2_saveexec_b64 s[8:9], s[8:9]
	s_cbranch_execz .LBB107_80
; %bb.63:
	s_mov_b32 s4, 0x3f666666
	v_cmp_le_f32_e64 s[4:5], |v1|, s4
                                        ; implicit-def: $vgpr2
                                        ; implicit-def: $vgpr7
                                        ; implicit-def: $vgpr6
	s_and_saveexec_b64 s[12:13], s[4:5]
	s_xor_b64 s[12:13], exec, s[12:13]
	s_cbranch_execz .LBB107_65
; %bb.64:
	s_mov_b32 s4, 0x800000
	v_cmp_lt_f32_e64 vcc, |v1|, s4
	v_cndmask_b32_e64 v2, 0, 32, vcc
	v_ldexp_f32 v2, |v1|, v2
	v_log_f32_e32 v2, v2
	s_mov_b32 s4, 0x3f317217
	s_mov_b32 s5, 0x7f800000
	v_mul_f32_e32 v6, 0x3f317217, v2
	v_fma_f32 v7, v2, s4, -v6
	v_fmac_f32_e32 v7, 0x3377d1cf, v2
	v_add_f32_e32 v6, v6, v7
	v_cmp_lt_f32_e64 s[4:5], |v2|, s5
	v_cndmask_b32_e64 v2, v2, v6, s[4:5]
	v_mov_b32_e32 v6, 0x41b17218
	v_cndmask_b32_e32 v6, 0, v6, vcc
	s_mov_b32 s4, 0x3f3b4a23
	s_mov_b32 s5, 0xbeec5b0c
	v_sub_f32_e32 v2, v2, v6
	v_sub_f32_e64 v6, 1.0, |v1|
	v_add_f32_e64 v7, |v1|, s5
	v_cmp_lt_f32_e64 vcc, |v1|, s4
	s_mov_b32 s4, 0x3e6d3309
	v_cndmask_b32_e32 v6, v6, v7, vcc
	v_cndmask_b32_e64 v7, 0, 1, vcc
	v_cmp_lt_f32_e64 s[4:5], |v1|, s4
	v_xor_b32_e32 v2, 0x80000000, v2
	v_cndmask_b32_e64 v6, v6, |v1|, s[4:5]
	v_cndmask_b32_e64 v7, v7, 2, s[4:5]
.LBB107_65:
	s_andn2_saveexec_b64 s[4:5], s[12:13]
	s_cbranch_execz .LBB107_67
; %bb.66:
	s_mov_b32 s12, 0x3fdda512
	s_mov_b32 s13, 0xbfbb16c3
	v_sub_f32_e64 v2, 2.0, |v1|
	v_add_f32_e64 v6, |v1|, s13
	v_cmp_lt_f32_e64 vcc, |v1|, s12
	v_cndmask_b32_e32 v6, v2, v6, vcc
	v_cndmask_b32_e64 v2, v2, 1.0, vcc
	v_cvt_i32_f32_e32 v2, v2
	s_mov_b32 s12, 0x3f9d70a4
	v_add_f32_e64 v7, |v1|, -1.0
	v_cmp_lt_f32_e64 vcc, |v1|, s12
	v_cndmask_b32_e32 v6, v6, v7, vcc
	v_cndmask_b32_e64 v7, v2, 2, vcc
	v_mov_b32_e32 v2, 0
.LBB107_67:
	s_or_b64 exec, exec, s[4:5]
	v_cmp_lt_i32_e32 vcc, 0, v7
	s_and_saveexec_b64 s[4:5], vcc
	s_xor_b64 s[4:5], exec, s[4:5]
	s_cbranch_execz .LBB107_75
; %bb.68:
	v_cmp_lt_i32_e32 vcc, 1, v7
	s_and_saveexec_b64 s[12:13], vcc
	s_xor_b64 s[12:13], exec, s[12:13]
	s_cbranch_execz .LBB107_72
; %bb.69:
	v_cmp_eq_u32_e32 vcc, 2, v7
	s_and_saveexec_b64 s[14:15], vcc
	s_cbranch_execz .LBB107_71
; %bb.70:
	v_mov_b32_e32 v7, 0x3e6a7578
	v_fmac_f32_e32 v7, 0x3c5b3c5e, v6
	v_mov_b32_e32 v8, 0x3f7a4bb2
	v_fmac_f32_e32 v8, v6, v7
	v_mov_b32_e32 v7, 0x3fba3ae7
	v_fmac_f32_e32 v7, v6, v8
	v_mov_b32_e32 v8, 0x3f2200f4
	v_fmac_f32_e32 v8, v6, v7
	v_mov_b32_e32 v7, 0x3dd572af
	v_fmac_f32_e32 v7, 0x3b52d5db, v6
	v_mov_b32_e32 v9, 0x3f44efdf
	v_fmac_f32_e32 v9, v6, v7
	v_mov_b32_e32 v7, 0x4008392d
	v_fmac_f32_e32 v7, v6, v9
	v_mov_b32_e32 v9, 0x401d2ebe
	v_fmac_f32_e32 v9, v6, v7
	v_fma_f32 v7, v6, v9, 1.0
	v_rcp_f32_e32 v7, v7
	v_mov_b32_e32 v9, 0xbd9e233f
	v_fmac_f32_e32 v9, v6, v8
	v_mul_f32_e32 v8, v6, v9
	v_mul_f32_e32 v7, v8, v7
	v_fmac_f32_e32 v7, -0.5, v6
	v_add_f32_e32 v2, v2, v7
.LBB107_71:
	s_or_b64 exec, exec, s[14:15]
                                        ; implicit-def: $vgpr6
.LBB107_72:
	s_andn2_saveexec_b64 s[12:13], s[12:13]
	s_cbranch_execz .LBB107_74
; %bb.73:
	v_mul_f32_e32 v7, v6, v6
	v_mul_f32_e32 v8, v6, v7
	v_mov_b32_e32 v9, 0xbab7f476
	v_fmac_f32_e32 v9, 0x39a57b6b, v8
	v_mov_b32_e32 v10, 0x3bc7e707
	v_fmac_f32_e32 v10, v8, v9
	v_mov_b32_e32 v9, 0xbd064d47
	v_fmac_f32_e32 v9, v8, v10
	v_mov_b32_e32 v10, 0x3ef7b95e
	v_fmac_f32_e32 v10, v8, v9
	v_mov_b32_e32 v9, 0x3a66f867
	v_fmac_f32_e32 v9, 0xb9a3f927, v8
	v_mov_b32_e32 v11, 0xbb7177fe
	v_fmac_f32_e32 v11, v8, v9
	v_mov_b32_e32 v9, 0x3c93373d
	v_fmac_f32_e32 v9, v8, v11
	v_mov_b32_e32 v11, 0xbe17213c
	v_fmac_f32_e32 v11, v8, v9
	v_mov_b32_e32 v9, 0xba0d3085
	v_fmac_f32_e32 v9, 0x39afe9f7, v8
	v_mov_b32_e32 v12, 0x3b141699
	v_fmac_f32_e32 v12, v8, v9
	v_mov_b32_e32 v9, 0xbc28fcfe
	v_fmac_f32_e32 v9, v8, v12
	v_mov_b32_e32 v12, 0x3d845a15
	v_fmac_f32_e32 v12, v8, v9
	v_fmac_f32_e32 v11, v6, v12
	s_mov_b32 s14, 0xa2863e55
	v_fma_f32 v6, v8, -v11, s14
	v_fma_f32 v6, v7, v10, -v6
	v_add_f32_e32 v6, 0xbdf8cdce, v6
	v_add_f32_e32 v2, v2, v6
.LBB107_74:
	s_or_b64 exec, exec, s[12:13]
                                        ; implicit-def: $vgpr7
                                        ; implicit-def: $vgpr6
.LBB107_75:
	s_andn2_saveexec_b64 s[4:5], s[4:5]
	s_cbranch_execz .LBB107_79
; %bb.76:
	v_cmp_eq_u32_e32 vcc, 0, v7
	s_and_saveexec_b64 s[12:13], vcc
	s_cbranch_execz .LBB107_78
; %bb.77:
	v_mul_f32_e32 v7, v6, v6
	v_mov_b32_e32 v8, 0x39679767
	v_fmac_f32_e32 v8, 0x37d383a2, v7
	v_mov_b32_e32 v9, 0x3a9c54a1
	v_fmac_f32_e32 v9, v7, v8
	;; [unrolled: 2-line block ×10, first 2 shown]
	v_mul_f32_e32 v7, v7, v9
	v_fmac_f32_e32 v7, v6, v8
	v_fmac_f32_e32 v7, -0.5, v6
	v_add_f32_e32 v2, v2, v7
.LBB107_78:
	s_or_b64 exec, exec, s[12:13]
.LBB107_79:
	s_or_b64 exec, exec, s[4:5]
.LBB107_80:
	s_or_b64 exec, exec, s[8:9]
.LBB107_81:
	s_andn2_saveexec_b64 s[6:7], s[6:7]
	s_cbranch_execz .LBB107_83
; %bb.82:
	s_mov_b32 s4, 0x3e8a8991
	v_mov_b32_e32 v2, 0xbecd26ab
	v_fma_f32 v2, |v1|, s4, v2
	s_mov_b32 s4, 0x3f528d33
	v_fma_f32 v2, |v1|, v2, s4
	s_mov_b32 s4, 0x800000
	v_cmp_lt_f32_e64 vcc, |v1|, s4
	v_cndmask_b32_e64 v6, 0, 32, vcc
	v_ldexp_f32 v6, |v1|, v6
	v_log_f32_e32 v6, v6
	s_mov_b32 s4, 0xbf13c468
	v_fma_f32 v2, |v1|, v2, s4
	s_mov_b32 s4, 0x3f317217
	v_mul_f32_e32 v7, 0x3f317217, v6
	v_fma_f32 v8, v6, s4, -v7
	v_fmac_f32_e32 v8, 0x3377d1cf, v6
	s_mov_b32 s4, 0x7f800000
	v_add_f32_e32 v7, v7, v8
	v_cmp_lt_f32_e64 s[4:5], |v6|, s4
	v_cndmask_b32_e64 v6, v6, v7, s[4:5]
	v_mov_b32_e32 v7, 0x41b17218
	v_cndmask_b32_e32 v7, 0, v7, vcc
	v_sub_f32_e32 v6, v6, v7
	v_fma_f32 v2, |v1|, v2, -v6
.LBB107_83:
	s_or_b64 exec, exec, s[6:7]
	v_cmp_le_f16_e64 s[4:5], 0, v5
	v_cmp_nle_f16_e32 vcc, 0, v5
	s_and_saveexec_b64 s[6:7], vcc
	s_xor_b64 s[8:9], exec, s[6:7]
	s_cbranch_execz .LBB107_87
; %bb.84:
	s_mov_b32 s6, 0x4b000000
	s_mov_b32 s12, 0x35000000
	v_cmp_lt_f32_e64 s[6:7], |v1|, s6
	v_cmp_gt_f32_e64 s[12:13], |v1|, s12
	s_and_b64 s[6:7], s[6:7], s[12:13]
	s_and_saveexec_b64 s[12:13], s[6:7]
	s_cbranch_execz .LBB107_86
; %bb.85:
	v_mul_f32_e64 v5, |v1|, 0.5
	v_fract_f32_e32 v6, v5
	s_mov_b32 s14, 0x7f800000
	v_add_f32_e32 v6, v6, v6
	v_cmp_neq_f32_e32 vcc, s14, v5
	v_cndmask_b32_e32 v5, 0, v6, vcc
	v_cmp_gt_f32_e64 s[6:7], |v1|, 1.0
	v_cndmask_b32_e64 v5, |v1|, v5, s[6:7]
	v_add_f32_e32 v6, v5, v5
	v_rndne_f32_e32 v6, v6
	v_fmac_f32_e32 v5, -0.5, v6
	v_mul_f32_e32 v7, v5, v5
	v_mov_b32_e32 v8, 0xbf1f24be
	v_fmac_f32_e32 v8, 0x3e75aa41, v7
	v_mov_b32_e32 v9, 0x40234736
	v_fmac_f32_e32 v9, v7, v8
	;; [unrolled: 2-line block ×3, first 2 shown]
	v_mul_f32_e32 v9, v5, v7
	v_mul_f32_e32 v8, v9, v8
	v_fmac_f32_e32 v8, 0x40490fdb, v5
	v_mov_b32_e32 v5, 0x3e642e9d
	v_cvt_i32_f32_e32 v6, v6
	v_fmac_f32_e32 v5, 0x3d4be544, v7
	v_mov_b32_e32 v9, 0xbfaad1da
	v_fmac_f32_e32 v9, v7, v5
	v_mov_b32_e32 v5, 0x4081e0d3
	;; [unrolled: 2-line block ×3, first 2 shown]
	v_fmac_f32_e32 v9, v7, v5
	v_fma_f32 v5, v7, v9, 1.0
	v_and_b32_e32 v7, 1, v6
	v_lshlrev_b32_e32 v6, 30, v6
	v_cmp_eq_u32_e32 vcc, 0, v7
	v_and_b32_e32 v6, 0x80000000, v6
	v_xor_b32_e32 v4, v4, v1
	v_cndmask_b32_e32 v5, v5, v8, vcc
	v_xor_b32_e32 v4, v4, v6
	v_xor_b32_e32 v4, v4, v5
	v_mul_f32_e32 v4, v1, v4
	v_frexp_mant_f32_e64 v5, |v4|
	v_rcp_f32_e32 v5, v5
	v_frexp_exp_i32_f32_e32 v4, v4
	v_sub_u32_e32 v4, 2, v4
	s_mov_b32 s6, 0x800000
	v_mul_f32_e32 v5, 0x3f490fdb, v5
	v_ldexp_f32 v4, v5, v4
	v_cmp_gt_f32_e32 vcc, s6, v4
	v_cndmask_b32_e64 v5, 0, 32, vcc
	v_ldexp_f32 v4, v4, v5
	v_log_f32_e32 v4, v4
	s_mov_b32 s6, 0x3f317217
	v_mul_f32_e32 v5, 0x3f317217, v4
	v_fma_f32 v6, v4, s6, -v5
	v_fmac_f32_e32 v6, 0x3377d1cf, v4
	v_add_f32_e32 v5, v5, v6
	v_cmp_lt_f32_e64 s[6:7], |v4|, s14
	v_cndmask_b32_e64 v4, v4, v5, s[6:7]
	v_mov_b32_e32 v5, 0x41b17218
	v_cndmask_b32_e32 v5, 0, v5, vcc
	v_sub_f32_e32 v4, v4, v5
	v_sub_f32_e32 v2, v4, v2
	v_fract_f32_e32 v4, v1
	v_mov_b32_e32 v5, 0x7f800000
	v_cmp_neq_f32_e32 vcc, 0, v4
	v_cndmask_b32_e32 v2, v5, v2, vcc
.LBB107_86:
	s_or_b64 exec, exec, s[12:13]
                                        ; implicit-def: $vgpr5
.LBB107_87:
	s_andn2_saveexec_b64 s[8:9], s[8:9]
; %bb.88:
	v_cmp_eq_f16_e32 vcc, 1.0, v5
	v_cmp_eq_f16_e64 s[6:7], 2.0, v5
	s_or_b64 s[6:7], vcc, s[6:7]
	v_cndmask_b32_e64 v2, v2, 0, s[6:7]
; %bb.89:
	s_or_b64 exec, exec, s[8:9]
	v_add_u32_e32 v4, 1, v0
	v_cvt_f32_i32_e32 v4, v4
	v_mov_b32_e32 v7, 0x7c00
	v_cvt_f16_f32_e32 v6, v4
	v_cmp_neq_f16_e32 vcc, 1.0, v6
	s_and_saveexec_b64 s[12:13], vcc
	s_cbranch_execz .LBB107_176
; %bb.90:
	v_cmp_lt_i32_e32 vcc, -1, v0
	v_mov_b32_e32 v7, 0x7e00
	s_and_saveexec_b64 s[14:15], vcc
	s_cbranch_execz .LBB107_175
; %bb.91:
	v_cvt_f32_f16_e32 v4, v6
	s_waitcnt vmcnt(0) lgkmcnt(0)
	v_cvt_f32_f16_e32 v5, v3
	v_cmp_ge_f16_e32 vcc, 0, v3
	s_mov_b64 s[8:9], -1
                                        ; implicit-def: $vgpr7
	s_and_saveexec_b64 s[6:7], vcc
	s_cbranch_execz .LBB107_95
; %bb.92:
	v_floor_f32_e32 v7, v5
	v_cmp_neq_f32_e32 vcc, v7, v5
	s_mov_b64 s[8:9], 0
	v_mov_b32_e32 v7, 0x7c00
	s_and_saveexec_b64 s[16:17], vcc
; %bb.93:
	v_floor_f32_e32 v7, v4
	v_cmp_eq_f32_e32 vcc, v7, v4
	v_mov_b32_e32 v7, 0x7e00
	s_and_b64 s[8:9], vcc, exec
; %bb.94:
	s_or_b64 exec, exec, s[16:17]
	s_orn2_b64 s[8:9], s[8:9], exec
.LBB107_95:
	s_or_b64 exec, exec, s[6:7]
	s_and_saveexec_b64 s[16:17], s[8:9]
	s_cbranch_execz .LBB107_174
; %bb.96:
	v_cvt_f32_f16_e64 v6, -v6
	v_frexp_mant_f32_e64 v7, |v5|
	s_mov_b32 s26, 0x3f2aaaab
	v_cmp_neq_f16_e32 vcc, 1.0, v3
	v_cndmask_b32_e32 v11, 1.0, v6, vcc
	v_cmp_gt_f32_e32 vcc, s26, v7
	v_cndmask_b32_e64 v8, 1.0, 2.0, vcc
	v_mul_f32_e32 v7, v7, v8
	v_add_f32_e32 v8, 1.0, v7
	v_rcp_f32_e32 v9, v8
	v_add_f32_e32 v10, -1.0, v7
	v_add_f32_e32 v12, -1.0, v8
	v_sub_f32_e32 v7, v7, v12
	v_mul_f32_e32 v12, v10, v9
	v_mul_f32_e32 v13, v8, v12
	v_fma_f32 v8, v12, v8, -v13
	v_fmac_f32_e32 v8, v12, v7
	v_add_f32_e32 v7, v13, v8
	v_sub_f32_e32 v14, v10, v7
	v_sub_f32_e32 v13, v7, v13
	;; [unrolled: 1-line block ×5, first 2 shown]
	v_add_f32_e32 v7, v8, v7
	v_add_f32_e32 v7, v14, v7
	v_mul_f32_e32 v7, v9, v7
	v_add_f32_e32 v10, v12, v7
	v_sub_f32_e32 v8, v10, v12
	v_sub_f32_e32 v12, v7, v8
	v_mul_f32_e32 v8, v10, v10
	v_fma_f32 v9, v10, v10, -v8
	v_add_f32_e32 v7, v12, v12
	v_fmac_f32_e32 v9, v10, v7
	v_add_f32_e32 v13, v8, v9
	v_sub_f32_e32 v8, v13, v8
	v_sub_f32_e32 v8, v9, v8
	v_mul_f32_e32 v9, v10, v13
	v_fma_f32 v15, v13, v10, -v9
	v_fmac_f32_e32 v15, v13, v12
	v_mov_b32_e32 v14, 0x3e91f4c4
	v_fmac_f32_e32 v15, v8, v10
	v_fmac_f32_e32 v14, 0x3e76c4e1, v13
	v_mov_b32_e32 v7, 0x3ecccdef
	v_add_f32_e32 v16, v9, v15
	v_fma_f32 v14, v13, v14, v7
	v_sub_f32_e32 v9, v16, v9
	v_sub_f32_e32 v15, v15, v9
	v_mul_f32_e32 v9, v13, v14
	v_fma_f32 v13, v13, v14, -v9
	v_fmac_f32_e32 v13, v8, v14
	v_add_f32_e32 v14, v9, v13
	v_sub_f32_e32 v8, v14, v9
	v_sub_f32_e32 v8, v13, v8
	v_add_f32_e32 v13, 0x31739010, v8
	v_cvt_f64_f32_e64 v[8:9], |v5|
	v_add_f32_e32 v17, 0x3f2aaaaa, v14
	v_add_f32_e32 v18, 0xbf2aaaaa, v17
	v_sub_f32_e32 v14, v14, v18
	v_frexp_exp_i32_f64_e32 v8, v[8:9]
	v_add_f32_e32 v13, v13, v14
	v_add_f32_e32 v9, v17, v13
	v_sub_f32_e32 v14, v17, v9
	v_add_f32_e32 v13, v13, v14
	v_mul_f32_e32 v14, v16, v9
	v_fma_f32 v17, v16, v9, -v14
	v_fmac_f32_e32 v17, v16, v13
	v_subbrev_co_u32_e32 v8, vcc, 0, v8, vcc
	v_cvt_f32_i32_e32 v8, v8
	v_fmac_f32_e32 v17, v15, v9
	s_mov_b32 s27, 0x3f317218
	v_ldexp_f32 v10, v10, 1
	v_mul_f32_e32 v9, 0x3f317218, v8
	v_fma_f32 v13, v8, s27, -v9
	v_fmac_f32_e32 v13, 0xb102e308, v8
	v_ldexp_f32 v8, v12, 1
	v_add_f32_e32 v12, v9, v13
	v_sub_f32_e32 v9, v12, v9
	v_sub_f32_e32 v9, v13, v9
	v_add_f32_e32 v13, v14, v17
	v_sub_f32_e32 v14, v13, v14
	v_add_f32_e32 v15, v10, v13
	v_sub_f32_e32 v14, v17, v14
	v_sub_f32_e32 v10, v15, v10
	;; [unrolled: 1-line block ×3, first 2 shown]
	v_add_f32_e32 v8, v8, v14
	v_add_f32_e32 v8, v8, v10
	;; [unrolled: 1-line block ×3, first 2 shown]
	v_sub_f32_e32 v13, v10, v15
	v_sub_f32_e32 v8, v8, v13
	v_add_f32_e32 v13, v12, v10
	v_sub_f32_e32 v14, v13, v12
	v_sub_f32_e32 v15, v13, v14
	;; [unrolled: 1-line block ×4, first 2 shown]
	v_add_f32_e32 v10, v10, v12
	v_add_f32_e32 v12, v9, v8
	v_sub_f32_e32 v14, v12, v9
	v_sub_f32_e32 v15, v12, v14
	;; [unrolled: 1-line block ×4, first 2 shown]
	v_add_f32_e32 v8, v8, v9
	v_add_f32_e32 v9, v12, v10
	;; [unrolled: 1-line block ×3, first 2 shown]
	v_sub_f32_e32 v12, v10, v13
	v_sub_f32_e32 v9, v9, v12
	v_add_f32_e32 v8, v8, v9
	v_add_f32_e32 v9, v10, v8
	v_sub_f32_e32 v10, v9, v10
	v_sub_f32_e32 v8, v8, v10
	v_mul_f32_e32 v10, v11, v9
	v_fma_f32 v9, v11, v9, -v10
	v_fmac_f32_e32 v9, v11, v8
	s_movk_i32 s29, 0x204
	v_add_f32_e32 v8, v10, v9
	v_cmp_class_f32_e64 vcc, v10, s29
	v_sub_f32_e32 v12, v8, v10
	v_cndmask_b32_e32 v10, v8, v10, vcc
	s_mov_b32 s41, 0x42b17218
	v_mov_b32_e32 v8, 0x37000000
	v_cmp_eq_f32_e32 vcc, s41, v10
	v_sub_f32_e32 v9, v9, v12
	v_cndmask_b32_e32 v12, 0, v8, vcc
	v_sub_f32_e32 v13, v10, v12
	s_mov_b32 s42, 0x3fb8aa3b
	v_mul_f32_e32 v14, 0x3fb8aa3b, v13
	v_fma_f32 v15, v13, s42, -v14
	v_rndne_f32_e32 v16, v14
	v_fmac_f32_e32 v15, 0x32a5705f, v13
	v_sub_f32_e32 v14, v14, v16
	v_add_f32_e32 v14, v14, v15
	v_exp_f32_e32 v14, v14
	v_cvt_i32_f32_e32 v15, v16
	s_mov_b32 s40, 0x7f800000
	v_cmp_neq_f32_e64 vcc, |v10|, s40
	v_cndmask_b32_e32 v9, 0, v9, vcc
	s_mov_b32 s43, 0xc2ce8ed0
	v_add_f32_e32 v10, v12, v9
	v_ldexp_f32 v9, v14, v15
	v_cmp_ngt_f32_e32 vcc, s43, v13
	v_cndmask_b32_e32 v12, 0, v9, vcc
	v_mov_b32_e32 v9, 0x7f800000
	v_cmp_nlt_f32_e32 vcc, s41, v13
	v_cndmask_b32_e32 v12, v9, v12, vcc
	v_fma_f32 v10, v12, v10, v12
	v_cmp_class_f32_e64 vcc, v12, s29
	v_trunc_f32_e32 v13, v11
	v_cndmask_b32_e32 v12, v10, v12, vcc
	v_cmp_eq_f32_e32 vcc, v13, v11
	v_mul_f32_e32 v13, 0.5, v11
	v_trunc_f32_e32 v14, v13
	v_cmp_neq_f32_e64 s[6:7], v14, v13
	s_and_b64 s[6:7], vcc, s[6:7]
	v_cndmask_b32_e64 v13, 1.0, v5, s[6:7]
	s_brev_b32 s44, -2
	v_mov_b32_e32 v10, 0x7fc00000
	v_bfi_b32 v12, s44, v12, v13
	v_cmp_neq_f32_e64 s[8:9], v11, |v11|
	v_cmp_lt_f32_e64 s[18:19], |v5|, 1.0
	v_cndmask_b32_e32 v13, v10, v12, vcc
	v_cmp_gt_f16_e32 vcc, 0, v3
	s_xor_b64 s[8:9], s[18:19], s[8:9]
	v_cndmask_b32_e32 v12, v12, v13, vcc
	v_cndmask_b32_e64 v13, v9, 0, s[8:9]
	v_cmp_neq_f32_e64 vcc, |v5|, 1.0
	v_cndmask_b32_e32 v13, 1.0, v13, vcc
	v_cmp_class_f32_e64 vcc, v11, s29
	v_cndmask_b32_e32 v12, v12, v13, vcc
	v_cmp_eq_f16_e32 vcc, 0, v3
	v_cmp_gt_f32_e64 s[8:9], 0, v11
	s_xor_b64 s[8:9], vcc, s[8:9]
	v_cmp_class_f32_e64 s[18:19], v5, s29
	v_cndmask_b32_e64 v11, v9, 0, s[8:9]
	v_cndmask_b32_e64 v13, 0, v5, s[6:7]
	v_bfi_b32 v11, s44, v11, v13
	s_or_b64 vcc, vcc, s[18:19]
	v_cndmask_b32_e32 v11, v12, v11, vcc
	v_cmp_o_f16_e32 vcc, v3, v3
	s_mov_b32 s28, 0
	v_cndmask_b32_e32 v3, v10, v11, vcc
	s_mov_b64 s[18:19], 0
	s_mov_b32 s45, 0x41100000
                                        ; implicit-def: $sgpr20_sgpr21
                                        ; implicit-def: $sgpr24_sgpr25
                                        ; implicit-def: $sgpr22_sgpr23
	s_branch .LBB107_98
.LBB107_97:                             ;   in Loop: Header=BB107_98 Depth=1
	s_or_b64 exec, exec, s[6:7]
	s_and_b64 s[6:7], exec, s[24:25]
	s_or_b64 s[18:19], s[6:7], s[18:19]
	s_andn2_b64 s[6:7], s[20:21], exec
	s_and_b64 s[8:9], s[22:23], exec
	s_or_b64 s[20:21], s[6:7], s[8:9]
	s_andn2_b64 exec, exec, s[18:19]
	s_cbranch_execz .LBB107_155
.LBB107_98:                             ; =>This Inner Loop Header: Depth=1
	v_add_f32_e32 v5, 1.0, v5
	v_cmp_neq_f32_e32 vcc, 1.0, v5
	v_frexp_mant_f32_e64 v12, |v5|
	v_cndmask_b32_e32 v11, 1.0, v6, vcc
	v_cmp_gt_f32_e32 vcc, s26, v12
	v_cndmask_b32_e64 v13, 1.0, 2.0, vcc
	v_mul_f32_e32 v12, v12, v13
	v_add_f32_e32 v13, 1.0, v12
	v_rcp_f32_e32 v14, v13
	v_add_f32_e32 v15, -1.0, v12
	v_add_f32_e32 v16, -1.0, v13
	v_sub_f32_e32 v12, v12, v16
	v_mul_f32_e32 v16, v15, v14
	v_mul_f32_e32 v17, v13, v16
	v_fma_f32 v13, v16, v13, -v17
	v_fmac_f32_e32 v13, v16, v12
	v_add_f32_e32 v12, v17, v13
	v_sub_f32_e32 v18, v15, v12
	v_sub_f32_e32 v17, v12, v17
	;; [unrolled: 1-line block ×5, first 2 shown]
	v_add_f32_e32 v12, v13, v12
	v_add_f32_e32 v12, v18, v12
	v_mul_f32_e32 v12, v14, v12
	v_add_f32_e32 v14, v16, v12
	v_sub_f32_e32 v13, v14, v16
	v_sub_f32_e32 v15, v12, v13
	v_mul_f32_e32 v12, v14, v14
	v_fma_f32 v13, v14, v14, -v12
	v_add_f32_e32 v16, v15, v15
	v_fmac_f32_e32 v13, v14, v16
	v_add_f32_e32 v16, v12, v13
	v_sub_f32_e32 v12, v16, v12
	v_sub_f32_e32 v12, v13, v12
	v_mul_f32_e32 v13, v14, v16
	v_fma_f32 v18, v16, v14, -v13
	v_fmac_f32_e32 v18, v16, v15
	v_mov_b32_e32 v17, 0x3e91f4c4
	v_fmac_f32_e32 v18, v12, v14
	v_fmac_f32_e32 v17, 0x3e76c4e1, v16
	v_add_f32_e32 v19, v13, v18
	v_fma_f32 v17, v16, v17, v7
	v_sub_f32_e32 v13, v19, v13
	v_sub_f32_e32 v18, v18, v13
	v_mul_f32_e32 v13, v16, v17
	v_fma_f32 v16, v16, v17, -v13
	v_fmac_f32_e32 v16, v12, v17
	v_add_f32_e32 v17, v13, v16
	v_sub_f32_e32 v21, v17, v13
	v_cvt_f64_f32_e64 v[12:13], |v5|
	v_add_f32_e32 v20, 0x3f2aaaaa, v17
	v_sub_f32_e32 v16, v16, v21
	v_add_f32_e32 v21, 0xbf2aaaaa, v20
	v_frexp_exp_i32_f64_e32 v12, v[12:13]
	v_add_f32_e32 v16, 0x31739010, v16
	v_sub_f32_e32 v13, v17, v21
	v_add_f32_e32 v13, v16, v13
	v_add_f32_e32 v16, v20, v13
	v_sub_f32_e32 v17, v20, v16
	v_add_f32_e32 v13, v13, v17
	v_mul_f32_e32 v17, v19, v16
	v_subbrev_co_u32_e32 v12, vcc, 0, v12, vcc
	v_cvt_f32_i32_e32 v12, v12
	v_fma_f32 v20, v19, v16, -v17
	v_fmac_f32_e32 v20, v19, v13
	v_fmac_f32_e32 v20, v18, v16
	v_mul_f32_e32 v13, 0x3f317218, v12
	v_fma_f32 v16, v12, s27, -v13
	v_fmac_f32_e32 v16, 0xb102e308, v12
	v_ldexp_f32 v12, v15, 1
	v_add_f32_e32 v15, v13, v16
	v_sub_f32_e32 v13, v15, v13
	v_ldexp_f32 v14, v14, 1
	v_sub_f32_e32 v13, v16, v13
	v_add_f32_e32 v16, v17, v20
	v_sub_f32_e32 v17, v16, v17
	v_add_f32_e32 v18, v14, v16
	v_sub_f32_e32 v17, v20, v17
	v_sub_f32_e32 v14, v18, v14
	;; [unrolled: 1-line block ×3, first 2 shown]
	v_add_f32_e32 v12, v12, v17
	v_add_f32_e32 v12, v12, v14
	;; [unrolled: 1-line block ×3, first 2 shown]
	v_sub_f32_e32 v16, v14, v18
	v_sub_f32_e32 v12, v12, v16
	v_add_f32_e32 v16, v15, v14
	v_sub_f32_e32 v17, v16, v15
	v_sub_f32_e32 v18, v16, v17
	;; [unrolled: 1-line block ×4, first 2 shown]
	v_add_f32_e32 v14, v14, v15
	v_add_f32_e32 v15, v13, v12
	v_sub_f32_e32 v17, v15, v13
	v_sub_f32_e32 v18, v15, v17
	;; [unrolled: 1-line block ×4, first 2 shown]
	v_add_f32_e32 v12, v12, v13
	v_add_f32_e32 v13, v15, v14
	;; [unrolled: 1-line block ×3, first 2 shown]
	v_sub_f32_e32 v15, v14, v16
	v_sub_f32_e32 v13, v13, v15
	v_add_f32_e32 v12, v12, v13
	v_add_f32_e32 v13, v14, v12
	v_sub_f32_e32 v14, v13, v14
	v_sub_f32_e32 v12, v12, v14
	v_mul_f32_e32 v14, v11, v13
	v_fma_f32 v13, v11, v13, -v14
	v_fmac_f32_e32 v13, v11, v12
	v_add_f32_e32 v12, v14, v13
	v_cmp_class_f32_e64 vcc, v14, s29
	v_sub_f32_e32 v15, v12, v14
	v_cndmask_b32_e32 v12, v12, v14, vcc
	v_cmp_eq_f32_e32 vcc, s41, v12
	v_cndmask_b32_e32 v14, 0, v8, vcc
	v_sub_f32_e32 v13, v13, v15
	v_sub_f32_e32 v15, v12, v14
	v_mul_f32_e32 v16, 0x3fb8aa3b, v15
	v_fma_f32 v17, v15, s42, -v16
	v_rndne_f32_e32 v18, v16
	v_fmac_f32_e32 v17, 0x32a5705f, v15
	v_sub_f32_e32 v16, v16, v18
	v_add_f32_e32 v16, v16, v17
	v_exp_f32_e32 v16, v16
	v_cvt_i32_f32_e32 v17, v18
	v_cmp_neq_f32_e64 vcc, |v12|, s40
	v_cndmask_b32_e32 v12, 0, v13, vcc
	v_cmp_ngt_f32_e32 vcc, s43, v15
	v_ldexp_f32 v13, v16, v17
	v_cndmask_b32_e32 v13, 0, v13, vcc
	v_cmp_nlt_f32_e32 vcc, s41, v15
	v_add_f32_e32 v12, v14, v12
	v_cndmask_b32_e32 v13, v9, v13, vcc
	v_fma_f32 v12, v13, v12, v13
	v_cmp_class_f32_e64 vcc, v13, s29
	v_cndmask_b32_e32 v12, v12, v13, vcc
	v_trunc_f32_e32 v13, v11
	v_cmp_eq_f32_e32 vcc, v13, v11
	v_mul_f32_e32 v13, 0.5, v11
	v_trunc_f32_e32 v14, v13
	v_cmp_neq_f32_e64 s[6:7], v14, v13
	s_and_b64 s[6:7], vcc, s[6:7]
	v_cndmask_b32_e64 v13, 1.0, v5, s[6:7]
	v_bfi_b32 v12, s44, v12, v13
	v_cmp_neq_f32_e64 s[8:9], v11, |v11|
	v_cmp_lt_f32_e64 s[46:47], |v5|, 1.0
	v_cndmask_b32_e32 v13, v10, v12, vcc
	v_cmp_gt_f32_e32 vcc, 0, v5
	s_xor_b64 s[8:9], s[46:47], s[8:9]
	v_cndmask_b32_e32 v12, v12, v13, vcc
	v_cndmask_b32_e64 v13, v9, 0, s[8:9]
	v_cmp_neq_f32_e64 vcc, |v5|, 1.0
	v_cndmask_b32_e32 v13, 1.0, v13, vcc
	v_cmp_class_f32_e64 vcc, v11, s29
	v_cndmask_b32_e32 v12, v12, v13, vcc
	v_cmp_eq_f32_e32 vcc, 0, v5
	v_cmp_gt_f32_e64 s[8:9], 0, v11
	s_xor_b64 s[8:9], vcc, s[8:9]
	v_cmp_class_f32_e64 s[46:47], v5, s29
	v_cndmask_b32_e64 v11, v9, 0, s[8:9]
	v_cndmask_b32_e64 v13, 0, v5, s[6:7]
	v_bfi_b32 v11, s44, v11, v13
	s_or_b64 vcc, vcc, s[46:47]
	v_cndmask_b32_e32 v11, v12, v11, vcc
	v_cmp_o_f32_e32 vcc, v5, v5
	v_cndmask_b32_e32 v11, v10, v11, vcc
	v_add_f32_e32 v3, v3, v11
	v_mul_f32_e32 v12, 0xa5000000, v3
	v_cmp_nlt_f32_e32 vcc, v12, v11
	v_mul_f32_e32 v12, 0x25000000, v3
	v_cmp_nlt_f32_e64 s[6:7], v11, v12
	s_or_b64 s[8:9], vcc, s[6:7]
	s_or_b64 s[22:23], s[22:23], exec
	s_or_b64 s[24:25], s[24:25], exec
	s_and_saveexec_b64 s[6:7], s[8:9]
	s_cbranch_execz .LBB107_97
; %bb.99:                               ;   in Loop: Header=BB107_98 Depth=1
	s_add_i32 s46, s28, 1
	s_cmp_gt_u32 s28, 7
	s_cselect_b64 s[8:9], -1, 0
	v_cmp_nge_f32_e32 vcc, s45, v5
	s_and_b64 s[8:9], s[8:9], vcc
	s_andn2_b64 s[24:25], s[24:25], exec
	s_and_b64 s[8:9], s[8:9], exec
	s_andn2_b64 s[22:23], s[22:23], exec
	s_or_b64 s[24:25], s[24:25], s[8:9]
	s_mov_b32 s28, s46
	s_branch .LBB107_97
.LBB107_100:
	v_mov_b32_e32 v3, 28
	v_cmp_gt_i16_sdwa s[8:9], v5, v3 src0_sel:BYTE_0 src1_sel:DWORD
	s_mov_b64 s[14:15], 0
                                        ; implicit-def: $vgpr3
	s_and_saveexec_b64 s[16:17], s[8:9]
	s_xor_b64 s[8:9], exec, s[16:17]
	s_cbranch_execz .LBB107_116
; %bb.101:
	v_mov_b32_e32 v3, 43
	v_cmp_gt_i16_sdwa s[12:13], v5, v3 src0_sel:BYTE_0 src1_sel:DWORD
	s_mov_b64 s[16:17], 0
	s_mov_b64 s[18:19], 0
                                        ; implicit-def: $vgpr3
	s_and_saveexec_b64 s[14:15], s[12:13]
	s_xor_b64 s[12:13], exec, s[14:15]
	s_cbranch_execz .LBB107_111
; %bb.102:
	v_mov_b32_e32 v3, 45
	v_cmp_gt_i16_sdwa s[18:19], v5, v3 src0_sel:BYTE_0 src1_sel:DWORD
	s_mov_b64 s[14:15], 0
                                        ; implicit-def: $vgpr3
	s_and_saveexec_b64 s[20:21], s[18:19]
	s_xor_b64 s[18:19], exec, s[20:21]
	s_cbranch_execz .LBB107_106
; %bb.103:
	v_mov_b32_e32 v3, 46
	v_cmp_eq_u16_sdwa s[22:23], v5, v3 src0_sel:BYTE_0 src1_sel:DWORD
	s_mov_b64 s[20:21], -1
                                        ; implicit-def: $vgpr3
	s_and_saveexec_b64 s[16:17], s[22:23]
	s_cbranch_execz .LBB107_105
; %bb.104:
	flat_load_dword v3, v[1:2]
	s_mov_b64 s[14:15], exec
	s_xor_b64 s[20:21], exec, -1
	s_waitcnt vmcnt(0) lgkmcnt(0)
	v_lshlrev_b32_e32 v3, 16, v3
	v_cvt_f16_f32_e32 v3, v3
.LBB107_105:
	s_or_b64 exec, exec, s[16:17]
	s_and_b64 s[16:17], s[14:15], exec
	s_and_b64 s[14:15], s[20:21], exec
                                        ; implicit-def: $vgpr5
.LBB107_106:
	s_andn2_saveexec_b64 s[18:19], s[18:19]
	s_cbranch_execz .LBB107_110
; %bb.107:
	v_mov_b32_e32 v3, 44
	v_cmp_eq_u16_sdwa s[26:27], v5, v3 src0_sel:BYTE_0 src1_sel:DWORD
	s_mov_b64 s[22:23], -1
	s_mov_b64 s[24:25], s[16:17]
                                        ; implicit-def: $vgpr3
	s_and_saveexec_b64 s[20:21], s[26:27]
	s_cbranch_execz .LBB107_109
; %bb.108:
	flat_load_ubyte v3, v[1:2]
	s_movk_i32 s22, 0xff
	v_mov_b32_e32 v5, 0x7e00
	s_or_b64 s[24:25], s[16:17], exec
	s_waitcnt vmcnt(0) lgkmcnt(0)
	v_lshlrev_b32_e32 v4, 23, v3
	v_cvt_f16_f32_e32 v4, v4
	v_cmp_ne_u32_e32 vcc, s22, v3
	s_xor_b64 s[22:23], exec, -1
	v_cndmask_b32_e32 v4, v5, v4, vcc
	v_cmp_ne_u32_e32 vcc, 0, v3
	v_cndmask_b32_e32 v3, 0, v4, vcc
.LBB107_109:
	s_or_b64 exec, exec, s[20:21]
	s_andn2_b64 s[16:17], s[16:17], exec
	s_and_b64 s[20:21], s[24:25], exec
	s_or_b64 s[16:17], s[16:17], s[20:21]
	s_andn2_b64 s[14:15], s[14:15], exec
	s_and_b64 s[20:21], s[22:23], exec
	s_or_b64 s[14:15], s[14:15], s[20:21]
.LBB107_110:
	s_or_b64 exec, exec, s[18:19]
	s_and_b64 s[18:19], s[16:17], exec
	s_and_b64 s[16:17], s[14:15], exec
                                        ; implicit-def: $vgpr5
.LBB107_111:
	s_andn2_saveexec_b64 s[12:13], s[12:13]
	s_cbranch_execz .LBB107_115
; %bb.112:
	v_mov_b32_e32 v3, 29
	v_cmp_eq_u16_sdwa s[24:25], v5, v3 src0_sel:BYTE_0 src1_sel:DWORD
	s_mov_b64 s[20:21], -1
	s_mov_b64 s[22:23], s[18:19]
                                        ; implicit-def: $vgpr3
	s_and_saveexec_b64 s[14:15], s[24:25]
	s_cbranch_execz .LBB107_114
; %bb.113:
	flat_load_dwordx2 v[3:4], v[1:2]
	s_or_b64 s[22:23], s[18:19], exec
	s_xor_b64 s[20:21], exec, -1
	s_waitcnt vmcnt(0) lgkmcnt(0)
	v_ffbh_u32_e32 v5, v4
	v_min_u32_e32 v5, 32, v5
	v_lshlrev_b64 v[3:4], v5, v[3:4]
	v_min_u32_e32 v3, 1, v3
	v_or_b32_e32 v3, v4, v3
	v_cvt_f32_u32_e32 v3, v3
	v_sub_u32_e32 v4, 32, v5
	v_ldexp_f32 v3, v3, v4
	v_cvt_f16_f32_e32 v3, v3
.LBB107_114:
	s_or_b64 exec, exec, s[14:15]
	s_andn2_b64 s[14:15], s[18:19], exec
	s_and_b64 s[18:19], s[22:23], exec
	s_or_b64 s[18:19], s[14:15], s[18:19]
	s_andn2_b64 s[14:15], s[16:17], exec
	s_and_b64 s[16:17], s[20:21], exec
	s_or_b64 s[16:17], s[14:15], s[16:17]
.LBB107_115:
	s_or_b64 exec, exec, s[12:13]
	s_and_b64 s[14:15], s[18:19], exec
	s_and_b64 s[12:13], s[16:17], exec
                                        ; implicit-def: $vgpr5
.LBB107_116:
	s_andn2_saveexec_b64 s[8:9], s[8:9]
	s_cbranch_execz .LBB107_130
; %bb.117:
	v_mov_b32_e32 v3, 26
	v_cmp_gt_i16_sdwa s[16:17], v5, v3 src0_sel:BYTE_0 src1_sel:DWORD
                                        ; implicit-def: $vgpr3
	s_and_saveexec_b64 s[18:19], s[16:17]
	s_xor_b64 s[16:17], exec, s[18:19]
	s_cbranch_execz .LBB107_123
; %bb.118:
	v_mov_b32_e32 v3, 27
	v_cmp_gt_i16_sdwa s[18:19], v5, v3 src0_sel:BYTE_0 src1_sel:DWORD
                                        ; implicit-def: $vgpr3
	s_and_saveexec_b64 s[20:21], s[18:19]
	s_xor_b64 s[18:19], exec, s[20:21]
	s_cbranch_execz .LBB107_120
; %bb.119:
	flat_load_dword v3, v[1:2]
	s_waitcnt vmcnt(0) lgkmcnt(0)
	v_cvt_f32_u32_e32 v3, v3
	v_cvt_f16_f32_e32 v3, v3
.LBB107_120:
	s_andn2_saveexec_b64 s[18:19], s[18:19]
	s_cbranch_execz .LBB107_122
; %bb.121:
	flat_load_ushort v3, v[1:2]
	s_waitcnt vmcnt(0) lgkmcnt(0)
	v_cvt_f16_u16_e32 v3, v3
.LBB107_122:
	s_or_b64 exec, exec, s[18:19]
.LBB107_123:
	s_andn2_saveexec_b64 s[16:17], s[16:17]
	s_cbranch_execz .LBB107_129
; %bb.124:
	flat_load_ubyte v4, v[1:2]
	s_movk_i32 s18, 0x7f
	s_waitcnt vmcnt(0) lgkmcnt(0)
	v_cmp_lt_i16_e32 vcc, s18, v4
	s_mov_b64 s[18:19], 0
	s_and_saveexec_b64 s[20:21], vcc
	s_xor_b64 s[20:21], exec, s[20:21]
	s_cbranch_execnz .LBB107_162
; %bb.125:
	s_or_saveexec_b64 s[20:21], s[20:21]
	v_mov_b32_e32 v3, 0x7e00
	s_xor_b64 exec, exec, s[20:21]
	s_cbranch_execnz .LBB107_165
.LBB107_126:
	s_or_b64 exec, exec, s[20:21]
	s_and_saveexec_b64 s[20:21], s[18:19]
	s_cbranch_execz .LBB107_128
.LBB107_127:
	v_lshlrev_b32_e32 v3, 24, v4
	v_and_b32_e32 v4, 0xffff, v4
	v_and_b32_e32 v5, 7, v4
	v_ffbh_u32_e32 v7, v5
	v_min_u32_e32 v7, 32, v7
	v_subrev_u32_e32 v8, 28, v7
	v_bfe_u32 v6, v4, 3, 4
	v_lshlrev_b32_e32 v4, v8, v4
	v_sub_u32_e32 v7, 29, v7
	v_and_b32_e32 v4, 7, v4
	v_cmp_eq_u32_e32 vcc, 0, v6
	v_cndmask_b32_e32 v6, v6, v7, vcc
	v_cndmask_b32_e32 v4, v5, v4, vcc
	v_mov_b32_e32 v5, 0x3b800000
	v_lshlrev_b32_e32 v4, 20, v4
	v_and_b32_e32 v3, 0x80000000, v3
	v_lshl_add_u32 v5, v6, 23, v5
	v_or3_b32 v3, v3, v5, v4
	v_cvt_f16_f32_e32 v3, v3
.LBB107_128:
	s_or_b64 exec, exec, s[20:21]
.LBB107_129:
	s_or_b64 exec, exec, s[16:17]
	s_or_b64 s[14:15], s[14:15], exec
.LBB107_130:
	s_or_b64 exec, exec, s[8:9]
	s_and_b64 s[8:9], s[14:15], exec
	s_and_b64 s[12:13], s[12:13], exec
                                        ; implicit-def: $vgpr5
	s_andn2_saveexec_b64 s[10:11], s[10:11]
	s_cbranch_execz .LBB107_6
.LBB107_131:
	v_mov_b32_e32 v3, 22
	v_cmp_gt_i16_sdwa s[6:7], v5, v3 src0_sel:BYTE_0 src1_sel:DWORD
	s_mov_b64 s[14:15], s[8:9]
                                        ; implicit-def: $vgpr3
	s_and_saveexec_b64 s[16:17], s[6:7]
	s_xor_b64 s[6:7], exec, s[16:17]
	s_cbranch_execz .LBB107_145
; %bb.132:
	v_mov_b32_e32 v3, 23
	v_cmp_gt_i16_sdwa s[14:15], v5, v3 src0_sel:BYTE_0 src1_sel:DWORD
                                        ; implicit-def: $vgpr3
	s_and_saveexec_b64 s[16:17], s[14:15]
	s_xor_b64 s[14:15], exec, s[16:17]
	s_cbranch_execz .LBB107_142
; %bb.133:
	v_mov_b32_e32 v3, 24
	v_cmp_gt_i16_sdwa s[16:17], v5, v3 src0_sel:BYTE_0 src1_sel:DWORD
                                        ; implicit-def: $vgpr3
	s_and_saveexec_b64 s[18:19], s[16:17]
	s_xor_b64 s[16:17], exec, s[18:19]
	s_cbranch_execz .LBB107_139
; %bb.134:
	flat_load_ubyte v4, v[1:2]
	s_movk_i32 s18, 0x7f
	s_waitcnt vmcnt(0) lgkmcnt(0)
	v_cmp_lt_i16_e32 vcc, s18, v4
	s_mov_b64 s[18:19], 0
	s_and_saveexec_b64 s[20:21], vcc
	s_xor_b64 s[20:21], exec, s[20:21]
	s_cbranch_execnz .LBB107_177
; %bb.135:
	s_or_saveexec_b64 s[20:21], s[20:21]
	v_mov_b32_e32 v3, 0x7e00
	s_xor_b64 exec, exec, s[20:21]
	s_cbranch_execnz .LBB107_180
.LBB107_136:
	s_or_b64 exec, exec, s[20:21]
	s_and_saveexec_b64 s[20:21], s[18:19]
	s_cbranch_execz .LBB107_138
.LBB107_137:
	v_lshlrev_b32_e32 v3, 24, v4
	v_and_b32_e32 v4, 0xffff, v4
	v_and_b32_e32 v5, 3, v4
	v_ffbh_u32_e32 v7, v5
	v_min_u32_e32 v7, 32, v7
	v_subrev_u32_e32 v8, 29, v7
	v_bfe_u32 v6, v4, 2, 5
	v_lshlrev_b32_e32 v4, v8, v4
	v_sub_u32_e32 v7, 30, v7
	v_and_b32_e32 v4, 3, v4
	v_cmp_eq_u32_e32 vcc, 0, v6
	v_cndmask_b32_e32 v6, v6, v7, vcc
	v_cndmask_b32_e32 v4, v5, v4, vcc
	v_mov_b32_e32 v5, 0x37800000
	v_lshlrev_b32_e32 v4, 21, v4
	v_and_b32_e32 v3, 0x80000000, v3
	v_lshl_add_u32 v5, v6, 23, v5
	v_or3_b32 v3, v3, v5, v4
	v_cvt_f16_f32_e32 v3, v3
.LBB107_138:
	s_or_b64 exec, exec, s[20:21]
.LBB107_139:
	s_andn2_saveexec_b64 s[16:17], s[16:17]
	s_cbranch_execz .LBB107_141
; %bb.140:
	flat_load_ubyte v3, v[1:2]
	s_mov_b32 s18, 0x7f800000
	s_waitcnt vmcnt(0) lgkmcnt(0)
	v_lshlrev_b32_e32 v3, 24, v3
	v_and_b32_e32 v4, 0x7f000000, v3
	v_ffbh_u32_e32 v5, v4
	v_min_u32_e32 v5, 32, v5
	v_sub_u32_e64 v5, v5, 4 clamp
	v_lshlrev_b32_e32 v7, v5, v4
	v_lshlrev_b32_e32 v5, 23, v5
	v_lshrrev_b32_e32 v7, 4, v7
	v_add_u32_e32 v6, 0x1000000, v4
	v_sub_u32_e32 v5, v7, v5
	v_ashrrev_i32_e32 v6, 8, v6
	v_add_u32_e32 v5, 0x3c000000, v5
	v_and_or_b32 v5, v6, s18, v5
	v_cmp_ne_u32_e32 vcc, 0, v4
	v_cndmask_b32_e32 v4, 0, v5, vcc
	s_brev_b32 s18, 1
	v_and_or_b32 v3, v3, s18, v4
	v_cvt_f16_f32_e32 v3, v3
.LBB107_141:
	s_or_b64 exec, exec, s[16:17]
.LBB107_142:
	s_andn2_saveexec_b64 s[14:15], s[14:15]
	s_cbranch_execz .LBB107_144
; %bb.143:
	flat_load_ubyte v3, v[1:2]
	s_movk_i32 s16, 0x7f00
	s_brev_b32 s17, 16
	s_waitcnt vmcnt(0) lgkmcnt(0)
	v_lshlrev_b16_e32 v4, 8, v3
	v_lshlrev_b32_e32 v3, 25, v3
	v_lshrrev_b32_e32 v5, 4, v3
	v_and_or_b32 v6, v4, s16, 0.5
	v_or_b32_e32 v5, 0x70000000, v5
	v_add_f32_e32 v6, -0.5, v6
	v_mul_f32_e32 v5, 0x7800000, v5
	v_cmp_gt_u32_e32 vcc, s17, v3
	v_bfe_i32 v4, v4, 0, 16
	v_cndmask_b32_e32 v3, v5, v6, vcc
	s_brev_b32 s16, 1
	v_and_or_b32 v3, v4, s16, v3
	v_cvt_f16_f32_e32 v3, v3
.LBB107_144:
	s_or_b64 exec, exec, s[14:15]
	s_or_b64 s[14:15], s[8:9], exec
                                        ; implicit-def: $vgpr5
.LBB107_145:
	s_or_saveexec_b64 s[6:7], s[6:7]
	s_mov_b64 s[18:19], 0
	s_mov_b64 s[16:17], s[12:13]
	s_xor_b64 exec, exec, s[6:7]
	s_cbranch_execz .LBB107_153
; %bb.146:
	v_mov_b32_e32 v3, 14
	v_cmp_gt_i16_sdwa s[20:21], v5, v3 src0_sel:BYTE_0 src1_sel:DWORD
	s_mov_b64 s[16:17], s[12:13]
	s_mov_b64 s[18:19], s[14:15]
                                        ; implicit-def: $vgpr3
	s_and_saveexec_b64 s[22:23], s[20:21]
	s_xor_b64 s[20:21], exec, s[22:23]
	s_cbranch_execz .LBB107_150
; %bb.147:
	v_mov_b32_e32 v3, 15
	v_cmp_eq_u16_sdwa s[24:25], v5, v3 src0_sel:BYTE_0 src1_sel:DWORD
	s_mov_b64 s[16:17], -1
	s_mov_b64 s[18:19], s[14:15]
                                        ; implicit-def: $vgpr3
	s_and_saveexec_b64 s[22:23], s[24:25]
	s_cbranch_execz .LBB107_149
; %bb.148:
	flat_load_ushort v3, v[1:2]
	s_or_b64 s[18:19], s[14:15], exec
	s_xor_b64 s[16:17], exec, -1
	s_waitcnt vmcnt(0) lgkmcnt(0)
	v_lshlrev_b32_e32 v3, 16, v3
	v_cvt_f16_f32_e32 v3, v3
.LBB107_149:
	s_or_b64 exec, exec, s[22:23]
	s_andn2_b64 s[22:23], s[14:15], exec
	s_and_b64 s[18:19], s[18:19], exec
	s_or_b64 s[18:19], s[22:23], s[18:19]
	s_andn2_b64 s[22:23], s[12:13], exec
	s_and_b64 s[16:17], s[16:17], exec
	s_or_b64 s[16:17], s[22:23], s[16:17]
                                        ; implicit-def: $vgpr5
.LBB107_150:
	s_or_saveexec_b64 s[20:21], s[20:21]
	s_mov_b64 s[22:23], 0
	s_xor_b64 exec, exec, s[20:21]
; %bb.151:
	v_mov_b32_e32 v4, 11
	v_cmp_ne_u16_sdwa s[24:25], v5, v4 src0_sel:BYTE_0 src1_sel:DWORD
	s_andn2_b64 s[16:17], s[16:17], exec
	s_and_b64 s[24:25], s[24:25], exec
	s_mov_b64 s[22:23], exec
	s_or_b64 s[16:17], s[16:17], s[24:25]
; %bb.152:
	s_or_b64 exec, exec, s[20:21]
	s_andn2_b64 s[14:15], s[14:15], exec
	s_and_b64 s[18:19], s[18:19], exec
	s_andn2_b64 s[20:21], s[12:13], exec
	s_and_b64 s[16:17], s[16:17], exec
	s_or_b64 s[14:15], s[14:15], s[18:19]
	s_and_b64 s[18:19], s[22:23], exec
	s_or_b64 s[16:17], s[20:21], s[16:17]
.LBB107_153:
	s_or_b64 exec, exec, s[6:7]
	s_andn2_b64 s[6:7], s[8:9], exec
	s_and_b64 s[8:9], s[14:15], exec
	s_andn2_b64 s[12:13], s[12:13], exec
	s_and_b64 s[14:15], s[16:17], exec
	s_or_b64 s[8:9], s[6:7], s[8:9]
	s_and_b64 s[6:7], s[18:19], exec
	s_or_b64 s[12:13], s[12:13], s[14:15]
	s_or_b64 exec, exec, s[10:11]
	s_and_saveexec_b64 s[10:11], s[12:13]
	s_cbranch_execz .LBB107_7
.LBB107_154:
	s_trap 2
	; divergent unreachable
	s_andn2_b64 s[6:7], s[6:7], exec
	s_or_b64 exec, exec, s[10:11]
	s_and_saveexec_b64 s[10:11], s[6:7]
	s_xor_b64 s[6:7], exec, s[10:11]
	s_cbranch_execnz .LBB107_8
	s_branch .LBB107_9
.LBB107_155:
	s_or_b64 exec, exec, s[18:19]
	s_xor_b64 s[6:7], s[20:21], -1
                                        ; implicit-def: $vgpr7
	s_and_saveexec_b64 s[8:9], s[6:7]
	s_xor_b64 s[6:7], exec, s[8:9]
	s_cbranch_execz .LBB107_171
; %bb.156:
	v_mul_f32_e32 v6, v5, v11
	v_add_f32_e32 v9, -1.0, v4
	v_div_scale_f32 v7, s[8:9], v9, v9, v6
	v_div_scale_f32 v8, vcc, v6, v9, v6
	s_mov_b64 s[8:9], 0
	s_mov_b32 s44, 0x25000000
	s_mov_b64 s[24:25], 0
                                        ; implicit-def: $sgpr18_sgpr19
                                        ; implicit-def: $sgpr20_sgpr21
                                        ; implicit-def: $sgpr22_sgpr23
	v_rcp_f32_e32 v10, v7
	v_fma_f32 v12, -v7, v10, 1.0
	v_fmac_f32_e32 v10, v12, v10
	v_mul_f32_e32 v12, v8, v10
	v_fma_f32 v13, -v7, v12, v8
	v_fmac_f32_e32 v12, v13, v10
	v_fma_f32 v7, -v7, v12, v8
	v_div_fmas_f32 v10, v7, v10, v12
	v_mov_b32_e32 v8, 1.0
	v_mov_b32_e32 v7, 0
	v_div_fixup_f32 v6, v10, v9, v6
	v_add_f32_e32 v6, v3, v6
	v_fmac_f32_e32 v6, -0.5, v11
	s_branch .LBB107_159
.LBB107_157:                            ;   in Loop: Header=BB107_159 Depth=1
	s_or_b64 exec, exec, s[28:29]
	s_andn2_b64 s[22:23], s[22:23], exec
	s_and_b64 s[28:29], s[42:43], exec
	s_or_b64 s[22:23], s[22:23], s[28:29]
	s_andn2_b64 s[20:21], s[20:21], exec
	s_and_b64 s[28:29], s[40:41], exec
	s_or_b64 s[20:21], s[20:21], s[28:29]
.LBB107_158:                            ;   in Loop: Header=BB107_159 Depth=1
	s_or_b64 exec, exec, s[26:27]
	s_and_b64 s[26:27], exec, s[20:21]
	s_or_b64 s[8:9], s[26:27], s[8:9]
	s_andn2_b64 s[18:19], s[18:19], exec
	s_and_b64 s[26:27], s[22:23], exec
	s_or_b64 s[18:19], s[18:19], s[26:27]
	s_andn2_b64 exec, exec, s[8:9]
	s_cbranch_execz .LBB107_166
.LBB107_159:                            ; =>This Inner Loop Header: Depth=1
	v_div_scale_f32 v9, s[26:27], v5, v5, v11
	v_div_scale_f32 v10, vcc, v11, v5, v11
	s_getpc_b64 s[26:27]
	s_add_u32 s26, s26, _ZZ4zetaIN3c104HalfELb1EET_S2_S2_E1A@rel32@lo+4
	s_addc_u32 s27, s27, _ZZ4zetaIN3c104HalfELb1EET_S2_S2_E1A@rel32@hi+12
	s_add_u32 s26, s26, s24
	s_addc_u32 s27, s27, s25
	s_load_dword s28, s[26:27], 0x0
	s_or_b64 s[22:23], s[22:23], exec
	s_or_b64 s[20:21], s[20:21], exec
	v_rcp_f32_e32 v12, v9
	v_fma_f32 v13, -v9, v12, 1.0
	v_fmac_f32_e32 v12, v13, v12
	v_mul_f32_e32 v13, v10, v12
	v_fma_f32 v14, -v9, v13, v10
	v_fmac_f32_e32 v13, v14, v12
	v_fma_f32 v9, -v9, v13, v10
	v_div_fmas_f32 v10, v9, v12, v13
	v_add_f32_e32 v9, v7, v4
	v_mul_f32_e32 v9, v8, v9
	v_div_fixup_f32 v10, v10, v5, v11
	v_mul_f32_e32 v8, v10, v9
	s_waitcnt lgkmcnt(0)
	v_div_scale_f32 v11, s[26:27], s28, s28, v8
	v_div_scale_f32 v12, vcc, v8, s28, v8
	v_rcp_f32_e32 v13, v11
	v_fma_f32 v14, -v11, v13, 1.0
	v_fmac_f32_e32 v13, v14, v13
	v_mul_f32_e32 v14, v12, v13
	v_fma_f32 v15, -v11, v14, v12
	v_fmac_f32_e32 v14, v15, v13
	v_fma_f32 v11, -v11, v14, v12
	v_div_fmas_f32 v11, v11, v13, v14
	v_div_fixup_f32 v8, v11, s28, v8
	v_add_f32_e32 v6, v6, v8
	v_div_scale_f32 v11, s[26:27], v6, v6, v8
	v_div_scale_f32 v12, vcc, v8, v6, v8
	v_rcp_f32_e32 v13, v11
	v_fma_f32 v14, -v11, v13, 1.0
	v_fmac_f32_e32 v13, v14, v13
	v_mul_f32_e32 v14, v12, v13
	v_fma_f32 v15, -v11, v14, v12
	v_fmac_f32_e32 v14, v15, v13
	v_fma_f32 v11, -v11, v14, v12
	v_div_fmas_f32 v11, v11, v13, v14
	v_div_fixup_f32 v8, v11, v6, v8
	v_cmp_nlt_f32_e64 s[28:29], |v8|, s44
                                        ; implicit-def: $vgpr11
                                        ; implicit-def: $vgpr8
	s_and_saveexec_b64 s[26:27], s[28:29]
	s_cbranch_execz .LBB107_158
; %bb.160:                              ;   in Loop: Header=BB107_159 Depth=1
	v_div_scale_f32 v8, s[28:29], v5, v5, v10
	v_div_scale_f32 v11, vcc, v10, v5, v10
	v_add_f32_e32 v7, 1.0, v7
	s_mov_b64 s[42:43], -1
	v_rcp_f32_e32 v12, v8
	v_fma_f32 v13, -v8, v12, 1.0
	v_fmac_f32_e32 v12, v13, v12
	v_mul_f32_e32 v13, v11, v12
	v_fma_f32 v14, -v8, v13, v11
	v_fmac_f32_e32 v13, v14, v12
	v_fma_f32 v8, -v8, v13, v11
	v_div_fmas_f32 v8, v8, v12, v13
	v_div_fixup_f32 v8, v8, v5, v10
	v_div_scale_f32 v10, s[28:29], v5, v5, v8
	v_div_scale_f32 v11, vcc, v8, v5, v8
	s_getpc_b64 s[28:29]
	s_add_u32 s28, s28, _ZZ4zetaIN3c104HalfELb1EET_S2_S2_E1A@rel32@lo+8
	s_addc_u32 s29, s29, _ZZ4zetaIN3c104HalfELb1EET_S2_S2_E1A@rel32@hi+16
	s_add_u32 s28, s28, s24
	s_addc_u32 s29, s29, s25
	s_load_dword s40, s[28:29], 0x0
	v_rcp_f32_e32 v12, v10
	v_fma_f32 v13, -v10, v12, 1.0
	v_fmac_f32_e32 v12, v13, v12
	v_mul_f32_e32 v13, v11, v12
	v_fma_f32 v14, -v10, v13, v11
	v_fmac_f32_e32 v13, v14, v12
	v_fma_f32 v10, -v10, v13, v11
	v_div_fmas_f32 v11, v10, v12, v13
	v_add_f32_e32 v12, v7, v4
	v_add_f32_e32 v10, 1.0, v7
	v_mul_f32_e32 v7, v12, v9
	v_add_f32_e32 v9, v10, v4
	v_mul_f32_e32 v12, v7, v9
	v_div_fixup_f32 v9, v11, v5, v8
	v_mul_f32_e32 v7, v9, v12
	s_waitcnt lgkmcnt(0)
	v_div_scale_f32 v8, s[28:29], s40, s40, v7
	v_div_scale_f32 v11, vcc, v7, s40, v7
	v_rcp_f32_e32 v13, v8
	v_fma_f32 v14, -v8, v13, 1.0
	v_fmac_f32_e32 v13, v14, v13
	v_mul_f32_e32 v14, v11, v13
	v_fma_f32 v15, -v8, v14, v11
	v_fmac_f32_e32 v14, v15, v13
	v_fma_f32 v8, -v8, v14, v11
	v_div_fmas_f32 v8, v8, v13, v14
	v_div_fixup_f32 v7, v8, s40, v7
	v_add_f32_e32 v6, v6, v7
	v_div_scale_f32 v8, s[28:29], v6, v6, v7
	v_div_scale_f32 v11, vcc, v7, v6, v7
	s_mov_b64 s[40:41], -1
	v_rcp_f32_e32 v13, v8
	v_fma_f32 v14, -v8, v13, 1.0
	v_fmac_f32_e32 v13, v14, v13
	v_mul_f32_e32 v14, v11, v13
	v_fma_f32 v15, -v8, v14, v11
	v_fmac_f32_e32 v14, v15, v13
	v_fma_f32 v8, -v8, v14, v11
	v_div_fmas_f32 v8, v8, v13, v14
                                        ; implicit-def: $vgpr11
	v_div_fixup_f32 v7, v8, v6, v7
	v_cmp_nlt_f32_e64 s[46:47], |v7|, s44
                                        ; implicit-def: $vgpr7
                                        ; implicit-def: $vgpr8
	s_and_saveexec_b64 s[28:29], s[46:47]
	s_cbranch_execz .LBB107_157
; %bb.161:                              ;   in Loop: Header=BB107_159 Depth=1
	v_div_scale_f32 v7, s[40:41], v5, v5, v9
	v_div_scale_f32 v8, vcc, v9, v5, v9
	s_add_u32 s24, s24, 8
	s_addc_u32 s25, s25, 0
	s_cmp_eq_u32 s24, 48
	s_cselect_b64 s[40:41], -1, 0
	s_xor_b64 s[42:43], exec, -1
	s_orn2_b64 s[40:41], s[40:41], exec
	v_rcp_f32_e32 v11, v7
	v_fma_f32 v13, -v7, v11, 1.0
	v_fmac_f32_e32 v11, v13, v11
	v_mul_f32_e32 v13, v8, v11
	v_fma_f32 v14, -v7, v13, v8
	v_fmac_f32_e32 v13, v14, v11
	v_fma_f32 v7, -v7, v13, v8
	v_div_fmas_f32 v11, v7, v11, v13
	v_add_f32_e32 v7, 1.0, v10
	v_add_f32_e32 v8, v7, v4
	v_add_f32_e32 v7, 1.0, v7
	v_mul_f32_e32 v8, v8, v12
	v_div_fixup_f32 v11, v11, v5, v9
	s_branch .LBB107_157
.LBB107_162:
	s_movk_i32 s18, 0x80
	v_cmp_eq_u16_e32 vcc, s18, v4
	s_mov_b64 s[18:19], -1
	s_and_saveexec_b64 s[22:23], vcc
; %bb.163:
	s_xor_b64 s[18:19], exec, -1
; %bb.164:
	s_or_b64 exec, exec, s[22:23]
	s_and_b64 s[18:19], s[18:19], exec
	s_or_saveexec_b64 s[20:21], s[20:21]
	v_mov_b32_e32 v3, 0x7e00
	s_xor_b64 exec, exec, s[20:21]
	s_cbranch_execz .LBB107_126
.LBB107_165:
	v_cmp_ne_u16_e32 vcc, 0, v4
	s_andn2_b64 s[18:19], s[18:19], exec
	s_and_b64 s[22:23], vcc, exec
	s_or_b64 s[18:19], s[18:19], s[22:23]
	v_mov_b32_e32 v3, v4
	s_or_b64 exec, exec, s[20:21]
	s_and_saveexec_b64 s[20:21], s[18:19]
	s_cbranch_execnz .LBB107_127
	s_branch .LBB107_128
.LBB107_166:
	s_or_b64 exec, exec, s[8:9]
	s_xor_b64 s[8:9], s[18:19], -1
                                        ; implicit-def: $vgpr7
	s_and_saveexec_b64 s[18:19], s[8:9]
	s_xor_b64 s[8:9], exec, s[18:19]
; %bb.167:
	v_cvt_f16_f32_e32 v7, v6
; %bb.168:
	s_andn2_saveexec_b64 s[8:9], s[8:9]
; %bb.169:
	v_cvt_f16_f32_e32 v7, v6
; %bb.170:
	s_or_b64 exec, exec, s[8:9]
.LBB107_171:
	s_andn2_saveexec_b64 s[6:7], s[6:7]
; %bb.172:
	v_cvt_f16_f32_e32 v7, v3
; %bb.173:
	s_or_b64 exec, exec, s[6:7]
.LBB107_174:
	s_or_b64 exec, exec, s[16:17]
.LBB107_175:
	s_or_b64 exec, exec, s[14:15]
.LBB107_176:
	s_or_b64 exec, exec, s[12:13]
	s_mov_b32 s6, 0x4b000000
	v_cmp_lt_f32_e64 s[6:7], |v1|, s6
	s_waitcnt vmcnt(0) lgkmcnt(0)
	v_mov_b32_e32 v3, 0x244
	v_mov_b32_e32 v4, 0x7f800000
	s_or_b64 vcc, s[4:5], s[6:7]
	v_cndmask_b32_e32 v2, v4, v2, vcc
	v_cmp_class_f32_e32 vcc, v1, v3
	v_cndmask_b32_e32 v1, v2, v4, vcc
	s_mov_b32 s4, 0x3fb8aa3b
	v_mul_f32_e32 v2, 0x3fb8aa3b, v1
	v_fma_f32 v3, v1, s4, -v2
	v_rndne_f32_e32 v5, v2
	v_fmac_f32_e32 v3, 0x32a5705f, v1
	v_sub_f32_e32 v2, v2, v5
	v_add_f32_e32 v2, v2, v3
	v_exp_f32_e32 v2, v2
	v_cvt_i32_f32_e32 v3, v5
	s_mov_b32 s4, 0xc2ce8ed0
	v_cmp_ngt_f32_e32 vcc, s4, v1
	s_mov_b32 s4, 0x42b17218
	v_ldexp_f32 v2, v2, v3
	v_cndmask_b32_e32 v2, 0, v2, vcc
	v_cmp_nlt_f32_e32 vcc, s4, v1
	v_and_b32_e32 v0, 1, v0
	v_cndmask_b32_e32 v1, v4, v2, vcc
	v_cmp_eq_u32_e32 vcc, 0, v0
	v_cndmask_b32_e64 v0, v1, -v1, vcc
	v_fma_mixlo_f16 v1, v0, v7, 0 op_sel_hi:[0,1,0]
	s_or_b64 exec, exec, s[10:11]
	v_mov_b32_e32 v0, v1
	s_setpc_b64 s[30:31]
.LBB107_177:
	s_movk_i32 s18, 0x80
	v_cmp_eq_u16_e32 vcc, s18, v4
	s_mov_b64 s[18:19], -1
	s_and_saveexec_b64 s[22:23], vcc
; %bb.178:
	s_xor_b64 s[18:19], exec, -1
; %bb.179:
	s_or_b64 exec, exec, s[22:23]
	s_and_b64 s[18:19], s[18:19], exec
	s_or_saveexec_b64 s[20:21], s[20:21]
	v_mov_b32_e32 v3, 0x7e00
	s_xor_b64 exec, exec, s[20:21]
	s_cbranch_execz .LBB107_136
.LBB107_180:
	v_cmp_ne_u16_e32 vcc, 0, v4
	s_andn2_b64 s[18:19], s[18:19], exec
	s_and_b64 s[22:23], vcc, exec
	s_or_b64 s[18:19], s[18:19], s[22:23]
	v_mov_b32_e32 v3, v4
	s_or_b64 exec, exec, s[20:21]
	s_and_saveexec_b64 s[20:21], s[18:19]
	s_cbranch_execnz .LBB107_137
	s_branch .LBB107_138
.Lfunc_end107:
	.size	_ZN2at6native6invokeIZZZNS0_21polygamma_kernel_cudaERNS_18TensorIteratorBaseElENKUlvE_clEvENKUlvE1_clEvEUlN3c104HalfEE_i15function_traitsIS8_EEENT1_11result_typeERKT_PrKPcPKT0_PKNS6_10ScalarTypeEi, .Lfunc_end107-_ZN2at6native6invokeIZZZNS0_21polygamma_kernel_cudaERNS_18TensorIteratorBaseElENKUlvE_clEvENKUlvE1_clEvEUlN3c104HalfEE_i15function_traitsIS8_EEENT1_11result_typeERKT_PrKPcPKT0_PKNS6_10ScalarTypeEi
                                        ; -- End function
	.set .L_ZN2at6native6invokeIZZZNS0_21polygamma_kernel_cudaERNS_18TensorIteratorBaseElENKUlvE_clEvENKUlvE1_clEvEUlN3c104HalfEE_i15function_traitsIS8_EEENT1_11result_typeERKT_PrKPcPKT0_PKNS6_10ScalarTypeEi.num_vgpr, 22
	.set .L_ZN2at6native6invokeIZZZNS0_21polygamma_kernel_cudaERNS_18TensorIteratorBaseElENKUlvE_clEvENKUlvE1_clEvEUlN3c104HalfEE_i15function_traitsIS8_EEENT1_11result_typeERKT_PrKPcPKT0_PKNS6_10ScalarTypeEi.num_agpr, 0
	.set .L_ZN2at6native6invokeIZZZNS0_21polygamma_kernel_cudaERNS_18TensorIteratorBaseElENKUlvE_clEvENKUlvE1_clEvEUlN3c104HalfEE_i15function_traitsIS8_EEENT1_11result_typeERKT_PrKPcPKT0_PKNS6_10ScalarTypeEi.numbered_sgpr, 48
	.set .L_ZN2at6native6invokeIZZZNS0_21polygamma_kernel_cudaERNS_18TensorIteratorBaseElENKUlvE_clEvENKUlvE1_clEvEUlN3c104HalfEE_i15function_traitsIS8_EEENT1_11result_typeERKT_PrKPcPKT0_PKNS6_10ScalarTypeEi.num_named_barrier, 0
	.set .L_ZN2at6native6invokeIZZZNS0_21polygamma_kernel_cudaERNS_18TensorIteratorBaseElENKUlvE_clEvENKUlvE1_clEvEUlN3c104HalfEE_i15function_traitsIS8_EEENT1_11result_typeERKT_PrKPcPKT0_PKNS6_10ScalarTypeEi.private_seg_size, 0
	.set .L_ZN2at6native6invokeIZZZNS0_21polygamma_kernel_cudaERNS_18TensorIteratorBaseElENKUlvE_clEvENKUlvE1_clEvEUlN3c104HalfEE_i15function_traitsIS8_EEENT1_11result_typeERKT_PrKPcPKT0_PKNS6_10ScalarTypeEi.uses_vcc, 1
	.set .L_ZN2at6native6invokeIZZZNS0_21polygamma_kernel_cudaERNS_18TensorIteratorBaseElENKUlvE_clEvENKUlvE1_clEvEUlN3c104HalfEE_i15function_traitsIS8_EEENT1_11result_typeERKT_PrKPcPKT0_PKNS6_10ScalarTypeEi.uses_flat_scratch, 0
	.set .L_ZN2at6native6invokeIZZZNS0_21polygamma_kernel_cudaERNS_18TensorIteratorBaseElENKUlvE_clEvENKUlvE1_clEvEUlN3c104HalfEE_i15function_traitsIS8_EEENT1_11result_typeERKT_PrKPcPKT0_PKNS6_10ScalarTypeEi.has_dyn_sized_stack, 0
	.set .L_ZN2at6native6invokeIZZZNS0_21polygamma_kernel_cudaERNS_18TensorIteratorBaseElENKUlvE_clEvENKUlvE1_clEvEUlN3c104HalfEE_i15function_traitsIS8_EEENT1_11result_typeERKT_PrKPcPKT0_PKNS6_10ScalarTypeEi.has_recursion, 0
	.set .L_ZN2at6native6invokeIZZZNS0_21polygamma_kernel_cudaERNS_18TensorIteratorBaseElENKUlvE_clEvENKUlvE1_clEvEUlN3c104HalfEE_i15function_traitsIS8_EEENT1_11result_typeERKT_PrKPcPKT0_PKNS6_10ScalarTypeEi.has_indirect_call, 0
	.section	.AMDGPU.csdata,"",@progbits
; Function info:
; codeLenInByte = 8664
; TotalNumSgprs: 52
; NumVgprs: 22
; ScratchSize: 0
; MemoryBound: 0
	.section	.text._ZN2at6native32elementwise_kernel_manual_unrollILi128ELi4EZNS0_15gpu_kernel_implIZZZNS0_21polygamma_kernel_cudaERNS_18TensorIteratorBaseElENKUlvE_clEvENKUlvE1_clEvEUlN3c104HalfEE_EEvS4_RKT_EUlibE_EEviT1_,"axG",@progbits,_ZN2at6native32elementwise_kernel_manual_unrollILi128ELi4EZNS0_15gpu_kernel_implIZZZNS0_21polygamma_kernel_cudaERNS_18TensorIteratorBaseElENKUlvE_clEvENKUlvE1_clEvEUlN3c104HalfEE_EEvS4_RKT_EUlibE_EEviT1_,comdat
	.globl	_ZN2at6native32elementwise_kernel_manual_unrollILi128ELi4EZNS0_15gpu_kernel_implIZZZNS0_21polygamma_kernel_cudaERNS_18TensorIteratorBaseElENKUlvE_clEvENKUlvE1_clEvEUlN3c104HalfEE_EEvS4_RKT_EUlibE_EEviT1_ ; -- Begin function _ZN2at6native32elementwise_kernel_manual_unrollILi128ELi4EZNS0_15gpu_kernel_implIZZZNS0_21polygamma_kernel_cudaERNS_18TensorIteratorBaseElENKUlvE_clEvENKUlvE1_clEvEUlN3c104HalfEE_EEvS4_RKT_EUlibE_EEviT1_
	.p2align	8
	.type	_ZN2at6native32elementwise_kernel_manual_unrollILi128ELi4EZNS0_15gpu_kernel_implIZZZNS0_21polygamma_kernel_cudaERNS_18TensorIteratorBaseElENKUlvE_clEvENKUlvE1_clEvEUlN3c104HalfEE_EEvS4_RKT_EUlibE_EEviT1_,@function
_ZN2at6native32elementwise_kernel_manual_unrollILi128ELi4EZNS0_15gpu_kernel_implIZZZNS0_21polygamma_kernel_cudaERNS_18TensorIteratorBaseElENKUlvE_clEvENKUlvE1_clEvEUlN3c104HalfEE_EEvS4_RKT_EUlibE_EEviT1_: ; @_ZN2at6native32elementwise_kernel_manual_unrollILi128ELi4EZNS0_15gpu_kernel_implIZZZNS0_21polygamma_kernel_cudaERNS_18TensorIteratorBaseElENKUlvE_clEvENKUlvE1_clEvEUlN3c104HalfEE_EEvS4_RKT_EUlibE_EEviT1_
; %bb.0:
	s_load_dword s33, s[4:5], 0x28
	s_load_dword s66, s[4:5], 0x0
	s_load_dwordx8 s[48:55], s[4:5], 0x8
	v_lshl_or_b32 v22, s6, 9, v0
	s_add_u32 s0, s0, s7
	v_or_b32_e32 v26, 0x180, v22
	s_addc_u32 s1, s1, 0
	s_waitcnt lgkmcnt(0)
	s_bfe_u32 s68, s33, 0x80008
	v_cmp_le_i32_e32 vcc, s66, v26
	s_mov_b64 s[34:35], 0
	s_mov_b64 s[38:39], 0
	s_mov_b32 s32, 0
	s_and_saveexec_b64 s[4:5], vcc
	s_xor_b64 s[36:37], exec, s[4:5]
	s_cbranch_execz .LBB108_508
; %bb.1:
	v_cmp_gt_i32_e32 vcc, s66, v22
	s_mov_b64 s[4:5], -1
	s_mov_b64 s[60:61], 0
	s_and_saveexec_b64 s[56:57], vcc
	s_cbranch_execz .LBB108_124
; %bb.2:
	s_getpc_b64 s[4:5]
	s_add_u32 s4, s4, _ZN2at6native6invokeIZZZNS0_21polygamma_kernel_cudaERNS_18TensorIteratorBaseElENKUlvE_clEvENKUlvE1_clEvEUlN3c104HalfEE_i15function_traitsIS8_EEENT1_11result_typeERKT_PrKPcPKT0_PKNS6_10ScalarTypeEi@rel32@lo+4
	s_addc_u32 s5, s5, _ZN2at6native6invokeIZZZNS0_21polygamma_kernel_cudaERNS_18TensorIteratorBaseElENKUlvE_clEvENKUlvE1_clEvEUlN3c104HalfEE_i15function_traitsIS8_EEENT1_11result_typeERKT_PrKPcPKT0_PKNS6_10ScalarTypeEi@rel32@hi+12
	v_mov_b32_e32 v0, s54
	v_mov_b32_e32 v1, s55
	;; [unrolled: 1-line block ×7, first 2 shown]
	s_swappc_b64 s[30:31], s[4:5]
	v_mul_lo_u32 v1, v22, s52
	v_mov_b32_e32 v2, s49
	s_and_b32 s12, s33, 0xff
	s_cmp_lt_i32 s12, 11
	v_ashrrev_i32_e32 v3, 31, v1
	v_add_co_u32_e32 v1, vcc, s48, v1
	v_addc_co_u32_e32 v2, vcc, v2, v3, vcc
	s_cbranch_scc1 .LBB108_9
; %bb.3:
	s_and_b32 s13, 0xffff, s12
	s_cmp_gt_i32 s13, 25
	s_cbranch_scc0 .LBB108_12
; %bb.4:
	s_cmp_gt_i32 s13, 28
	s_cbranch_scc0 .LBB108_13
; %bb.5:
	;; [unrolled: 3-line block ×4, first 2 shown]
	s_mov_b64 s[8:9], 0
	s_mov_b64 s[4:5], -1
	s_cmp_eq_u32 s13, 46
	s_mov_b64 s[6:7], 0
	s_cbranch_scc0 .LBB108_16
; %bb.8:
	v_cvt_f32_f16_e32 v3, v0
	s_movk_i32 s4, 0x7fff
	v_cmp_o_f16_e32 vcc, v0, v0
	v_mov_b32_e32 v4, 0x7fc0
	v_bfe_u32 v5, v3, 16, 1
	v_add3_u32 v3, v3, v5, s4
	v_cndmask_b32_sdwa v3, v4, v3, vcc dst_sel:DWORD dst_unused:UNUSED_PAD src0_sel:DWORD src1_sel:WORD_1
	global_store_dword v[1:2], v3, off
	s_mov_b64 s[6:7], -1
	s_mov_b64 s[4:5], 0
	s_branch .LBB108_16
.LBB108_9:
	s_mov_b64 s[4:5], 0
	s_mov_b64 s[6:7], 0
	s_cbranch_execnz .LBB108_84
.LBB108_10:
	s_andn2_b64 vcc, exec, s[6:7]
	s_cbranch_vccnz .LBB108_122
.LBB108_11:
	v_add_u32_e32 v22, 0x80, v22
	s_mov_b64 s[6:7], -1
	s_branch .LBB108_123
.LBB108_12:
	s_mov_b64 s[4:5], 0
	s_mov_b64 s[6:7], 0
	s_cbranch_execnz .LBB108_43
	s_branch .LBB108_83
.LBB108_13:
	s_mov_b64 s[8:9], -1
	s_mov_b64 s[4:5], 0
	s_mov_b64 s[6:7], 0
	s_branch .LBB108_26
.LBB108_14:
	s_mov_b64 s[8:9], -1
	s_mov_b64 s[4:5], 0
	s_mov_b64 s[6:7], 0
	s_branch .LBB108_22
.LBB108_15:
	s_mov_b64 s[8:9], -1
	s_mov_b64 s[4:5], 0
	s_mov_b64 s[6:7], 0
.LBB108_16:
	s_and_b64 vcc, exec, s[8:9]
	s_cbranch_vccz .LBB108_21
; %bb.17:
	s_cmp_eq_u32 s13, 44
	s_mov_b64 s[4:5], -1
	s_cbranch_scc0 .LBB108_21
; %bb.18:
	v_cvt_f32_f16_e32 v3, v0
	s_movk_i32 s4, 0xff
	v_mov_b32_e32 v5, 0xff
	v_bfe_u32 v4, v3, 23, 8
	v_cmp_ne_u32_e32 vcc, s4, v4
	s_and_saveexec_b64 s[6:7], vcc
; %bb.19:
	s_mov_b32 s4, 0x3fffff
	v_lshrrev_b32_e32 v5, 23, v3
	v_and_b32_e32 v6, 0x400000, v3
	v_and_or_b32 v3, v3, s4, v4
	v_cmp_ne_u32_e32 vcc, 0, v6
	v_cmp_ne_u32_e64 s[4:5], 0, v3
	s_and_b64 s[4:5], vcc, s[4:5]
	v_cndmask_b32_e64 v3, 0, 1, s[4:5]
	v_add_u32_e32 v5, v5, v3
; %bb.20:
	s_or_b64 exec, exec, s[6:7]
	s_mov_b64 s[6:7], -1
	s_mov_b64 s[4:5], 0
	global_store_byte v[1:2], v5, off
.LBB108_21:
	s_mov_b64 s[8:9], 0
.LBB108_22:
	s_and_b64 vcc, exec, s[8:9]
	s_cbranch_vccz .LBB108_25
; %bb.23:
	s_cmp_eq_u32 s13, 29
	s_mov_b64 s[4:5], -1
	s_cbranch_scc0 .LBB108_25
; %bb.24:
	v_cvt_f32_f16_e32 v3, v0
	v_mov_b32_e32 v4, 0
	s_mov_b64 s[6:7], -1
	s_mov_b64 s[4:5], 0
	v_cvt_u32_f32_e32 v3, v3
	s_mov_b64 s[8:9], 0
	global_store_dwordx2 v[1:2], v[3:4], off
	s_branch .LBB108_26
.LBB108_25:
	s_mov_b64 s[8:9], 0
.LBB108_26:
	s_and_b64 vcc, exec, s[8:9]
	s_cbranch_vccz .LBB108_42
; %bb.27:
	s_cmp_lt_i32 s13, 27
	s_mov_b64 s[6:7], -1
	s_cbranch_scc1 .LBB108_33
; %bb.28:
	s_cmp_gt_i32 s13, 27
	s_cbranch_scc0 .LBB108_30
; %bb.29:
	v_cvt_f32_f16_e32 v3, v0
	s_mov_b64 s[6:7], 0
	v_cvt_u32_f32_e32 v3, v3
	global_store_dword v[1:2], v3, off
.LBB108_30:
	s_andn2_b64 vcc, exec, s[6:7]
	s_cbranch_vccnz .LBB108_32
; %bb.31:
	v_cvt_u16_f16_e32 v3, v0
	global_store_short v[1:2], v3, off
.LBB108_32:
	s_mov_b64 s[6:7], 0
.LBB108_33:
	s_andn2_b64 vcc, exec, s[6:7]
	s_cbranch_vccnz .LBB108_41
; %bb.34:
	v_cvt_f32_f16_e32 v3, v0
	s_mov_b32 s6, 0x43800000
	v_mov_b32_e32 v5, 0x80
	v_and_b32_e32 v4, 0x7fffffff, v3
	v_cmp_gt_u32_e32 vcc, s6, v4
	s_and_saveexec_b64 s[6:7], vcc
	s_cbranch_execz .LBB108_40
; %bb.35:
	s_mov_b32 s8, 0x3bffffff
	v_cmp_lt_u32_e32 vcc, s8, v4
	s_mov_b64 s[8:9], 0
                                        ; implicit-def: $vgpr4
	s_and_saveexec_b64 s[10:11], vcc
	s_xor_b64 s[10:11], exec, s[10:11]
	s_cbranch_execz .LBB108_141
; %bb.36:
	v_bfe_u32 v4, v3, 20, 1
	s_mov_b32 s14, 0x487ffff
	v_add3_u32 v4, v3, v4, s14
	s_mov_b64 s[8:9], exec
	v_lshrrev_b32_e32 v4, 20, v4
	s_andn2_saveexec_b64 s[10:11], s[10:11]
	s_cbranch_execnz .LBB108_142
.LBB108_37:
	s_or_b64 exec, exec, s[10:11]
	v_mov_b32_e32 v5, 0
	s_and_saveexec_b64 s[10:11], s[8:9]
.LBB108_38:
	v_lshrrev_b32_e32 v3, 24, v3
	s_movk_i32 s8, 0x80
	v_and_or_b32 v5, v3, s8, v4
.LBB108_39:
	s_or_b64 exec, exec, s[10:11]
.LBB108_40:
	s_or_b64 exec, exec, s[6:7]
	global_store_byte v[1:2], v5, off
.LBB108_41:
	s_mov_b64 s[6:7], -1
.LBB108_42:
	s_branch .LBB108_83
.LBB108_43:
	s_cmp_gt_i32 s13, 22
	s_mov_b64 s[8:9], -1
	s_cbranch_scc0 .LBB108_75
; %bb.44:
	s_cmp_lt_i32 s13, 24
	s_mov_b64 s[6:7], -1
	s_cbranch_scc1 .LBB108_64
; %bb.45:
	s_cmp_gt_i32 s13, 24
	s_cbranch_scc0 .LBB108_53
; %bb.46:
	v_cvt_f32_f16_e32 v3, v0
	s_mov_b32 s6, 0x47800000
	v_mov_b32_e32 v5, 0x80
	v_and_b32_e32 v4, 0x7fffffff, v3
	v_cmp_gt_u32_e32 vcc, s6, v4
	s_and_saveexec_b64 s[6:7], vcc
	s_cbranch_execz .LBB108_52
; %bb.47:
	s_mov_b32 s8, 0x37ffffff
	v_cmp_lt_u32_e32 vcc, s8, v4
	s_mov_b64 s[8:9], 0
                                        ; implicit-def: $vgpr4
	s_and_saveexec_b64 s[10:11], vcc
	s_xor_b64 s[10:11], exec, s[10:11]
	s_cbranch_execz .LBB108_144
; %bb.48:
	v_bfe_u32 v4, v3, 21, 1
	s_mov_b32 s14, 0x88fffff
	v_add3_u32 v4, v3, v4, s14
	s_mov_b64 s[8:9], exec
	v_lshrrev_b32_e32 v4, 21, v4
	s_andn2_saveexec_b64 s[10:11], s[10:11]
	s_cbranch_execnz .LBB108_145
.LBB108_49:
	s_or_b64 exec, exec, s[10:11]
	v_mov_b32_e32 v5, 0
	s_and_saveexec_b64 s[10:11], s[8:9]
.LBB108_50:
	v_lshrrev_b32_e32 v3, 24, v3
	s_movk_i32 s8, 0x80
	v_and_or_b32 v5, v3, s8, v4
.LBB108_51:
	s_or_b64 exec, exec, s[10:11]
.LBB108_52:
	s_or_b64 exec, exec, s[6:7]
	s_mov_b64 s[6:7], 0
	global_store_byte v[1:2], v5, off
.LBB108_53:
	s_and_b64 vcc, exec, s[6:7]
	s_cbranch_vccz .LBB108_63
; %bb.54:
	v_cvt_f32_f16_e32 v3, v0
	s_mov_b32 s6, 0x43f00000
                                        ; implicit-def: $vgpr4
	v_and_b32_e32 v5, 0x7fffffff, v3
	v_cmp_gt_u32_e32 vcc, s6, v5
	s_and_saveexec_b64 s[6:7], vcc
	s_xor_b64 s[6:7], exec, s[6:7]
	s_cbranch_execz .LBB108_60
; %bb.55:
	s_mov_b32 s8, 0x3c7fffff
	v_cmp_lt_u32_e32 vcc, s8, v5
                                        ; implicit-def: $vgpr4
	s_and_saveexec_b64 s[8:9], vcc
	s_xor_b64 s[8:9], exec, s[8:9]
; %bb.56:
	v_bfe_u32 v4, v3, 20, 1
	s_mov_b32 s10, 0x407ffff
	v_add3_u32 v4, v3, v4, s10
	v_lshrrev_b32_e32 v5, 20, v4
	v_and_b32_e32 v4, 0xff00000, v4
	s_mov_b32 s10, 0x7f00000
	v_mov_b32_e32 v6, 0x7e
	v_cmp_ne_u32_e32 vcc, s10, v4
	v_cndmask_b32_e32 v4, v6, v5, vcc
; %bb.57:
	s_andn2_saveexec_b64 s[8:9], s[8:9]
; %bb.58:
	s_mov_b32 s10, 0x46800000
	v_add_f32_e64 v4, |v3|, s10
; %bb.59:
	s_or_b64 exec, exec, s[8:9]
                                        ; implicit-def: $vgpr5
.LBB108_60:
	s_andn2_saveexec_b64 s[6:7], s[6:7]
; %bb.61:
	s_mov_b32 s8, 0x7f800000
	v_mov_b32_e32 v4, 0x7e
	v_mov_b32_e32 v6, 0x7f
	v_cmp_lt_u32_e32 vcc, s8, v5
	v_cndmask_b32_e32 v4, v4, v6, vcc
; %bb.62:
	s_or_b64 exec, exec, s[6:7]
	v_lshrrev_b32_e32 v3, 24, v3
	s_movk_i32 s6, 0x80
	v_and_or_b32 v3, v3, s6, v4
	global_store_byte v[1:2], v3, off
.LBB108_63:
	s_mov_b64 s[6:7], 0
.LBB108_64:
	s_andn2_b64 vcc, exec, s[6:7]
	s_cbranch_vccnz .LBB108_74
; %bb.65:
	v_cvt_f32_f16_e32 v3, v0
	s_mov_b32 s6, 0x47800000
                                        ; implicit-def: $vgpr4
	v_and_b32_e32 v5, 0x7fffffff, v3
	v_cmp_gt_u32_e32 vcc, s6, v5
	s_and_saveexec_b64 s[6:7], vcc
	s_xor_b64 s[6:7], exec, s[6:7]
	s_cbranch_execz .LBB108_71
; %bb.66:
	s_mov_b32 s8, 0x387fffff
	v_cmp_lt_u32_e32 vcc, s8, v5
                                        ; implicit-def: $vgpr4
	s_and_saveexec_b64 s[8:9], vcc
	s_xor_b64 s[8:9], exec, s[8:9]
; %bb.67:
	v_bfe_u32 v4, v3, 21, 1
	s_mov_b32 s10, 0x80fffff
	v_add3_u32 v4, v3, v4, s10
	v_lshrrev_b32_e32 v4, 21, v4
; %bb.68:
	s_andn2_saveexec_b64 s[8:9], s[8:9]
; %bb.69:
	s_mov_b32 s10, 0x43000000
	v_add_f32_e64 v4, |v3|, s10
; %bb.70:
	s_or_b64 exec, exec, s[8:9]
                                        ; implicit-def: $vgpr5
.LBB108_71:
	s_andn2_saveexec_b64 s[6:7], s[6:7]
; %bb.72:
	s_mov_b32 s8, 0x7f800000
	v_mov_b32_e32 v4, 0x7c
	v_mov_b32_e32 v6, 0x7f
	v_cmp_lt_u32_e32 vcc, s8, v5
	v_cndmask_b32_e32 v4, v4, v6, vcc
; %bb.73:
	s_or_b64 exec, exec, s[6:7]
	v_lshrrev_b32_e32 v3, 24, v3
	s_movk_i32 s6, 0x80
	v_and_or_b32 v3, v3, s6, v4
	global_store_byte v[1:2], v3, off
.LBB108_74:
	s_mov_b64 s[8:9], 0
	s_mov_b64 s[6:7], -1
.LBB108_75:
	s_andn2_b64 vcc, exec, s[8:9]
	s_cbranch_vccnz .LBB108_83
; %bb.76:
	s_cmp_gt_i32 s13, 14
	s_mov_b64 s[8:9], -1
	s_cbranch_scc0 .LBB108_80
; %bb.77:
	s_cmp_eq_u32 s13, 15
	s_mov_b64 s[4:5], -1
	s_cbranch_scc0 .LBB108_79
; %bb.78:
	v_cvt_f32_f16_e32 v3, v0
	s_movk_i32 s4, 0x7fff
	v_cmp_o_f16_e32 vcc, v0, v0
	v_mov_b32_e32 v4, 0x7fc0
	v_bfe_u32 v5, v3, 16, 1
	v_add3_u32 v3, v3, v5, s4
	v_cndmask_b32_sdwa v3, v4, v3, vcc dst_sel:DWORD dst_unused:UNUSED_PAD src0_sel:DWORD src1_sel:WORD_1
	global_store_short v[1:2], v3, off
	s_mov_b64 s[6:7], -1
	s_mov_b64 s[4:5], 0
.LBB108_79:
	s_mov_b64 s[8:9], 0
.LBB108_80:
	s_and_b64 vcc, exec, s[8:9]
	s_cbranch_vccz .LBB108_83
; %bb.81:
	s_cmp_eq_u32 s13, 11
	s_mov_b64 s[4:5], -1
	s_cbranch_scc0 .LBB108_83
; %bb.82:
	v_and_b32_e32 v3, 0x7fff, v0
	v_cmp_ne_u16_e32 vcc, 0, v3
	v_cndmask_b32_e64 v3, 0, 1, vcc
	s_mov_b64 s[6:7], -1
	s_mov_b64 s[4:5], 0
	global_store_byte v[1:2], v3, off
.LBB108_83:
	s_branch .LBB108_10
.LBB108_84:
	s_and_b32 s8, 0xffff, s12
	s_cmp_lt_i32 s8, 5
	s_mov_b64 s[6:7], -1
	s_cbranch_scc1 .LBB108_105
; %bb.85:
	s_cmp_lt_i32 s8, 8
	s_cbranch_scc1 .LBB108_95
; %bb.86:
	s_cmp_lt_i32 s8, 9
	s_cbranch_scc1 .LBB108_92
; %bb.87:
	s_cmp_gt_i32 s8, 9
	s_cbranch_scc0 .LBB108_89
; %bb.88:
	v_cvt_f32_f16_e32 v3, v0
	v_mov_b32_e32 v5, 0
	v_mov_b32_e32 v6, v5
	s_mov_b64 s[6:7], 0
	v_cvt_f64_f32_e32 v[3:4], v3
	global_store_dwordx4 v[1:2], v[3:6], off
.LBB108_89:
	s_andn2_b64 vcc, exec, s[6:7]
	s_cbranch_vccnz .LBB108_91
; %bb.90:
	v_cvt_f32_f16_e32 v3, v0
	v_mov_b32_e32 v4, 0
	global_store_dwordx2 v[1:2], v[3:4], off
.LBB108_91:
	s_mov_b64 s[6:7], 0
.LBB108_92:
	s_andn2_b64 vcc, exec, s[6:7]
	s_cbranch_vccnz .LBB108_94
; %bb.93:
	v_and_b32_e32 v3, 0xffff, v0
	global_store_dword v[1:2], v3, off
.LBB108_94:
	s_mov_b64 s[6:7], 0
.LBB108_95:
	s_andn2_b64 vcc, exec, s[6:7]
	s_cbranch_vccnz .LBB108_104
; %bb.96:
	s_cmp_lt_i32 s8, 6
	s_mov_b64 s[6:7], -1
	s_cbranch_scc1 .LBB108_102
; %bb.97:
	s_cmp_gt_i32 s8, 6
	s_cbranch_scc0 .LBB108_99
; %bb.98:
	v_cvt_f32_f16_e32 v3, v0
	s_mov_b64 s[6:7], 0
	v_cvt_f64_f32_e32 v[3:4], v3
	global_store_dwordx2 v[1:2], v[3:4], off
.LBB108_99:
	s_andn2_b64 vcc, exec, s[6:7]
	s_cbranch_vccnz .LBB108_101
; %bb.100:
	v_cvt_f32_f16_e32 v3, v0
	global_store_dword v[1:2], v3, off
.LBB108_101:
	s_mov_b64 s[6:7], 0
.LBB108_102:
	s_andn2_b64 vcc, exec, s[6:7]
	s_cbranch_vccnz .LBB108_104
; %bb.103:
	global_store_short v[1:2], v0, off
.LBB108_104:
	s_mov_b64 s[6:7], 0
.LBB108_105:
	s_andn2_b64 vcc, exec, s[6:7]
	s_cbranch_vccnz .LBB108_121
; %bb.106:
	s_cmp_lt_i32 s8, 2
	s_mov_b64 s[6:7], -1
	s_cbranch_scc1 .LBB108_116
; %bb.107:
	s_cmp_lt_i32 s8, 3
	s_cbranch_scc1 .LBB108_113
; %bb.108:
	s_cmp_gt_i32 s8, 3
	s_cbranch_scc0 .LBB108_110
; %bb.109:
	v_cvt_f32_f16_e32 v3, v0
	s_mov_b64 s[6:7], 0
	v_cvt_i32_f32_e32 v3, v3
	v_ashrrev_i32_e32 v4, 31, v3
	global_store_dwordx2 v[1:2], v[3:4], off
.LBB108_110:
	s_andn2_b64 vcc, exec, s[6:7]
	s_cbranch_vccnz .LBB108_112
; %bb.111:
	v_cvt_f32_f16_e32 v3, v0
	v_cvt_i32_f32_e32 v3, v3
	global_store_dword v[1:2], v3, off
.LBB108_112:
	s_mov_b64 s[6:7], 0
.LBB108_113:
	s_andn2_b64 vcc, exec, s[6:7]
	s_cbranch_vccnz .LBB108_115
; %bb.114:
	v_cvt_i16_f16_e32 v3, v0
	global_store_short v[1:2], v3, off
.LBB108_115:
	s_mov_b64 s[6:7], 0
.LBB108_116:
	s_andn2_b64 vcc, exec, s[6:7]
	s_cbranch_vccnz .LBB108_121
; %bb.117:
	s_cmp_gt_i32 s8, 0
	s_mov_b64 s[6:7], -1
	s_cbranch_scc0 .LBB108_119
; %bb.118:
	v_cvt_i16_f16_e32 v3, v0
	global_store_byte v[1:2], v3, off
	s_mov_b64 s[6:7], 0
.LBB108_119:
	s_andn2_b64 vcc, exec, s[6:7]
	s_cbranch_vccnz .LBB108_121
; %bb.120:
	v_cvt_f32_f16_e32 v0, v0
	v_cvt_i32_f32_e32 v0, v0
	global_store_byte v[1:2], v0, off
.LBB108_121:
	s_branch .LBB108_11
.LBB108_122:
	s_mov_b64 s[6:7], 0
                                        ; implicit-def: $vgpr22
.LBB108_123:
	s_and_b64 s[38:39], s[4:5], exec
	s_orn2_b64 s[4:5], s[6:7], exec
.LBB108_124:
	s_or_b64 exec, exec, s[56:57]
	s_mov_b64 s[6:7], 0
                                        ; implicit-def: $sgpr14
                                        ; implicit-def: $vgpr1_vgpr2
                                        ; implicit-def: $vgpr0
	s_and_saveexec_b64 s[56:57], s[4:5]
	s_cbranch_execz .LBB108_133
; %bb.125:
	v_cmp_gt_i32_e32 vcc, s66, v22
	s_mov_b64 s[8:9], -1
	s_mov_b64 s[58:59], s[38:39]
	s_and_saveexec_b64 s[60:61], vcc
	s_cbranch_execz .LBB108_256
; %bb.126:
	s_getpc_b64 s[4:5]
	s_add_u32 s4, s4, _ZN2at6native6invokeIZZZNS0_21polygamma_kernel_cudaERNS_18TensorIteratorBaseElENKUlvE_clEvENKUlvE1_clEvEUlN3c104HalfEE_i15function_traitsIS8_EEENT1_11result_typeERKT_PrKPcPKT0_PKNS6_10ScalarTypeEi@rel32@lo+4
	s_addc_u32 s5, s5, _ZN2at6native6invokeIZZZNS0_21polygamma_kernel_cudaERNS_18TensorIteratorBaseElENKUlvE_clEvENKUlvE1_clEvEUlN3c104HalfEE_i15function_traitsIS8_EEENT1_11result_typeERKT_PrKPcPKT0_PKNS6_10ScalarTypeEi@rel32@hi+12
	v_mov_b32_e32 v0, s54
	v_mov_b32_e32 v1, s55
	;; [unrolled: 1-line block ×7, first 2 shown]
	s_swappc_b64 s[30:31], s[4:5]
	v_mul_lo_u32 v1, v22, s52
	v_mov_b32_e32 v2, s49
	s_and_b32 s12, s33, 0xff
	s_cmp_lt_i32 s12, 11
	v_ashrrev_i32_e32 v3, 31, v1
	v_add_co_u32_e32 v1, vcc, s48, v1
	v_addc_co_u32_e32 v2, vcc, v2, v3, vcc
	s_cbranch_scc1 .LBB108_136
; %bb.127:
	s_and_b32 s13, 0xffff, s12
	s_cmp_gt_i32 s13, 25
	s_cbranch_scc0 .LBB108_139
; %bb.128:
	s_cmp_gt_i32 s13, 28
	s_cbranch_scc0 .LBB108_140
; %bb.129:
	s_cmp_gt_i32 s13, 43
	s_cbranch_scc0 .LBB108_143
; %bb.130:
	s_cmp_gt_i32 s13, 45
	s_cbranch_scc0 .LBB108_146
; %bb.131:
	s_mov_b64 s[8:9], 0
	s_mov_b64 s[4:5], -1
	s_cmp_eq_u32 s13, 46
	s_mov_b64 s[6:7], 0
	s_cbranch_scc0 .LBB108_147
; %bb.132:
	v_cvt_f32_f16_e32 v3, v0
	s_movk_i32 s4, 0x7fff
	v_cmp_o_f16_e32 vcc, v0, v0
	v_mov_b32_e32 v4, 0x7fc0
	v_bfe_u32 v5, v3, 16, 1
	v_add3_u32 v3, v3, v5, s4
	v_cndmask_b32_sdwa v3, v4, v3, vcc dst_sel:DWORD dst_unused:UNUSED_PAD src0_sel:DWORD src1_sel:WORD_1
	global_store_dword v[1:2], v3, off
	s_mov_b64 s[6:7], -1
	s_mov_b64 s[4:5], 0
	s_branch .LBB108_147
.LBB108_133:
	s_or_b64 exec, exec, s[56:57]
	s_mov_b64 s[4:5], 0
	s_and_saveexec_b64 s[8:9], s[38:39]
	s_cbranch_execnz .LBB108_468
.LBB108_134:
	s_or_b64 exec, exec, s[8:9]
	s_and_saveexec_b64 s[8:9], s[60:61]
	s_xor_b64 s[8:9], exec, s[8:9]
	s_cbranch_execz .LBB108_469
.LBB108_135:
	v_and_b32_e32 v3, 0x7fff, v0
	v_cmp_ne_u16_e32 vcc, 0, v3
	v_cndmask_b32_e64 v3, 0, 1, vcc
	global_store_byte v[1:2], v3, off
	s_or_b64 exec, exec, s[8:9]
	s_and_saveexec_b64 s[8:9], s[6:7]
	s_xor_b64 s[6:7], exec, s[8:9]
	s_cbranch_execz .LBB108_507
	s_branch .LBB108_470
.LBB108_136:
	s_mov_b64 s[6:7], 0
	s_mov_b64 s[4:5], s[38:39]
	s_cbranch_execnz .LBB108_216
.LBB108_137:
	s_andn2_b64 vcc, exec, s[6:7]
	s_cbranch_vccnz .LBB108_254
.LBB108_138:
	v_add_u32_e32 v22, 0x80, v22
	s_mov_b64 s[6:7], -1
	s_branch .LBB108_255
.LBB108_139:
	s_mov_b64 s[8:9], -1
	s_mov_b64 s[6:7], 0
	s_mov_b64 s[4:5], s[38:39]
	s_branch .LBB108_174
.LBB108_140:
	s_mov_b64 s[8:9], -1
	s_mov_b64 s[6:7], 0
	s_mov_b64 s[4:5], s[38:39]
	s_branch .LBB108_157
.LBB108_141:
	s_andn2_saveexec_b64 s[10:11], s[10:11]
	s_cbranch_execz .LBB108_37
.LBB108_142:
	s_mov_b32 s14, 0x46000000
	v_add_f32_e64 v4, |v3|, s14
	v_and_b32_e32 v4, 0xff, v4
	v_cmp_ne_u32_e32 vcc, 0, v4
	s_andn2_b64 s[8:9], s[8:9], exec
	s_and_b64 s[14:15], vcc, exec
	s_or_b64 s[8:9], s[8:9], s[14:15]
	s_or_b64 exec, exec, s[10:11]
	v_mov_b32_e32 v5, 0
	s_and_saveexec_b64 s[10:11], s[8:9]
	s_cbranch_execnz .LBB108_38
	s_branch .LBB108_39
.LBB108_143:
	s_mov_b64 s[8:9], -1
	s_mov_b64 s[6:7], 0
	s_mov_b64 s[4:5], s[38:39]
	s_branch .LBB108_153
.LBB108_144:
	s_andn2_saveexec_b64 s[10:11], s[10:11]
	s_cbranch_execz .LBB108_49
.LBB108_145:
	s_mov_b32 s14, 0x42800000
	v_add_f32_e64 v4, |v3|, s14
	v_and_b32_e32 v4, 0xff, v4
	v_cmp_ne_u32_e32 vcc, 0, v4
	s_andn2_b64 s[8:9], s[8:9], exec
	s_and_b64 s[14:15], vcc, exec
	s_or_b64 s[8:9], s[8:9], s[14:15]
	s_or_b64 exec, exec, s[10:11]
	v_mov_b32_e32 v5, 0
	s_and_saveexec_b64 s[10:11], s[8:9]
	s_cbranch_execnz .LBB108_50
	s_branch .LBB108_51
.LBB108_146:
	s_mov_b64 s[8:9], -1
	s_mov_b64 s[6:7], 0
	s_mov_b64 s[4:5], s[38:39]
.LBB108_147:
	s_and_b64 vcc, exec, s[8:9]
	s_cbranch_vccz .LBB108_152
; %bb.148:
	s_cmp_eq_u32 s13, 44
	s_mov_b64 s[4:5], -1
	s_cbranch_scc0 .LBB108_152
; %bb.149:
	v_cvt_f32_f16_e32 v3, v0
	s_movk_i32 s4, 0xff
	v_mov_b32_e32 v5, 0xff
	v_bfe_u32 v4, v3, 23, 8
	v_cmp_ne_u32_e32 vcc, s4, v4
	s_and_saveexec_b64 s[6:7], vcc
; %bb.150:
	s_mov_b32 s4, 0x3fffff
	v_lshrrev_b32_e32 v5, 23, v3
	v_and_b32_e32 v6, 0x400000, v3
	v_and_or_b32 v3, v3, s4, v4
	v_cmp_ne_u32_e32 vcc, 0, v6
	v_cmp_ne_u32_e64 s[4:5], 0, v3
	s_and_b64 s[4:5], vcc, s[4:5]
	v_cndmask_b32_e64 v3, 0, 1, s[4:5]
	v_add_u32_e32 v5, v5, v3
; %bb.151:
	s_or_b64 exec, exec, s[6:7]
	s_mov_b64 s[6:7], -1
	s_mov_b64 s[4:5], 0
	global_store_byte v[1:2], v5, off
.LBB108_152:
	s_mov_b64 s[8:9], 0
.LBB108_153:
	s_and_b64 vcc, exec, s[8:9]
	s_cbranch_vccz .LBB108_156
; %bb.154:
	s_cmp_eq_u32 s13, 29
	s_mov_b64 s[4:5], -1
	s_cbranch_scc0 .LBB108_156
; %bb.155:
	v_cvt_f32_f16_e32 v3, v0
	v_mov_b32_e32 v4, 0
	s_mov_b64 s[6:7], -1
	s_mov_b64 s[4:5], 0
	v_cvt_u32_f32_e32 v3, v3
	s_mov_b64 s[8:9], 0
	global_store_dwordx2 v[1:2], v[3:4], off
	s_branch .LBB108_157
.LBB108_156:
	s_mov_b64 s[8:9], 0
.LBB108_157:
	s_and_b64 vcc, exec, s[8:9]
	s_cbranch_vccz .LBB108_173
; %bb.158:
	s_cmp_lt_i32 s13, 27
	s_mov_b64 s[6:7], -1
	s_cbranch_scc1 .LBB108_164
; %bb.159:
	s_cmp_gt_i32 s13, 27
	s_cbranch_scc0 .LBB108_161
; %bb.160:
	v_cvt_f32_f16_e32 v3, v0
	s_mov_b64 s[6:7], 0
	v_cvt_u32_f32_e32 v3, v3
	global_store_dword v[1:2], v3, off
.LBB108_161:
	s_andn2_b64 vcc, exec, s[6:7]
	s_cbranch_vccnz .LBB108_163
; %bb.162:
	v_cvt_u16_f16_e32 v3, v0
	global_store_short v[1:2], v3, off
.LBB108_163:
	s_mov_b64 s[6:7], 0
.LBB108_164:
	s_andn2_b64 vcc, exec, s[6:7]
	s_cbranch_vccnz .LBB108_172
; %bb.165:
	v_cvt_f32_f16_e32 v3, v0
	s_mov_b32 s6, 0x43800000
	v_mov_b32_e32 v5, 0x80
	v_and_b32_e32 v4, 0x7fffffff, v3
	v_cmp_gt_u32_e32 vcc, s6, v4
	s_and_saveexec_b64 s[6:7], vcc
	s_cbranch_execz .LBB108_171
; %bb.166:
	s_mov_b32 s8, 0x3bffffff
	v_cmp_lt_u32_e32 vcc, s8, v4
	s_mov_b64 s[8:9], 0
                                        ; implicit-def: $vgpr4
	s_and_saveexec_b64 s[10:11], vcc
	s_xor_b64 s[10:11], exec, s[10:11]
	s_cbranch_execz .LBB108_268
; %bb.167:
	v_bfe_u32 v4, v3, 20, 1
	s_mov_b32 s14, 0x487ffff
	v_add3_u32 v4, v3, v4, s14
	s_mov_b64 s[8:9], exec
	v_lshrrev_b32_e32 v4, 20, v4
	s_andn2_saveexec_b64 s[10:11], s[10:11]
	s_cbranch_execnz .LBB108_269
.LBB108_168:
	s_or_b64 exec, exec, s[10:11]
	v_mov_b32_e32 v5, 0
	s_and_saveexec_b64 s[10:11], s[8:9]
.LBB108_169:
	v_lshrrev_b32_e32 v3, 24, v3
	s_movk_i32 s8, 0x80
	v_and_or_b32 v5, v3, s8, v4
.LBB108_170:
	s_or_b64 exec, exec, s[10:11]
.LBB108_171:
	s_or_b64 exec, exec, s[6:7]
	global_store_byte v[1:2], v5, off
.LBB108_172:
	s_mov_b64 s[6:7], -1
.LBB108_173:
	s_mov_b64 s[8:9], 0
.LBB108_174:
	s_and_b64 vcc, exec, s[8:9]
	s_cbranch_vccz .LBB108_215
; %bb.175:
	s_cmp_gt_i32 s13, 22
	s_mov_b64 s[8:9], -1
	s_cbranch_scc0 .LBB108_207
; %bb.176:
	s_cmp_lt_i32 s13, 24
	s_mov_b64 s[6:7], -1
	s_cbranch_scc1 .LBB108_196
; %bb.177:
	s_cmp_gt_i32 s13, 24
	s_cbranch_scc0 .LBB108_185
; %bb.178:
	v_cvt_f32_f16_e32 v3, v0
	s_mov_b32 s6, 0x47800000
	v_mov_b32_e32 v5, 0x80
	v_and_b32_e32 v4, 0x7fffffff, v3
	v_cmp_gt_u32_e32 vcc, s6, v4
	s_and_saveexec_b64 s[6:7], vcc
	s_cbranch_execz .LBB108_184
; %bb.179:
	s_mov_b32 s8, 0x37ffffff
	v_cmp_lt_u32_e32 vcc, s8, v4
	s_mov_b64 s[8:9], 0
                                        ; implicit-def: $vgpr4
	s_and_saveexec_b64 s[10:11], vcc
	s_xor_b64 s[10:11], exec, s[10:11]
	s_cbranch_execz .LBB108_271
; %bb.180:
	v_bfe_u32 v4, v3, 21, 1
	s_mov_b32 s14, 0x88fffff
	v_add3_u32 v4, v3, v4, s14
	s_mov_b64 s[8:9], exec
	v_lshrrev_b32_e32 v4, 21, v4
	s_andn2_saveexec_b64 s[10:11], s[10:11]
	s_cbranch_execnz .LBB108_272
.LBB108_181:
	s_or_b64 exec, exec, s[10:11]
	v_mov_b32_e32 v5, 0
	s_and_saveexec_b64 s[10:11], s[8:9]
.LBB108_182:
	v_lshrrev_b32_e32 v3, 24, v3
	s_movk_i32 s8, 0x80
	v_and_or_b32 v5, v3, s8, v4
.LBB108_183:
	s_or_b64 exec, exec, s[10:11]
.LBB108_184:
	s_or_b64 exec, exec, s[6:7]
	s_mov_b64 s[6:7], 0
	global_store_byte v[1:2], v5, off
.LBB108_185:
	s_and_b64 vcc, exec, s[6:7]
	s_cbranch_vccz .LBB108_195
; %bb.186:
	v_cvt_f32_f16_e32 v3, v0
	s_mov_b32 s6, 0x43f00000
                                        ; implicit-def: $vgpr4
	v_and_b32_e32 v5, 0x7fffffff, v3
	v_cmp_gt_u32_e32 vcc, s6, v5
	s_and_saveexec_b64 s[6:7], vcc
	s_xor_b64 s[6:7], exec, s[6:7]
	s_cbranch_execz .LBB108_192
; %bb.187:
	s_mov_b32 s8, 0x3c7fffff
	v_cmp_lt_u32_e32 vcc, s8, v5
                                        ; implicit-def: $vgpr4
	s_and_saveexec_b64 s[8:9], vcc
	s_xor_b64 s[8:9], exec, s[8:9]
; %bb.188:
	v_bfe_u32 v4, v3, 20, 1
	s_mov_b32 s10, 0x407ffff
	v_add3_u32 v4, v3, v4, s10
	v_lshrrev_b32_e32 v5, 20, v4
	v_and_b32_e32 v4, 0xff00000, v4
	s_mov_b32 s10, 0x7f00000
	v_mov_b32_e32 v6, 0x7e
	v_cmp_ne_u32_e32 vcc, s10, v4
	v_cndmask_b32_e32 v4, v6, v5, vcc
; %bb.189:
	s_andn2_saveexec_b64 s[8:9], s[8:9]
; %bb.190:
	s_mov_b32 s10, 0x46800000
	v_add_f32_e64 v4, |v3|, s10
; %bb.191:
	s_or_b64 exec, exec, s[8:9]
                                        ; implicit-def: $vgpr5
.LBB108_192:
	s_andn2_saveexec_b64 s[6:7], s[6:7]
; %bb.193:
	s_mov_b32 s8, 0x7f800000
	v_mov_b32_e32 v4, 0x7e
	v_mov_b32_e32 v6, 0x7f
	v_cmp_lt_u32_e32 vcc, s8, v5
	v_cndmask_b32_e32 v4, v4, v6, vcc
; %bb.194:
	s_or_b64 exec, exec, s[6:7]
	v_lshrrev_b32_e32 v3, 24, v3
	s_movk_i32 s6, 0x80
	v_and_or_b32 v3, v3, s6, v4
	global_store_byte v[1:2], v3, off
.LBB108_195:
	s_mov_b64 s[6:7], 0
.LBB108_196:
	s_andn2_b64 vcc, exec, s[6:7]
	s_cbranch_vccnz .LBB108_206
; %bb.197:
	v_cvt_f32_f16_e32 v3, v0
	s_mov_b32 s6, 0x47800000
                                        ; implicit-def: $vgpr4
	v_and_b32_e32 v5, 0x7fffffff, v3
	v_cmp_gt_u32_e32 vcc, s6, v5
	s_and_saveexec_b64 s[6:7], vcc
	s_xor_b64 s[6:7], exec, s[6:7]
	s_cbranch_execz .LBB108_203
; %bb.198:
	s_mov_b32 s8, 0x387fffff
	v_cmp_lt_u32_e32 vcc, s8, v5
                                        ; implicit-def: $vgpr4
	s_and_saveexec_b64 s[8:9], vcc
	s_xor_b64 s[8:9], exec, s[8:9]
; %bb.199:
	v_bfe_u32 v4, v3, 21, 1
	s_mov_b32 s10, 0x80fffff
	v_add3_u32 v4, v3, v4, s10
	v_lshrrev_b32_e32 v4, 21, v4
; %bb.200:
	s_andn2_saveexec_b64 s[8:9], s[8:9]
; %bb.201:
	s_mov_b32 s10, 0x43000000
	v_add_f32_e64 v4, |v3|, s10
; %bb.202:
	s_or_b64 exec, exec, s[8:9]
                                        ; implicit-def: $vgpr5
.LBB108_203:
	s_andn2_saveexec_b64 s[6:7], s[6:7]
; %bb.204:
	s_mov_b32 s8, 0x7f800000
	v_mov_b32_e32 v4, 0x7c
	v_mov_b32_e32 v6, 0x7f
	v_cmp_lt_u32_e32 vcc, s8, v5
	v_cndmask_b32_e32 v4, v4, v6, vcc
; %bb.205:
	s_or_b64 exec, exec, s[6:7]
	v_lshrrev_b32_e32 v3, 24, v3
	s_movk_i32 s6, 0x80
	v_and_or_b32 v3, v3, s6, v4
	global_store_byte v[1:2], v3, off
.LBB108_206:
	s_mov_b64 s[8:9], 0
	s_mov_b64 s[6:7], -1
.LBB108_207:
	s_andn2_b64 vcc, exec, s[8:9]
	s_cbranch_vccnz .LBB108_215
; %bb.208:
	s_cmp_gt_i32 s13, 14
	s_mov_b64 s[8:9], -1
	s_cbranch_scc0 .LBB108_212
; %bb.209:
	s_cmp_eq_u32 s13, 15
	s_mov_b64 s[4:5], -1
	s_cbranch_scc0 .LBB108_211
; %bb.210:
	v_cvt_f32_f16_e32 v3, v0
	s_movk_i32 s4, 0x7fff
	v_cmp_o_f16_e32 vcc, v0, v0
	v_mov_b32_e32 v4, 0x7fc0
	v_bfe_u32 v5, v3, 16, 1
	v_add3_u32 v3, v3, v5, s4
	v_cndmask_b32_sdwa v3, v4, v3, vcc dst_sel:DWORD dst_unused:UNUSED_PAD src0_sel:DWORD src1_sel:WORD_1
	global_store_short v[1:2], v3, off
	s_mov_b64 s[6:7], -1
	s_mov_b64 s[4:5], 0
.LBB108_211:
	s_mov_b64 s[8:9], 0
.LBB108_212:
	s_and_b64 vcc, exec, s[8:9]
	s_cbranch_vccz .LBB108_215
; %bb.213:
	s_cmp_eq_u32 s13, 11
	s_mov_b64 s[4:5], -1
	s_cbranch_scc0 .LBB108_215
; %bb.214:
	v_and_b32_e32 v3, 0x7fff, v0
	v_cmp_ne_u16_e32 vcc, 0, v3
	v_cndmask_b32_e64 v3, 0, 1, vcc
	s_mov_b64 s[6:7], -1
	s_mov_b64 s[4:5], 0
	global_store_byte v[1:2], v3, off
.LBB108_215:
	s_branch .LBB108_137
.LBB108_216:
	s_and_b32 s8, 0xffff, s12
	s_cmp_lt_i32 s8, 5
	s_mov_b64 s[6:7], -1
	s_cbranch_scc1 .LBB108_237
; %bb.217:
	s_cmp_lt_i32 s8, 8
	s_cbranch_scc1 .LBB108_227
; %bb.218:
	s_cmp_lt_i32 s8, 9
	s_cbranch_scc1 .LBB108_224
; %bb.219:
	s_cmp_gt_i32 s8, 9
	s_cbranch_scc0 .LBB108_221
; %bb.220:
	v_cvt_f32_f16_e32 v3, v0
	v_mov_b32_e32 v5, 0
	v_mov_b32_e32 v6, v5
	s_mov_b64 s[6:7], 0
	v_cvt_f64_f32_e32 v[3:4], v3
	global_store_dwordx4 v[1:2], v[3:6], off
.LBB108_221:
	s_andn2_b64 vcc, exec, s[6:7]
	s_cbranch_vccnz .LBB108_223
; %bb.222:
	v_cvt_f32_f16_e32 v3, v0
	v_mov_b32_e32 v4, 0
	global_store_dwordx2 v[1:2], v[3:4], off
.LBB108_223:
	s_mov_b64 s[6:7], 0
.LBB108_224:
	s_andn2_b64 vcc, exec, s[6:7]
	s_cbranch_vccnz .LBB108_226
; %bb.225:
	v_and_b32_e32 v3, 0xffff, v0
	global_store_dword v[1:2], v3, off
.LBB108_226:
	s_mov_b64 s[6:7], 0
.LBB108_227:
	s_andn2_b64 vcc, exec, s[6:7]
	s_cbranch_vccnz .LBB108_236
; %bb.228:
	s_cmp_lt_i32 s8, 6
	s_mov_b64 s[6:7], -1
	s_cbranch_scc1 .LBB108_234
; %bb.229:
	s_cmp_gt_i32 s8, 6
	s_cbranch_scc0 .LBB108_231
; %bb.230:
	v_cvt_f32_f16_e32 v3, v0
	s_mov_b64 s[6:7], 0
	v_cvt_f64_f32_e32 v[3:4], v3
	global_store_dwordx2 v[1:2], v[3:4], off
.LBB108_231:
	s_andn2_b64 vcc, exec, s[6:7]
	s_cbranch_vccnz .LBB108_233
; %bb.232:
	v_cvt_f32_f16_e32 v3, v0
	global_store_dword v[1:2], v3, off
.LBB108_233:
	s_mov_b64 s[6:7], 0
.LBB108_234:
	s_andn2_b64 vcc, exec, s[6:7]
	s_cbranch_vccnz .LBB108_236
; %bb.235:
	global_store_short v[1:2], v0, off
.LBB108_236:
	s_mov_b64 s[6:7], 0
.LBB108_237:
	s_andn2_b64 vcc, exec, s[6:7]
	s_cbranch_vccnz .LBB108_253
; %bb.238:
	s_cmp_lt_i32 s8, 2
	s_mov_b64 s[6:7], -1
	s_cbranch_scc1 .LBB108_248
; %bb.239:
	s_cmp_lt_i32 s8, 3
	s_cbranch_scc1 .LBB108_245
; %bb.240:
	s_cmp_gt_i32 s8, 3
	s_cbranch_scc0 .LBB108_242
; %bb.241:
	v_cvt_f32_f16_e32 v3, v0
	s_mov_b64 s[6:7], 0
	v_cvt_i32_f32_e32 v3, v3
	v_ashrrev_i32_e32 v4, 31, v3
	global_store_dwordx2 v[1:2], v[3:4], off
.LBB108_242:
	s_andn2_b64 vcc, exec, s[6:7]
	s_cbranch_vccnz .LBB108_244
; %bb.243:
	v_cvt_f32_f16_e32 v3, v0
	v_cvt_i32_f32_e32 v3, v3
	global_store_dword v[1:2], v3, off
.LBB108_244:
	s_mov_b64 s[6:7], 0
.LBB108_245:
	s_andn2_b64 vcc, exec, s[6:7]
	s_cbranch_vccnz .LBB108_247
; %bb.246:
	v_cvt_i16_f16_e32 v3, v0
	global_store_short v[1:2], v3, off
.LBB108_247:
	s_mov_b64 s[6:7], 0
.LBB108_248:
	s_andn2_b64 vcc, exec, s[6:7]
	s_cbranch_vccnz .LBB108_253
; %bb.249:
	s_cmp_gt_i32 s8, 0
	s_mov_b64 s[6:7], -1
	s_cbranch_scc0 .LBB108_251
; %bb.250:
	v_cvt_i16_f16_e32 v3, v0
	s_mov_b64 s[6:7], 0
	global_store_byte v[1:2], v3, off
.LBB108_251:
	s_andn2_b64 vcc, exec, s[6:7]
	s_cbranch_vccnz .LBB108_253
; %bb.252:
	v_cvt_f32_f16_e32 v0, v0
	v_cvt_i32_f32_e32 v0, v0
	global_store_byte v[1:2], v0, off
.LBB108_253:
	s_branch .LBB108_138
.LBB108_254:
	s_mov_b64 s[6:7], 0
                                        ; implicit-def: $vgpr22
.LBB108_255:
	s_andn2_b64 s[8:9], s[38:39], exec
	s_and_b64 s[4:5], s[4:5], exec
	s_or_b64 s[58:59], s[8:9], s[4:5]
	s_orn2_b64 s[8:9], s[6:7], exec
.LBB108_256:
	s_or_b64 exec, exec, s[60:61]
	s_mov_b64 s[4:5], 0
	s_mov_b64 s[6:7], 0
                                        ; implicit-def: $sgpr14
                                        ; implicit-def: $vgpr1_vgpr2
                                        ; implicit-def: $vgpr0
	s_and_saveexec_b64 s[60:61], s[8:9]
	s_cbranch_execz .LBB108_467
; %bb.257:
	v_cmp_gt_i32_e32 vcc, s66, v22
	s_mov_b64 s[6:7], -1
	s_mov_b64 s[64:65], s[58:59]
	s_and_saveexec_b64 s[62:63], vcc
	s_cbranch_execz .LBB108_386
; %bb.258:
	s_getpc_b64 s[4:5]
	s_add_u32 s4, s4, _ZN2at6native6invokeIZZZNS0_21polygamma_kernel_cudaERNS_18TensorIteratorBaseElENKUlvE_clEvENKUlvE1_clEvEUlN3c104HalfEE_i15function_traitsIS8_EEENT1_11result_typeERKT_PrKPcPKT0_PKNS6_10ScalarTypeEi@rel32@lo+4
	s_addc_u32 s5, s5, _ZN2at6native6invokeIZZZNS0_21polygamma_kernel_cudaERNS_18TensorIteratorBaseElENKUlvE_clEvENKUlvE1_clEvEUlN3c104HalfEE_i15function_traitsIS8_EEENT1_11result_typeERKT_PrKPcPKT0_PKNS6_10ScalarTypeEi@rel32@hi+12
	v_mov_b32_e32 v0, s54
	v_mov_b32_e32 v1, s55
	v_mov_b32_e32 v2, s50
	v_mov_b32_e32 v3, s51
	v_mov_b32_e32 v4, s53
	v_mov_b32_e32 v5, s68
	v_mov_b32_e32 v6, v22
	s_swappc_b64 s[30:31], s[4:5]
	v_mul_lo_u32 v1, v22, s52
	v_mov_b32_e32 v2, s49
	s_and_b32 s12, s33, 0xff
	s_cmp_lt_i32 s12, 11
	v_ashrrev_i32_e32 v3, 31, v1
	v_add_co_u32_e32 v1, vcc, s48, v1
	v_addc_co_u32_e32 v2, vcc, v2, v3, vcc
	s_cbranch_scc1 .LBB108_265
; %bb.259:
	s_and_b32 s13, 0xffff, s12
	s_cmp_gt_i32 s13, 25
	s_cbranch_scc0 .LBB108_266
; %bb.260:
	s_cmp_gt_i32 s13, 28
	s_cbranch_scc0 .LBB108_267
; %bb.261:
	;; [unrolled: 3-line block ×4, first 2 shown]
	s_mov_b64 s[8:9], 0
	s_mov_b64 s[4:5], -1
	s_cmp_eq_u32 s13, 46
	s_mov_b64 s[6:7], 0
	s_cbranch_scc0 .LBB108_274
; %bb.264:
	v_cvt_f32_f16_e32 v3, v0
	s_movk_i32 s4, 0x7fff
	v_cmp_o_f16_e32 vcc, v0, v0
	v_mov_b32_e32 v4, 0x7fc0
	v_bfe_u32 v5, v3, 16, 1
	v_add3_u32 v3, v3, v5, s4
	v_cndmask_b32_sdwa v3, v4, v3, vcc dst_sel:DWORD dst_unused:UNUSED_PAD src0_sel:DWORD src1_sel:WORD_1
	global_store_dword v[1:2], v3, off
	s_mov_b64 s[6:7], -1
	s_mov_b64 s[4:5], 0
	s_branch .LBB108_274
.LBB108_265:
	s_mov_b64 s[8:9], -1
	s_mov_b64 s[6:7], 0
	s_mov_b64 s[4:5], s[58:59]
	s_branch .LBB108_343
.LBB108_266:
	s_mov_b64 s[8:9], -1
	s_mov_b64 s[6:7], 0
	s_mov_b64 s[4:5], s[58:59]
	s_branch .LBB108_301
.LBB108_267:
	s_mov_b64 s[8:9], -1
	s_mov_b64 s[6:7], 0
	s_mov_b64 s[4:5], s[58:59]
	s_branch .LBB108_284
.LBB108_268:
	s_andn2_saveexec_b64 s[10:11], s[10:11]
	s_cbranch_execz .LBB108_168
.LBB108_269:
	s_mov_b32 s14, 0x46000000
	v_add_f32_e64 v4, |v3|, s14
	v_and_b32_e32 v4, 0xff, v4
	v_cmp_ne_u32_e32 vcc, 0, v4
	s_andn2_b64 s[8:9], s[8:9], exec
	s_and_b64 s[14:15], vcc, exec
	s_or_b64 s[8:9], s[8:9], s[14:15]
	s_or_b64 exec, exec, s[10:11]
	v_mov_b32_e32 v5, 0
	s_and_saveexec_b64 s[10:11], s[8:9]
	s_cbranch_execnz .LBB108_169
	s_branch .LBB108_170
.LBB108_270:
	s_mov_b64 s[8:9], -1
	s_mov_b64 s[6:7], 0
	s_mov_b64 s[4:5], s[58:59]
	s_branch .LBB108_280
.LBB108_271:
	s_andn2_saveexec_b64 s[10:11], s[10:11]
	s_cbranch_execz .LBB108_181
.LBB108_272:
	s_mov_b32 s14, 0x42800000
	v_add_f32_e64 v4, |v3|, s14
	v_and_b32_e32 v4, 0xff, v4
	v_cmp_ne_u32_e32 vcc, 0, v4
	s_andn2_b64 s[8:9], s[8:9], exec
	s_and_b64 s[14:15], vcc, exec
	s_or_b64 s[8:9], s[8:9], s[14:15]
	s_or_b64 exec, exec, s[10:11]
	v_mov_b32_e32 v5, 0
	s_and_saveexec_b64 s[10:11], s[8:9]
	s_cbranch_execnz .LBB108_182
	s_branch .LBB108_183
.LBB108_273:
	s_mov_b64 s[8:9], -1
	s_mov_b64 s[6:7], 0
	s_mov_b64 s[4:5], s[58:59]
.LBB108_274:
	s_and_b64 vcc, exec, s[8:9]
	s_cbranch_vccz .LBB108_279
; %bb.275:
	s_cmp_eq_u32 s13, 44
	s_mov_b64 s[4:5], -1
	s_cbranch_scc0 .LBB108_279
; %bb.276:
	v_cvt_f32_f16_e32 v3, v0
	s_movk_i32 s4, 0xff
	v_mov_b32_e32 v5, 0xff
	v_bfe_u32 v4, v3, 23, 8
	v_cmp_ne_u32_e32 vcc, s4, v4
	s_and_saveexec_b64 s[6:7], vcc
; %bb.277:
	s_mov_b32 s4, 0x3fffff
	v_lshrrev_b32_e32 v5, 23, v3
	v_and_b32_e32 v6, 0x400000, v3
	v_and_or_b32 v3, v3, s4, v4
	v_cmp_ne_u32_e32 vcc, 0, v6
	v_cmp_ne_u32_e64 s[4:5], 0, v3
	s_and_b64 s[4:5], vcc, s[4:5]
	v_cndmask_b32_e64 v3, 0, 1, s[4:5]
	v_add_u32_e32 v5, v5, v3
; %bb.278:
	s_or_b64 exec, exec, s[6:7]
	s_mov_b64 s[6:7], -1
	s_mov_b64 s[4:5], 0
	global_store_byte v[1:2], v5, off
.LBB108_279:
	s_mov_b64 s[8:9], 0
.LBB108_280:
	s_and_b64 vcc, exec, s[8:9]
	s_cbranch_vccz .LBB108_283
; %bb.281:
	s_cmp_eq_u32 s13, 29
	s_mov_b64 s[4:5], -1
	s_cbranch_scc0 .LBB108_283
; %bb.282:
	v_cvt_f32_f16_e32 v3, v0
	v_mov_b32_e32 v4, 0
	s_mov_b64 s[6:7], -1
	s_mov_b64 s[4:5], 0
	v_cvt_u32_f32_e32 v3, v3
	s_mov_b64 s[8:9], 0
	global_store_dwordx2 v[1:2], v[3:4], off
	s_branch .LBB108_284
.LBB108_283:
	s_mov_b64 s[8:9], 0
.LBB108_284:
	s_and_b64 vcc, exec, s[8:9]
	s_cbranch_vccz .LBB108_300
; %bb.285:
	s_cmp_lt_i32 s13, 27
	s_mov_b64 s[6:7], -1
	s_cbranch_scc1 .LBB108_291
; %bb.286:
	s_cmp_gt_i32 s13, 27
	s_cbranch_scc0 .LBB108_288
; %bb.287:
	v_cvt_f32_f16_e32 v3, v0
	s_mov_b64 s[6:7], 0
	v_cvt_u32_f32_e32 v3, v3
	global_store_dword v[1:2], v3, off
.LBB108_288:
	s_andn2_b64 vcc, exec, s[6:7]
	s_cbranch_vccnz .LBB108_290
; %bb.289:
	v_cvt_u16_f16_e32 v3, v0
	global_store_short v[1:2], v3, off
.LBB108_290:
	s_mov_b64 s[6:7], 0
.LBB108_291:
	s_andn2_b64 vcc, exec, s[6:7]
	s_cbranch_vccnz .LBB108_299
; %bb.292:
	v_cvt_f32_f16_e32 v3, v0
	s_mov_b32 s6, 0x43800000
	v_mov_b32_e32 v5, 0x80
	v_and_b32_e32 v4, 0x7fffffff, v3
	v_cmp_gt_u32_e32 vcc, s6, v4
	s_and_saveexec_b64 s[6:7], vcc
	s_cbranch_execz .LBB108_298
; %bb.293:
	s_mov_b32 s8, 0x3bffffff
	v_cmp_lt_u32_e32 vcc, s8, v4
	s_mov_b64 s[8:9], 0
                                        ; implicit-def: $vgpr4
	s_and_saveexec_b64 s[10:11], vcc
	s_xor_b64 s[10:11], exec, s[10:11]
	s_cbranch_execz .LBB108_998
; %bb.294:
	v_bfe_u32 v4, v3, 20, 1
	s_mov_b32 s14, 0x487ffff
	v_add3_u32 v4, v3, v4, s14
	s_mov_b64 s[8:9], exec
	v_lshrrev_b32_e32 v4, 20, v4
	s_andn2_saveexec_b64 s[10:11], s[10:11]
	s_cbranch_execnz .LBB108_999
.LBB108_295:
	s_or_b64 exec, exec, s[10:11]
	v_mov_b32_e32 v5, 0
	s_and_saveexec_b64 s[10:11], s[8:9]
.LBB108_296:
	v_lshrrev_b32_e32 v3, 24, v3
	s_movk_i32 s8, 0x80
	v_and_or_b32 v5, v3, s8, v4
.LBB108_297:
	s_or_b64 exec, exec, s[10:11]
.LBB108_298:
	s_or_b64 exec, exec, s[6:7]
	global_store_byte v[1:2], v5, off
.LBB108_299:
	s_mov_b64 s[6:7], -1
.LBB108_300:
	s_mov_b64 s[8:9], 0
.LBB108_301:
	s_and_b64 vcc, exec, s[8:9]
	s_cbranch_vccz .LBB108_342
; %bb.302:
	s_cmp_gt_i32 s13, 22
	s_mov_b64 s[8:9], -1
	s_cbranch_scc0 .LBB108_334
; %bb.303:
	s_cmp_lt_i32 s13, 24
	s_mov_b64 s[6:7], -1
	s_cbranch_scc1 .LBB108_323
; %bb.304:
	s_cmp_gt_i32 s13, 24
	s_cbranch_scc0 .LBB108_312
; %bb.305:
	v_cvt_f32_f16_e32 v3, v0
	s_mov_b32 s6, 0x47800000
	v_mov_b32_e32 v5, 0x80
	v_and_b32_e32 v4, 0x7fffffff, v3
	v_cmp_gt_u32_e32 vcc, s6, v4
	s_and_saveexec_b64 s[6:7], vcc
	s_cbranch_execz .LBB108_311
; %bb.306:
	s_mov_b32 s8, 0x37ffffff
	v_cmp_lt_u32_e32 vcc, s8, v4
	s_mov_b64 s[8:9], 0
                                        ; implicit-def: $vgpr4
	s_and_saveexec_b64 s[10:11], vcc
	s_xor_b64 s[10:11], exec, s[10:11]
	s_cbranch_execz .LBB108_1005
; %bb.307:
	v_bfe_u32 v4, v3, 21, 1
	s_mov_b32 s14, 0x88fffff
	v_add3_u32 v4, v3, v4, s14
	s_mov_b64 s[8:9], exec
	v_lshrrev_b32_e32 v4, 21, v4
	s_andn2_saveexec_b64 s[10:11], s[10:11]
	s_cbranch_execnz .LBB108_1006
.LBB108_308:
	s_or_b64 exec, exec, s[10:11]
	v_mov_b32_e32 v5, 0
	s_and_saveexec_b64 s[10:11], s[8:9]
.LBB108_309:
	v_lshrrev_b32_e32 v3, 24, v3
	s_movk_i32 s8, 0x80
	v_and_or_b32 v5, v3, s8, v4
.LBB108_310:
	s_or_b64 exec, exec, s[10:11]
.LBB108_311:
	s_or_b64 exec, exec, s[6:7]
	s_mov_b64 s[6:7], 0
	global_store_byte v[1:2], v5, off
.LBB108_312:
	s_and_b64 vcc, exec, s[6:7]
	s_cbranch_vccz .LBB108_322
; %bb.313:
	v_cvt_f32_f16_e32 v3, v0
	s_mov_b32 s6, 0x43f00000
                                        ; implicit-def: $vgpr4
	v_and_b32_e32 v5, 0x7fffffff, v3
	v_cmp_gt_u32_e32 vcc, s6, v5
	s_and_saveexec_b64 s[6:7], vcc
	s_xor_b64 s[6:7], exec, s[6:7]
	s_cbranch_execz .LBB108_319
; %bb.314:
	s_mov_b32 s8, 0x3c7fffff
	v_cmp_lt_u32_e32 vcc, s8, v5
                                        ; implicit-def: $vgpr4
	s_and_saveexec_b64 s[8:9], vcc
	s_xor_b64 s[8:9], exec, s[8:9]
; %bb.315:
	v_bfe_u32 v4, v3, 20, 1
	s_mov_b32 s10, 0x407ffff
	v_add3_u32 v4, v3, v4, s10
	v_lshrrev_b32_e32 v5, 20, v4
	v_and_b32_e32 v4, 0xff00000, v4
	s_mov_b32 s10, 0x7f00000
	v_mov_b32_e32 v6, 0x7e
	v_cmp_ne_u32_e32 vcc, s10, v4
	v_cndmask_b32_e32 v4, v6, v5, vcc
; %bb.316:
	s_andn2_saveexec_b64 s[8:9], s[8:9]
; %bb.317:
	s_mov_b32 s10, 0x46800000
	v_add_f32_e64 v4, |v3|, s10
; %bb.318:
	s_or_b64 exec, exec, s[8:9]
                                        ; implicit-def: $vgpr5
.LBB108_319:
	s_andn2_saveexec_b64 s[6:7], s[6:7]
; %bb.320:
	s_mov_b32 s8, 0x7f800000
	v_mov_b32_e32 v4, 0x7e
	v_mov_b32_e32 v6, 0x7f
	v_cmp_lt_u32_e32 vcc, s8, v5
	v_cndmask_b32_e32 v4, v4, v6, vcc
; %bb.321:
	s_or_b64 exec, exec, s[6:7]
	v_lshrrev_b32_e32 v3, 24, v3
	s_movk_i32 s6, 0x80
	v_and_or_b32 v3, v3, s6, v4
	global_store_byte v[1:2], v3, off
.LBB108_322:
	s_mov_b64 s[6:7], 0
.LBB108_323:
	s_andn2_b64 vcc, exec, s[6:7]
	s_cbranch_vccnz .LBB108_333
; %bb.324:
	v_cvt_f32_f16_e32 v3, v0
	s_mov_b32 s6, 0x47800000
                                        ; implicit-def: $vgpr4
	v_and_b32_e32 v5, 0x7fffffff, v3
	v_cmp_gt_u32_e32 vcc, s6, v5
	s_and_saveexec_b64 s[6:7], vcc
	s_xor_b64 s[6:7], exec, s[6:7]
	s_cbranch_execz .LBB108_330
; %bb.325:
	s_mov_b32 s8, 0x387fffff
	v_cmp_lt_u32_e32 vcc, s8, v5
                                        ; implicit-def: $vgpr4
	s_and_saveexec_b64 s[8:9], vcc
	s_xor_b64 s[8:9], exec, s[8:9]
; %bb.326:
	v_bfe_u32 v4, v3, 21, 1
	s_mov_b32 s10, 0x80fffff
	v_add3_u32 v4, v3, v4, s10
	v_lshrrev_b32_e32 v4, 21, v4
; %bb.327:
	s_andn2_saveexec_b64 s[8:9], s[8:9]
; %bb.328:
	s_mov_b32 s10, 0x43000000
	v_add_f32_e64 v4, |v3|, s10
; %bb.329:
	s_or_b64 exec, exec, s[8:9]
                                        ; implicit-def: $vgpr5
.LBB108_330:
	s_andn2_saveexec_b64 s[6:7], s[6:7]
; %bb.331:
	s_mov_b32 s8, 0x7f800000
	v_mov_b32_e32 v4, 0x7c
	v_mov_b32_e32 v6, 0x7f
	v_cmp_lt_u32_e32 vcc, s8, v5
	v_cndmask_b32_e32 v4, v4, v6, vcc
; %bb.332:
	s_or_b64 exec, exec, s[6:7]
	v_lshrrev_b32_e32 v3, 24, v3
	s_movk_i32 s6, 0x80
	v_and_or_b32 v3, v3, s6, v4
	global_store_byte v[1:2], v3, off
.LBB108_333:
	s_mov_b64 s[8:9], 0
	s_mov_b64 s[6:7], -1
.LBB108_334:
	s_andn2_b64 vcc, exec, s[8:9]
	s_cbranch_vccnz .LBB108_342
; %bb.335:
	s_cmp_gt_i32 s13, 14
	s_mov_b64 s[8:9], -1
	s_cbranch_scc0 .LBB108_339
; %bb.336:
	s_cmp_eq_u32 s13, 15
	s_mov_b64 s[4:5], -1
	s_cbranch_scc0 .LBB108_338
; %bb.337:
	v_cvt_f32_f16_e32 v3, v0
	s_movk_i32 s4, 0x7fff
	v_cmp_o_f16_e32 vcc, v0, v0
	v_mov_b32_e32 v4, 0x7fc0
	v_bfe_u32 v5, v3, 16, 1
	v_add3_u32 v3, v3, v5, s4
	v_cndmask_b32_sdwa v3, v4, v3, vcc dst_sel:DWORD dst_unused:UNUSED_PAD src0_sel:DWORD src1_sel:WORD_1
	global_store_short v[1:2], v3, off
	s_mov_b64 s[6:7], -1
	s_mov_b64 s[4:5], 0
.LBB108_338:
	s_mov_b64 s[8:9], 0
.LBB108_339:
	s_and_b64 vcc, exec, s[8:9]
	s_cbranch_vccz .LBB108_342
; %bb.340:
	s_cmp_eq_u32 s13, 11
	s_mov_b64 s[4:5], -1
	s_cbranch_scc0 .LBB108_342
; %bb.341:
	v_and_b32_e32 v3, 0x7fff, v0
	v_cmp_ne_u16_e32 vcc, 0, v3
	v_cndmask_b32_e64 v3, 0, 1, vcc
	s_mov_b64 s[6:7], -1
	s_mov_b64 s[4:5], 0
	global_store_byte v[1:2], v3, off
.LBB108_342:
	s_mov_b64 s[8:9], 0
.LBB108_343:
	s_and_b64 vcc, exec, s[8:9]
	s_cbranch_vccz .LBB108_382
; %bb.344:
	s_and_b32 s8, 0xffff, s12
	s_cmp_lt_i32 s8, 5
	s_mov_b64 s[6:7], -1
	s_cbranch_scc1 .LBB108_365
; %bb.345:
	s_cmp_lt_i32 s8, 8
	s_cbranch_scc1 .LBB108_355
; %bb.346:
	s_cmp_lt_i32 s8, 9
	s_cbranch_scc1 .LBB108_352
; %bb.347:
	s_cmp_gt_i32 s8, 9
	s_cbranch_scc0 .LBB108_349
; %bb.348:
	v_cvt_f32_f16_e32 v3, v0
	v_mov_b32_e32 v5, 0
	v_mov_b32_e32 v6, v5
	s_mov_b64 s[6:7], 0
	v_cvt_f64_f32_e32 v[3:4], v3
	global_store_dwordx4 v[1:2], v[3:6], off
.LBB108_349:
	s_andn2_b64 vcc, exec, s[6:7]
	s_cbranch_vccnz .LBB108_351
; %bb.350:
	v_cvt_f32_f16_e32 v3, v0
	v_mov_b32_e32 v4, 0
	global_store_dwordx2 v[1:2], v[3:4], off
.LBB108_351:
	s_mov_b64 s[6:7], 0
.LBB108_352:
	s_andn2_b64 vcc, exec, s[6:7]
	s_cbranch_vccnz .LBB108_354
; %bb.353:
	v_and_b32_e32 v3, 0xffff, v0
	global_store_dword v[1:2], v3, off
.LBB108_354:
	s_mov_b64 s[6:7], 0
.LBB108_355:
	s_andn2_b64 vcc, exec, s[6:7]
	s_cbranch_vccnz .LBB108_364
; %bb.356:
	s_cmp_lt_i32 s8, 6
	s_mov_b64 s[6:7], -1
	s_cbranch_scc1 .LBB108_362
; %bb.357:
	s_cmp_gt_i32 s8, 6
	s_cbranch_scc0 .LBB108_359
; %bb.358:
	v_cvt_f32_f16_e32 v3, v0
	s_mov_b64 s[6:7], 0
	v_cvt_f64_f32_e32 v[3:4], v3
	global_store_dwordx2 v[1:2], v[3:4], off
.LBB108_359:
	s_andn2_b64 vcc, exec, s[6:7]
	s_cbranch_vccnz .LBB108_361
; %bb.360:
	v_cvt_f32_f16_e32 v3, v0
	global_store_dword v[1:2], v3, off
.LBB108_361:
	s_mov_b64 s[6:7], 0
.LBB108_362:
	s_andn2_b64 vcc, exec, s[6:7]
	s_cbranch_vccnz .LBB108_364
; %bb.363:
	global_store_short v[1:2], v0, off
.LBB108_364:
	s_mov_b64 s[6:7], 0
.LBB108_365:
	s_andn2_b64 vcc, exec, s[6:7]
	s_cbranch_vccnz .LBB108_381
; %bb.366:
	s_cmp_lt_i32 s8, 2
	s_mov_b64 s[6:7], -1
	s_cbranch_scc1 .LBB108_376
; %bb.367:
	s_cmp_lt_i32 s8, 3
	s_cbranch_scc1 .LBB108_373
; %bb.368:
	s_cmp_gt_i32 s8, 3
	s_cbranch_scc0 .LBB108_370
; %bb.369:
	v_cvt_f32_f16_e32 v3, v0
	s_mov_b64 s[6:7], 0
	v_cvt_i32_f32_e32 v3, v3
	v_ashrrev_i32_e32 v4, 31, v3
	global_store_dwordx2 v[1:2], v[3:4], off
.LBB108_370:
	s_andn2_b64 vcc, exec, s[6:7]
	s_cbranch_vccnz .LBB108_372
; %bb.371:
	v_cvt_f32_f16_e32 v3, v0
	v_cvt_i32_f32_e32 v3, v3
	global_store_dword v[1:2], v3, off
.LBB108_372:
	s_mov_b64 s[6:7], 0
.LBB108_373:
	s_andn2_b64 vcc, exec, s[6:7]
	s_cbranch_vccnz .LBB108_375
; %bb.374:
	v_cvt_i16_f16_e32 v3, v0
	global_store_short v[1:2], v3, off
.LBB108_375:
	s_mov_b64 s[6:7], 0
.LBB108_376:
	s_andn2_b64 vcc, exec, s[6:7]
	s_cbranch_vccnz .LBB108_381
; %bb.377:
	s_cmp_gt_i32 s8, 0
	s_mov_b64 s[6:7], -1
	s_cbranch_scc0 .LBB108_379
; %bb.378:
	v_cvt_i16_f16_e32 v3, v0
	s_mov_b64 s[6:7], 0
	global_store_byte v[1:2], v3, off
.LBB108_379:
	s_andn2_b64 vcc, exec, s[6:7]
	s_cbranch_vccnz .LBB108_381
; %bb.380:
	v_cvt_f32_f16_e32 v0, v0
	v_cvt_i32_f32_e32 v0, v0
	global_store_byte v[1:2], v0, off
.LBB108_381:
	s_mov_b64 s[6:7], -1
.LBB108_382:
	s_andn2_b64 vcc, exec, s[6:7]
	s_cbranch_vccnz .LBB108_384
; %bb.383:
	v_add_u32_e32 v22, 0x80, v22
	s_mov_b64 s[6:7], -1
	s_branch .LBB108_385
.LBB108_384:
	s_mov_b64 s[6:7], 0
                                        ; implicit-def: $vgpr22
.LBB108_385:
	s_andn2_b64 s[8:9], s[58:59], exec
	s_and_b64 s[4:5], s[4:5], exec
	s_or_b64 s[64:65], s[8:9], s[4:5]
	s_orn2_b64 s[6:7], s[6:7], exec
.LBB108_386:
	s_or_b64 exec, exec, s[62:63]
	s_mov_b64 s[4:5], 0
	s_mov_b64 s[10:11], 0
                                        ; implicit-def: $sgpr14
                                        ; implicit-def: $vgpr1_vgpr2
                                        ; implicit-def: $vgpr0
	s_and_saveexec_b64 s[62:63], s[6:7]
	s_cbranch_execz .LBB108_466
; %bb.387:
	v_cmp_gt_i32_e32 vcc, s66, v22
	s_mov_b64 s[6:7], 0
	s_mov_b64 s[8:9], s[64:65]
                                        ; implicit-def: $sgpr14
                                        ; implicit-def: $vgpr1_vgpr2
                                        ; implicit-def: $vgpr0
	s_and_saveexec_b64 s[66:67], vcc
	s_cbranch_execz .LBB108_465
; %bb.388:
	s_getpc_b64 s[4:5]
	s_add_u32 s4, s4, _ZN2at6native6invokeIZZZNS0_21polygamma_kernel_cudaERNS_18TensorIteratorBaseElENKUlvE_clEvENKUlvE1_clEvEUlN3c104HalfEE_i15function_traitsIS8_EEENT1_11result_typeERKT_PrKPcPKT0_PKNS6_10ScalarTypeEi@rel32@lo+4
	s_addc_u32 s5, s5, _ZN2at6native6invokeIZZZNS0_21polygamma_kernel_cudaERNS_18TensorIteratorBaseElENKUlvE_clEvENKUlvE1_clEvEUlN3c104HalfEE_i15function_traitsIS8_EEENT1_11result_typeERKT_PrKPcPKT0_PKNS6_10ScalarTypeEi@rel32@hi+12
	v_mov_b32_e32 v0, s54
	v_mov_b32_e32 v1, s55
	;; [unrolled: 1-line block ×7, first 2 shown]
	s_swappc_b64 s[30:31], s[4:5]
	v_mul_lo_u32 v1, v22, s52
	v_mov_b32_e32 v2, s49
	s_and_b32 s14, s33, 0xff
	s_cmp_lt_i32 s14, 11
	v_ashrrev_i32_e32 v3, 31, v1
	v_add_co_u32_e32 v1, vcc, s48, v1
	v_addc_co_u32_e32 v2, vcc, v2, v3, vcc
	s_cbranch_scc1 .LBB108_405
; %bb.389:
	s_and_b32 s15, 0xffff, s14
	s_mov_b64 s[8:9], -1
	s_cmp_gt_i32 s15, 25
	s_mov_b64 s[4:5], s[64:65]
	s_cbranch_scc0 .LBB108_423
; %bb.390:
	s_mov_b64 s[6:7], -1
	s_cmp_gt_i32 s15, 28
	s_mov_b64 s[4:5], s[64:65]
	s_cbranch_scc0 .LBB108_407
; %bb.391:
	s_cmp_gt_i32 s15, 43
	s_mov_b64 s[4:5], s[64:65]
	s_cbranch_scc0 .LBB108_402
; %bb.392:
	;; [unrolled: 4-line block ×3, first 2 shown]
	s_cmp_eq_u32 s15, 46
	s_mov_b64 s[4:5], -1
	s_cbranch_scc0 .LBB108_395
; %bb.394:
	v_cvt_f32_f16_e32 v3, v0
	s_movk_i32 s4, 0x7fff
	v_cmp_o_f16_e32 vcc, v0, v0
	v_mov_b32_e32 v4, 0x7fc0
	v_bfe_u32 v5, v3, 16, 1
	v_add3_u32 v3, v3, v5, s4
	v_cndmask_b32_sdwa v3, v4, v3, vcc dst_sel:DWORD dst_unused:UNUSED_PAD src0_sel:DWORD src1_sel:WORD_1
	global_store_dword v[1:2], v3, off
	s_mov_b64 s[4:5], 0
.LBB108_395:
	s_mov_b64 s[6:7], 0
.LBB108_396:
	s_and_b64 vcc, exec, s[6:7]
	s_cbranch_vccz .LBB108_401
; %bb.397:
	s_cmp_eq_u32 s15, 44
	s_mov_b64 s[4:5], -1
	s_cbranch_scc0 .LBB108_401
; %bb.398:
	v_cvt_f32_f16_e32 v3, v0
	s_movk_i32 s4, 0xff
	v_mov_b32_e32 v5, 0xff
	v_bfe_u32 v4, v3, 23, 8
	v_cmp_ne_u32_e32 vcc, s4, v4
	s_and_saveexec_b64 s[6:7], vcc
; %bb.399:
	s_mov_b32 s4, 0x3fffff
	v_lshrrev_b32_e32 v5, 23, v3
	v_and_b32_e32 v6, 0x400000, v3
	v_and_or_b32 v3, v3, s4, v4
	v_cmp_ne_u32_e32 vcc, 0, v6
	v_cmp_ne_u32_e64 s[4:5], 0, v3
	s_and_b64 s[4:5], vcc, s[4:5]
	v_cndmask_b32_e64 v3, 0, 1, s[4:5]
	v_add_u32_e32 v5, v5, v3
; %bb.400:
	s_or_b64 exec, exec, s[6:7]
	s_mov_b64 s[4:5], 0
	global_store_byte v[1:2], v5, off
.LBB108_401:
	s_mov_b64 s[6:7], 0
.LBB108_402:
	s_and_b64 vcc, exec, s[6:7]
	s_cbranch_vccz .LBB108_406
; %bb.403:
	s_cmp_eq_u32 s15, 29
	s_mov_b64 s[4:5], -1
	s_cbranch_scc0 .LBB108_406
; %bb.404:
	v_cvt_f32_f16_e32 v3, v0
	v_mov_b32_e32 v4, 0
	s_mov_b64 s[4:5], 0
	s_mov_b64 s[6:7], 0
	v_cvt_u32_f32_e32 v3, v3
	global_store_dwordx2 v[1:2], v[3:4], off
	s_branch .LBB108_407
.LBB108_405:
	s_mov_b64 s[8:9], 0
	s_mov_b64 s[6:7], -1
	s_mov_b64 s[4:5], s[64:65]
	s_branch .LBB108_464
.LBB108_406:
	s_mov_b64 s[6:7], 0
.LBB108_407:
	s_and_b64 vcc, exec, s[6:7]
	s_cbranch_vccz .LBB108_422
; %bb.408:
	s_cmp_lt_i32 s15, 27
	s_mov_b64 s[6:7], -1
	s_cbranch_scc1 .LBB108_414
; %bb.409:
	s_cmp_gt_i32 s15, 27
	s_cbranch_scc0 .LBB108_411
; %bb.410:
	v_cvt_f32_f16_e32 v3, v0
	s_mov_b64 s[6:7], 0
	v_cvt_u32_f32_e32 v3, v3
	global_store_dword v[1:2], v3, off
.LBB108_411:
	s_andn2_b64 vcc, exec, s[6:7]
	s_cbranch_vccnz .LBB108_413
; %bb.412:
	v_cvt_u16_f16_e32 v3, v0
	global_store_short v[1:2], v3, off
.LBB108_413:
	s_mov_b64 s[6:7], 0
.LBB108_414:
	s_andn2_b64 vcc, exec, s[6:7]
	s_cbranch_vccnz .LBB108_422
; %bb.415:
	v_cvt_f32_f16_e32 v3, v0
	s_mov_b32 s6, 0x43800000
	v_mov_b32_e32 v5, 0x80
	v_and_b32_e32 v4, 0x7fffffff, v3
	v_cmp_gt_u32_e32 vcc, s6, v4
	s_and_saveexec_b64 s[6:7], vcc
	s_cbranch_execz .LBB108_421
; %bb.416:
	s_mov_b32 s8, 0x3bffffff
	v_cmp_lt_u32_e32 vcc, s8, v4
	s_mov_b64 s[8:9], 0
                                        ; implicit-def: $vgpr4
	s_and_saveexec_b64 s[10:11], vcc
	s_xor_b64 s[10:11], exec, s[10:11]
	s_cbranch_execz .LBB108_1007
; %bb.417:
	v_bfe_u32 v4, v3, 20, 1
	s_mov_b32 s12, 0x487ffff
	v_add3_u32 v4, v3, v4, s12
	s_mov_b64 s[8:9], exec
	v_lshrrev_b32_e32 v4, 20, v4
	s_andn2_saveexec_b64 s[10:11], s[10:11]
	s_cbranch_execnz .LBB108_1008
.LBB108_418:
	s_or_b64 exec, exec, s[10:11]
	v_mov_b32_e32 v5, 0
	s_and_saveexec_b64 s[10:11], s[8:9]
.LBB108_419:
	v_lshrrev_b32_e32 v3, 24, v3
	s_movk_i32 s8, 0x80
	v_and_or_b32 v5, v3, s8, v4
.LBB108_420:
	s_or_b64 exec, exec, s[10:11]
.LBB108_421:
	s_or_b64 exec, exec, s[6:7]
	global_store_byte v[1:2], v5, off
.LBB108_422:
	s_mov_b64 s[8:9], 0
.LBB108_423:
	s_mov_b64 s[6:7], 0
	s_and_b64 vcc, exec, s[8:9]
	s_cbranch_vccz .LBB108_463
; %bb.424:
	s_cmp_gt_i32 s15, 22
	s_mov_b64 s[8:9], -1
	s_cbranch_scc0 .LBB108_456
; %bb.425:
	s_cmp_lt_i32 s15, 24
	s_cbranch_scc1 .LBB108_445
; %bb.426:
	s_cmp_gt_i32 s15, 24
	s_cbranch_scc0 .LBB108_434
; %bb.427:
	v_cvt_f32_f16_e32 v3, v0
	s_mov_b32 s8, 0x47800000
	v_mov_b32_e32 v5, 0x80
	v_and_b32_e32 v4, 0x7fffffff, v3
	v_cmp_gt_u32_e32 vcc, s8, v4
	s_and_saveexec_b64 s[8:9], vcc
	s_cbranch_execz .LBB108_433
; %bb.428:
	s_mov_b32 s10, 0x37ffffff
	v_cmp_lt_u32_e32 vcc, s10, v4
	s_mov_b64 s[10:11], 0
                                        ; implicit-def: $vgpr4
	s_and_saveexec_b64 s[12:13], vcc
	s_xor_b64 s[12:13], exec, s[12:13]
	s_cbranch_execz .LBB108_1011
; %bb.429:
	v_bfe_u32 v4, v3, 21, 1
	s_mov_b32 s16, 0x88fffff
	v_add3_u32 v4, v3, v4, s16
	s_mov_b64 s[10:11], exec
	v_lshrrev_b32_e32 v4, 21, v4
	s_andn2_saveexec_b64 s[12:13], s[12:13]
	s_cbranch_execnz .LBB108_1012
.LBB108_430:
	s_or_b64 exec, exec, s[12:13]
	v_mov_b32_e32 v5, 0
	s_and_saveexec_b64 s[12:13], s[10:11]
.LBB108_431:
	v_lshrrev_b32_e32 v3, 24, v3
	s_movk_i32 s10, 0x80
	v_and_or_b32 v5, v3, s10, v4
.LBB108_432:
	s_or_b64 exec, exec, s[12:13]
.LBB108_433:
	s_or_b64 exec, exec, s[8:9]
	s_mov_b64 s[8:9], 0
	global_store_byte v[1:2], v5, off
.LBB108_434:
	s_and_b64 vcc, exec, s[8:9]
	s_cbranch_vccz .LBB108_444
; %bb.435:
	v_cvt_f32_f16_e32 v3, v0
	s_mov_b32 s8, 0x43f00000
                                        ; implicit-def: $vgpr4
	v_and_b32_e32 v5, 0x7fffffff, v3
	v_cmp_gt_u32_e32 vcc, s8, v5
	s_and_saveexec_b64 s[8:9], vcc
	s_xor_b64 s[8:9], exec, s[8:9]
	s_cbranch_execz .LBB108_441
; %bb.436:
	s_mov_b32 s10, 0x3c7fffff
	v_cmp_lt_u32_e32 vcc, s10, v5
                                        ; implicit-def: $vgpr4
	s_and_saveexec_b64 s[10:11], vcc
	s_xor_b64 s[10:11], exec, s[10:11]
; %bb.437:
	v_bfe_u32 v4, v3, 20, 1
	s_mov_b32 s12, 0x407ffff
	v_add3_u32 v4, v3, v4, s12
	v_lshrrev_b32_e32 v5, 20, v4
	v_and_b32_e32 v4, 0xff00000, v4
	s_mov_b32 s12, 0x7f00000
	v_mov_b32_e32 v6, 0x7e
	v_cmp_ne_u32_e32 vcc, s12, v4
	v_cndmask_b32_e32 v4, v6, v5, vcc
; %bb.438:
	s_andn2_saveexec_b64 s[10:11], s[10:11]
; %bb.439:
	s_mov_b32 s12, 0x46800000
	v_add_f32_e64 v4, |v3|, s12
; %bb.440:
	s_or_b64 exec, exec, s[10:11]
                                        ; implicit-def: $vgpr5
.LBB108_441:
	s_andn2_saveexec_b64 s[8:9], s[8:9]
; %bb.442:
	s_mov_b32 s10, 0x7f800000
	v_mov_b32_e32 v4, 0x7e
	v_mov_b32_e32 v6, 0x7f
	v_cmp_lt_u32_e32 vcc, s10, v5
	v_cndmask_b32_e32 v4, v4, v6, vcc
; %bb.443:
	s_or_b64 exec, exec, s[8:9]
	v_lshrrev_b32_e32 v3, 24, v3
	s_movk_i32 s8, 0x80
	v_and_or_b32 v3, v3, s8, v4
	global_store_byte v[1:2], v3, off
.LBB108_444:
	s_mov_b64 s[8:9], 0
.LBB108_445:
	s_andn2_b64 vcc, exec, s[8:9]
	s_cbranch_vccnz .LBB108_455
; %bb.446:
	v_cvt_f32_f16_e32 v3, v0
	s_mov_b32 s8, 0x47800000
                                        ; implicit-def: $vgpr4
	v_and_b32_e32 v5, 0x7fffffff, v3
	v_cmp_gt_u32_e32 vcc, s8, v5
	s_and_saveexec_b64 s[8:9], vcc
	s_xor_b64 s[8:9], exec, s[8:9]
	s_cbranch_execz .LBB108_452
; %bb.447:
	s_mov_b32 s10, 0x387fffff
	v_cmp_lt_u32_e32 vcc, s10, v5
                                        ; implicit-def: $vgpr4
	s_and_saveexec_b64 s[10:11], vcc
	s_xor_b64 s[10:11], exec, s[10:11]
; %bb.448:
	v_bfe_u32 v4, v3, 21, 1
	s_mov_b32 s12, 0x80fffff
	v_add3_u32 v4, v3, v4, s12
	v_lshrrev_b32_e32 v4, 21, v4
; %bb.449:
	s_andn2_saveexec_b64 s[10:11], s[10:11]
; %bb.450:
	s_mov_b32 s12, 0x43000000
	v_add_f32_e64 v4, |v3|, s12
; %bb.451:
	s_or_b64 exec, exec, s[10:11]
                                        ; implicit-def: $vgpr5
.LBB108_452:
	s_andn2_saveexec_b64 s[8:9], s[8:9]
; %bb.453:
	s_mov_b32 s10, 0x7f800000
	v_mov_b32_e32 v4, 0x7c
	v_mov_b32_e32 v6, 0x7f
	v_cmp_lt_u32_e32 vcc, s10, v5
	v_cndmask_b32_e32 v4, v4, v6, vcc
; %bb.454:
	s_or_b64 exec, exec, s[8:9]
	v_lshrrev_b32_e32 v3, 24, v3
	s_movk_i32 s8, 0x80
	v_and_or_b32 v3, v3, s8, v4
	global_store_byte v[1:2], v3, off
.LBB108_455:
	s_mov_b64 s[8:9], 0
.LBB108_456:
	s_andn2_b64 vcc, exec, s[8:9]
	s_mov_b64 s[8:9], 0
	s_cbranch_vccnz .LBB108_464
; %bb.457:
	s_cmp_gt_i32 s15, 14
	s_mov_b64 s[10:11], -1
	s_cbranch_scc0 .LBB108_461
; %bb.458:
	s_cmp_eq_u32 s15, 15
	s_mov_b64 s[4:5], -1
	s_cbranch_scc0 .LBB108_460
; %bb.459:
	v_cvt_f32_f16_e32 v3, v0
	s_movk_i32 s4, 0x7fff
	v_cmp_o_f16_e32 vcc, v0, v0
	v_mov_b32_e32 v4, 0x7fc0
	v_bfe_u32 v5, v3, 16, 1
	v_add3_u32 v3, v3, v5, s4
	v_cndmask_b32_sdwa v3, v4, v3, vcc dst_sel:DWORD dst_unused:UNUSED_PAD src0_sel:DWORD src1_sel:WORD_1
	global_store_short v[1:2], v3, off
	s_mov_b64 s[4:5], 0
.LBB108_460:
	s_mov_b64 s[10:11], 0
.LBB108_461:
	s_and_b64 vcc, exec, s[10:11]
	s_cbranch_vccz .LBB108_464
; %bb.462:
	s_cmp_lg_u32 s15, 11
	s_cselect_b64 s[10:11], -1, 0
	s_andn2_b64 s[4:5], s[4:5], exec
	s_and_b64 s[10:11], s[10:11], exec
	s_mov_b64 s[8:9], -1
	s_or_b64 s[4:5], s[4:5], s[10:11]
	s_branch .LBB108_464
.LBB108_463:
	s_mov_b64 s[8:9], 0
.LBB108_464:
	s_and_b64 s[10:11], s[6:7], exec
	s_and_b64 s[6:7], s[8:9], exec
	s_andn2_b64 s[8:9], s[64:65], exec
	s_and_b64 s[4:5], s[4:5], exec
	s_or_b64 s[8:9], s[8:9], s[4:5]
.LBB108_465:
	s_or_b64 exec, exec, s[66:67]
	s_and_b64 s[4:5], s[6:7], exec
	s_andn2_b64 s[6:7], s[64:65], exec
	s_and_b64 s[8:9], s[8:9], exec
	s_and_b64 s[10:11], s[10:11], exec
	s_or_b64 s[64:65], s[6:7], s[8:9]
.LBB108_466:
	s_or_b64 exec, exec, s[62:63]
	s_and_b64 s[6:7], s[10:11], exec
	s_andn2_b64 s[8:9], s[58:59], exec
	s_and_b64 s[10:11], s[64:65], exec
	s_and_b64 s[4:5], s[4:5], exec
	s_or_b64 s[58:59], s[8:9], s[10:11]
.LBB108_467:
	s_or_b64 exec, exec, s[60:61]
	s_and_b64 s[60:61], s[4:5], exec
	s_andn2_b64 s[4:5], s[38:39], exec
	s_and_b64 s[8:9], s[58:59], exec
	s_and_b64 s[6:7], s[6:7], exec
	s_or_b64 s[38:39], s[4:5], s[8:9]
	s_or_b64 exec, exec, s[56:57]
	s_mov_b64 s[4:5], 0
	s_and_saveexec_b64 s[8:9], s[38:39]
	s_cbranch_execz .LBB108_134
.LBB108_468:
	s_mov_b64 s[4:5], exec
	s_andn2_b64 s[60:61], s[60:61], exec
	s_trap 2
	s_or_b64 exec, exec, s[8:9]
	s_and_saveexec_b64 s[8:9], s[60:61]
	s_xor_b64 s[8:9], exec, s[8:9]
	s_cbranch_execnz .LBB108_135
.LBB108_469:
	s_or_b64 exec, exec, s[8:9]
	s_and_saveexec_b64 s[8:9], s[6:7]
	s_xor_b64 s[6:7], exec, s[8:9]
	s_cbranch_execz .LBB108_507
.LBB108_470:
	s_sext_i32_i16 s10, s14
	s_cmp_lt_i32 s10, 5
	s_mov_b64 s[8:9], -1
	s_cbranch_scc1 .LBB108_491
; %bb.471:
	s_cmp_lt_i32 s10, 8
	s_cbranch_scc1 .LBB108_481
; %bb.472:
	s_cmp_lt_i32 s10, 9
	s_cbranch_scc1 .LBB108_478
; %bb.473:
	s_cmp_gt_i32 s10, 9
	s_cbranch_scc0 .LBB108_475
; %bb.474:
	v_cvt_f32_f16_e32 v3, v0
	v_mov_b32_e32 v5, 0
	v_mov_b32_e32 v6, v5
	s_mov_b64 s[8:9], 0
	v_cvt_f64_f32_e32 v[3:4], v3
	global_store_dwordx4 v[1:2], v[3:6], off
.LBB108_475:
	s_andn2_b64 vcc, exec, s[8:9]
	s_cbranch_vccnz .LBB108_477
; %bb.476:
	v_cvt_f32_f16_e32 v3, v0
	v_mov_b32_e32 v4, 0
	global_store_dwordx2 v[1:2], v[3:4], off
.LBB108_477:
	s_mov_b64 s[8:9], 0
.LBB108_478:
	s_andn2_b64 vcc, exec, s[8:9]
	s_cbranch_vccnz .LBB108_480
; %bb.479:
	v_and_b32_e32 v3, 0xffff, v0
	global_store_dword v[1:2], v3, off
.LBB108_480:
	s_mov_b64 s[8:9], 0
.LBB108_481:
	s_andn2_b64 vcc, exec, s[8:9]
	s_cbranch_vccnz .LBB108_490
; %bb.482:
	s_sext_i32_i16 s10, s14
	s_cmp_lt_i32 s10, 6
	s_mov_b64 s[8:9], -1
	s_cbranch_scc1 .LBB108_488
; %bb.483:
	s_cmp_gt_i32 s10, 6
	s_cbranch_scc0 .LBB108_485
; %bb.484:
	v_cvt_f32_f16_e32 v3, v0
	s_mov_b64 s[8:9], 0
	v_cvt_f64_f32_e32 v[3:4], v3
	global_store_dwordx2 v[1:2], v[3:4], off
.LBB108_485:
	s_andn2_b64 vcc, exec, s[8:9]
	s_cbranch_vccnz .LBB108_487
; %bb.486:
	v_cvt_f32_f16_e32 v3, v0
	global_store_dword v[1:2], v3, off
.LBB108_487:
	s_mov_b64 s[8:9], 0
.LBB108_488:
	s_andn2_b64 vcc, exec, s[8:9]
	s_cbranch_vccnz .LBB108_490
; %bb.489:
	global_store_short v[1:2], v0, off
.LBB108_490:
	s_mov_b64 s[8:9], 0
.LBB108_491:
	s_andn2_b64 vcc, exec, s[8:9]
	s_cbranch_vccnz .LBB108_507
; %bb.492:
	s_sext_i32_i16 s10, s14
	s_cmp_lt_i32 s10, 2
	s_mov_b64 s[8:9], -1
	s_cbranch_scc1 .LBB108_502
; %bb.493:
	s_cmp_lt_i32 s10, 3
	s_cbranch_scc1 .LBB108_499
; %bb.494:
	s_cmp_gt_i32 s10, 3
	s_cbranch_scc0 .LBB108_496
; %bb.495:
	v_cvt_f32_f16_e32 v3, v0
	s_mov_b64 s[8:9], 0
	v_cvt_i32_f32_e32 v3, v3
	v_ashrrev_i32_e32 v4, 31, v3
	global_store_dwordx2 v[1:2], v[3:4], off
.LBB108_496:
	s_andn2_b64 vcc, exec, s[8:9]
	s_cbranch_vccnz .LBB108_498
; %bb.497:
	v_cvt_f32_f16_e32 v3, v0
	v_cvt_i32_f32_e32 v3, v3
	global_store_dword v[1:2], v3, off
.LBB108_498:
	s_mov_b64 s[8:9], 0
.LBB108_499:
	s_andn2_b64 vcc, exec, s[8:9]
	s_cbranch_vccnz .LBB108_501
; %bb.500:
	v_cvt_i16_f16_e32 v3, v0
	global_store_short v[1:2], v3, off
.LBB108_501:
	s_mov_b64 s[8:9], 0
.LBB108_502:
	s_andn2_b64 vcc, exec, s[8:9]
	s_cbranch_vccnz .LBB108_507
; %bb.503:
	s_sext_i32_i16 s8, s14
	s_cmp_gt_i32 s8, 0
	s_mov_b64 s[8:9], -1
	s_cbranch_scc0 .LBB108_505
; %bb.504:
	v_cvt_i16_f16_e32 v3, v0
	s_mov_b64 s[8:9], 0
	global_store_byte v[1:2], v3, off
.LBB108_505:
	s_andn2_b64 vcc, exec, s[8:9]
	s_cbranch_vccnz .LBB108_507
; %bb.506:
	v_cvt_f32_f16_e32 v0, v0
	v_cvt_i32_f32_e32 v0, v0
	global_store_byte v[1:2], v0, off
.LBB108_507:
	s_or_b64 exec, exec, s[6:7]
	s_and_b64 s[38:39], s[4:5], exec
                                        ; implicit-def: $vgpr22
                                        ; implicit-def: $vgpr26
.LBB108_508:
	s_or_saveexec_b64 s[36:37], s[36:37]
	s_mov_b64 s[4:5], 0
                                        ; implicit-def: $sgpr16
                                        ; implicit-def: $vgpr1_vgpr2
                                        ; implicit-def: $vgpr0
	s_xor_b64 exec, exec, s[36:37]
	s_cbranch_execz .LBB108_941
; %bb.509:
	s_getpc_b64 s[34:35]
	s_add_u32 s34, s34, _ZN2at6native6invokeIZZZNS0_21polygamma_kernel_cudaERNS_18TensorIteratorBaseElENKUlvE_clEvENKUlvE1_clEvEUlN3c104HalfEE_i15function_traitsIS8_EEENT1_11result_typeERKT_PrKPcPKT0_PKNS6_10ScalarTypeEi@rel32@lo+4
	s_addc_u32 s35, s35, _ZN2at6native6invokeIZZZNS0_21polygamma_kernel_cudaERNS_18TensorIteratorBaseElENKUlvE_clEvENKUlvE1_clEvEUlN3c104HalfEE_i15function_traitsIS8_EEENT1_11result_typeERKT_PrKPcPKT0_PKNS6_10ScalarTypeEi@rel32@hi+12
	v_mov_b32_e32 v0, s54
	v_mov_b32_e32 v1, s55
	;; [unrolled: 1-line block ×7, first 2 shown]
	v_add_u32_e32 v23, 0x80, v22
	v_add_u32_e32 v27, 0x100, v22
	s_swappc_b64 s[30:31], s[34:35]
	v_mov_b32_e32 v25, v0
	v_mov_b32_e32 v0, s54
	v_mov_b32_e32 v1, s55
	v_mov_b32_e32 v2, s50
	v_mov_b32_e32 v3, s51
	v_mov_b32_e32 v4, s53
	v_mov_b32_e32 v5, s68
	v_mov_b32_e32 v6, v23
	s_swappc_b64 s[30:31], s[34:35]
	v_mov_b32_e32 v24, v0
	v_mov_b32_e32 v0, s54
	v_mov_b32_e32 v1, s55
	v_mov_b32_e32 v2, s50
	v_mov_b32_e32 v3, s51
	v_mov_b32_e32 v4, s53
	v_mov_b32_e32 v5, s68
	v_mov_b32_e32 v6, v27
	;; [unrolled: 9-line block ×3, first 2 shown]
	s_swappc_b64 s[30:31], s[34:35]
	v_mul_lo_u32 v3, s52, v22
	v_mov_b32_e32 v2, s49
	s_and_b32 s16, s33, 0xff
	s_cmp_lt_i32 s16, 11
	v_ashrrev_i32_e32 v4, 31, v3
	v_add_co_u32_e32 v1, vcc, s48, v3
	v_addc_co_u32_e32 v2, vcc, v2, v4, vcc
	s_cbranch_scc1 .LBB108_588
; %bb.510:
	s_and_b32 s14, 0xffff, s16
	s_mov_b64 s[6:7], -1
	s_mov_b64 s[8:9], 0
	s_cmp_gt_i32 s14, 25
	s_mov_b64 s[10:11], 0
	s_mov_b64 s[4:5], 0
	s_cbranch_scc0 .LBB108_543
; %bb.511:
	s_cmp_gt_i32 s14, 28
	s_cbranch_scc0 .LBB108_526
; %bb.512:
	s_cmp_gt_i32 s14, 43
	;; [unrolled: 3-line block ×3, first 2 shown]
	s_cbranch_scc0 .LBB108_516
; %bb.514:
	s_mov_b64 s[4:5], -1
	s_mov_b64 s[6:7], 0
	s_cmp_eq_u32 s14, 46
	s_cbranch_scc0 .LBB108_516
; %bb.515:
	v_cvt_f32_f16_e32 v4, v25
	s_movk_i32 s4, 0x7fff
	v_cmp_o_f16_e32 vcc, v25, v25
	v_mov_b32_e32 v5, 0x7fc0
	v_bfe_u32 v6, v4, 16, 1
	v_add3_u32 v4, v4, v6, s4
	v_cndmask_b32_sdwa v4, v5, v4, vcc dst_sel:DWORD dst_unused:UNUSED_PAD src0_sel:DWORD src1_sel:WORD_1
	global_store_dword v[1:2], v4, off
	s_mov_b64 s[4:5], 0
	s_mov_b64 s[10:11], -1
.LBB108_516:
	s_and_b64 vcc, exec, s[6:7]
	s_cbranch_vccz .LBB108_521
; %bb.517:
	s_cmp_eq_u32 s14, 44
	s_mov_b64 s[4:5], -1
	s_cbranch_scc0 .LBB108_521
; %bb.518:
	v_cvt_f32_f16_e32 v4, v25
	s_movk_i32 s4, 0xff
	v_mov_b32_e32 v6, 0xff
	v_bfe_u32 v5, v4, 23, 8
	v_cmp_ne_u32_e32 vcc, s4, v5
	s_and_saveexec_b64 s[6:7], vcc
; %bb.519:
	s_mov_b32 s4, 0x3fffff
	v_lshrrev_b32_e32 v6, 23, v4
	v_and_b32_e32 v7, 0x400000, v4
	v_and_or_b32 v4, v4, s4, v5
	v_cmp_ne_u32_e32 vcc, 0, v7
	v_cmp_ne_u32_e64 s[4:5], 0, v4
	s_and_b64 s[4:5], vcc, s[4:5]
	v_cndmask_b32_e64 v4, 0, 1, s[4:5]
	v_add_u32_e32 v6, v6, v4
; %bb.520:
	s_or_b64 exec, exec, s[6:7]
	s_mov_b64 s[4:5], 0
	s_mov_b64 s[10:11], -1
	global_store_byte v[1:2], v6, off
.LBB108_521:
	s_mov_b64 s[6:7], 0
.LBB108_522:
	s_and_b64 vcc, exec, s[6:7]
	s_cbranch_vccz .LBB108_525
; %bb.523:
	s_cmp_eq_u32 s14, 29
	s_mov_b64 s[4:5], -1
	s_cbranch_scc0 .LBB108_525
; %bb.524:
	v_cvt_f32_f16_e32 v4, v25
	v_mov_b32_e32 v5, 0
	s_mov_b64 s[4:5], 0
	s_mov_b64 s[10:11], -1
	v_cvt_u32_f32_e32 v4, v4
	global_store_dwordx2 v[1:2], v[4:5], off
.LBB108_525:
	s_mov_b64 s[6:7], 0
.LBB108_526:
	s_and_b64 vcc, exec, s[6:7]
	s_cbranch_vccz .LBB108_542
; %bb.527:
	s_cmp_lt_i32 s14, 27
	s_mov_b64 s[6:7], -1
	s_cbranch_scc1 .LBB108_533
; %bb.528:
	s_cmp_gt_i32 s14, 27
	s_cbranch_scc0 .LBB108_530
; %bb.529:
	v_cvt_f32_f16_e32 v4, v25
	s_mov_b64 s[6:7], 0
	v_cvt_u32_f32_e32 v4, v4
	global_store_dword v[1:2], v4, off
.LBB108_530:
	s_andn2_b64 vcc, exec, s[6:7]
	s_cbranch_vccnz .LBB108_532
; %bb.531:
	v_cvt_u16_f16_e32 v4, v25
	global_store_short v[1:2], v4, off
.LBB108_532:
	s_mov_b64 s[6:7], 0
.LBB108_533:
	s_andn2_b64 vcc, exec, s[6:7]
	s_cbranch_vccnz .LBB108_541
; %bb.534:
	v_cvt_f32_f16_e32 v4, v25
	s_mov_b32 s6, 0x43800000
	v_mov_b32_e32 v6, 0x80
	v_and_b32_e32 v5, 0x7fffffff, v4
	v_cmp_gt_u32_e32 vcc, s6, v5
	s_and_saveexec_b64 s[6:7], vcc
	s_cbranch_execz .LBB108_540
; %bb.535:
	s_mov_b32 s10, 0x3bffffff
	v_cmp_lt_u32_e32 vcc, s10, v5
	s_mov_b64 s[10:11], 0
                                        ; implicit-def: $vgpr5
	s_and_saveexec_b64 s[12:13], vcc
	s_xor_b64 s[12:13], exec, s[12:13]
	s_cbranch_execz .LBB108_985
; %bb.536:
	v_bfe_u32 v5, v4, 20, 1
	s_mov_b32 s15, 0x487ffff
	v_add3_u32 v5, v4, v5, s15
	s_mov_b64 s[10:11], exec
	v_lshrrev_b32_e32 v5, 20, v5
	s_andn2_saveexec_b64 s[12:13], s[12:13]
	s_cbranch_execnz .LBB108_986
.LBB108_537:
	s_or_b64 exec, exec, s[12:13]
	v_mov_b32_e32 v6, 0
	s_and_saveexec_b64 s[12:13], s[10:11]
.LBB108_538:
	v_lshrrev_b32_e32 v4, 24, v4
	s_movk_i32 s10, 0x80
	v_and_or_b32 v6, v4, s10, v5
.LBB108_539:
	s_or_b64 exec, exec, s[12:13]
.LBB108_540:
	s_or_b64 exec, exec, s[6:7]
	global_store_byte v[1:2], v6, off
.LBB108_541:
	s_mov_b64 s[10:11], -1
.LBB108_542:
	s_mov_b64 s[6:7], 0
.LBB108_543:
	s_and_b64 vcc, exec, s[6:7]
	s_cbranch_vccz .LBB108_583
; %bb.544:
	s_cmp_gt_i32 s14, 22
	s_mov_b64 s[6:7], -1
	s_cbranch_scc0 .LBB108_576
; %bb.545:
	s_cmp_lt_i32 s14, 24
	s_cbranch_scc1 .LBB108_565
; %bb.546:
	s_cmp_gt_i32 s14, 24
	s_cbranch_scc0 .LBB108_554
; %bb.547:
	v_cvt_f32_f16_e32 v4, v25
	s_mov_b32 s6, 0x47800000
	v_mov_b32_e32 v6, 0x80
	v_and_b32_e32 v5, 0x7fffffff, v4
	v_cmp_gt_u32_e32 vcc, s6, v5
	s_and_saveexec_b64 s[6:7], vcc
	s_cbranch_execz .LBB108_553
; %bb.548:
	s_mov_b32 s8, 0x37ffffff
	v_cmp_lt_u32_e32 vcc, s8, v5
	s_mov_b64 s[8:9], 0
                                        ; implicit-def: $vgpr5
	s_and_saveexec_b64 s[10:11], vcc
	s_xor_b64 s[10:11], exec, s[10:11]
	s_cbranch_execz .LBB108_988
; %bb.549:
	v_bfe_u32 v5, v4, 21, 1
	s_mov_b32 s12, 0x88fffff
	v_add3_u32 v5, v4, v5, s12
	s_mov_b64 s[8:9], exec
	v_lshrrev_b32_e32 v5, 21, v5
	s_andn2_saveexec_b64 s[10:11], s[10:11]
	s_cbranch_execnz .LBB108_989
.LBB108_550:
	s_or_b64 exec, exec, s[10:11]
	v_mov_b32_e32 v6, 0
	s_and_saveexec_b64 s[10:11], s[8:9]
.LBB108_551:
	v_lshrrev_b32_e32 v4, 24, v4
	s_movk_i32 s8, 0x80
	v_and_or_b32 v6, v4, s8, v5
.LBB108_552:
	s_or_b64 exec, exec, s[10:11]
.LBB108_553:
	s_or_b64 exec, exec, s[6:7]
	s_mov_b64 s[6:7], 0
	global_store_byte v[1:2], v6, off
.LBB108_554:
	s_and_b64 vcc, exec, s[6:7]
	s_cbranch_vccz .LBB108_564
; %bb.555:
	v_cvt_f32_f16_e32 v4, v25
	s_mov_b32 s6, 0x43f00000
                                        ; implicit-def: $vgpr5
	v_and_b32_e32 v6, 0x7fffffff, v4
	v_cmp_gt_u32_e32 vcc, s6, v6
	s_and_saveexec_b64 s[6:7], vcc
	s_xor_b64 s[6:7], exec, s[6:7]
	s_cbranch_execz .LBB108_561
; %bb.556:
	s_mov_b32 s8, 0x3c7fffff
	v_cmp_lt_u32_e32 vcc, s8, v6
                                        ; implicit-def: $vgpr5
	s_and_saveexec_b64 s[8:9], vcc
	s_xor_b64 s[8:9], exec, s[8:9]
; %bb.557:
	v_bfe_u32 v5, v4, 20, 1
	s_mov_b32 s10, 0x407ffff
	v_add3_u32 v5, v4, v5, s10
	v_lshrrev_b32_e32 v6, 20, v5
	v_and_b32_e32 v5, 0xff00000, v5
	s_mov_b32 s10, 0x7f00000
	v_mov_b32_e32 v7, 0x7e
	v_cmp_ne_u32_e32 vcc, s10, v5
	v_cndmask_b32_e32 v5, v7, v6, vcc
; %bb.558:
	s_andn2_saveexec_b64 s[8:9], s[8:9]
; %bb.559:
	s_mov_b32 s10, 0x46800000
	v_add_f32_e64 v5, |v4|, s10
; %bb.560:
	s_or_b64 exec, exec, s[8:9]
                                        ; implicit-def: $vgpr6
.LBB108_561:
	s_andn2_saveexec_b64 s[6:7], s[6:7]
; %bb.562:
	s_mov_b32 s8, 0x7f800000
	v_mov_b32_e32 v5, 0x7e
	v_mov_b32_e32 v7, 0x7f
	v_cmp_lt_u32_e32 vcc, s8, v6
	v_cndmask_b32_e32 v5, v5, v7, vcc
; %bb.563:
	s_or_b64 exec, exec, s[6:7]
	v_lshrrev_b32_e32 v4, 24, v4
	s_movk_i32 s6, 0x80
	v_and_or_b32 v4, v4, s6, v5
	global_store_byte v[1:2], v4, off
.LBB108_564:
	s_mov_b64 s[6:7], 0
.LBB108_565:
	s_andn2_b64 vcc, exec, s[6:7]
	s_cbranch_vccnz .LBB108_575
; %bb.566:
	v_cvt_f32_f16_e32 v4, v25
	s_mov_b32 s6, 0x47800000
                                        ; implicit-def: $vgpr5
	v_and_b32_e32 v6, 0x7fffffff, v4
	v_cmp_gt_u32_e32 vcc, s6, v6
	s_and_saveexec_b64 s[6:7], vcc
	s_xor_b64 s[6:7], exec, s[6:7]
	s_cbranch_execz .LBB108_572
; %bb.567:
	s_mov_b32 s8, 0x387fffff
	v_cmp_lt_u32_e32 vcc, s8, v6
                                        ; implicit-def: $vgpr5
	s_and_saveexec_b64 s[8:9], vcc
	s_xor_b64 s[8:9], exec, s[8:9]
; %bb.568:
	v_bfe_u32 v5, v4, 21, 1
	s_mov_b32 s10, 0x80fffff
	v_add3_u32 v5, v4, v5, s10
	v_lshrrev_b32_e32 v5, 21, v5
; %bb.569:
	s_andn2_saveexec_b64 s[8:9], s[8:9]
; %bb.570:
	s_mov_b32 s10, 0x43000000
	v_add_f32_e64 v5, |v4|, s10
; %bb.571:
	s_or_b64 exec, exec, s[8:9]
                                        ; implicit-def: $vgpr6
.LBB108_572:
	s_andn2_saveexec_b64 s[6:7], s[6:7]
; %bb.573:
	s_mov_b32 s8, 0x7f800000
	v_mov_b32_e32 v5, 0x7c
	v_mov_b32_e32 v7, 0x7f
	v_cmp_lt_u32_e32 vcc, s8, v6
	v_cndmask_b32_e32 v5, v5, v7, vcc
; %bb.574:
	s_or_b64 exec, exec, s[6:7]
	v_lshrrev_b32_e32 v4, 24, v4
	s_movk_i32 s6, 0x80
	v_and_or_b32 v4, v4, s6, v5
	global_store_byte v[1:2], v4, off
.LBB108_575:
	s_mov_b64 s[6:7], 0
	s_mov_b64 s[10:11], -1
.LBB108_576:
	s_andn2_b64 vcc, exec, s[6:7]
	s_mov_b64 s[8:9], 0
	s_cbranch_vccnz .LBB108_583
; %bb.577:
	s_cmp_gt_i32 s14, 14
	s_mov_b64 s[6:7], -1
	s_cbranch_scc0 .LBB108_581
; %bb.578:
	s_cmp_eq_u32 s14, 15
	s_mov_b64 s[4:5], -1
	s_cbranch_scc0 .LBB108_580
; %bb.579:
	v_cvt_f32_f16_e32 v4, v25
	s_movk_i32 s4, 0x7fff
	v_cmp_o_f16_e32 vcc, v25, v25
	v_mov_b32_e32 v5, 0x7fc0
	v_bfe_u32 v6, v4, 16, 1
	v_add3_u32 v4, v4, v6, s4
	v_cndmask_b32_sdwa v4, v5, v4, vcc dst_sel:DWORD dst_unused:UNUSED_PAD src0_sel:DWORD src1_sel:WORD_1
	global_store_short v[1:2], v4, off
	s_mov_b64 s[4:5], 0
	s_mov_b64 s[10:11], -1
.LBB108_580:
	s_mov_b64 s[6:7], 0
.LBB108_581:
	s_and_b64 vcc, exec, s[6:7]
	s_cbranch_vccz .LBB108_583
; %bb.582:
	s_cmp_lg_u32 s14, 11
	s_mov_b64 s[8:9], -1
	s_cselect_b64 s[4:5], -1, 0
.LBB108_583:
	s_and_b64 vcc, exec, s[4:5]
	s_mov_b64 s[6:7], s[38:39]
	s_cbranch_vccnz .LBB108_987
; %bb.584:
	s_andn2_b64 vcc, exec, s[8:9]
	s_cbranch_vccnz .LBB108_586
.LBB108_585:
	v_and_b32_e32 v4, 0x7fff, v25
	v_cmp_ne_u16_e32 vcc, 0, v4
	v_cndmask_b32_e64 v4, 0, 1, vcc
	global_store_byte v[1:2], v4, off
	s_mov_b64 s[10:11], -1
.LBB108_586:
.LBB108_587:
	s_andn2_b64 vcc, exec, s[10:11]
	s_cbranch_vccz .LBB108_627
	s_branch .LBB108_939
.LBB108_588:
	s_mov_b64 s[10:11], 0
	s_mov_b64 s[6:7], s[38:39]
	s_cbranch_execz .LBB108_587
; %bb.589:
	s_and_b32 s8, 0xffff, s16
	s_cmp_lt_i32 s8, 5
	s_mov_b64 s[4:5], -1
	s_cbranch_scc1 .LBB108_610
; %bb.590:
	s_cmp_lt_i32 s8, 8
	s_cbranch_scc1 .LBB108_600
; %bb.591:
	s_cmp_lt_i32 s8, 9
	s_cbranch_scc1 .LBB108_597
; %bb.592:
	s_cmp_gt_i32 s8, 9
	s_cbranch_scc0 .LBB108_594
; %bb.593:
	v_cvt_f32_f16_e32 v4, v25
	v_mov_b32_e32 v6, 0
	v_mov_b32_e32 v7, v6
	s_mov_b64 s[4:5], 0
	v_cvt_f64_f32_e32 v[4:5], v4
	global_store_dwordx4 v[1:2], v[4:7], off
.LBB108_594:
	s_andn2_b64 vcc, exec, s[4:5]
	s_cbranch_vccnz .LBB108_596
; %bb.595:
	v_cvt_f32_f16_e32 v4, v25
	v_mov_b32_e32 v5, 0
	global_store_dwordx2 v[1:2], v[4:5], off
.LBB108_596:
	s_mov_b64 s[4:5], 0
.LBB108_597:
	s_andn2_b64 vcc, exec, s[4:5]
	s_cbranch_vccnz .LBB108_599
; %bb.598:
	v_and_b32_e32 v4, 0xffff, v25
	global_store_dword v[1:2], v4, off
.LBB108_599:
	s_mov_b64 s[4:5], 0
.LBB108_600:
	s_andn2_b64 vcc, exec, s[4:5]
	s_cbranch_vccnz .LBB108_609
; %bb.601:
	s_cmp_lt_i32 s8, 6
	s_mov_b64 s[4:5], -1
	s_cbranch_scc1 .LBB108_607
; %bb.602:
	s_cmp_gt_i32 s8, 6
	s_cbranch_scc0 .LBB108_604
; %bb.603:
	v_cvt_f32_f16_e32 v4, v25
	s_mov_b64 s[4:5], 0
	v_cvt_f64_f32_e32 v[4:5], v4
	global_store_dwordx2 v[1:2], v[4:5], off
.LBB108_604:
	s_andn2_b64 vcc, exec, s[4:5]
	s_cbranch_vccnz .LBB108_606
; %bb.605:
	v_cvt_f32_f16_e32 v4, v25
	global_store_dword v[1:2], v4, off
.LBB108_606:
	s_mov_b64 s[4:5], 0
.LBB108_607:
	s_andn2_b64 vcc, exec, s[4:5]
	s_cbranch_vccnz .LBB108_609
; %bb.608:
	global_store_short v[1:2], v25, off
.LBB108_609:
	s_mov_b64 s[4:5], 0
.LBB108_610:
	s_andn2_b64 vcc, exec, s[4:5]
	s_cbranch_vccnz .LBB108_626
; %bb.611:
	s_cmp_lt_i32 s8, 2
	s_mov_b64 s[4:5], -1
	s_cbranch_scc1 .LBB108_621
; %bb.612:
	s_cmp_lt_i32 s8, 3
	s_cbranch_scc1 .LBB108_618
; %bb.613:
	s_cmp_gt_i32 s8, 3
	s_cbranch_scc0 .LBB108_615
; %bb.614:
	v_cvt_f32_f16_e32 v4, v25
	s_mov_b64 s[4:5], 0
	v_cvt_i32_f32_e32 v4, v4
	v_ashrrev_i32_e32 v5, 31, v4
	global_store_dwordx2 v[1:2], v[4:5], off
.LBB108_615:
	s_andn2_b64 vcc, exec, s[4:5]
	s_cbranch_vccnz .LBB108_617
; %bb.616:
	v_cvt_f32_f16_e32 v4, v25
	v_cvt_i32_f32_e32 v4, v4
	global_store_dword v[1:2], v4, off
.LBB108_617:
	s_mov_b64 s[4:5], 0
.LBB108_618:
	s_andn2_b64 vcc, exec, s[4:5]
	s_cbranch_vccnz .LBB108_620
; %bb.619:
	v_cvt_i16_f16_e32 v4, v25
	global_store_short v[1:2], v4, off
.LBB108_620:
	s_mov_b64 s[4:5], 0
.LBB108_621:
	s_andn2_b64 vcc, exec, s[4:5]
	s_cbranch_vccnz .LBB108_626
; %bb.622:
	s_cmp_gt_i32 s8, 0
	s_mov_b64 s[4:5], -1
	s_cbranch_scc0 .LBB108_624
; %bb.623:
	v_cvt_i16_f16_e32 v4, v25
	global_store_byte v[1:2], v4, off
	s_mov_b64 s[4:5], 0
.LBB108_624:
	s_andn2_b64 vcc, exec, s[4:5]
	s_cbranch_vccnz .LBB108_626
; %bb.625:
	v_cvt_f32_f16_e32 v4, v25
	v_cvt_i32_f32_e32 v4, v4
	global_store_byte v[1:2], v4, off
.LBB108_626:
.LBB108_627:
	s_lshl_b32 s17, s52, 7
	v_add_u32_e32 v3, s17, v3
	v_ashrrev_i32_e32 v2, 31, v3
	v_mov_b32_e32 v4, s49
	v_add_co_u32_e32 v1, vcc, s48, v3
	s_cmp_lt_i32 s16, 11
	v_addc_co_u32_e32 v2, vcc, v4, v2, vcc
	s_cbranch_scc1 .LBB108_706
; %bb.628:
	s_and_b32 s18, 0xffff, s16
	s_mov_b64 s[12:13], -1
	s_mov_b64 s[8:9], 0
	s_cmp_gt_i32 s18, 25
	s_mov_b64 s[10:11], 0
	s_mov_b64 s[4:5], 0
	s_cbranch_scc0 .LBB108_661
; %bb.629:
	s_cmp_gt_i32 s18, 28
	s_cbranch_scc0 .LBB108_644
; %bb.630:
	s_cmp_gt_i32 s18, 43
	s_cbranch_scc0 .LBB108_640
; %bb.631:
	s_cmp_gt_i32 s18, 45
	s_cbranch_scc0 .LBB108_634
; %bb.632:
	s_mov_b64 s[4:5], -1
	s_mov_b64 s[12:13], 0
	s_cmp_eq_u32 s18, 46
	s_cbranch_scc0 .LBB108_634
; %bb.633:
	v_cvt_f32_f16_e32 v4, v24
	s_movk_i32 s4, 0x7fff
	v_cmp_o_f16_e32 vcc, v24, v24
	v_mov_b32_e32 v5, 0x7fc0
	v_bfe_u32 v6, v4, 16, 1
	v_add3_u32 v4, v4, v6, s4
	v_cndmask_b32_sdwa v4, v5, v4, vcc dst_sel:DWORD dst_unused:UNUSED_PAD src0_sel:DWORD src1_sel:WORD_1
	global_store_dword v[1:2], v4, off
	s_mov_b64 s[4:5], 0
	s_mov_b64 s[10:11], -1
.LBB108_634:
	s_and_b64 vcc, exec, s[12:13]
	s_cbranch_vccz .LBB108_639
; %bb.635:
	s_cmp_eq_u32 s18, 44
	s_mov_b64 s[4:5], -1
	s_cbranch_scc0 .LBB108_639
; %bb.636:
	v_cvt_f32_f16_e32 v4, v24
	s_movk_i32 s4, 0xff
	v_mov_b32_e32 v6, 0xff
	v_bfe_u32 v5, v4, 23, 8
	v_cmp_ne_u32_e32 vcc, s4, v5
	s_and_saveexec_b64 s[10:11], vcc
; %bb.637:
	s_mov_b32 s4, 0x3fffff
	v_lshrrev_b32_e32 v6, 23, v4
	v_and_b32_e32 v7, 0x400000, v4
	v_and_or_b32 v4, v4, s4, v5
	v_cmp_ne_u32_e32 vcc, 0, v7
	v_cmp_ne_u32_e64 s[4:5], 0, v4
	s_and_b64 s[4:5], vcc, s[4:5]
	v_cndmask_b32_e64 v4, 0, 1, s[4:5]
	v_add_u32_e32 v6, v6, v4
; %bb.638:
	s_or_b64 exec, exec, s[10:11]
	s_mov_b64 s[4:5], 0
	s_mov_b64 s[10:11], -1
	global_store_byte v[1:2], v6, off
.LBB108_639:
	s_mov_b64 s[12:13], 0
.LBB108_640:
	s_and_b64 vcc, exec, s[12:13]
	s_cbranch_vccz .LBB108_643
; %bb.641:
	s_cmp_eq_u32 s18, 29
	s_mov_b64 s[4:5], -1
	s_cbranch_scc0 .LBB108_643
; %bb.642:
	v_cvt_f32_f16_e32 v4, v24
	v_mov_b32_e32 v5, 0
	s_mov_b64 s[4:5], 0
	s_mov_b64 s[10:11], -1
	v_cvt_u32_f32_e32 v4, v4
	global_store_dwordx2 v[1:2], v[4:5], off
.LBB108_643:
	s_mov_b64 s[12:13], 0
.LBB108_644:
	s_and_b64 vcc, exec, s[12:13]
	s_cbranch_vccz .LBB108_660
; %bb.645:
	s_cmp_lt_i32 s18, 27
	s_mov_b64 s[10:11], -1
	s_cbranch_scc1 .LBB108_651
; %bb.646:
	s_cmp_gt_i32 s18, 27
	s_cbranch_scc0 .LBB108_648
; %bb.647:
	v_cvt_f32_f16_e32 v4, v24
	s_mov_b64 s[10:11], 0
	v_cvt_u32_f32_e32 v4, v4
	global_store_dword v[1:2], v4, off
.LBB108_648:
	s_andn2_b64 vcc, exec, s[10:11]
	s_cbranch_vccnz .LBB108_650
; %bb.649:
	v_cvt_u16_f16_e32 v4, v24
	global_store_short v[1:2], v4, off
.LBB108_650:
	s_mov_b64 s[10:11], 0
.LBB108_651:
	s_andn2_b64 vcc, exec, s[10:11]
	s_cbranch_vccnz .LBB108_659
; %bb.652:
	v_cvt_f32_f16_e32 v4, v24
	s_mov_b32 s10, 0x43800000
	v_mov_b32_e32 v6, 0x80
	v_and_b32_e32 v5, 0x7fffffff, v4
	v_cmp_gt_u32_e32 vcc, s10, v5
	s_and_saveexec_b64 s[10:11], vcc
	s_cbranch_execz .LBB108_658
; %bb.653:
	s_mov_b32 s12, 0x3bffffff
	v_cmp_lt_u32_e32 vcc, s12, v5
	s_mov_b64 s[12:13], 0
                                        ; implicit-def: $vgpr5
	s_and_saveexec_b64 s[14:15], vcc
	s_xor_b64 s[14:15], exec, s[14:15]
	s_cbranch_execz .LBB108_990
; %bb.654:
	v_bfe_u32 v5, v4, 20, 1
	s_mov_b32 s19, 0x487ffff
	v_add3_u32 v5, v4, v5, s19
	s_mov_b64 s[12:13], exec
	v_lshrrev_b32_e32 v5, 20, v5
	s_andn2_saveexec_b64 s[14:15], s[14:15]
	s_cbranch_execnz .LBB108_991
.LBB108_655:
	s_or_b64 exec, exec, s[14:15]
	v_mov_b32_e32 v6, 0
	s_and_saveexec_b64 s[14:15], s[12:13]
.LBB108_656:
	v_lshrrev_b32_e32 v4, 24, v4
	s_movk_i32 s12, 0x80
	v_and_or_b32 v6, v4, s12, v5
.LBB108_657:
	s_or_b64 exec, exec, s[14:15]
.LBB108_658:
	s_or_b64 exec, exec, s[10:11]
	global_store_byte v[1:2], v6, off
.LBB108_659:
	s_mov_b64 s[10:11], -1
.LBB108_660:
	s_mov_b64 s[12:13], 0
.LBB108_661:
	s_and_b64 vcc, exec, s[12:13]
	s_cbranch_vccz .LBB108_701
; %bb.662:
	s_cmp_gt_i32 s18, 22
	s_mov_b64 s[8:9], -1
	s_cbranch_scc0 .LBB108_694
; %bb.663:
	s_cmp_lt_i32 s18, 24
	s_cbranch_scc1 .LBB108_683
; %bb.664:
	s_cmp_gt_i32 s18, 24
	s_cbranch_scc0 .LBB108_672
; %bb.665:
	v_cvt_f32_f16_e32 v4, v24
	s_mov_b32 s8, 0x47800000
	v_mov_b32_e32 v6, 0x80
	v_and_b32_e32 v5, 0x7fffffff, v4
	v_cmp_gt_u32_e32 vcc, s8, v5
	s_and_saveexec_b64 s[8:9], vcc
	s_cbranch_execz .LBB108_671
; %bb.666:
	s_mov_b32 s10, 0x37ffffff
	v_cmp_lt_u32_e32 vcc, s10, v5
	s_mov_b64 s[10:11], 0
                                        ; implicit-def: $vgpr5
	s_and_saveexec_b64 s[12:13], vcc
	s_xor_b64 s[12:13], exec, s[12:13]
	s_cbranch_execz .LBB108_993
; %bb.667:
	v_bfe_u32 v5, v4, 21, 1
	s_mov_b32 s14, 0x88fffff
	v_add3_u32 v5, v4, v5, s14
	s_mov_b64 s[10:11], exec
	v_lshrrev_b32_e32 v5, 21, v5
	s_andn2_saveexec_b64 s[12:13], s[12:13]
	s_cbranch_execnz .LBB108_994
.LBB108_668:
	s_or_b64 exec, exec, s[12:13]
	v_mov_b32_e32 v6, 0
	s_and_saveexec_b64 s[12:13], s[10:11]
.LBB108_669:
	v_lshrrev_b32_e32 v4, 24, v4
	s_movk_i32 s10, 0x80
	v_and_or_b32 v6, v4, s10, v5
.LBB108_670:
	s_or_b64 exec, exec, s[12:13]
.LBB108_671:
	s_or_b64 exec, exec, s[8:9]
	s_mov_b64 s[8:9], 0
	global_store_byte v[1:2], v6, off
.LBB108_672:
	s_and_b64 vcc, exec, s[8:9]
	s_cbranch_vccz .LBB108_682
; %bb.673:
	v_cvt_f32_f16_e32 v4, v24
	s_mov_b32 s8, 0x43f00000
                                        ; implicit-def: $vgpr5
	v_and_b32_e32 v6, 0x7fffffff, v4
	v_cmp_gt_u32_e32 vcc, s8, v6
	s_and_saveexec_b64 s[8:9], vcc
	s_xor_b64 s[8:9], exec, s[8:9]
	s_cbranch_execz .LBB108_679
; %bb.674:
	s_mov_b32 s10, 0x3c7fffff
	v_cmp_lt_u32_e32 vcc, s10, v6
                                        ; implicit-def: $vgpr5
	s_and_saveexec_b64 s[10:11], vcc
	s_xor_b64 s[10:11], exec, s[10:11]
; %bb.675:
	v_bfe_u32 v5, v4, 20, 1
	s_mov_b32 s12, 0x407ffff
	v_add3_u32 v5, v4, v5, s12
	v_lshrrev_b32_e32 v6, 20, v5
	v_and_b32_e32 v5, 0xff00000, v5
	s_mov_b32 s12, 0x7f00000
	v_mov_b32_e32 v7, 0x7e
	v_cmp_ne_u32_e32 vcc, s12, v5
	v_cndmask_b32_e32 v5, v7, v6, vcc
; %bb.676:
	s_andn2_saveexec_b64 s[10:11], s[10:11]
; %bb.677:
	s_mov_b32 s12, 0x46800000
	v_add_f32_e64 v5, |v4|, s12
; %bb.678:
	s_or_b64 exec, exec, s[10:11]
                                        ; implicit-def: $vgpr6
.LBB108_679:
	s_andn2_saveexec_b64 s[8:9], s[8:9]
; %bb.680:
	s_mov_b32 s10, 0x7f800000
	v_mov_b32_e32 v5, 0x7e
	v_mov_b32_e32 v7, 0x7f
	v_cmp_lt_u32_e32 vcc, s10, v6
	v_cndmask_b32_e32 v5, v5, v7, vcc
; %bb.681:
	s_or_b64 exec, exec, s[8:9]
	v_lshrrev_b32_e32 v4, 24, v4
	s_movk_i32 s8, 0x80
	v_and_or_b32 v4, v4, s8, v5
	global_store_byte v[1:2], v4, off
.LBB108_682:
	s_mov_b64 s[8:9], 0
.LBB108_683:
	s_andn2_b64 vcc, exec, s[8:9]
	s_cbranch_vccnz .LBB108_693
; %bb.684:
	v_cvt_f32_f16_e32 v4, v24
	s_mov_b32 s8, 0x47800000
                                        ; implicit-def: $vgpr5
	v_and_b32_e32 v6, 0x7fffffff, v4
	v_cmp_gt_u32_e32 vcc, s8, v6
	s_and_saveexec_b64 s[8:9], vcc
	s_xor_b64 s[8:9], exec, s[8:9]
	s_cbranch_execz .LBB108_690
; %bb.685:
	s_mov_b32 s10, 0x387fffff
	v_cmp_lt_u32_e32 vcc, s10, v6
                                        ; implicit-def: $vgpr5
	s_and_saveexec_b64 s[10:11], vcc
	s_xor_b64 s[10:11], exec, s[10:11]
; %bb.686:
	v_bfe_u32 v5, v4, 21, 1
	s_mov_b32 s12, 0x80fffff
	v_add3_u32 v5, v4, v5, s12
	v_lshrrev_b32_e32 v5, 21, v5
; %bb.687:
	s_andn2_saveexec_b64 s[10:11], s[10:11]
; %bb.688:
	s_mov_b32 s12, 0x43000000
	v_add_f32_e64 v5, |v4|, s12
; %bb.689:
	s_or_b64 exec, exec, s[10:11]
                                        ; implicit-def: $vgpr6
.LBB108_690:
	s_andn2_saveexec_b64 s[8:9], s[8:9]
; %bb.691:
	s_mov_b32 s10, 0x7f800000
	v_mov_b32_e32 v5, 0x7c
	v_mov_b32_e32 v7, 0x7f
	v_cmp_lt_u32_e32 vcc, s10, v6
	v_cndmask_b32_e32 v5, v5, v7, vcc
; %bb.692:
	s_or_b64 exec, exec, s[8:9]
	v_lshrrev_b32_e32 v4, 24, v4
	s_movk_i32 s8, 0x80
	v_and_or_b32 v4, v4, s8, v5
	global_store_byte v[1:2], v4, off
.LBB108_693:
	s_mov_b64 s[8:9], 0
	s_mov_b64 s[10:11], -1
.LBB108_694:
	s_andn2_b64 vcc, exec, s[8:9]
	s_mov_b64 s[8:9], 0
	s_cbranch_vccnz .LBB108_701
; %bb.695:
	s_cmp_gt_i32 s18, 14
	s_mov_b64 s[12:13], -1
	s_cbranch_scc0 .LBB108_699
; %bb.696:
	s_cmp_eq_u32 s18, 15
	s_mov_b64 s[4:5], -1
	s_cbranch_scc0 .LBB108_698
; %bb.697:
	v_cvt_f32_f16_e32 v4, v24
	s_movk_i32 s4, 0x7fff
	v_cmp_o_f16_e32 vcc, v24, v24
	v_mov_b32_e32 v5, 0x7fc0
	v_bfe_u32 v6, v4, 16, 1
	v_add3_u32 v4, v4, v6, s4
	v_cndmask_b32_sdwa v4, v5, v4, vcc dst_sel:DWORD dst_unused:UNUSED_PAD src0_sel:DWORD src1_sel:WORD_1
	global_store_short v[1:2], v4, off
	s_mov_b64 s[4:5], 0
	s_mov_b64 s[10:11], -1
.LBB108_698:
	s_mov_b64 s[12:13], 0
.LBB108_699:
	s_and_b64 vcc, exec, s[12:13]
	s_cbranch_vccz .LBB108_701
; %bb.700:
	s_cmp_lg_u32 s18, 11
	s_mov_b64 s[8:9], -1
	s_cselect_b64 s[4:5], -1, 0
.LBB108_701:
	s_and_b64 vcc, exec, s[4:5]
	s_cbranch_vccnz .LBB108_992
; %bb.702:
	s_andn2_b64 vcc, exec, s[8:9]
	s_cbranch_vccnz .LBB108_704
.LBB108_703:
	v_and_b32_e32 v4, 0x7fff, v24
	v_cmp_ne_u16_e32 vcc, 0, v4
	v_cndmask_b32_e64 v4, 0, 1, vcc
	s_mov_b64 s[10:11], -1
	global_store_byte v[1:2], v4, off
.LBB108_704:
.LBB108_705:
	s_andn2_b64 vcc, exec, s[10:11]
	s_cbranch_vccz .LBB108_745
	s_branch .LBB108_939
.LBB108_706:
	s_mov_b64 s[10:11], 0
	s_cbranch_execz .LBB108_705
; %bb.707:
	s_and_b32 s8, 0xffff, s16
	s_cmp_lt_i32 s8, 5
	s_mov_b64 s[4:5], -1
	s_cbranch_scc1 .LBB108_728
; %bb.708:
	s_cmp_lt_i32 s8, 8
	s_cbranch_scc1 .LBB108_718
; %bb.709:
	s_cmp_lt_i32 s8, 9
	s_cbranch_scc1 .LBB108_715
; %bb.710:
	s_cmp_gt_i32 s8, 9
	s_cbranch_scc0 .LBB108_712
; %bb.711:
	v_cvt_f32_f16_e32 v4, v24
	v_mov_b32_e32 v6, 0
	v_mov_b32_e32 v7, v6
	s_mov_b64 s[4:5], 0
	v_cvt_f64_f32_e32 v[4:5], v4
	global_store_dwordx4 v[1:2], v[4:7], off
.LBB108_712:
	s_andn2_b64 vcc, exec, s[4:5]
	s_cbranch_vccnz .LBB108_714
; %bb.713:
	v_cvt_f32_f16_e32 v4, v24
	v_mov_b32_e32 v5, 0
	global_store_dwordx2 v[1:2], v[4:5], off
.LBB108_714:
	s_mov_b64 s[4:5], 0
.LBB108_715:
	s_andn2_b64 vcc, exec, s[4:5]
	s_cbranch_vccnz .LBB108_717
; %bb.716:
	v_and_b32_e32 v4, 0xffff, v24
	global_store_dword v[1:2], v4, off
.LBB108_717:
	s_mov_b64 s[4:5], 0
.LBB108_718:
	s_andn2_b64 vcc, exec, s[4:5]
	s_cbranch_vccnz .LBB108_727
; %bb.719:
	s_cmp_lt_i32 s8, 6
	s_mov_b64 s[4:5], -1
	s_cbranch_scc1 .LBB108_725
; %bb.720:
	s_cmp_gt_i32 s8, 6
	s_cbranch_scc0 .LBB108_722
; %bb.721:
	v_cvt_f32_f16_e32 v4, v24
	s_mov_b64 s[4:5], 0
	v_cvt_f64_f32_e32 v[4:5], v4
	global_store_dwordx2 v[1:2], v[4:5], off
.LBB108_722:
	s_andn2_b64 vcc, exec, s[4:5]
	s_cbranch_vccnz .LBB108_724
; %bb.723:
	v_cvt_f32_f16_e32 v4, v24
	global_store_dword v[1:2], v4, off
.LBB108_724:
	s_mov_b64 s[4:5], 0
.LBB108_725:
	s_andn2_b64 vcc, exec, s[4:5]
	s_cbranch_vccnz .LBB108_727
; %bb.726:
	global_store_short v[1:2], v24, off
.LBB108_727:
	s_mov_b64 s[4:5], 0
.LBB108_728:
	s_andn2_b64 vcc, exec, s[4:5]
	s_cbranch_vccnz .LBB108_744
; %bb.729:
	s_cmp_lt_i32 s8, 2
	s_mov_b64 s[4:5], -1
	s_cbranch_scc1 .LBB108_739
; %bb.730:
	s_cmp_lt_i32 s8, 3
	s_cbranch_scc1 .LBB108_736
; %bb.731:
	s_cmp_gt_i32 s8, 3
	s_cbranch_scc0 .LBB108_733
; %bb.732:
	v_cvt_f32_f16_e32 v4, v24
	s_mov_b64 s[4:5], 0
	v_cvt_i32_f32_e32 v4, v4
	v_ashrrev_i32_e32 v5, 31, v4
	global_store_dwordx2 v[1:2], v[4:5], off
.LBB108_733:
	s_andn2_b64 vcc, exec, s[4:5]
	s_cbranch_vccnz .LBB108_735
; %bb.734:
	v_cvt_f32_f16_e32 v4, v24
	v_cvt_i32_f32_e32 v4, v4
	global_store_dword v[1:2], v4, off
.LBB108_735:
	s_mov_b64 s[4:5], 0
.LBB108_736:
	s_andn2_b64 vcc, exec, s[4:5]
	s_cbranch_vccnz .LBB108_738
; %bb.737:
	v_cvt_i16_f16_e32 v4, v24
	global_store_short v[1:2], v4, off
.LBB108_738:
	s_mov_b64 s[4:5], 0
.LBB108_739:
	s_andn2_b64 vcc, exec, s[4:5]
	s_cbranch_vccnz .LBB108_744
; %bb.740:
	s_cmp_gt_i32 s8, 0
	s_mov_b64 s[4:5], -1
	s_cbranch_scc0 .LBB108_742
; %bb.741:
	v_cvt_i16_f16_e32 v4, v24
	global_store_byte v[1:2], v4, off
	s_mov_b64 s[4:5], 0
.LBB108_742:
	s_andn2_b64 vcc, exec, s[4:5]
	s_cbranch_vccnz .LBB108_744
; %bb.743:
	v_cvt_f32_f16_e32 v4, v24
	v_cvt_i32_f32_e32 v4, v4
	global_store_byte v[1:2], v4, off
.LBB108_744:
.LBB108_745:
	v_add_u32_e32 v3, s17, v3
	v_ashrrev_i32_e32 v2, 31, v3
	v_mov_b32_e32 v4, s49
	v_add_co_u32_e32 v1, vcc, s48, v3
	s_cmp_lt_i32 s16, 11
	v_addc_co_u32_e32 v2, vcc, v4, v2, vcc
	s_cbranch_scc1 .LBB108_900
; %bb.746:
	s_and_b32 s18, 0xffff, s16
	s_mov_b64 s[12:13], -1
	s_mov_b64 s[8:9], 0
	s_cmp_gt_i32 s18, 25
	s_mov_b64 s[10:11], 0
	s_mov_b64 s[4:5], 0
	s_cbranch_scc0 .LBB108_779
; %bb.747:
	s_cmp_gt_i32 s18, 28
	s_cbranch_scc0 .LBB108_762
; %bb.748:
	s_cmp_gt_i32 s18, 43
	s_cbranch_scc0 .LBB108_758
; %bb.749:
	s_cmp_gt_i32 s18, 45
	s_cbranch_scc0 .LBB108_752
; %bb.750:
	s_mov_b64 s[4:5], -1
	s_mov_b64 s[12:13], 0
	s_cmp_eq_u32 s18, 46
	s_cbranch_scc0 .LBB108_752
; %bb.751:
	v_cvt_f32_f16_e32 v4, v23
	s_movk_i32 s4, 0x7fff
	v_cmp_o_f16_e32 vcc, v23, v23
	v_mov_b32_e32 v5, 0x7fc0
	v_bfe_u32 v6, v4, 16, 1
	v_add3_u32 v4, v4, v6, s4
	v_cndmask_b32_sdwa v4, v5, v4, vcc dst_sel:DWORD dst_unused:UNUSED_PAD src0_sel:DWORD src1_sel:WORD_1
	global_store_dword v[1:2], v4, off
	s_mov_b64 s[4:5], 0
	s_mov_b64 s[10:11], -1
.LBB108_752:
	s_and_b64 vcc, exec, s[12:13]
	s_cbranch_vccz .LBB108_757
; %bb.753:
	s_cmp_eq_u32 s18, 44
	s_mov_b64 s[4:5], -1
	s_cbranch_scc0 .LBB108_757
; %bb.754:
	v_cvt_f32_f16_e32 v4, v23
	s_movk_i32 s4, 0xff
	v_mov_b32_e32 v6, 0xff
	v_bfe_u32 v5, v4, 23, 8
	v_cmp_ne_u32_e32 vcc, s4, v5
	s_and_saveexec_b64 s[10:11], vcc
; %bb.755:
	s_mov_b32 s4, 0x3fffff
	v_lshrrev_b32_e32 v6, 23, v4
	v_and_b32_e32 v7, 0x400000, v4
	v_and_or_b32 v4, v4, s4, v5
	v_cmp_ne_u32_e32 vcc, 0, v7
	v_cmp_ne_u32_e64 s[4:5], 0, v4
	s_and_b64 s[4:5], vcc, s[4:5]
	v_cndmask_b32_e64 v4, 0, 1, s[4:5]
	v_add_u32_e32 v6, v6, v4
; %bb.756:
	s_or_b64 exec, exec, s[10:11]
	s_mov_b64 s[4:5], 0
	s_mov_b64 s[10:11], -1
	global_store_byte v[1:2], v6, off
.LBB108_757:
	s_mov_b64 s[12:13], 0
.LBB108_758:
	s_and_b64 vcc, exec, s[12:13]
	s_cbranch_vccz .LBB108_761
; %bb.759:
	s_cmp_eq_u32 s18, 29
	s_mov_b64 s[4:5], -1
	s_cbranch_scc0 .LBB108_761
; %bb.760:
	v_cvt_f32_f16_e32 v4, v23
	v_mov_b32_e32 v5, 0
	s_mov_b64 s[4:5], 0
	s_mov_b64 s[10:11], -1
	v_cvt_u32_f32_e32 v4, v4
	global_store_dwordx2 v[1:2], v[4:5], off
.LBB108_761:
	s_mov_b64 s[12:13], 0
.LBB108_762:
	s_and_b64 vcc, exec, s[12:13]
	s_cbranch_vccz .LBB108_778
; %bb.763:
	s_cmp_lt_i32 s18, 27
	s_mov_b64 s[10:11], -1
	s_cbranch_scc1 .LBB108_769
; %bb.764:
	s_cmp_gt_i32 s18, 27
	s_cbranch_scc0 .LBB108_766
; %bb.765:
	v_cvt_f32_f16_e32 v4, v23
	s_mov_b64 s[10:11], 0
	v_cvt_u32_f32_e32 v4, v4
	global_store_dword v[1:2], v4, off
.LBB108_766:
	s_andn2_b64 vcc, exec, s[10:11]
	s_cbranch_vccnz .LBB108_768
; %bb.767:
	v_cvt_u16_f16_e32 v4, v23
	global_store_short v[1:2], v4, off
.LBB108_768:
	s_mov_b64 s[10:11], 0
.LBB108_769:
	s_andn2_b64 vcc, exec, s[10:11]
	s_cbranch_vccnz .LBB108_777
; %bb.770:
	v_cvt_f32_f16_e32 v4, v23
	s_mov_b32 s10, 0x43800000
	v_mov_b32_e32 v6, 0x80
	v_and_b32_e32 v5, 0x7fffffff, v4
	v_cmp_gt_u32_e32 vcc, s10, v5
	s_and_saveexec_b64 s[10:11], vcc
	s_cbranch_execz .LBB108_776
; %bb.771:
	s_mov_b32 s12, 0x3bffffff
	v_cmp_lt_u32_e32 vcc, s12, v5
	s_mov_b64 s[12:13], 0
                                        ; implicit-def: $vgpr5
	s_and_saveexec_b64 s[14:15], vcc
	s_xor_b64 s[14:15], exec, s[14:15]
	s_cbranch_execz .LBB108_995
; %bb.772:
	v_bfe_u32 v5, v4, 20, 1
	s_mov_b32 s19, 0x487ffff
	v_add3_u32 v5, v4, v5, s19
	s_mov_b64 s[12:13], exec
	v_lshrrev_b32_e32 v5, 20, v5
	s_andn2_saveexec_b64 s[14:15], s[14:15]
	s_cbranch_execnz .LBB108_996
.LBB108_773:
	s_or_b64 exec, exec, s[14:15]
	v_mov_b32_e32 v6, 0
	s_and_saveexec_b64 s[14:15], s[12:13]
.LBB108_774:
	v_lshrrev_b32_e32 v4, 24, v4
	s_movk_i32 s12, 0x80
	v_and_or_b32 v6, v4, s12, v5
.LBB108_775:
	s_or_b64 exec, exec, s[14:15]
.LBB108_776:
	s_or_b64 exec, exec, s[10:11]
	global_store_byte v[1:2], v6, off
.LBB108_777:
	s_mov_b64 s[10:11], -1
.LBB108_778:
	s_mov_b64 s[12:13], 0
.LBB108_779:
	s_and_b64 vcc, exec, s[12:13]
	s_cbranch_vccz .LBB108_819
; %bb.780:
	s_cmp_gt_i32 s18, 22
	s_mov_b64 s[8:9], -1
	s_cbranch_scc0 .LBB108_812
; %bb.781:
	s_cmp_lt_i32 s18, 24
	s_cbranch_scc1 .LBB108_801
; %bb.782:
	s_cmp_gt_i32 s18, 24
	s_cbranch_scc0 .LBB108_790
; %bb.783:
	v_cvt_f32_f16_e32 v4, v23
	s_mov_b32 s8, 0x47800000
	v_mov_b32_e32 v6, 0x80
	v_and_b32_e32 v5, 0x7fffffff, v4
	v_cmp_gt_u32_e32 vcc, s8, v5
	s_and_saveexec_b64 s[8:9], vcc
	s_cbranch_execz .LBB108_789
; %bb.784:
	s_mov_b32 s10, 0x37ffffff
	v_cmp_lt_u32_e32 vcc, s10, v5
	s_mov_b64 s[10:11], 0
                                        ; implicit-def: $vgpr5
	s_and_saveexec_b64 s[12:13], vcc
	s_xor_b64 s[12:13], exec, s[12:13]
	s_cbranch_execz .LBB108_1000
; %bb.785:
	v_bfe_u32 v5, v4, 21, 1
	s_mov_b32 s14, 0x88fffff
	v_add3_u32 v5, v4, v5, s14
	s_mov_b64 s[10:11], exec
	v_lshrrev_b32_e32 v5, 21, v5
	s_andn2_saveexec_b64 s[12:13], s[12:13]
	s_cbranch_execnz .LBB108_1001
.LBB108_786:
	s_or_b64 exec, exec, s[12:13]
	v_mov_b32_e32 v6, 0
	s_and_saveexec_b64 s[12:13], s[10:11]
.LBB108_787:
	v_lshrrev_b32_e32 v4, 24, v4
	s_movk_i32 s10, 0x80
	v_and_or_b32 v6, v4, s10, v5
.LBB108_788:
	s_or_b64 exec, exec, s[12:13]
.LBB108_789:
	s_or_b64 exec, exec, s[8:9]
	s_mov_b64 s[8:9], 0
	global_store_byte v[1:2], v6, off
.LBB108_790:
	s_and_b64 vcc, exec, s[8:9]
	s_cbranch_vccz .LBB108_800
; %bb.791:
	v_cvt_f32_f16_e32 v4, v23
	s_mov_b32 s8, 0x43f00000
                                        ; implicit-def: $vgpr5
	v_and_b32_e32 v6, 0x7fffffff, v4
	v_cmp_gt_u32_e32 vcc, s8, v6
	s_and_saveexec_b64 s[8:9], vcc
	s_xor_b64 s[8:9], exec, s[8:9]
	s_cbranch_execz .LBB108_797
; %bb.792:
	s_mov_b32 s10, 0x3c7fffff
	v_cmp_lt_u32_e32 vcc, s10, v6
                                        ; implicit-def: $vgpr5
	s_and_saveexec_b64 s[10:11], vcc
	s_xor_b64 s[10:11], exec, s[10:11]
; %bb.793:
	v_bfe_u32 v5, v4, 20, 1
	s_mov_b32 s12, 0x407ffff
	v_add3_u32 v5, v4, v5, s12
	v_lshrrev_b32_e32 v6, 20, v5
	v_and_b32_e32 v5, 0xff00000, v5
	s_mov_b32 s12, 0x7f00000
	v_mov_b32_e32 v7, 0x7e
	v_cmp_ne_u32_e32 vcc, s12, v5
	v_cndmask_b32_e32 v5, v7, v6, vcc
; %bb.794:
	s_andn2_saveexec_b64 s[10:11], s[10:11]
; %bb.795:
	s_mov_b32 s12, 0x46800000
	v_add_f32_e64 v5, |v4|, s12
; %bb.796:
	s_or_b64 exec, exec, s[10:11]
                                        ; implicit-def: $vgpr6
.LBB108_797:
	s_andn2_saveexec_b64 s[8:9], s[8:9]
; %bb.798:
	s_mov_b32 s10, 0x7f800000
	v_mov_b32_e32 v5, 0x7e
	v_mov_b32_e32 v7, 0x7f
	v_cmp_lt_u32_e32 vcc, s10, v6
	v_cndmask_b32_e32 v5, v5, v7, vcc
; %bb.799:
	s_or_b64 exec, exec, s[8:9]
	v_lshrrev_b32_e32 v4, 24, v4
	s_movk_i32 s8, 0x80
	v_and_or_b32 v4, v4, s8, v5
	global_store_byte v[1:2], v4, off
.LBB108_800:
	s_mov_b64 s[8:9], 0
.LBB108_801:
	s_andn2_b64 vcc, exec, s[8:9]
	s_cbranch_vccnz .LBB108_811
; %bb.802:
	v_cvt_f32_f16_e32 v4, v23
	s_mov_b32 s8, 0x47800000
                                        ; implicit-def: $vgpr5
	v_and_b32_e32 v6, 0x7fffffff, v4
	v_cmp_gt_u32_e32 vcc, s8, v6
	s_and_saveexec_b64 s[8:9], vcc
	s_xor_b64 s[8:9], exec, s[8:9]
	s_cbranch_execz .LBB108_808
; %bb.803:
	s_mov_b32 s10, 0x387fffff
	v_cmp_lt_u32_e32 vcc, s10, v6
                                        ; implicit-def: $vgpr5
	s_and_saveexec_b64 s[10:11], vcc
	s_xor_b64 s[10:11], exec, s[10:11]
; %bb.804:
	v_bfe_u32 v5, v4, 21, 1
	s_mov_b32 s12, 0x80fffff
	v_add3_u32 v5, v4, v5, s12
	v_lshrrev_b32_e32 v5, 21, v5
; %bb.805:
	s_andn2_saveexec_b64 s[10:11], s[10:11]
; %bb.806:
	s_mov_b32 s12, 0x43000000
	v_add_f32_e64 v5, |v4|, s12
; %bb.807:
	s_or_b64 exec, exec, s[10:11]
                                        ; implicit-def: $vgpr6
.LBB108_808:
	s_andn2_saveexec_b64 s[8:9], s[8:9]
; %bb.809:
	s_mov_b32 s10, 0x7f800000
	v_mov_b32_e32 v5, 0x7c
	v_mov_b32_e32 v7, 0x7f
	v_cmp_lt_u32_e32 vcc, s10, v6
	v_cndmask_b32_e32 v5, v5, v7, vcc
; %bb.810:
	s_or_b64 exec, exec, s[8:9]
	v_lshrrev_b32_e32 v4, 24, v4
	s_movk_i32 s8, 0x80
	v_and_or_b32 v4, v4, s8, v5
	global_store_byte v[1:2], v4, off
.LBB108_811:
	s_mov_b64 s[8:9], 0
	s_mov_b64 s[10:11], -1
.LBB108_812:
	s_andn2_b64 vcc, exec, s[8:9]
	s_mov_b64 s[8:9], 0
	s_cbranch_vccnz .LBB108_819
; %bb.813:
	s_cmp_gt_i32 s18, 14
	s_mov_b64 s[12:13], -1
	s_cbranch_scc0 .LBB108_817
; %bb.814:
	s_cmp_eq_u32 s18, 15
	s_mov_b64 s[4:5], -1
	s_cbranch_scc0 .LBB108_816
; %bb.815:
	v_cvt_f32_f16_e32 v4, v23
	s_movk_i32 s4, 0x7fff
	v_cmp_o_f16_e32 vcc, v23, v23
	v_mov_b32_e32 v5, 0x7fc0
	v_bfe_u32 v6, v4, 16, 1
	v_add3_u32 v4, v4, v6, s4
	v_cndmask_b32_sdwa v4, v5, v4, vcc dst_sel:DWORD dst_unused:UNUSED_PAD src0_sel:DWORD src1_sel:WORD_1
	global_store_short v[1:2], v4, off
	s_mov_b64 s[4:5], 0
	s_mov_b64 s[10:11], -1
.LBB108_816:
	s_mov_b64 s[12:13], 0
.LBB108_817:
	s_and_b64 vcc, exec, s[12:13]
	s_cbranch_vccz .LBB108_819
; %bb.818:
	s_cmp_lg_u32 s18, 11
	s_mov_b64 s[8:9], -1
	s_cselect_b64 s[4:5], -1, 0
.LBB108_819:
	s_and_b64 vcc, exec, s[4:5]
	s_cbranch_vccnz .LBB108_997
; %bb.820:
	s_andn2_b64 vcc, exec, s[8:9]
	s_cbranch_vccnz .LBB108_822
.LBB108_821:
	v_and_b32_e32 v4, 0x7fff, v23
	v_cmp_ne_u16_e32 vcc, 0, v4
	v_cndmask_b32_e64 v4, 0, 1, vcc
	s_mov_b64 s[10:11], -1
	global_store_byte v[1:2], v4, off
.LBB108_822:
.LBB108_823:
	s_andn2_b64 vcc, exec, s[10:11]
	s_cbranch_vccnz .LBB108_939
.LBB108_824:
	v_add_u32_e32 v1, s17, v3
	v_ashrrev_i32_e32 v2, 31, v1
	v_mov_b32_e32 v3, s49
	v_add_co_u32_e32 v1, vcc, s48, v1
	s_cmp_lt_i32 s16, 11
	v_addc_co_u32_e32 v2, vcc, v3, v2, vcc
	s_cbranch_scc1 .LBB108_984
; %bb.825:
	s_and_b32 s17, 0xffff, s16
	s_mov_b64 s[10:11], -1
	s_mov_b64 s[8:9], 0
	s_cmp_gt_i32 s17, 25
	s_mov_b64 s[4:5], 0
	s_cbranch_scc0 .LBB108_858
; %bb.826:
	s_cmp_gt_i32 s17, 28
	s_cbranch_scc0 .LBB108_842
; %bb.827:
	s_cmp_gt_i32 s17, 43
	;; [unrolled: 3-line block ×3, first 2 shown]
	s_cbranch_scc0 .LBB108_832
; %bb.829:
	s_cmp_eq_u32 s17, 46
	s_mov_b64 s[4:5], -1
	s_cbranch_scc0 .LBB108_831
; %bb.830:
	v_cvt_f32_f16_e32 v3, v0
	s_movk_i32 s4, 0x7fff
	v_cmp_o_f16_e32 vcc, v0, v0
	v_mov_b32_e32 v4, 0x7fc0
	v_bfe_u32 v5, v3, 16, 1
	v_add3_u32 v3, v3, v5, s4
	v_cndmask_b32_sdwa v3, v4, v3, vcc dst_sel:DWORD dst_unused:UNUSED_PAD src0_sel:DWORD src1_sel:WORD_1
	global_store_dword v[1:2], v3, off
	s_mov_b64 s[4:5], 0
.LBB108_831:
	s_mov_b64 s[10:11], 0
.LBB108_832:
	s_and_b64 vcc, exec, s[10:11]
	s_cbranch_vccz .LBB108_837
; %bb.833:
	s_cmp_eq_u32 s17, 44
	s_mov_b64 s[4:5], -1
	s_cbranch_scc0 .LBB108_837
; %bb.834:
	v_cvt_f32_f16_e32 v3, v0
	s_movk_i32 s4, 0xff
	v_mov_b32_e32 v5, 0xff
	v_bfe_u32 v4, v3, 23, 8
	v_cmp_ne_u32_e32 vcc, s4, v4
	s_and_saveexec_b64 s[10:11], vcc
; %bb.835:
	s_mov_b32 s4, 0x3fffff
	v_lshrrev_b32_e32 v5, 23, v3
	v_and_b32_e32 v6, 0x400000, v3
	v_and_or_b32 v3, v3, s4, v4
	v_cmp_ne_u32_e32 vcc, 0, v6
	v_cmp_ne_u32_e64 s[4:5], 0, v3
	s_and_b64 s[4:5], vcc, s[4:5]
	v_cndmask_b32_e64 v3, 0, 1, s[4:5]
	v_add_u32_e32 v5, v5, v3
; %bb.836:
	s_or_b64 exec, exec, s[10:11]
	s_mov_b64 s[4:5], 0
	global_store_byte v[1:2], v5, off
.LBB108_837:
	s_mov_b64 s[10:11], 0
.LBB108_838:
	s_and_b64 vcc, exec, s[10:11]
	s_cbranch_vccz .LBB108_841
; %bb.839:
	s_cmp_eq_u32 s17, 29
	s_mov_b64 s[4:5], -1
	s_cbranch_scc0 .LBB108_841
; %bb.840:
	v_cvt_f32_f16_e32 v3, v0
	v_mov_b32_e32 v4, 0
	s_mov_b64 s[4:5], 0
	v_cvt_u32_f32_e32 v3, v3
	global_store_dwordx2 v[1:2], v[3:4], off
.LBB108_841:
	s_mov_b64 s[10:11], 0
.LBB108_842:
	s_and_b64 vcc, exec, s[10:11]
	s_cbranch_vccz .LBB108_857
; %bb.843:
	s_cmp_lt_i32 s17, 27
	s_mov_b64 s[10:11], -1
	s_cbranch_scc1 .LBB108_849
; %bb.844:
	s_cmp_gt_i32 s17, 27
	s_cbranch_scc0 .LBB108_846
; %bb.845:
	v_cvt_f32_f16_e32 v3, v0
	s_mov_b64 s[10:11], 0
	v_cvt_u32_f32_e32 v3, v3
	global_store_dword v[1:2], v3, off
.LBB108_846:
	s_andn2_b64 vcc, exec, s[10:11]
	s_cbranch_vccnz .LBB108_848
; %bb.847:
	v_cvt_u16_f16_e32 v3, v0
	global_store_short v[1:2], v3, off
.LBB108_848:
	s_mov_b64 s[10:11], 0
.LBB108_849:
	s_andn2_b64 vcc, exec, s[10:11]
	s_cbranch_vccnz .LBB108_857
; %bb.850:
	v_cvt_f32_f16_e32 v3, v0
	s_mov_b32 s10, 0x43800000
	v_mov_b32_e32 v5, 0x80
	v_and_b32_e32 v4, 0x7fffffff, v3
	v_cmp_gt_u32_e32 vcc, s10, v4
	s_and_saveexec_b64 s[10:11], vcc
	s_cbranch_execz .LBB108_856
; %bb.851:
	s_mov_b32 s12, 0x3bffffff
	v_cmp_lt_u32_e32 vcc, s12, v4
	s_mov_b64 s[12:13], 0
                                        ; implicit-def: $vgpr4
	s_and_saveexec_b64 s[14:15], vcc
	s_xor_b64 s[14:15], exec, s[14:15]
	s_cbranch_execz .LBB108_1002
; %bb.852:
	v_bfe_u32 v4, v3, 20, 1
	s_mov_b32 s18, 0x487ffff
	v_add3_u32 v4, v3, v4, s18
	s_mov_b64 s[12:13], exec
	v_lshrrev_b32_e32 v4, 20, v4
	s_andn2_saveexec_b64 s[14:15], s[14:15]
	s_cbranch_execnz .LBB108_1003
.LBB108_853:
	s_or_b64 exec, exec, s[14:15]
	v_mov_b32_e32 v5, 0
	s_and_saveexec_b64 s[14:15], s[12:13]
.LBB108_854:
	v_lshrrev_b32_e32 v3, 24, v3
	s_movk_i32 s12, 0x80
	v_and_or_b32 v5, v3, s12, v4
.LBB108_855:
	s_or_b64 exec, exec, s[14:15]
.LBB108_856:
	s_or_b64 exec, exec, s[10:11]
	global_store_byte v[1:2], v5, off
.LBB108_857:
	s_mov_b64 s[10:11], 0
.LBB108_858:
	s_and_b64 vcc, exec, s[10:11]
	s_cbranch_vccz .LBB108_898
; %bb.859:
	s_cmp_gt_i32 s17, 22
	s_mov_b64 s[8:9], -1
	s_cbranch_scc0 .LBB108_891
; %bb.860:
	s_cmp_lt_i32 s17, 24
	s_cbranch_scc1 .LBB108_880
; %bb.861:
	s_cmp_gt_i32 s17, 24
	s_cbranch_scc0 .LBB108_869
; %bb.862:
	v_cvt_f32_f16_e32 v3, v0
	s_mov_b32 s8, 0x47800000
	v_mov_b32_e32 v5, 0x80
	v_and_b32_e32 v4, 0x7fffffff, v3
	v_cmp_gt_u32_e32 vcc, s8, v4
	s_and_saveexec_b64 s[8:9], vcc
	s_cbranch_execz .LBB108_868
; %bb.863:
	s_mov_b32 s10, 0x37ffffff
	v_cmp_lt_u32_e32 vcc, s10, v4
	s_mov_b64 s[10:11], 0
                                        ; implicit-def: $vgpr4
	s_and_saveexec_b64 s[12:13], vcc
	s_xor_b64 s[12:13], exec, s[12:13]
	s_cbranch_execz .LBB108_1009
; %bb.864:
	v_bfe_u32 v4, v3, 21, 1
	s_mov_b32 s14, 0x88fffff
	v_add3_u32 v4, v3, v4, s14
	s_mov_b64 s[10:11], exec
	v_lshrrev_b32_e32 v4, 21, v4
	s_andn2_saveexec_b64 s[12:13], s[12:13]
	s_cbranch_execnz .LBB108_1010
.LBB108_865:
	s_or_b64 exec, exec, s[12:13]
	v_mov_b32_e32 v5, 0
	s_and_saveexec_b64 s[12:13], s[10:11]
.LBB108_866:
	v_lshrrev_b32_e32 v3, 24, v3
	s_movk_i32 s10, 0x80
	v_and_or_b32 v5, v3, s10, v4
.LBB108_867:
	s_or_b64 exec, exec, s[12:13]
.LBB108_868:
	s_or_b64 exec, exec, s[8:9]
	s_mov_b64 s[8:9], 0
	global_store_byte v[1:2], v5, off
.LBB108_869:
	s_and_b64 vcc, exec, s[8:9]
	s_cbranch_vccz .LBB108_879
; %bb.870:
	v_cvt_f32_f16_e32 v3, v0
	s_mov_b32 s8, 0x43f00000
                                        ; implicit-def: $vgpr4
	v_and_b32_e32 v5, 0x7fffffff, v3
	v_cmp_gt_u32_e32 vcc, s8, v5
	s_and_saveexec_b64 s[8:9], vcc
	s_xor_b64 s[8:9], exec, s[8:9]
	s_cbranch_execz .LBB108_876
; %bb.871:
	s_mov_b32 s10, 0x3c7fffff
	v_cmp_lt_u32_e32 vcc, s10, v5
                                        ; implicit-def: $vgpr4
	s_and_saveexec_b64 s[10:11], vcc
	s_xor_b64 s[10:11], exec, s[10:11]
; %bb.872:
	v_bfe_u32 v4, v3, 20, 1
	s_mov_b32 s12, 0x407ffff
	v_add3_u32 v4, v3, v4, s12
	v_lshrrev_b32_e32 v5, 20, v4
	v_and_b32_e32 v4, 0xff00000, v4
	s_mov_b32 s12, 0x7f00000
	v_mov_b32_e32 v6, 0x7e
	v_cmp_ne_u32_e32 vcc, s12, v4
	v_cndmask_b32_e32 v4, v6, v5, vcc
; %bb.873:
	s_andn2_saveexec_b64 s[10:11], s[10:11]
; %bb.874:
	s_mov_b32 s12, 0x46800000
	v_add_f32_e64 v4, |v3|, s12
; %bb.875:
	s_or_b64 exec, exec, s[10:11]
                                        ; implicit-def: $vgpr5
.LBB108_876:
	s_andn2_saveexec_b64 s[8:9], s[8:9]
; %bb.877:
	s_mov_b32 s10, 0x7f800000
	v_mov_b32_e32 v4, 0x7e
	v_mov_b32_e32 v6, 0x7f
	v_cmp_lt_u32_e32 vcc, s10, v5
	v_cndmask_b32_e32 v4, v4, v6, vcc
; %bb.878:
	s_or_b64 exec, exec, s[8:9]
	v_lshrrev_b32_e32 v3, 24, v3
	s_movk_i32 s8, 0x80
	v_and_or_b32 v3, v3, s8, v4
	global_store_byte v[1:2], v3, off
.LBB108_879:
	s_mov_b64 s[8:9], 0
.LBB108_880:
	s_andn2_b64 vcc, exec, s[8:9]
	s_cbranch_vccnz .LBB108_890
; %bb.881:
	v_cvt_f32_f16_e32 v3, v0
	s_mov_b32 s8, 0x47800000
                                        ; implicit-def: $vgpr4
	v_and_b32_e32 v5, 0x7fffffff, v3
	v_cmp_gt_u32_e32 vcc, s8, v5
	s_and_saveexec_b64 s[8:9], vcc
	s_xor_b64 s[8:9], exec, s[8:9]
	s_cbranch_execz .LBB108_887
; %bb.882:
	s_mov_b32 s10, 0x387fffff
	v_cmp_lt_u32_e32 vcc, s10, v5
                                        ; implicit-def: $vgpr4
	s_and_saveexec_b64 s[10:11], vcc
	s_xor_b64 s[10:11], exec, s[10:11]
; %bb.883:
	v_bfe_u32 v4, v3, 21, 1
	s_mov_b32 s12, 0x80fffff
	v_add3_u32 v4, v3, v4, s12
	v_lshrrev_b32_e32 v4, 21, v4
; %bb.884:
	s_andn2_saveexec_b64 s[10:11], s[10:11]
; %bb.885:
	s_mov_b32 s12, 0x43000000
	v_add_f32_e64 v4, |v3|, s12
; %bb.886:
	s_or_b64 exec, exec, s[10:11]
                                        ; implicit-def: $vgpr5
.LBB108_887:
	s_andn2_saveexec_b64 s[8:9], s[8:9]
; %bb.888:
	s_mov_b32 s10, 0x7f800000
	v_mov_b32_e32 v4, 0x7c
	v_mov_b32_e32 v6, 0x7f
	v_cmp_lt_u32_e32 vcc, s10, v5
	v_cndmask_b32_e32 v4, v4, v6, vcc
; %bb.889:
	s_or_b64 exec, exec, s[8:9]
	v_lshrrev_b32_e32 v3, 24, v3
	s_movk_i32 s8, 0x80
	v_and_or_b32 v3, v3, s8, v4
	global_store_byte v[1:2], v3, off
.LBB108_890:
	s_mov_b64 s[8:9], 0
.LBB108_891:
	s_andn2_b64 vcc, exec, s[8:9]
	s_mov_b64 s[8:9], 0
	s_cbranch_vccnz .LBB108_898
; %bb.892:
	s_cmp_gt_i32 s17, 14
	s_mov_b64 s[10:11], -1
	s_cbranch_scc0 .LBB108_896
; %bb.893:
	s_cmp_eq_u32 s17, 15
	s_mov_b64 s[4:5], -1
	s_cbranch_scc0 .LBB108_895
; %bb.894:
	v_cvt_f32_f16_e32 v3, v0
	s_movk_i32 s4, 0x7fff
	v_cmp_o_f16_e32 vcc, v0, v0
	v_mov_b32_e32 v4, 0x7fc0
	v_bfe_u32 v5, v3, 16, 1
	v_add3_u32 v3, v3, v5, s4
	v_cndmask_b32_sdwa v3, v4, v3, vcc dst_sel:DWORD dst_unused:UNUSED_PAD src0_sel:DWORD src1_sel:WORD_1
	global_store_short v[1:2], v3, off
	s_mov_b64 s[4:5], 0
.LBB108_895:
	s_mov_b64 s[10:11], 0
.LBB108_896:
	s_and_b64 vcc, exec, s[10:11]
	s_cbranch_vccz .LBB108_898
; %bb.897:
	s_cmp_lg_u32 s17, 11
	s_mov_b64 s[8:9], -1
	s_cselect_b64 s[4:5], -1, 0
.LBB108_898:
	s_and_b64 vcc, exec, s[4:5]
	s_cbranch_vccnz .LBB108_1004
.LBB108_899:
	s_mov_b64 s[4:5], 0
	s_branch .LBB108_940
.LBB108_900:
	s_mov_b64 s[10:11], 0
	s_cbranch_execz .LBB108_823
; %bb.901:
	s_and_b32 s8, 0xffff, s16
	s_cmp_lt_i32 s8, 5
	s_mov_b64 s[4:5], -1
	s_cbranch_scc1 .LBB108_922
; %bb.902:
	s_cmp_lt_i32 s8, 8
	s_cbranch_scc1 .LBB108_912
; %bb.903:
	s_cmp_lt_i32 s8, 9
	s_cbranch_scc1 .LBB108_909
; %bb.904:
	s_cmp_gt_i32 s8, 9
	s_cbranch_scc0 .LBB108_906
; %bb.905:
	v_cvt_f32_f16_e32 v4, v23
	v_mov_b32_e32 v6, 0
	v_mov_b32_e32 v7, v6
	s_mov_b64 s[4:5], 0
	v_cvt_f64_f32_e32 v[4:5], v4
	global_store_dwordx4 v[1:2], v[4:7], off
.LBB108_906:
	s_andn2_b64 vcc, exec, s[4:5]
	s_cbranch_vccnz .LBB108_908
; %bb.907:
	v_cvt_f32_f16_e32 v4, v23
	v_mov_b32_e32 v5, 0
	global_store_dwordx2 v[1:2], v[4:5], off
.LBB108_908:
	s_mov_b64 s[4:5], 0
.LBB108_909:
	s_andn2_b64 vcc, exec, s[4:5]
	s_cbranch_vccnz .LBB108_911
; %bb.910:
	v_and_b32_e32 v4, 0xffff, v23
	global_store_dword v[1:2], v4, off
.LBB108_911:
	s_mov_b64 s[4:5], 0
.LBB108_912:
	s_andn2_b64 vcc, exec, s[4:5]
	s_cbranch_vccnz .LBB108_921
; %bb.913:
	s_cmp_lt_i32 s8, 6
	s_mov_b64 s[4:5], -1
	s_cbranch_scc1 .LBB108_919
; %bb.914:
	s_cmp_gt_i32 s8, 6
	s_cbranch_scc0 .LBB108_916
; %bb.915:
	v_cvt_f32_f16_e32 v4, v23
	s_mov_b64 s[4:5], 0
	v_cvt_f64_f32_e32 v[4:5], v4
	global_store_dwordx2 v[1:2], v[4:5], off
.LBB108_916:
	s_andn2_b64 vcc, exec, s[4:5]
	s_cbranch_vccnz .LBB108_918
; %bb.917:
	v_cvt_f32_f16_e32 v4, v23
	global_store_dword v[1:2], v4, off
.LBB108_918:
	s_mov_b64 s[4:5], 0
.LBB108_919:
	s_andn2_b64 vcc, exec, s[4:5]
	s_cbranch_vccnz .LBB108_921
; %bb.920:
	global_store_short v[1:2], v23, off
.LBB108_921:
	s_mov_b64 s[4:5], 0
.LBB108_922:
	s_andn2_b64 vcc, exec, s[4:5]
	s_cbranch_vccnz .LBB108_938
; %bb.923:
	s_cmp_lt_i32 s8, 2
	s_mov_b64 s[4:5], -1
	s_cbranch_scc1 .LBB108_933
; %bb.924:
	s_cmp_lt_i32 s8, 3
	s_cbranch_scc1 .LBB108_930
; %bb.925:
	s_cmp_gt_i32 s8, 3
	s_cbranch_scc0 .LBB108_927
; %bb.926:
	v_cvt_f32_f16_e32 v4, v23
	s_mov_b64 s[4:5], 0
	v_cvt_i32_f32_e32 v4, v4
	v_ashrrev_i32_e32 v5, 31, v4
	global_store_dwordx2 v[1:2], v[4:5], off
.LBB108_927:
	s_andn2_b64 vcc, exec, s[4:5]
	s_cbranch_vccnz .LBB108_929
; %bb.928:
	v_cvt_f32_f16_e32 v4, v23
	v_cvt_i32_f32_e32 v4, v4
	global_store_dword v[1:2], v4, off
.LBB108_929:
	s_mov_b64 s[4:5], 0
.LBB108_930:
	s_andn2_b64 vcc, exec, s[4:5]
	s_cbranch_vccnz .LBB108_932
; %bb.931:
	v_cvt_i16_f16_e32 v4, v23
	global_store_short v[1:2], v4, off
.LBB108_932:
	s_mov_b64 s[4:5], 0
.LBB108_933:
	s_andn2_b64 vcc, exec, s[4:5]
	s_cbranch_vccnz .LBB108_938
; %bb.934:
	s_cmp_gt_i32 s8, 0
	s_mov_b64 s[4:5], -1
	s_cbranch_scc0 .LBB108_936
; %bb.935:
	v_cvt_i16_f16_e32 v4, v23
	global_store_byte v[1:2], v4, off
	s_mov_b64 s[4:5], 0
.LBB108_936:
	s_andn2_b64 vcc, exec, s[4:5]
	s_cbranch_vccnz .LBB108_938
; %bb.937:
	v_cvt_f32_f16_e32 v4, v23
	v_cvt_i32_f32_e32 v4, v4
	global_store_byte v[1:2], v4, off
.LBB108_938:
	s_branch .LBB108_824
.LBB108_939:
	s_mov_b64 s[4:5], 0
	s_mov_b64 s[8:9], 0
                                        ; implicit-def: $sgpr16
                                        ; implicit-def: $vgpr1_vgpr2
.LBB108_940:
	s_and_b64 s[34:35], s[8:9], exec
	s_andn2_b64 s[8:9], s[38:39], exec
	s_and_b64 s[6:7], s[6:7], exec
	s_and_b64 s[4:5], s[4:5], exec
	s_or_b64 s[38:39], s[8:9], s[6:7]
.LBB108_941:
	s_or_b64 exec, exec, s[36:37]
	s_and_saveexec_b64 s[6:7], s[38:39]
	s_cbranch_execz .LBB108_944
; %bb.942:
	; divergent unreachable
	s_or_b64 exec, exec, s[6:7]
	s_and_saveexec_b64 s[6:7], s[34:35]
	s_xor_b64 s[6:7], exec, s[6:7]
	s_cbranch_execnz .LBB108_945
.LBB108_943:
	s_or_b64 exec, exec, s[6:7]
	s_and_saveexec_b64 s[6:7], s[4:5]
	s_cbranch_execnz .LBB108_946
	s_branch .LBB108_983
.LBB108_944:
	s_or_b64 exec, exec, s[6:7]
	s_and_saveexec_b64 s[6:7], s[34:35]
	s_xor_b64 s[6:7], exec, s[6:7]
	s_cbranch_execz .LBB108_943
.LBB108_945:
	v_and_b32_e32 v3, 0x7fff, v0
	v_cmp_ne_u16_e32 vcc, 0, v3
	v_cndmask_b32_e64 v3, 0, 1, vcc
	global_store_byte v[1:2], v3, off
	s_or_b64 exec, exec, s[6:7]
	s_and_saveexec_b64 s[6:7], s[4:5]
	s_cbranch_execz .LBB108_983
.LBB108_946:
	s_sext_i32_i16 s6, s16
	s_cmp_lt_i32 s6, 5
	s_mov_b64 s[4:5], -1
	s_cbranch_scc1 .LBB108_967
; %bb.947:
	s_cmp_lt_i32 s6, 8
	s_cbranch_scc1 .LBB108_957
; %bb.948:
	s_cmp_lt_i32 s6, 9
	s_cbranch_scc1 .LBB108_954
; %bb.949:
	s_cmp_gt_i32 s6, 9
	s_cbranch_scc0 .LBB108_951
; %bb.950:
	v_cvt_f32_f16_e32 v3, v0
	v_mov_b32_e32 v5, 0
	v_mov_b32_e32 v6, v5
	s_mov_b64 s[4:5], 0
	v_cvt_f64_f32_e32 v[3:4], v3
	global_store_dwordx4 v[1:2], v[3:6], off
.LBB108_951:
	s_andn2_b64 vcc, exec, s[4:5]
	s_cbranch_vccnz .LBB108_953
; %bb.952:
	v_cvt_f32_f16_e32 v3, v0
	v_mov_b32_e32 v4, 0
	global_store_dwordx2 v[1:2], v[3:4], off
.LBB108_953:
	s_mov_b64 s[4:5], 0
.LBB108_954:
	s_andn2_b64 vcc, exec, s[4:5]
	s_cbranch_vccnz .LBB108_956
; %bb.955:
	v_and_b32_e32 v3, 0xffff, v0
	global_store_dword v[1:2], v3, off
.LBB108_956:
	s_mov_b64 s[4:5], 0
.LBB108_957:
	s_andn2_b64 vcc, exec, s[4:5]
	s_cbranch_vccnz .LBB108_966
; %bb.958:
	s_sext_i32_i16 s6, s16
	s_cmp_lt_i32 s6, 6
	s_mov_b64 s[4:5], -1
	s_cbranch_scc1 .LBB108_964
; %bb.959:
	s_cmp_gt_i32 s6, 6
	s_cbranch_scc0 .LBB108_961
; %bb.960:
	v_cvt_f32_f16_e32 v3, v0
	s_mov_b64 s[4:5], 0
	v_cvt_f64_f32_e32 v[3:4], v3
	global_store_dwordx2 v[1:2], v[3:4], off
.LBB108_961:
	s_andn2_b64 vcc, exec, s[4:5]
	s_cbranch_vccnz .LBB108_963
; %bb.962:
	v_cvt_f32_f16_e32 v3, v0
	global_store_dword v[1:2], v3, off
.LBB108_963:
	s_mov_b64 s[4:5], 0
.LBB108_964:
	s_andn2_b64 vcc, exec, s[4:5]
	s_cbranch_vccnz .LBB108_966
; %bb.965:
	global_store_short v[1:2], v0, off
.LBB108_966:
	s_mov_b64 s[4:5], 0
.LBB108_967:
	s_andn2_b64 vcc, exec, s[4:5]
	s_cbranch_vccnz .LBB108_983
; %bb.968:
	s_sext_i32_i16 s6, s16
	s_cmp_lt_i32 s6, 2
	s_mov_b64 s[4:5], -1
	s_cbranch_scc1 .LBB108_978
; %bb.969:
	s_cmp_lt_i32 s6, 3
	s_cbranch_scc1 .LBB108_975
; %bb.970:
	s_cmp_gt_i32 s6, 3
	s_cbranch_scc0 .LBB108_972
; %bb.971:
	v_cvt_f32_f16_e32 v3, v0
	s_mov_b64 s[4:5], 0
	v_cvt_i32_f32_e32 v3, v3
	v_ashrrev_i32_e32 v4, 31, v3
	global_store_dwordx2 v[1:2], v[3:4], off
.LBB108_972:
	s_andn2_b64 vcc, exec, s[4:5]
	s_cbranch_vccnz .LBB108_974
; %bb.973:
	v_cvt_f32_f16_e32 v3, v0
	v_cvt_i32_f32_e32 v3, v3
	global_store_dword v[1:2], v3, off
.LBB108_974:
	s_mov_b64 s[4:5], 0
.LBB108_975:
	s_andn2_b64 vcc, exec, s[4:5]
	s_cbranch_vccnz .LBB108_977
; %bb.976:
	v_cvt_i16_f16_e32 v3, v0
	global_store_short v[1:2], v3, off
.LBB108_977:
	s_mov_b64 s[4:5], 0
.LBB108_978:
	s_andn2_b64 vcc, exec, s[4:5]
	s_cbranch_vccnz .LBB108_983
; %bb.979:
	s_sext_i32_i16 s4, s16
	s_cmp_gt_i32 s4, 0
	s_mov_b64 s[4:5], -1
	s_cbranch_scc0 .LBB108_981
; %bb.980:
	v_cvt_i16_f16_e32 v3, v0
	global_store_byte v[1:2], v3, off
	s_mov_b64 s[4:5], 0
.LBB108_981:
	s_andn2_b64 vcc, exec, s[4:5]
	s_cbranch_vccnz .LBB108_983
; %bb.982:
	v_cvt_f32_f16_e32 v0, v0
	v_cvt_i32_f32_e32 v0, v0
	global_store_byte v[1:2], v0, off
	s_endpgm
.LBB108_983:
	s_endpgm
.LBB108_984:
	s_mov_b64 s[8:9], 0
	s_mov_b64 s[4:5], -1
	s_branch .LBB108_940
.LBB108_985:
	s_andn2_saveexec_b64 s[12:13], s[12:13]
	s_cbranch_execz .LBB108_537
.LBB108_986:
	s_mov_b32 s15, 0x46000000
	v_add_f32_e64 v5, |v4|, s15
	v_and_b32_e32 v5, 0xff, v5
	v_cmp_ne_u32_e32 vcc, 0, v5
	s_andn2_b64 s[10:11], s[10:11], exec
	s_and_b64 s[18:19], vcc, exec
	s_or_b64 s[10:11], s[10:11], s[18:19]
	s_or_b64 exec, exec, s[12:13]
	v_mov_b32_e32 v6, 0
	s_and_saveexec_b64 s[12:13], s[10:11]
	s_cbranch_execnz .LBB108_538
	s_branch .LBB108_539
.LBB108_987:
	s_or_b64 s[6:7], s[38:39], exec
	s_trap 2
	s_cbranch_execz .LBB108_585
	s_branch .LBB108_586
.LBB108_988:
	s_andn2_saveexec_b64 s[10:11], s[10:11]
	s_cbranch_execz .LBB108_550
.LBB108_989:
	s_mov_b32 s12, 0x42800000
	v_add_f32_e64 v5, |v4|, s12
	v_and_b32_e32 v5, 0xff, v5
	v_cmp_ne_u32_e32 vcc, 0, v5
	s_andn2_b64 s[8:9], s[8:9], exec
	s_and_b64 s[12:13], vcc, exec
	s_or_b64 s[8:9], s[8:9], s[12:13]
	s_or_b64 exec, exec, s[10:11]
	v_mov_b32_e32 v6, 0
	s_and_saveexec_b64 s[10:11], s[8:9]
	s_cbranch_execnz .LBB108_551
	s_branch .LBB108_552
.LBB108_990:
	s_andn2_saveexec_b64 s[14:15], s[14:15]
	s_cbranch_execz .LBB108_655
.LBB108_991:
	s_mov_b32 s19, 0x46000000
	v_add_f32_e64 v5, |v4|, s19
	v_and_b32_e32 v5, 0xff, v5
	v_cmp_ne_u32_e32 vcc, 0, v5
	s_andn2_b64 s[12:13], s[12:13], exec
	s_and_b64 s[20:21], vcc, exec
	s_or_b64 s[12:13], s[12:13], s[20:21]
	s_or_b64 exec, exec, s[14:15]
	v_mov_b32_e32 v6, 0
	s_and_saveexec_b64 s[14:15], s[12:13]
	s_cbranch_execnz .LBB108_656
	s_branch .LBB108_657
.LBB108_992:
	s_trap 2
	s_or_b64 s[6:7], s[6:7], exec
	s_cbranch_execz .LBB108_703
	s_branch .LBB108_704
.LBB108_993:
	s_andn2_saveexec_b64 s[12:13], s[12:13]
	s_cbranch_execz .LBB108_668
.LBB108_994:
	s_mov_b32 s14, 0x42800000
	v_add_f32_e64 v5, |v4|, s14
	v_and_b32_e32 v5, 0xff, v5
	v_cmp_ne_u32_e32 vcc, 0, v5
	s_andn2_b64 s[10:11], s[10:11], exec
	s_and_b64 s[14:15], vcc, exec
	s_or_b64 s[10:11], s[10:11], s[14:15]
	s_or_b64 exec, exec, s[12:13]
	v_mov_b32_e32 v6, 0
	s_and_saveexec_b64 s[12:13], s[10:11]
	s_cbranch_execnz .LBB108_669
	s_branch .LBB108_670
.LBB108_995:
	s_andn2_saveexec_b64 s[14:15], s[14:15]
	s_cbranch_execz .LBB108_773
.LBB108_996:
	s_mov_b32 s19, 0x46000000
	v_add_f32_e64 v5, |v4|, s19
	v_and_b32_e32 v5, 0xff, v5
	v_cmp_ne_u32_e32 vcc, 0, v5
	s_andn2_b64 s[12:13], s[12:13], exec
	s_and_b64 s[20:21], vcc, exec
	s_or_b64 s[12:13], s[12:13], s[20:21]
	s_or_b64 exec, exec, s[14:15]
	v_mov_b32_e32 v6, 0
	s_and_saveexec_b64 s[14:15], s[12:13]
	s_cbranch_execnz .LBB108_774
	s_branch .LBB108_775
.LBB108_997:
	s_trap 2
	s_or_b64 s[6:7], s[6:7], exec
	s_cbranch_execz .LBB108_821
	s_branch .LBB108_822
.LBB108_998:
	s_andn2_saveexec_b64 s[10:11], s[10:11]
	s_cbranch_execz .LBB108_295
.LBB108_999:
	s_mov_b32 s14, 0x46000000
	v_add_f32_e64 v4, |v3|, s14
	v_and_b32_e32 v4, 0xff, v4
	v_cmp_ne_u32_e32 vcc, 0, v4
	s_andn2_b64 s[8:9], s[8:9], exec
	s_and_b64 s[14:15], vcc, exec
	s_or_b64 s[8:9], s[8:9], s[14:15]
	s_or_b64 exec, exec, s[10:11]
	v_mov_b32_e32 v5, 0
	s_and_saveexec_b64 s[10:11], s[8:9]
	s_cbranch_execnz .LBB108_296
	s_branch .LBB108_297
.LBB108_1000:
	s_andn2_saveexec_b64 s[12:13], s[12:13]
	s_cbranch_execz .LBB108_786
.LBB108_1001:
	s_mov_b32 s14, 0x42800000
	v_add_f32_e64 v5, |v4|, s14
	v_and_b32_e32 v5, 0xff, v5
	v_cmp_ne_u32_e32 vcc, 0, v5
	s_andn2_b64 s[10:11], s[10:11], exec
	s_and_b64 s[14:15], vcc, exec
	s_or_b64 s[10:11], s[10:11], s[14:15]
	s_or_b64 exec, exec, s[12:13]
	v_mov_b32_e32 v6, 0
	s_and_saveexec_b64 s[12:13], s[10:11]
	s_cbranch_execnz .LBB108_787
	s_branch .LBB108_788
.LBB108_1002:
	s_andn2_saveexec_b64 s[14:15], s[14:15]
	s_cbranch_execz .LBB108_853
.LBB108_1003:
	s_mov_b32 s18, 0x46000000
	v_add_f32_e64 v4, |v3|, s18
	v_and_b32_e32 v4, 0xff, v4
	v_cmp_ne_u32_e32 vcc, 0, v4
	s_andn2_b64 s[12:13], s[12:13], exec
	s_and_b64 s[18:19], vcc, exec
	s_or_b64 s[12:13], s[12:13], s[18:19]
	s_or_b64 exec, exec, s[14:15]
	v_mov_b32_e32 v5, 0
	s_and_saveexec_b64 s[14:15], s[12:13]
	s_cbranch_execnz .LBB108_854
	s_branch .LBB108_855
.LBB108_1004:
	s_mov_b64 s[8:9], 0
	s_or_b64 s[6:7], s[6:7], exec
	s_trap 2
	s_branch .LBB108_899
.LBB108_1005:
	s_andn2_saveexec_b64 s[10:11], s[10:11]
	s_cbranch_execz .LBB108_308
.LBB108_1006:
	s_mov_b32 s14, 0x42800000
	v_add_f32_e64 v4, |v3|, s14
	v_and_b32_e32 v4, 0xff, v4
	v_cmp_ne_u32_e32 vcc, 0, v4
	s_andn2_b64 s[8:9], s[8:9], exec
	s_and_b64 s[14:15], vcc, exec
	s_or_b64 s[8:9], s[8:9], s[14:15]
	s_or_b64 exec, exec, s[10:11]
	v_mov_b32_e32 v5, 0
	s_and_saveexec_b64 s[10:11], s[8:9]
	s_cbranch_execnz .LBB108_309
	s_branch .LBB108_310
.LBB108_1007:
	s_andn2_saveexec_b64 s[10:11], s[10:11]
	s_cbranch_execz .LBB108_418
.LBB108_1008:
	s_mov_b32 s12, 0x46000000
	v_add_f32_e64 v4, |v3|, s12
	v_and_b32_e32 v4, 0xff, v4
	v_cmp_ne_u32_e32 vcc, 0, v4
	s_andn2_b64 s[8:9], s[8:9], exec
	s_and_b64 s[12:13], vcc, exec
	s_or_b64 s[8:9], s[8:9], s[12:13]
	s_or_b64 exec, exec, s[10:11]
	v_mov_b32_e32 v5, 0
	s_and_saveexec_b64 s[10:11], s[8:9]
	s_cbranch_execnz .LBB108_419
	s_branch .LBB108_420
.LBB108_1009:
	s_andn2_saveexec_b64 s[12:13], s[12:13]
	s_cbranch_execz .LBB108_865
.LBB108_1010:
	s_mov_b32 s14, 0x42800000
	v_add_f32_e64 v4, |v3|, s14
	v_and_b32_e32 v4, 0xff, v4
	v_cmp_ne_u32_e32 vcc, 0, v4
	s_andn2_b64 s[10:11], s[10:11], exec
	s_and_b64 s[14:15], vcc, exec
	s_or_b64 s[10:11], s[10:11], s[14:15]
	s_or_b64 exec, exec, s[12:13]
	v_mov_b32_e32 v5, 0
	s_and_saveexec_b64 s[12:13], s[10:11]
	s_cbranch_execnz .LBB108_866
	s_branch .LBB108_867
.LBB108_1011:
	s_andn2_saveexec_b64 s[12:13], s[12:13]
	s_cbranch_execz .LBB108_430
.LBB108_1012:
	s_mov_b32 s16, 0x42800000
	v_add_f32_e64 v4, |v3|, s16
	v_and_b32_e32 v4, 0xff, v4
	v_cmp_ne_u32_e32 vcc, 0, v4
	s_andn2_b64 s[10:11], s[10:11], exec
	s_and_b64 s[16:17], vcc, exec
	s_or_b64 s[10:11], s[10:11], s[16:17]
	s_or_b64 exec, exec, s[12:13]
	v_mov_b32_e32 v5, 0
	s_and_saveexec_b64 s[12:13], s[10:11]
	s_cbranch_execnz .LBB108_431
	s_branch .LBB108_432
	.section	.rodata,"a",@progbits
	.p2align	6, 0x0
	.amdhsa_kernel _ZN2at6native32elementwise_kernel_manual_unrollILi128ELi4EZNS0_15gpu_kernel_implIZZZNS0_21polygamma_kernel_cudaERNS_18TensorIteratorBaseElENKUlvE_clEvENKUlvE1_clEvEUlN3c104HalfEE_EEvS4_RKT_EUlibE_EEviT1_
		.amdhsa_group_segment_fixed_size 0
		.amdhsa_private_segment_fixed_size 0
		.amdhsa_kernarg_size 48
		.amdhsa_user_sgpr_count 6
		.amdhsa_user_sgpr_private_segment_buffer 1
		.amdhsa_user_sgpr_dispatch_ptr 0
		.amdhsa_user_sgpr_queue_ptr 0
		.amdhsa_user_sgpr_kernarg_segment_ptr 1
		.amdhsa_user_sgpr_dispatch_id 0
		.amdhsa_user_sgpr_flat_scratch_init 0
		.amdhsa_user_sgpr_private_segment_size 0
		.amdhsa_uses_dynamic_stack 0
		.amdhsa_system_sgpr_private_segment_wavefront_offset 0
		.amdhsa_system_sgpr_workgroup_id_x 1
		.amdhsa_system_sgpr_workgroup_id_y 0
		.amdhsa_system_sgpr_workgroup_id_z 0
		.amdhsa_system_sgpr_workgroup_info 0
		.amdhsa_system_vgpr_workitem_id 0
		.amdhsa_next_free_vgpr 28
		.amdhsa_next_free_sgpr 69
		.amdhsa_reserve_vcc 1
		.amdhsa_reserve_flat_scratch 0
		.amdhsa_float_round_mode_32 0
		.amdhsa_float_round_mode_16_64 0
		.amdhsa_float_denorm_mode_32 3
		.amdhsa_float_denorm_mode_16_64 3
		.amdhsa_dx10_clamp 1
		.amdhsa_ieee_mode 1
		.amdhsa_fp16_overflow 0
		.amdhsa_exception_fp_ieee_invalid_op 0
		.amdhsa_exception_fp_denorm_src 0
		.amdhsa_exception_fp_ieee_div_zero 0
		.amdhsa_exception_fp_ieee_overflow 0
		.amdhsa_exception_fp_ieee_underflow 0
		.amdhsa_exception_fp_ieee_inexact 0
		.amdhsa_exception_int_div_zero 0
	.end_amdhsa_kernel
	.section	.text._ZN2at6native32elementwise_kernel_manual_unrollILi128ELi4EZNS0_15gpu_kernel_implIZZZNS0_21polygamma_kernel_cudaERNS_18TensorIteratorBaseElENKUlvE_clEvENKUlvE1_clEvEUlN3c104HalfEE_EEvS4_RKT_EUlibE_EEviT1_,"axG",@progbits,_ZN2at6native32elementwise_kernel_manual_unrollILi128ELi4EZNS0_15gpu_kernel_implIZZZNS0_21polygamma_kernel_cudaERNS_18TensorIteratorBaseElENKUlvE_clEvENKUlvE1_clEvEUlN3c104HalfEE_EEvS4_RKT_EUlibE_EEviT1_,comdat
.Lfunc_end108:
	.size	_ZN2at6native32elementwise_kernel_manual_unrollILi128ELi4EZNS0_15gpu_kernel_implIZZZNS0_21polygamma_kernel_cudaERNS_18TensorIteratorBaseElENKUlvE_clEvENKUlvE1_clEvEUlN3c104HalfEE_EEvS4_RKT_EUlibE_EEviT1_, .Lfunc_end108-_ZN2at6native32elementwise_kernel_manual_unrollILi128ELi4EZNS0_15gpu_kernel_implIZZZNS0_21polygamma_kernel_cudaERNS_18TensorIteratorBaseElENKUlvE_clEvENKUlvE1_clEvEUlN3c104HalfEE_EEvS4_RKT_EUlibE_EEviT1_
                                        ; -- End function
	.set _ZN2at6native32elementwise_kernel_manual_unrollILi128ELi4EZNS0_15gpu_kernel_implIZZZNS0_21polygamma_kernel_cudaERNS_18TensorIteratorBaseElENKUlvE_clEvENKUlvE1_clEvEUlN3c104HalfEE_EEvS4_RKT_EUlibE_EEviT1_.num_vgpr, max(28, .L_ZN2at6native6invokeIZZZNS0_21polygamma_kernel_cudaERNS_18TensorIteratorBaseElENKUlvE_clEvENKUlvE1_clEvEUlN3c104HalfEE_i15function_traitsIS8_EEENT1_11result_typeERKT_PrKPcPKT0_PKNS6_10ScalarTypeEi.num_vgpr)
	.set _ZN2at6native32elementwise_kernel_manual_unrollILi128ELi4EZNS0_15gpu_kernel_implIZZZNS0_21polygamma_kernel_cudaERNS_18TensorIteratorBaseElENKUlvE_clEvENKUlvE1_clEvEUlN3c104HalfEE_EEvS4_RKT_EUlibE_EEviT1_.num_agpr, max(0, .L_ZN2at6native6invokeIZZZNS0_21polygamma_kernel_cudaERNS_18TensorIteratorBaseElENKUlvE_clEvENKUlvE1_clEvEUlN3c104HalfEE_i15function_traitsIS8_EEENT1_11result_typeERKT_PrKPcPKT0_PKNS6_10ScalarTypeEi.num_agpr)
	.set _ZN2at6native32elementwise_kernel_manual_unrollILi128ELi4EZNS0_15gpu_kernel_implIZZZNS0_21polygamma_kernel_cudaERNS_18TensorIteratorBaseElENKUlvE_clEvENKUlvE1_clEvEUlN3c104HalfEE_EEvS4_RKT_EUlibE_EEviT1_.numbered_sgpr, max(69, .L_ZN2at6native6invokeIZZZNS0_21polygamma_kernel_cudaERNS_18TensorIteratorBaseElENKUlvE_clEvENKUlvE1_clEvEUlN3c104HalfEE_i15function_traitsIS8_EEENT1_11result_typeERKT_PrKPcPKT0_PKNS6_10ScalarTypeEi.numbered_sgpr)
	.set _ZN2at6native32elementwise_kernel_manual_unrollILi128ELi4EZNS0_15gpu_kernel_implIZZZNS0_21polygamma_kernel_cudaERNS_18TensorIteratorBaseElENKUlvE_clEvENKUlvE1_clEvEUlN3c104HalfEE_EEvS4_RKT_EUlibE_EEviT1_.num_named_barrier, max(0, .L_ZN2at6native6invokeIZZZNS0_21polygamma_kernel_cudaERNS_18TensorIteratorBaseElENKUlvE_clEvENKUlvE1_clEvEUlN3c104HalfEE_i15function_traitsIS8_EEENT1_11result_typeERKT_PrKPcPKT0_PKNS6_10ScalarTypeEi.num_named_barrier)
	.set _ZN2at6native32elementwise_kernel_manual_unrollILi128ELi4EZNS0_15gpu_kernel_implIZZZNS0_21polygamma_kernel_cudaERNS_18TensorIteratorBaseElENKUlvE_clEvENKUlvE1_clEvEUlN3c104HalfEE_EEvS4_RKT_EUlibE_EEviT1_.private_seg_size, 0+max(.L_ZN2at6native6invokeIZZZNS0_21polygamma_kernel_cudaERNS_18TensorIteratorBaseElENKUlvE_clEvENKUlvE1_clEvEUlN3c104HalfEE_i15function_traitsIS8_EEENT1_11result_typeERKT_PrKPcPKT0_PKNS6_10ScalarTypeEi.private_seg_size)
	.set _ZN2at6native32elementwise_kernel_manual_unrollILi128ELi4EZNS0_15gpu_kernel_implIZZZNS0_21polygamma_kernel_cudaERNS_18TensorIteratorBaseElENKUlvE_clEvENKUlvE1_clEvEUlN3c104HalfEE_EEvS4_RKT_EUlibE_EEviT1_.uses_vcc, or(1, .L_ZN2at6native6invokeIZZZNS0_21polygamma_kernel_cudaERNS_18TensorIteratorBaseElENKUlvE_clEvENKUlvE1_clEvEUlN3c104HalfEE_i15function_traitsIS8_EEENT1_11result_typeERKT_PrKPcPKT0_PKNS6_10ScalarTypeEi.uses_vcc)
	.set _ZN2at6native32elementwise_kernel_manual_unrollILi128ELi4EZNS0_15gpu_kernel_implIZZZNS0_21polygamma_kernel_cudaERNS_18TensorIteratorBaseElENKUlvE_clEvENKUlvE1_clEvEUlN3c104HalfEE_EEvS4_RKT_EUlibE_EEviT1_.uses_flat_scratch, or(0, .L_ZN2at6native6invokeIZZZNS0_21polygamma_kernel_cudaERNS_18TensorIteratorBaseElENKUlvE_clEvENKUlvE1_clEvEUlN3c104HalfEE_i15function_traitsIS8_EEENT1_11result_typeERKT_PrKPcPKT0_PKNS6_10ScalarTypeEi.uses_flat_scratch)
	.set _ZN2at6native32elementwise_kernel_manual_unrollILi128ELi4EZNS0_15gpu_kernel_implIZZZNS0_21polygamma_kernel_cudaERNS_18TensorIteratorBaseElENKUlvE_clEvENKUlvE1_clEvEUlN3c104HalfEE_EEvS4_RKT_EUlibE_EEviT1_.has_dyn_sized_stack, or(0, .L_ZN2at6native6invokeIZZZNS0_21polygamma_kernel_cudaERNS_18TensorIteratorBaseElENKUlvE_clEvENKUlvE1_clEvEUlN3c104HalfEE_i15function_traitsIS8_EEENT1_11result_typeERKT_PrKPcPKT0_PKNS6_10ScalarTypeEi.has_dyn_sized_stack)
	.set _ZN2at6native32elementwise_kernel_manual_unrollILi128ELi4EZNS0_15gpu_kernel_implIZZZNS0_21polygamma_kernel_cudaERNS_18TensorIteratorBaseElENKUlvE_clEvENKUlvE1_clEvEUlN3c104HalfEE_EEvS4_RKT_EUlibE_EEviT1_.has_recursion, or(0, .L_ZN2at6native6invokeIZZZNS0_21polygamma_kernel_cudaERNS_18TensorIteratorBaseElENKUlvE_clEvENKUlvE1_clEvEUlN3c104HalfEE_i15function_traitsIS8_EEENT1_11result_typeERKT_PrKPcPKT0_PKNS6_10ScalarTypeEi.has_recursion)
	.set _ZN2at6native32elementwise_kernel_manual_unrollILi128ELi4EZNS0_15gpu_kernel_implIZZZNS0_21polygamma_kernel_cudaERNS_18TensorIteratorBaseElENKUlvE_clEvENKUlvE1_clEvEUlN3c104HalfEE_EEvS4_RKT_EUlibE_EEviT1_.has_indirect_call, or(0, .L_ZN2at6native6invokeIZZZNS0_21polygamma_kernel_cudaERNS_18TensorIteratorBaseElENKUlvE_clEvENKUlvE1_clEvEUlN3c104HalfEE_i15function_traitsIS8_EEENT1_11result_typeERKT_PrKPcPKT0_PKNS6_10ScalarTypeEi.has_indirect_call)
	.section	.AMDGPU.csdata,"",@progbits
; Kernel info:
; codeLenInByte = 16488
; TotalNumSgprs: 73
; NumVgprs: 28
; ScratchSize: 0
; MemoryBound: 0
; FloatMode: 240
; IeeeMode: 1
; LDSByteSize: 0 bytes/workgroup (compile time only)
; SGPRBlocks: 9
; VGPRBlocks: 6
; NumSGPRsForWavesPerEU: 73
; NumVGPRsForWavesPerEU: 28
; Occupancy: 9
; WaveLimiterHint : 0
; COMPUTE_PGM_RSRC2:SCRATCH_EN: 0
; COMPUTE_PGM_RSRC2:USER_SGPR: 6
; COMPUTE_PGM_RSRC2:TRAP_HANDLER: 0
; COMPUTE_PGM_RSRC2:TGID_X_EN: 1
; COMPUTE_PGM_RSRC2:TGID_Y_EN: 0
; COMPUTE_PGM_RSRC2:TGID_Z_EN: 0
; COMPUTE_PGM_RSRC2:TIDIG_COMP_CNT: 0
	.text
	.p2align	2                               ; -- Begin function _ZN2at6native6invokeIZZZNS0_21polygamma_kernel_cudaERNS_18TensorIteratorBaseElENKUlvE_clEvENKUlvE1_clEvEUlN3c104HalfEE_j15function_traitsIS8_EEENT1_11result_typeERKT_PrKPcPKT0_PKNS6_10ScalarTypeEi
	.type	_ZN2at6native6invokeIZZZNS0_21polygamma_kernel_cudaERNS_18TensorIteratorBaseElENKUlvE_clEvENKUlvE1_clEvEUlN3c104HalfEE_j15function_traitsIS8_EEENT1_11result_typeERKT_PrKPcPKT0_PKNS6_10ScalarTypeEi,@function
_ZN2at6native6invokeIZZZNS0_21polygamma_kernel_cudaERNS_18TensorIteratorBaseElENKUlvE_clEvENKUlvE1_clEvEUlN3c104HalfEE_j15function_traitsIS8_EEENT1_11result_typeERKT_PrKPcPKT0_PKNS6_10ScalarTypeEi: ; @_ZN2at6native6invokeIZZZNS0_21polygamma_kernel_cudaERNS_18TensorIteratorBaseElENKUlvE_clEvENKUlvE1_clEvEUlN3c104HalfEE_j15function_traitsIS8_EEENT1_11result_typeERKT_PrKPcPKT0_PKNS6_10ScalarTypeEi
; %bb.0:
	s_waitcnt vmcnt(0) expcnt(0) lgkmcnt(0)
	v_add_co_u32_e32 v1, vcc, v2, v4
	v_addc_co_u32_e32 v2, vcc, 0, v3, vcc
	v_mov_b32_e32 v3, 10
	v_cmp_gt_i16_sdwa s[4:5], v5, v3 src0_sel:BYTE_0 src1_sel:DWORD
	s_mov_b64 s[6:7], 0
                                        ; implicit-def: $vgpr3
	s_and_saveexec_b64 s[8:9], s[4:5]
	s_xor_b64 s[4:5], exec, s[8:9]
	s_cbranch_execnz .LBB109_4
; %bb.1:
	s_andn2_saveexec_b64 s[4:5], s[4:5]
	s_cbranch_execnz .LBB109_10
.LBB109_2:
	s_or_b64 exec, exec, s[4:5]
                                        ; implicit-def: $vgpr1
	s_and_saveexec_b64 s[10:11], s[6:7]
	s_cbranch_execnz .LBB109_51
.LBB109_3:
	s_or_b64 exec, exec, s[10:11]
	v_mov_b32_e32 v0, v1
	s_waitcnt vmcnt(0) lgkmcnt(0)
	s_setpc_b64 s[30:31]
.LBB109_4:
	v_mov_b32_e32 v3, 25
	v_cmp_gt_i16_sdwa s[10:11], v5, v3 src0_sel:BYTE_0 src1_sel:DWORD
	s_mov_b64 s[12:13], 0
	s_mov_b64 s[8:9], 0
                                        ; implicit-def: $vgpr3
	s_and_saveexec_b64 s[14:15], s[10:11]
	s_xor_b64 s[10:11], exec, s[14:15]
	s_cbranch_execnz .LBB109_100
; %bb.5:
	s_andn2_saveexec_b64 s[10:11], s[10:11]
	s_cbranch_execnz .LBB109_131
.LBB109_6:
	s_or_b64 exec, exec, s[10:11]
	s_and_saveexec_b64 s[10:11], s[12:13]
	s_cbranch_execnz .LBB109_154
.LBB109_7:
	s_or_b64 exec, exec, s[10:11]
	s_and_saveexec_b64 s[10:11], s[6:7]
	s_xor_b64 s[6:7], exec, s[10:11]
	s_cbranch_execz .LBB109_9
.LBB109_8:
	flat_load_ubyte v1, v[1:2]
	v_mov_b32_e32 v2, 0x3c00
	s_or_b64 s[8:9], s[8:9], exec
	s_waitcnt vmcnt(0) lgkmcnt(0)
	v_cmp_ne_u16_e32 vcc, 0, v1
	v_cndmask_b32_e32 v3, 0, v2, vcc
.LBB109_9:
	s_or_b64 exec, exec, s[6:7]
	s_and_b64 s[6:7], s[8:9], exec
                                        ; implicit-def: $vgpr5
                                        ; implicit-def: $vgpr1_vgpr2
	s_andn2_saveexec_b64 s[4:5], s[4:5]
	s_cbranch_execz .LBB109_2
.LBB109_10:
	v_mov_b32_e32 v3, 4
	v_cmp_gt_i16_sdwa s[8:9], v5, v3 src0_sel:BYTE_0 src1_sel:DWORD
                                        ; implicit-def: $vgpr3
	s_and_saveexec_b64 s[10:11], s[8:9]
	s_xor_b64 s[8:9], exec, s[10:11]
	s_cbranch_execz .LBB109_32
; %bb.11:
	v_mov_b32_e32 v3, 7
	v_cmp_gt_i16_sdwa s[10:11], v5, v3 src0_sel:BYTE_0 src1_sel:DWORD
                                        ; implicit-def: $vgpr3
	s_and_saveexec_b64 s[12:13], s[10:11]
	s_xor_b64 s[10:11], exec, s[12:13]
	s_cbranch_execz .LBB109_21
; %bb.12:
	;; [unrolled: 7-line block ×4, first 2 shown]
	flat_load_dwordx2 v[1:2], v[1:2]
	s_movk_i32 s16, 0x1ff
	s_movk_i32 s17, 0xffe
	v_mov_b32_e32 v3, 0x7c00
	v_mov_b32_e32 v4, 0x7e00
	s_movk_i32 s18, 0x40f
	s_waitcnt vmcnt(0) lgkmcnt(0)
	v_and_or_b32 v1, v2, s16, v1
	v_cmp_ne_u32_e32 vcc, 0, v1
	v_lshrrev_b32_e32 v5, 8, v2
	v_bfe_u32 v6, v2, 20, 11
	v_cndmask_b32_e64 v1, 0, 1, vcc
	v_sub_u32_e32 v7, 0x3f1, v6
	v_and_or_b32 v1, v5, s17, v1
	v_add_u32_e32 v6, 0xfffffc10, v6
	v_med3_i32 v5, v7, 0, 13
	v_or_b32_e32 v7, 0x1000, v1
	v_cmp_ne_u32_e32 vcc, 0, v1
	v_lshl_or_b32 v8, v6, 12, v1
	v_cndmask_b32_e32 v1, v3, v4, vcc
	v_lshrrev_b32_e32 v4, v5, v7
	v_lshlrev_b32_e32 v5, v5, v4
	v_cmp_ne_u32_e32 vcc, v5, v7
	v_cndmask_b32_e64 v5, 0, 1, vcc
	v_or_b32_e32 v4, v4, v5
	v_cmp_gt_i32_e32 vcc, 1, v6
	v_cndmask_b32_e32 v4, v8, v4, vcc
	v_and_b32_e32 v5, 7, v4
	v_cmp_lt_i32_e32 vcc, 5, v5
	v_cndmask_b32_e64 v7, 0, 1, vcc
	v_cmp_eq_u32_e32 vcc, 3, v5
	v_cndmask_b32_e64 v5, 0, 1, vcc
	v_lshrrev_b32_e32 v4, 2, v4
	v_or_b32_e32 v5, v5, v7
	v_add_u32_e32 v4, v4, v5
	v_cmp_gt_i32_e32 vcc, 31, v6
	v_cndmask_b32_e32 v3, v3, v4, vcc
	v_cmp_eq_u32_e32 vcc, s18, v6
	v_lshrrev_b32_e32 v2, 16, v2
	v_cndmask_b32_e32 v1, v3, v1, vcc
	s_mov_b32 s16, 0x8000
	v_and_or_b32 v3, v2, s16, v1
                                        ; implicit-def: $vgpr1_vgpr2
.LBB109_15:
	s_andn2_saveexec_b64 s[14:15], s[14:15]
	s_cbranch_execz .LBB109_17
; %bb.16:
	flat_load_dword v1, v[1:2]
	s_waitcnt vmcnt(0) lgkmcnt(0)
	v_cvt_f16_f32_e32 v3, v1
.LBB109_17:
	s_or_b64 exec, exec, s[14:15]
                                        ; implicit-def: $vgpr1_vgpr2
.LBB109_18:
	s_andn2_saveexec_b64 s[12:13], s[12:13]
	s_cbranch_execz .LBB109_20
; %bb.19:
	flat_load_dword v3, v[1:2]
.LBB109_20:
	s_or_b64 exec, exec, s[12:13]
                                        ; implicit-def: $vgpr1_vgpr2
                                        ; implicit-def: $vgpr5
.LBB109_21:
	s_andn2_saveexec_b64 s[10:11], s[10:11]
	s_cbranch_execz .LBB109_31
; %bb.22:
	s_waitcnt vmcnt(0) lgkmcnt(0)
	v_mov_b32_e32 v3, 5
	v_cmp_gt_i16_sdwa s[12:13], v5, v3 src0_sel:BYTE_0 src1_sel:DWORD
                                        ; implicit-def: $vgpr3
	s_and_saveexec_b64 s[14:15], s[12:13]
	s_xor_b64 s[12:13], exec, s[14:15]
	s_cbranch_execz .LBB109_28
; %bb.23:
	v_mov_b32_e32 v3, 6
	v_cmp_gt_i16_sdwa s[14:15], v5, v3 src0_sel:BYTE_0 src1_sel:DWORD
                                        ; implicit-def: $vgpr3
	s_and_saveexec_b64 s[16:17], s[14:15]
	s_xor_b64 s[14:15], exec, s[16:17]
	s_cbranch_execz .LBB109_25
; %bb.24:
	flat_load_dwordx2 v[1:2], v[1:2]
	s_movk_i32 s16, 0x1ff
	s_movk_i32 s17, 0xffe
	v_mov_b32_e32 v3, 0x7c00
	v_mov_b32_e32 v4, 0x7e00
	s_movk_i32 s18, 0x40f
	s_waitcnt vmcnt(0) lgkmcnt(0)
	v_and_or_b32 v1, v2, s16, v1
	v_cmp_ne_u32_e32 vcc, 0, v1
	v_lshrrev_b32_e32 v5, 8, v2
	v_bfe_u32 v6, v2, 20, 11
	v_cndmask_b32_e64 v1, 0, 1, vcc
	v_sub_u32_e32 v7, 0x3f1, v6
	v_and_or_b32 v1, v5, s17, v1
	v_add_u32_e32 v6, 0xfffffc10, v6
	v_med3_i32 v5, v7, 0, 13
	v_or_b32_e32 v7, 0x1000, v1
	v_cmp_ne_u32_e32 vcc, 0, v1
	v_lshl_or_b32 v8, v6, 12, v1
	v_cndmask_b32_e32 v1, v3, v4, vcc
	v_lshrrev_b32_e32 v4, v5, v7
	v_lshlrev_b32_e32 v5, v5, v4
	v_cmp_ne_u32_e32 vcc, v5, v7
	v_cndmask_b32_e64 v5, 0, 1, vcc
	v_or_b32_e32 v4, v4, v5
	v_cmp_gt_i32_e32 vcc, 1, v6
	v_cndmask_b32_e32 v4, v8, v4, vcc
	v_and_b32_e32 v5, 7, v4
	v_cmp_lt_i32_e32 vcc, 5, v5
	v_cndmask_b32_e64 v7, 0, 1, vcc
	v_cmp_eq_u32_e32 vcc, 3, v5
	v_cndmask_b32_e64 v5, 0, 1, vcc
	v_lshrrev_b32_e32 v4, 2, v4
	v_or_b32_e32 v5, v5, v7
	v_add_u32_e32 v4, v4, v5
	v_cmp_gt_i32_e32 vcc, 31, v6
	v_cndmask_b32_e32 v3, v3, v4, vcc
	v_cmp_eq_u32_e32 vcc, s18, v6
	v_lshrrev_b32_e32 v2, 16, v2
	v_cndmask_b32_e32 v1, v3, v1, vcc
	s_mov_b32 s16, 0x8000
	v_and_or_b32 v3, v2, s16, v1
                                        ; implicit-def: $vgpr1_vgpr2
.LBB109_25:
	s_andn2_saveexec_b64 s[14:15], s[14:15]
	s_cbranch_execz .LBB109_27
; %bb.26:
	flat_load_dword v1, v[1:2]
	s_waitcnt vmcnt(0) lgkmcnt(0)
	v_cvt_f16_f32_e32 v3, v1
.LBB109_27:
	s_or_b64 exec, exec, s[14:15]
                                        ; implicit-def: $vgpr1_vgpr2
.LBB109_28:
	s_andn2_saveexec_b64 s[12:13], s[12:13]
	s_cbranch_execz .LBB109_30
; %bb.29:
	flat_load_ushort v3, v[1:2]
.LBB109_30:
	s_or_b64 exec, exec, s[12:13]
.LBB109_31:
	s_or_b64 exec, exec, s[10:11]
                                        ; implicit-def: $vgpr5
                                        ; implicit-def: $vgpr1_vgpr2
.LBB109_32:
	s_andn2_saveexec_b64 s[8:9], s[8:9]
	s_cbranch_execz .LBB109_50
; %bb.33:
	s_waitcnt vmcnt(0) lgkmcnt(0)
	v_mov_b32_e32 v3, 1
	v_cmp_gt_i16_sdwa s[10:11], v5, v3 src0_sel:BYTE_0 src1_sel:DWORD
                                        ; implicit-def: $vgpr3
	s_and_saveexec_b64 s[12:13], s[10:11]
	s_xor_b64 s[10:11], exec, s[12:13]
	s_cbranch_execz .LBB109_43
; %bb.34:
	v_mov_b32_e32 v3, 2
	v_cmp_gt_i16_sdwa s[12:13], v5, v3 src0_sel:BYTE_0 src1_sel:DWORD
                                        ; implicit-def: $vgpr3
	s_and_saveexec_b64 s[14:15], s[12:13]
	s_xor_b64 s[12:13], exec, s[14:15]
	s_cbranch_execz .LBB109_40
; %bb.35:
	;; [unrolled: 7-line block ×3, first 2 shown]
	flat_load_dwordx2 v[1:2], v[1:2]
	s_waitcnt vmcnt(0) lgkmcnt(0)
	v_xor_b32_e32 v4, v1, v2
	v_ffbh_i32_e32 v3, v2
	v_ashrrev_i32_e32 v4, 31, v4
	v_add_u32_e32 v3, -1, v3
	v_add_u32_e32 v4, 32, v4
	v_min_u32_e32 v3, v3, v4
	v_lshlrev_b64 v[1:2], v3, v[1:2]
	v_min_u32_e32 v1, 1, v1
	v_or_b32_e32 v1, v2, v1
	v_cvt_f32_i32_e32 v1, v1
	v_sub_u32_e32 v2, 32, v3
	v_ldexp_f32 v1, v1, v2
	v_cvt_f16_f32_e32 v3, v1
                                        ; implicit-def: $vgpr1_vgpr2
.LBB109_37:
	s_andn2_saveexec_b64 s[14:15], s[14:15]
	s_cbranch_execz .LBB109_39
; %bb.38:
	flat_load_dword v1, v[1:2]
	s_waitcnt vmcnt(0) lgkmcnt(0)
	v_cvt_f32_i32_e32 v1, v1
	v_cvt_f16_f32_e32 v3, v1
.LBB109_39:
	s_or_b64 exec, exec, s[14:15]
                                        ; implicit-def: $vgpr1_vgpr2
.LBB109_40:
	s_andn2_saveexec_b64 s[12:13], s[12:13]
	s_cbranch_execz .LBB109_42
; %bb.41:
	flat_load_ushort v1, v[1:2]
	s_waitcnt vmcnt(0) lgkmcnt(0)
	v_cvt_f16_i16_e32 v3, v1
.LBB109_42:
	s_or_b64 exec, exec, s[12:13]
                                        ; implicit-def: $vgpr1_vgpr2
                                        ; implicit-def: $vgpr5
.LBB109_43:
	s_andn2_saveexec_b64 s[10:11], s[10:11]
	s_cbranch_execz .LBB109_49
; %bb.44:
	v_mov_b32_e32 v3, 0
	v_cmp_gt_i16_sdwa s[12:13], v5, v3 src0_sel:BYTE_0 src1_sel:DWORD
                                        ; implicit-def: $vgpr3
	s_and_saveexec_b64 s[14:15], s[12:13]
	s_xor_b64 s[12:13], exec, s[14:15]
	s_cbranch_execz .LBB109_46
; %bb.45:
	flat_load_sbyte v1, v[1:2]
	s_waitcnt vmcnt(0) lgkmcnt(0)
	v_cvt_f16_i16_e32 v3, v1
                                        ; implicit-def: $vgpr1_vgpr2
.LBB109_46:
	s_andn2_saveexec_b64 s[12:13], s[12:13]
	s_cbranch_execz .LBB109_48
; %bb.47:
	flat_load_ubyte v1, v[1:2]
	s_waitcnt vmcnt(0) lgkmcnt(0)
	v_cvt_f16_u16_e32 v3, v1
.LBB109_48:
	s_or_b64 exec, exec, s[12:13]
.LBB109_49:
	s_or_b64 exec, exec, s[10:11]
.LBB109_50:
	s_or_b64 exec, exec, s[8:9]
	s_or_b64 s[6:7], s[6:7], exec
	s_or_b64 exec, exec, s[4:5]
                                        ; implicit-def: $vgpr1
	s_and_saveexec_b64 s[10:11], s[6:7]
	s_cbranch_execz .LBB109_3
.LBB109_51:
	v_cvt_f32_i32_e32 v1, v0
	s_mov_b32 s4, 0x3c800000
                                        ; implicit-def: $vgpr2
	v_cvt_f16_f32_e32 v1, v1
	v_add_f16_e32 v5, 1.0, v1
	v_cvt_f32_f16_e32 v1, v5
	v_and_b32_e32 v4, 0x7fffffff, v1
	v_cmp_nlt_f32_e64 s[4:5], |v1|, s4
	s_and_saveexec_b64 s[6:7], s[4:5]
	s_xor_b64 s[6:7], exec, s[6:7]
	s_cbranch_execz .LBB109_81
; %bb.52:
	v_cmp_nlt_f32_e64 s[4:5], |v1|, 2.0
                                        ; implicit-def: $vgpr2
	s_and_saveexec_b64 s[8:9], s[4:5]
	s_xor_b64 s[8:9], exec, s[8:9]
	s_cbranch_execz .LBB109_62
; %bb.53:
	s_mov_b32 s4, 0x41000000
	v_cmp_nlt_f32_e64 s[4:5], |v1|, s4
                                        ; implicit-def: $vgpr2
	s_and_saveexec_b64 s[12:13], s[4:5]
	s_xor_b64 s[12:13], exec, s[12:13]
	s_cbranch_execz .LBB109_59
; %bb.54:
	s_mov_b32 s4, 0x5c800000
	v_cmp_nlt_f32_e64 s[4:5], |v1|, s4
                                        ; implicit-def: $vgpr2
	s_and_saveexec_b64 s[14:15], s[4:5]
	s_xor_b64 s[14:15], exec, s[14:15]
	s_cbranch_execz .LBB109_56
; %bb.55:
	s_mov_b32 s4, 0x800000
	v_cmp_lt_f32_e64 vcc, |v1|, s4
	v_cndmask_b32_e64 v2, 0, 32, vcc
	v_ldexp_f32 v2, |v1|, v2
	v_log_f32_e32 v2, v2
	s_mov_b32 s4, 0x3f317217
	s_mov_b32 s5, 0x7f800000
	v_mul_f32_e32 v6, 0x3f317217, v2
	v_fma_f32 v7, v2, s4, -v6
	v_fmac_f32_e32 v7, 0x3377d1cf, v2
	v_add_f32_e32 v6, v6, v7
	v_cmp_lt_f32_e64 s[4:5], |v2|, s5
	v_cndmask_b32_e64 v2, v2, v6, s[4:5]
	v_mov_b32_e32 v6, 0x41b17218
	v_cndmask_b32_e32 v6, 0, v6, vcc
	v_sub_f32_e32 v2, v2, v6
	v_fma_f32 v2, |v1|, v2, -|v1|
.LBB109_56:
	s_andn2_saveexec_b64 s[14:15], s[14:15]
	s_cbranch_execz .LBB109_58
; %bb.57:
	v_rcp_f32_e64 v6, |v1|
	v_mov_b32_e32 v2, 0x3a5b3dd2
	v_mov_b32_e32 v7, 0xba1c065c
	v_mov_b32_e32 v8, 0x3a500cfd
	v_mul_f32_e32 v9, v6, v6
	v_fmac_f32_e32 v2, 0xbad5c4e8, v9
	v_fmac_f32_e32 v7, v9, v2
	s_mov_b32 s4, 0x800000
	v_fmac_f32_e32 v8, v9, v7
	v_mov_b32_e32 v2, 0xbb360b61
	v_cmp_lt_f32_e64 vcc, |v1|, s4
	v_fmac_f32_e32 v2, v9, v8
	v_cndmask_b32_e64 v8, 0, 32, vcc
	v_ldexp_f32 v8, |v1|, v8
	v_log_f32_e32 v8, v8
	v_mov_b32_e32 v7, 0x3daaaaab
	v_fmac_f32_e32 v7, v9, v2
	v_mov_b32_e32 v2, 0x3ed67f1d
	v_fmac_f32_e32 v2, v6, v7
	s_mov_b32 s4, 0x3f317217
	v_mul_f32_e32 v7, 0x3f317217, v8
	v_fma_f32 v9, v8, s4, -v7
	v_fmac_f32_e32 v9, 0x3377d1cf, v8
	s_mov_b32 s4, 0x7f800000
	v_add_f32_e32 v7, v7, v9
	v_cmp_lt_f32_e64 s[4:5], |v8|, s4
	v_cndmask_b32_e64 v7, v8, v7, s[4:5]
	v_mov_b32_e32 v8, 0x41b17218
	v_cndmask_b32_e32 v8, 0, v8, vcc
	v_sub_f32_e32 v7, v7, v8
	v_add_f32_e64 v6, |v1|, -0.5
	v_add_f32_e32 v7, -1.0, v7
	v_fmac_f32_e32 v2, v6, v7
.LBB109_58:
	s_or_b64 exec, exec, s[14:15]
.LBB109_59:
	s_andn2_saveexec_b64 s[12:13], s[12:13]
	s_cbranch_execz .LBB109_61
; %bb.60:
	v_cvt_i32_f32_e32 v2, v4
	v_mov_b32_e32 v6, 0x3af135b4
	v_mov_b32_e32 v7, 0x3cda40e4
	;; [unrolled: 1-line block ×3, first 2 shown]
	v_cvt_f32_i32_e32 v9, v2
	v_mov_b32_e32 v10, 0x3ea6cc7a
	v_mov_b32_e32 v11, 0x3e5c245a
	v_cmp_lt_i32_e32 vcc, 2, v2
	v_sub_f32_e64 v9, |v1|, v9
	v_fmac_f32_e32 v6, 0x3805ff67, v9
	v_fmac_f32_e32 v7, v9, v6
	;; [unrolled: 1-line block ×3, first 2 shown]
	v_mov_b32_e32 v7, 0x3a4beed6
	v_fmac_f32_e32 v10, v9, v8
	v_fmac_f32_e32 v7, 0x36f5d7bd, v9
	v_mov_b32_e32 v8, 0x3c98bf54
	v_fmac_f32_e32 v8, v9, v7
	v_mov_b32_e32 v7, 0x3e300f6e
	v_fmac_f32_e32 v7, v9, v8
	v_mov_b32_e32 v8, 0x3f38d0c5
	v_fmac_f32_e32 v8, v9, v7
	v_mov_b32_e32 v7, 0x3fb22d3b
	v_fmac_f32_e32 v7, v9, v8
	v_add_f32_e32 v8, 2.0, v9
	v_mov_b32_e32 v12, 0xbd9e233f
	v_fmac_f32_e32 v11, v9, v10
	v_add_f32_e32 v10, 0x40400000, v9
	v_cndmask_b32_e32 v8, 1.0, v8, vcc
	v_cmp_lt_i32_e32 vcc, 3, v2
	v_fmac_f32_e32 v12, v9, v11
	v_add_f32_e32 v11, 4.0, v9
	v_cndmask_b32_e32 v10, 1.0, v10, vcc
	v_cmp_lt_i32_e32 vcc, 4, v2
	v_mul_f32_e32 v6, v9, v12
	v_add_f32_e32 v12, 0x40a00000, v9
	v_mul_f32_e32 v8, v8, v10
	v_cndmask_b32_e32 v10, 1.0, v11, vcc
	v_cmp_lt_i32_e32 vcc, 5, v2
	v_add_f32_e32 v13, 0x40c00000, v9
	v_mul_f32_e32 v8, v10, v8
	v_cndmask_b32_e32 v10, 1.0, v12, vcc
	v_cmp_lt_i32_e32 vcc, 6, v2
	v_mul_f32_e32 v8, v10, v8
	v_cndmask_b32_e32 v2, 1.0, v13, vcc
	v_mul_f32_e32 v2, v2, v8
	s_mov_b32 s4, 0x800000
	v_cmp_gt_f32_e32 vcc, s4, v2
	v_cndmask_b32_e64 v8, 0, 32, vcc
	v_fma_f32 v7, v9, v7, 1.0
	v_ldexp_f32 v2, v2, v8
	v_rcp_f32_e32 v7, v7
	v_log_f32_e32 v2, v2
	s_mov_b32 s4, 0x3f317217
	v_mul_f32_e32 v6, v6, v7
	v_mul_f32_e32 v7, 0x3f317217, v2
	v_fma_f32 v8, v2, s4, -v7
	v_fmac_f32_e32 v8, 0x3377d1cf, v2
	s_mov_b32 s4, 0x7f800000
	v_add_f32_e32 v7, v7, v8
	v_cmp_lt_f32_e64 s[4:5], |v2|, s4
	v_cndmask_b32_e64 v2, v2, v7, s[4:5]
	v_mov_b32_e32 v7, 0x41b17218
	v_cndmask_b32_e32 v7, 0, v7, vcc
	v_fmac_f32_e32 v6, 0.5, v9
	v_sub_f32_e32 v2, v2, v7
	v_add_f32_e32 v2, v2, v6
.LBB109_61:
	s_or_b64 exec, exec, s[12:13]
.LBB109_62:
	s_andn2_saveexec_b64 s[8:9], s[8:9]
	s_cbranch_execz .LBB109_80
; %bb.63:
	s_mov_b32 s4, 0x3f666666
	v_cmp_le_f32_e64 s[4:5], |v1|, s4
                                        ; implicit-def: $vgpr2
                                        ; implicit-def: $vgpr7
                                        ; implicit-def: $vgpr6
	s_and_saveexec_b64 s[12:13], s[4:5]
	s_xor_b64 s[12:13], exec, s[12:13]
	s_cbranch_execz .LBB109_65
; %bb.64:
	s_mov_b32 s4, 0x800000
	v_cmp_lt_f32_e64 vcc, |v1|, s4
	v_cndmask_b32_e64 v2, 0, 32, vcc
	v_ldexp_f32 v2, |v1|, v2
	v_log_f32_e32 v2, v2
	s_mov_b32 s4, 0x3f317217
	s_mov_b32 s5, 0x7f800000
	v_mul_f32_e32 v6, 0x3f317217, v2
	v_fma_f32 v7, v2, s4, -v6
	v_fmac_f32_e32 v7, 0x3377d1cf, v2
	v_add_f32_e32 v6, v6, v7
	v_cmp_lt_f32_e64 s[4:5], |v2|, s5
	v_cndmask_b32_e64 v2, v2, v6, s[4:5]
	v_mov_b32_e32 v6, 0x41b17218
	v_cndmask_b32_e32 v6, 0, v6, vcc
	s_mov_b32 s4, 0x3f3b4a23
	s_mov_b32 s5, 0xbeec5b0c
	v_sub_f32_e32 v2, v2, v6
	v_sub_f32_e64 v6, 1.0, |v1|
	v_add_f32_e64 v7, |v1|, s5
	v_cmp_lt_f32_e64 vcc, |v1|, s4
	s_mov_b32 s4, 0x3e6d3309
	v_cndmask_b32_e32 v6, v6, v7, vcc
	v_cndmask_b32_e64 v7, 0, 1, vcc
	v_cmp_lt_f32_e64 s[4:5], |v1|, s4
	v_xor_b32_e32 v2, 0x80000000, v2
	v_cndmask_b32_e64 v6, v6, |v1|, s[4:5]
	v_cndmask_b32_e64 v7, v7, 2, s[4:5]
.LBB109_65:
	s_andn2_saveexec_b64 s[4:5], s[12:13]
	s_cbranch_execz .LBB109_67
; %bb.66:
	s_mov_b32 s12, 0x3fdda512
	s_mov_b32 s13, 0xbfbb16c3
	v_sub_f32_e64 v2, 2.0, |v1|
	v_add_f32_e64 v6, |v1|, s13
	v_cmp_lt_f32_e64 vcc, |v1|, s12
	v_cndmask_b32_e32 v6, v2, v6, vcc
	v_cndmask_b32_e64 v2, v2, 1.0, vcc
	v_cvt_i32_f32_e32 v2, v2
	s_mov_b32 s12, 0x3f9d70a4
	v_add_f32_e64 v7, |v1|, -1.0
	v_cmp_lt_f32_e64 vcc, |v1|, s12
	v_cndmask_b32_e32 v6, v6, v7, vcc
	v_cndmask_b32_e64 v7, v2, 2, vcc
	v_mov_b32_e32 v2, 0
.LBB109_67:
	s_or_b64 exec, exec, s[4:5]
	v_cmp_lt_i32_e32 vcc, 0, v7
	s_and_saveexec_b64 s[4:5], vcc
	s_xor_b64 s[4:5], exec, s[4:5]
	s_cbranch_execz .LBB109_75
; %bb.68:
	v_cmp_lt_i32_e32 vcc, 1, v7
	s_and_saveexec_b64 s[12:13], vcc
	s_xor_b64 s[12:13], exec, s[12:13]
	s_cbranch_execz .LBB109_72
; %bb.69:
	v_cmp_eq_u32_e32 vcc, 2, v7
	s_and_saveexec_b64 s[14:15], vcc
	s_cbranch_execz .LBB109_71
; %bb.70:
	v_mov_b32_e32 v7, 0x3e6a7578
	v_fmac_f32_e32 v7, 0x3c5b3c5e, v6
	v_mov_b32_e32 v8, 0x3f7a4bb2
	v_fmac_f32_e32 v8, v6, v7
	;; [unrolled: 2-line block ×8, first 2 shown]
	v_fma_f32 v7, v6, v9, 1.0
	v_rcp_f32_e32 v7, v7
	v_mov_b32_e32 v9, 0xbd9e233f
	v_fmac_f32_e32 v9, v6, v8
	v_mul_f32_e32 v8, v6, v9
	v_mul_f32_e32 v7, v8, v7
	v_fmac_f32_e32 v7, -0.5, v6
	v_add_f32_e32 v2, v2, v7
.LBB109_71:
	s_or_b64 exec, exec, s[14:15]
                                        ; implicit-def: $vgpr6
.LBB109_72:
	s_andn2_saveexec_b64 s[12:13], s[12:13]
	s_cbranch_execz .LBB109_74
; %bb.73:
	v_mul_f32_e32 v7, v6, v6
	v_mul_f32_e32 v8, v6, v7
	v_mov_b32_e32 v9, 0xbab7f476
	v_fmac_f32_e32 v9, 0x39a57b6b, v8
	v_mov_b32_e32 v10, 0x3bc7e707
	v_fmac_f32_e32 v10, v8, v9
	;; [unrolled: 2-line block ×12, first 2 shown]
	v_fmac_f32_e32 v11, v6, v12
	s_mov_b32 s14, 0xa2863e55
	v_fma_f32 v6, v8, -v11, s14
	v_fma_f32 v6, v7, v10, -v6
	v_add_f32_e32 v6, 0xbdf8cdce, v6
	v_add_f32_e32 v2, v2, v6
.LBB109_74:
	s_or_b64 exec, exec, s[12:13]
                                        ; implicit-def: $vgpr7
                                        ; implicit-def: $vgpr6
.LBB109_75:
	s_andn2_saveexec_b64 s[4:5], s[4:5]
	s_cbranch_execz .LBB109_79
; %bb.76:
	v_cmp_eq_u32_e32 vcc, 0, v7
	s_and_saveexec_b64 s[12:13], vcc
	s_cbranch_execz .LBB109_78
; %bb.77:
	v_mul_f32_e32 v7, v6, v6
	v_mov_b32_e32 v8, 0x39679767
	v_fmac_f32_e32 v8, 0x37d383a2, v7
	v_mov_b32_e32 v9, 0x3a9c54a1
	v_fmac_f32_e32 v9, v7, v8
	;; [unrolled: 2-line block ×10, first 2 shown]
	v_mul_f32_e32 v7, v7, v9
	v_fmac_f32_e32 v7, v6, v8
	v_fmac_f32_e32 v7, -0.5, v6
	v_add_f32_e32 v2, v2, v7
.LBB109_78:
	s_or_b64 exec, exec, s[12:13]
.LBB109_79:
	s_or_b64 exec, exec, s[4:5]
.LBB109_80:
	s_or_b64 exec, exec, s[8:9]
.LBB109_81:
	s_andn2_saveexec_b64 s[6:7], s[6:7]
	s_cbranch_execz .LBB109_83
; %bb.82:
	s_mov_b32 s4, 0x3e8a8991
	v_mov_b32_e32 v2, 0xbecd26ab
	v_fma_f32 v2, |v1|, s4, v2
	s_mov_b32 s4, 0x3f528d33
	v_fma_f32 v2, |v1|, v2, s4
	s_mov_b32 s4, 0x800000
	v_cmp_lt_f32_e64 vcc, |v1|, s4
	v_cndmask_b32_e64 v6, 0, 32, vcc
	v_ldexp_f32 v6, |v1|, v6
	v_log_f32_e32 v6, v6
	s_mov_b32 s4, 0xbf13c468
	v_fma_f32 v2, |v1|, v2, s4
	s_mov_b32 s4, 0x3f317217
	v_mul_f32_e32 v7, 0x3f317217, v6
	v_fma_f32 v8, v6, s4, -v7
	v_fmac_f32_e32 v8, 0x3377d1cf, v6
	s_mov_b32 s4, 0x7f800000
	v_add_f32_e32 v7, v7, v8
	v_cmp_lt_f32_e64 s[4:5], |v6|, s4
	v_cndmask_b32_e64 v6, v6, v7, s[4:5]
	v_mov_b32_e32 v7, 0x41b17218
	v_cndmask_b32_e32 v7, 0, v7, vcc
	v_sub_f32_e32 v6, v6, v7
	v_fma_f32 v2, |v1|, v2, -v6
.LBB109_83:
	s_or_b64 exec, exec, s[6:7]
	v_cmp_le_f16_e64 s[4:5], 0, v5
	v_cmp_nle_f16_e32 vcc, 0, v5
	s_and_saveexec_b64 s[6:7], vcc
	s_xor_b64 s[8:9], exec, s[6:7]
	s_cbranch_execz .LBB109_87
; %bb.84:
	s_mov_b32 s6, 0x4b000000
	s_mov_b32 s12, 0x35000000
	v_cmp_lt_f32_e64 s[6:7], |v1|, s6
	v_cmp_gt_f32_e64 s[12:13], |v1|, s12
	s_and_b64 s[6:7], s[6:7], s[12:13]
	s_and_saveexec_b64 s[12:13], s[6:7]
	s_cbranch_execz .LBB109_86
; %bb.85:
	v_mul_f32_e64 v5, |v1|, 0.5
	v_fract_f32_e32 v6, v5
	s_mov_b32 s14, 0x7f800000
	v_add_f32_e32 v6, v6, v6
	v_cmp_neq_f32_e32 vcc, s14, v5
	v_cndmask_b32_e32 v5, 0, v6, vcc
	v_cmp_gt_f32_e64 s[6:7], |v1|, 1.0
	v_cndmask_b32_e64 v5, |v1|, v5, s[6:7]
	v_add_f32_e32 v6, v5, v5
	v_rndne_f32_e32 v6, v6
	v_fmac_f32_e32 v5, -0.5, v6
	v_mul_f32_e32 v7, v5, v5
	v_mov_b32_e32 v8, 0xbf1f24be
	v_fmac_f32_e32 v8, 0x3e75aa41, v7
	v_mov_b32_e32 v9, 0x40234736
	v_fmac_f32_e32 v9, v7, v8
	;; [unrolled: 2-line block ×3, first 2 shown]
	v_mul_f32_e32 v9, v5, v7
	v_mul_f32_e32 v8, v9, v8
	v_fmac_f32_e32 v8, 0x40490fdb, v5
	v_mov_b32_e32 v5, 0x3e642e9d
	v_cvt_i32_f32_e32 v6, v6
	v_fmac_f32_e32 v5, 0x3d4be544, v7
	v_mov_b32_e32 v9, 0xbfaad1da
	v_fmac_f32_e32 v9, v7, v5
	v_mov_b32_e32 v5, 0x4081e0d3
	v_fmac_f32_e32 v5, v7, v9
	v_mov_b32_e32 v9, 0xc09de9e6
	v_fmac_f32_e32 v9, v7, v5
	v_fma_f32 v5, v7, v9, 1.0
	v_and_b32_e32 v7, 1, v6
	v_lshlrev_b32_e32 v6, 30, v6
	v_cmp_eq_u32_e32 vcc, 0, v7
	v_and_b32_e32 v6, 0x80000000, v6
	v_xor_b32_e32 v4, v4, v1
	v_cndmask_b32_e32 v5, v5, v8, vcc
	v_xor_b32_e32 v4, v4, v6
	v_xor_b32_e32 v4, v4, v5
	v_mul_f32_e32 v4, v1, v4
	v_frexp_mant_f32_e64 v5, |v4|
	v_rcp_f32_e32 v5, v5
	v_frexp_exp_i32_f32_e32 v4, v4
	v_sub_u32_e32 v4, 2, v4
	s_mov_b32 s6, 0x800000
	v_mul_f32_e32 v5, 0x3f490fdb, v5
	v_ldexp_f32 v4, v5, v4
	v_cmp_gt_f32_e32 vcc, s6, v4
	v_cndmask_b32_e64 v5, 0, 32, vcc
	v_ldexp_f32 v4, v4, v5
	v_log_f32_e32 v4, v4
	s_mov_b32 s6, 0x3f317217
	v_mul_f32_e32 v5, 0x3f317217, v4
	v_fma_f32 v6, v4, s6, -v5
	v_fmac_f32_e32 v6, 0x3377d1cf, v4
	v_add_f32_e32 v5, v5, v6
	v_cmp_lt_f32_e64 s[6:7], |v4|, s14
	v_cndmask_b32_e64 v4, v4, v5, s[6:7]
	v_mov_b32_e32 v5, 0x41b17218
	v_cndmask_b32_e32 v5, 0, v5, vcc
	v_sub_f32_e32 v4, v4, v5
	v_sub_f32_e32 v2, v4, v2
	v_fract_f32_e32 v4, v1
	v_mov_b32_e32 v5, 0x7f800000
	v_cmp_neq_f32_e32 vcc, 0, v4
	v_cndmask_b32_e32 v2, v5, v2, vcc
.LBB109_86:
	s_or_b64 exec, exec, s[12:13]
                                        ; implicit-def: $vgpr5
.LBB109_87:
	s_andn2_saveexec_b64 s[8:9], s[8:9]
; %bb.88:
	v_cmp_eq_f16_e32 vcc, 1.0, v5
	v_cmp_eq_f16_e64 s[6:7], 2.0, v5
	s_or_b64 s[6:7], vcc, s[6:7]
	v_cndmask_b32_e64 v2, v2, 0, s[6:7]
; %bb.89:
	s_or_b64 exec, exec, s[8:9]
	v_add_u32_e32 v4, 1, v0
	v_cvt_f32_i32_e32 v4, v4
	v_mov_b32_e32 v7, 0x7c00
	v_cvt_f16_f32_e32 v6, v4
	v_cmp_neq_f16_e32 vcc, 1.0, v6
	s_and_saveexec_b64 s[12:13], vcc
	s_cbranch_execz .LBB109_176
; %bb.90:
	v_cmp_lt_i32_e32 vcc, -1, v0
	v_mov_b32_e32 v7, 0x7e00
	s_and_saveexec_b64 s[14:15], vcc
	s_cbranch_execz .LBB109_175
; %bb.91:
	v_cvt_f32_f16_e32 v4, v6
	s_waitcnt vmcnt(0) lgkmcnt(0)
	v_cvt_f32_f16_e32 v5, v3
	v_cmp_ge_f16_e32 vcc, 0, v3
	s_mov_b64 s[8:9], -1
                                        ; implicit-def: $vgpr7
	s_and_saveexec_b64 s[6:7], vcc
	s_cbranch_execz .LBB109_95
; %bb.92:
	v_floor_f32_e32 v7, v5
	v_cmp_neq_f32_e32 vcc, v7, v5
	s_mov_b64 s[8:9], 0
	v_mov_b32_e32 v7, 0x7c00
	s_and_saveexec_b64 s[16:17], vcc
; %bb.93:
	v_floor_f32_e32 v7, v4
	v_cmp_eq_f32_e32 vcc, v7, v4
	v_mov_b32_e32 v7, 0x7e00
	s_and_b64 s[8:9], vcc, exec
; %bb.94:
	s_or_b64 exec, exec, s[16:17]
	s_orn2_b64 s[8:9], s[8:9], exec
.LBB109_95:
	s_or_b64 exec, exec, s[6:7]
	s_and_saveexec_b64 s[16:17], s[8:9]
	s_cbranch_execz .LBB109_174
; %bb.96:
	v_cvt_f32_f16_e64 v6, -v6
	v_frexp_mant_f32_e64 v7, |v5|
	s_mov_b32 s26, 0x3f2aaaab
	v_cmp_neq_f16_e32 vcc, 1.0, v3
	v_cndmask_b32_e32 v11, 1.0, v6, vcc
	v_cmp_gt_f32_e32 vcc, s26, v7
	v_cndmask_b32_e64 v8, 1.0, 2.0, vcc
	v_mul_f32_e32 v7, v7, v8
	v_add_f32_e32 v8, 1.0, v7
	v_rcp_f32_e32 v9, v8
	v_add_f32_e32 v10, -1.0, v7
	v_add_f32_e32 v12, -1.0, v8
	v_sub_f32_e32 v7, v7, v12
	v_mul_f32_e32 v12, v10, v9
	v_mul_f32_e32 v13, v8, v12
	v_fma_f32 v8, v12, v8, -v13
	v_fmac_f32_e32 v8, v12, v7
	v_add_f32_e32 v7, v13, v8
	v_sub_f32_e32 v14, v10, v7
	v_sub_f32_e32 v13, v7, v13
	;; [unrolled: 1-line block ×5, first 2 shown]
	v_add_f32_e32 v7, v8, v7
	v_add_f32_e32 v7, v14, v7
	v_mul_f32_e32 v7, v9, v7
	v_add_f32_e32 v10, v12, v7
	v_sub_f32_e32 v8, v10, v12
	v_sub_f32_e32 v12, v7, v8
	v_mul_f32_e32 v8, v10, v10
	v_fma_f32 v9, v10, v10, -v8
	v_add_f32_e32 v7, v12, v12
	v_fmac_f32_e32 v9, v10, v7
	v_add_f32_e32 v13, v8, v9
	v_sub_f32_e32 v8, v13, v8
	v_sub_f32_e32 v8, v9, v8
	v_mul_f32_e32 v9, v10, v13
	v_fma_f32 v15, v13, v10, -v9
	v_fmac_f32_e32 v15, v13, v12
	v_mov_b32_e32 v14, 0x3e91f4c4
	v_fmac_f32_e32 v15, v8, v10
	v_fmac_f32_e32 v14, 0x3e76c4e1, v13
	v_mov_b32_e32 v7, 0x3ecccdef
	v_add_f32_e32 v16, v9, v15
	v_fma_f32 v14, v13, v14, v7
	v_sub_f32_e32 v9, v16, v9
	v_sub_f32_e32 v15, v15, v9
	v_mul_f32_e32 v9, v13, v14
	v_fma_f32 v13, v13, v14, -v9
	v_fmac_f32_e32 v13, v8, v14
	v_add_f32_e32 v14, v9, v13
	v_sub_f32_e32 v8, v14, v9
	v_sub_f32_e32 v8, v13, v8
	v_add_f32_e32 v13, 0x31739010, v8
	v_cvt_f64_f32_e64 v[8:9], |v5|
	v_add_f32_e32 v17, 0x3f2aaaaa, v14
	v_add_f32_e32 v18, 0xbf2aaaaa, v17
	v_sub_f32_e32 v14, v14, v18
	v_frexp_exp_i32_f64_e32 v8, v[8:9]
	v_add_f32_e32 v13, v13, v14
	v_add_f32_e32 v9, v17, v13
	v_sub_f32_e32 v14, v17, v9
	v_add_f32_e32 v13, v13, v14
	v_mul_f32_e32 v14, v16, v9
	v_fma_f32 v17, v16, v9, -v14
	v_fmac_f32_e32 v17, v16, v13
	v_subbrev_co_u32_e32 v8, vcc, 0, v8, vcc
	v_cvt_f32_i32_e32 v8, v8
	v_fmac_f32_e32 v17, v15, v9
	s_mov_b32 s27, 0x3f317218
	v_ldexp_f32 v10, v10, 1
	v_mul_f32_e32 v9, 0x3f317218, v8
	v_fma_f32 v13, v8, s27, -v9
	v_fmac_f32_e32 v13, 0xb102e308, v8
	v_ldexp_f32 v8, v12, 1
	v_add_f32_e32 v12, v9, v13
	v_sub_f32_e32 v9, v12, v9
	v_sub_f32_e32 v9, v13, v9
	v_add_f32_e32 v13, v14, v17
	v_sub_f32_e32 v14, v13, v14
	v_add_f32_e32 v15, v10, v13
	v_sub_f32_e32 v14, v17, v14
	v_sub_f32_e32 v10, v15, v10
	;; [unrolled: 1-line block ×3, first 2 shown]
	v_add_f32_e32 v8, v8, v14
	v_add_f32_e32 v8, v8, v10
	;; [unrolled: 1-line block ×3, first 2 shown]
	v_sub_f32_e32 v13, v10, v15
	v_sub_f32_e32 v8, v8, v13
	v_add_f32_e32 v13, v12, v10
	v_sub_f32_e32 v14, v13, v12
	v_sub_f32_e32 v15, v13, v14
	;; [unrolled: 1-line block ×4, first 2 shown]
	v_add_f32_e32 v10, v10, v12
	v_add_f32_e32 v12, v9, v8
	v_sub_f32_e32 v14, v12, v9
	v_sub_f32_e32 v15, v12, v14
	;; [unrolled: 1-line block ×4, first 2 shown]
	v_add_f32_e32 v8, v8, v9
	v_add_f32_e32 v9, v12, v10
	v_add_f32_e32 v10, v13, v9
	v_sub_f32_e32 v12, v10, v13
	v_sub_f32_e32 v9, v9, v12
	v_add_f32_e32 v8, v8, v9
	v_add_f32_e32 v9, v10, v8
	v_sub_f32_e32 v10, v9, v10
	v_sub_f32_e32 v8, v8, v10
	v_mul_f32_e32 v10, v11, v9
	v_fma_f32 v9, v11, v9, -v10
	v_fmac_f32_e32 v9, v11, v8
	s_movk_i32 s29, 0x204
	v_add_f32_e32 v8, v10, v9
	v_cmp_class_f32_e64 vcc, v10, s29
	v_sub_f32_e32 v12, v8, v10
	v_cndmask_b32_e32 v10, v8, v10, vcc
	s_mov_b32 s41, 0x42b17218
	v_mov_b32_e32 v8, 0x37000000
	v_cmp_eq_f32_e32 vcc, s41, v10
	v_sub_f32_e32 v9, v9, v12
	v_cndmask_b32_e32 v12, 0, v8, vcc
	v_sub_f32_e32 v13, v10, v12
	s_mov_b32 s42, 0x3fb8aa3b
	v_mul_f32_e32 v14, 0x3fb8aa3b, v13
	v_fma_f32 v15, v13, s42, -v14
	v_rndne_f32_e32 v16, v14
	v_fmac_f32_e32 v15, 0x32a5705f, v13
	v_sub_f32_e32 v14, v14, v16
	v_add_f32_e32 v14, v14, v15
	v_exp_f32_e32 v14, v14
	v_cvt_i32_f32_e32 v15, v16
	s_mov_b32 s40, 0x7f800000
	v_cmp_neq_f32_e64 vcc, |v10|, s40
	v_cndmask_b32_e32 v9, 0, v9, vcc
	s_mov_b32 s43, 0xc2ce8ed0
	v_add_f32_e32 v10, v12, v9
	v_ldexp_f32 v9, v14, v15
	v_cmp_ngt_f32_e32 vcc, s43, v13
	v_cndmask_b32_e32 v12, 0, v9, vcc
	v_mov_b32_e32 v9, 0x7f800000
	v_cmp_nlt_f32_e32 vcc, s41, v13
	v_cndmask_b32_e32 v12, v9, v12, vcc
	v_fma_f32 v10, v12, v10, v12
	v_cmp_class_f32_e64 vcc, v12, s29
	v_trunc_f32_e32 v13, v11
	v_cndmask_b32_e32 v12, v10, v12, vcc
	v_cmp_eq_f32_e32 vcc, v13, v11
	v_mul_f32_e32 v13, 0.5, v11
	v_trunc_f32_e32 v14, v13
	v_cmp_neq_f32_e64 s[6:7], v14, v13
	s_and_b64 s[6:7], vcc, s[6:7]
	v_cndmask_b32_e64 v13, 1.0, v5, s[6:7]
	s_brev_b32 s44, -2
	v_mov_b32_e32 v10, 0x7fc00000
	v_bfi_b32 v12, s44, v12, v13
	v_cmp_neq_f32_e64 s[8:9], v11, |v11|
	v_cmp_lt_f32_e64 s[18:19], |v5|, 1.0
	v_cndmask_b32_e32 v13, v10, v12, vcc
	v_cmp_gt_f16_e32 vcc, 0, v3
	s_xor_b64 s[8:9], s[18:19], s[8:9]
	v_cndmask_b32_e32 v12, v12, v13, vcc
	v_cndmask_b32_e64 v13, v9, 0, s[8:9]
	v_cmp_neq_f32_e64 vcc, |v5|, 1.0
	v_cndmask_b32_e32 v13, 1.0, v13, vcc
	v_cmp_class_f32_e64 vcc, v11, s29
	v_cndmask_b32_e32 v12, v12, v13, vcc
	v_cmp_eq_f16_e32 vcc, 0, v3
	v_cmp_gt_f32_e64 s[8:9], 0, v11
	s_xor_b64 s[8:9], vcc, s[8:9]
	v_cmp_class_f32_e64 s[18:19], v5, s29
	v_cndmask_b32_e64 v11, v9, 0, s[8:9]
	v_cndmask_b32_e64 v13, 0, v5, s[6:7]
	v_bfi_b32 v11, s44, v11, v13
	s_or_b64 vcc, vcc, s[18:19]
	v_cndmask_b32_e32 v11, v12, v11, vcc
	v_cmp_o_f16_e32 vcc, v3, v3
	s_mov_b32 s28, 0
	v_cndmask_b32_e32 v3, v10, v11, vcc
	s_mov_b64 s[18:19], 0
	s_mov_b32 s45, 0x41100000
                                        ; implicit-def: $sgpr20_sgpr21
                                        ; implicit-def: $sgpr24_sgpr25
                                        ; implicit-def: $sgpr22_sgpr23
	s_branch .LBB109_98
.LBB109_97:                             ;   in Loop: Header=BB109_98 Depth=1
	s_or_b64 exec, exec, s[6:7]
	s_and_b64 s[6:7], exec, s[24:25]
	s_or_b64 s[18:19], s[6:7], s[18:19]
	s_andn2_b64 s[6:7], s[20:21], exec
	s_and_b64 s[8:9], s[22:23], exec
	s_or_b64 s[20:21], s[6:7], s[8:9]
	s_andn2_b64 exec, exec, s[18:19]
	s_cbranch_execz .LBB109_155
.LBB109_98:                             ; =>This Inner Loop Header: Depth=1
	v_add_f32_e32 v5, 1.0, v5
	v_cmp_neq_f32_e32 vcc, 1.0, v5
	v_frexp_mant_f32_e64 v12, |v5|
	v_cndmask_b32_e32 v11, 1.0, v6, vcc
	v_cmp_gt_f32_e32 vcc, s26, v12
	v_cndmask_b32_e64 v13, 1.0, 2.0, vcc
	v_mul_f32_e32 v12, v12, v13
	v_add_f32_e32 v13, 1.0, v12
	v_rcp_f32_e32 v14, v13
	v_add_f32_e32 v15, -1.0, v12
	v_add_f32_e32 v16, -1.0, v13
	v_sub_f32_e32 v12, v12, v16
	v_mul_f32_e32 v16, v15, v14
	v_mul_f32_e32 v17, v13, v16
	v_fma_f32 v13, v16, v13, -v17
	v_fmac_f32_e32 v13, v16, v12
	v_add_f32_e32 v12, v17, v13
	v_sub_f32_e32 v18, v15, v12
	v_sub_f32_e32 v17, v12, v17
	;; [unrolled: 1-line block ×5, first 2 shown]
	v_add_f32_e32 v12, v13, v12
	v_add_f32_e32 v12, v18, v12
	v_mul_f32_e32 v12, v14, v12
	v_add_f32_e32 v14, v16, v12
	v_sub_f32_e32 v13, v14, v16
	v_sub_f32_e32 v15, v12, v13
	v_mul_f32_e32 v12, v14, v14
	v_fma_f32 v13, v14, v14, -v12
	v_add_f32_e32 v16, v15, v15
	v_fmac_f32_e32 v13, v14, v16
	v_add_f32_e32 v16, v12, v13
	v_sub_f32_e32 v12, v16, v12
	v_sub_f32_e32 v12, v13, v12
	v_mul_f32_e32 v13, v14, v16
	v_fma_f32 v18, v16, v14, -v13
	v_fmac_f32_e32 v18, v16, v15
	v_mov_b32_e32 v17, 0x3e91f4c4
	v_fmac_f32_e32 v18, v12, v14
	v_fmac_f32_e32 v17, 0x3e76c4e1, v16
	v_add_f32_e32 v19, v13, v18
	v_fma_f32 v17, v16, v17, v7
	v_sub_f32_e32 v13, v19, v13
	v_sub_f32_e32 v18, v18, v13
	v_mul_f32_e32 v13, v16, v17
	v_fma_f32 v16, v16, v17, -v13
	v_fmac_f32_e32 v16, v12, v17
	v_add_f32_e32 v17, v13, v16
	v_sub_f32_e32 v21, v17, v13
	v_cvt_f64_f32_e64 v[12:13], |v5|
	v_add_f32_e32 v20, 0x3f2aaaaa, v17
	v_sub_f32_e32 v16, v16, v21
	v_add_f32_e32 v21, 0xbf2aaaaa, v20
	v_frexp_exp_i32_f64_e32 v12, v[12:13]
	v_add_f32_e32 v16, 0x31739010, v16
	v_sub_f32_e32 v13, v17, v21
	v_add_f32_e32 v13, v16, v13
	v_add_f32_e32 v16, v20, v13
	v_sub_f32_e32 v17, v20, v16
	v_add_f32_e32 v13, v13, v17
	v_mul_f32_e32 v17, v19, v16
	v_subbrev_co_u32_e32 v12, vcc, 0, v12, vcc
	v_cvt_f32_i32_e32 v12, v12
	v_fma_f32 v20, v19, v16, -v17
	v_fmac_f32_e32 v20, v19, v13
	v_fmac_f32_e32 v20, v18, v16
	v_mul_f32_e32 v13, 0x3f317218, v12
	v_fma_f32 v16, v12, s27, -v13
	v_fmac_f32_e32 v16, 0xb102e308, v12
	v_ldexp_f32 v12, v15, 1
	v_add_f32_e32 v15, v13, v16
	v_sub_f32_e32 v13, v15, v13
	v_ldexp_f32 v14, v14, 1
	v_sub_f32_e32 v13, v16, v13
	v_add_f32_e32 v16, v17, v20
	v_sub_f32_e32 v17, v16, v17
	v_add_f32_e32 v18, v14, v16
	v_sub_f32_e32 v17, v20, v17
	v_sub_f32_e32 v14, v18, v14
	;; [unrolled: 1-line block ×3, first 2 shown]
	v_add_f32_e32 v12, v12, v17
	v_add_f32_e32 v12, v12, v14
	;; [unrolled: 1-line block ×3, first 2 shown]
	v_sub_f32_e32 v16, v14, v18
	v_sub_f32_e32 v12, v12, v16
	v_add_f32_e32 v16, v15, v14
	v_sub_f32_e32 v17, v16, v15
	v_sub_f32_e32 v18, v16, v17
	v_sub_f32_e32 v15, v15, v18
	v_sub_f32_e32 v14, v14, v17
	v_add_f32_e32 v14, v14, v15
	v_add_f32_e32 v15, v13, v12
	v_sub_f32_e32 v17, v15, v13
	v_sub_f32_e32 v18, v15, v17
	;; [unrolled: 1-line block ×4, first 2 shown]
	v_add_f32_e32 v12, v12, v13
	v_add_f32_e32 v13, v15, v14
	;; [unrolled: 1-line block ×3, first 2 shown]
	v_sub_f32_e32 v15, v14, v16
	v_sub_f32_e32 v13, v13, v15
	v_add_f32_e32 v12, v12, v13
	v_add_f32_e32 v13, v14, v12
	v_sub_f32_e32 v14, v13, v14
	v_sub_f32_e32 v12, v12, v14
	v_mul_f32_e32 v14, v11, v13
	v_fma_f32 v13, v11, v13, -v14
	v_fmac_f32_e32 v13, v11, v12
	v_add_f32_e32 v12, v14, v13
	v_cmp_class_f32_e64 vcc, v14, s29
	v_sub_f32_e32 v15, v12, v14
	v_cndmask_b32_e32 v12, v12, v14, vcc
	v_cmp_eq_f32_e32 vcc, s41, v12
	v_cndmask_b32_e32 v14, 0, v8, vcc
	v_sub_f32_e32 v13, v13, v15
	v_sub_f32_e32 v15, v12, v14
	v_mul_f32_e32 v16, 0x3fb8aa3b, v15
	v_fma_f32 v17, v15, s42, -v16
	v_rndne_f32_e32 v18, v16
	v_fmac_f32_e32 v17, 0x32a5705f, v15
	v_sub_f32_e32 v16, v16, v18
	v_add_f32_e32 v16, v16, v17
	v_exp_f32_e32 v16, v16
	v_cvt_i32_f32_e32 v17, v18
	v_cmp_neq_f32_e64 vcc, |v12|, s40
	v_cndmask_b32_e32 v12, 0, v13, vcc
	v_cmp_ngt_f32_e32 vcc, s43, v15
	v_ldexp_f32 v13, v16, v17
	v_cndmask_b32_e32 v13, 0, v13, vcc
	v_cmp_nlt_f32_e32 vcc, s41, v15
	v_add_f32_e32 v12, v14, v12
	v_cndmask_b32_e32 v13, v9, v13, vcc
	v_fma_f32 v12, v13, v12, v13
	v_cmp_class_f32_e64 vcc, v13, s29
	v_cndmask_b32_e32 v12, v12, v13, vcc
	v_trunc_f32_e32 v13, v11
	v_cmp_eq_f32_e32 vcc, v13, v11
	v_mul_f32_e32 v13, 0.5, v11
	v_trunc_f32_e32 v14, v13
	v_cmp_neq_f32_e64 s[6:7], v14, v13
	s_and_b64 s[6:7], vcc, s[6:7]
	v_cndmask_b32_e64 v13, 1.0, v5, s[6:7]
	v_bfi_b32 v12, s44, v12, v13
	v_cmp_neq_f32_e64 s[8:9], v11, |v11|
	v_cmp_lt_f32_e64 s[46:47], |v5|, 1.0
	v_cndmask_b32_e32 v13, v10, v12, vcc
	v_cmp_gt_f32_e32 vcc, 0, v5
	s_xor_b64 s[8:9], s[46:47], s[8:9]
	v_cndmask_b32_e32 v12, v12, v13, vcc
	v_cndmask_b32_e64 v13, v9, 0, s[8:9]
	v_cmp_neq_f32_e64 vcc, |v5|, 1.0
	v_cndmask_b32_e32 v13, 1.0, v13, vcc
	v_cmp_class_f32_e64 vcc, v11, s29
	v_cndmask_b32_e32 v12, v12, v13, vcc
	v_cmp_eq_f32_e32 vcc, 0, v5
	v_cmp_gt_f32_e64 s[8:9], 0, v11
	s_xor_b64 s[8:9], vcc, s[8:9]
	v_cmp_class_f32_e64 s[46:47], v5, s29
	v_cndmask_b32_e64 v11, v9, 0, s[8:9]
	v_cndmask_b32_e64 v13, 0, v5, s[6:7]
	v_bfi_b32 v11, s44, v11, v13
	s_or_b64 vcc, vcc, s[46:47]
	v_cndmask_b32_e32 v11, v12, v11, vcc
	v_cmp_o_f32_e32 vcc, v5, v5
	v_cndmask_b32_e32 v11, v10, v11, vcc
	v_add_f32_e32 v3, v3, v11
	v_mul_f32_e32 v12, 0xa5000000, v3
	v_cmp_nlt_f32_e32 vcc, v12, v11
	v_mul_f32_e32 v12, 0x25000000, v3
	v_cmp_nlt_f32_e64 s[6:7], v11, v12
	s_or_b64 s[8:9], vcc, s[6:7]
	s_or_b64 s[22:23], s[22:23], exec
	s_or_b64 s[24:25], s[24:25], exec
	s_and_saveexec_b64 s[6:7], s[8:9]
	s_cbranch_execz .LBB109_97
; %bb.99:                               ;   in Loop: Header=BB109_98 Depth=1
	s_add_i32 s46, s28, 1
	s_cmp_gt_u32 s28, 7
	s_cselect_b64 s[8:9], -1, 0
	v_cmp_nge_f32_e32 vcc, s45, v5
	s_and_b64 s[8:9], s[8:9], vcc
	s_andn2_b64 s[24:25], s[24:25], exec
	s_and_b64 s[8:9], s[8:9], exec
	s_andn2_b64 s[22:23], s[22:23], exec
	s_or_b64 s[24:25], s[24:25], s[8:9]
	s_mov_b32 s28, s46
	s_branch .LBB109_97
.LBB109_100:
	v_mov_b32_e32 v3, 28
	v_cmp_gt_i16_sdwa s[8:9], v5, v3 src0_sel:BYTE_0 src1_sel:DWORD
	s_mov_b64 s[14:15], 0
                                        ; implicit-def: $vgpr3
	s_and_saveexec_b64 s[16:17], s[8:9]
	s_xor_b64 s[8:9], exec, s[16:17]
	s_cbranch_execz .LBB109_116
; %bb.101:
	v_mov_b32_e32 v3, 43
	v_cmp_gt_i16_sdwa s[12:13], v5, v3 src0_sel:BYTE_0 src1_sel:DWORD
	s_mov_b64 s[16:17], 0
	s_mov_b64 s[18:19], 0
                                        ; implicit-def: $vgpr3
	s_and_saveexec_b64 s[14:15], s[12:13]
	s_xor_b64 s[12:13], exec, s[14:15]
	s_cbranch_execz .LBB109_111
; %bb.102:
	v_mov_b32_e32 v3, 45
	v_cmp_gt_i16_sdwa s[18:19], v5, v3 src0_sel:BYTE_0 src1_sel:DWORD
	s_mov_b64 s[14:15], 0
                                        ; implicit-def: $vgpr3
	s_and_saveexec_b64 s[20:21], s[18:19]
	s_xor_b64 s[18:19], exec, s[20:21]
	s_cbranch_execz .LBB109_106
; %bb.103:
	v_mov_b32_e32 v3, 46
	v_cmp_eq_u16_sdwa s[22:23], v5, v3 src0_sel:BYTE_0 src1_sel:DWORD
	s_mov_b64 s[20:21], -1
                                        ; implicit-def: $vgpr3
	s_and_saveexec_b64 s[16:17], s[22:23]
	s_cbranch_execz .LBB109_105
; %bb.104:
	flat_load_dword v3, v[1:2]
	s_mov_b64 s[14:15], exec
	s_xor_b64 s[20:21], exec, -1
	s_waitcnt vmcnt(0) lgkmcnt(0)
	v_lshlrev_b32_e32 v3, 16, v3
	v_cvt_f16_f32_e32 v3, v3
.LBB109_105:
	s_or_b64 exec, exec, s[16:17]
	s_and_b64 s[16:17], s[14:15], exec
	s_and_b64 s[14:15], s[20:21], exec
                                        ; implicit-def: $vgpr5
.LBB109_106:
	s_andn2_saveexec_b64 s[18:19], s[18:19]
	s_cbranch_execz .LBB109_110
; %bb.107:
	v_mov_b32_e32 v3, 44
	v_cmp_eq_u16_sdwa s[26:27], v5, v3 src0_sel:BYTE_0 src1_sel:DWORD
	s_mov_b64 s[22:23], -1
	s_mov_b64 s[24:25], s[16:17]
                                        ; implicit-def: $vgpr3
	s_and_saveexec_b64 s[20:21], s[26:27]
	s_cbranch_execz .LBB109_109
; %bb.108:
	flat_load_ubyte v3, v[1:2]
	s_movk_i32 s22, 0xff
	v_mov_b32_e32 v5, 0x7e00
	s_or_b64 s[24:25], s[16:17], exec
	s_waitcnt vmcnt(0) lgkmcnt(0)
	v_lshlrev_b32_e32 v4, 23, v3
	v_cvt_f16_f32_e32 v4, v4
	v_cmp_ne_u32_e32 vcc, s22, v3
	s_xor_b64 s[22:23], exec, -1
	v_cndmask_b32_e32 v4, v5, v4, vcc
	v_cmp_ne_u32_e32 vcc, 0, v3
	v_cndmask_b32_e32 v3, 0, v4, vcc
.LBB109_109:
	s_or_b64 exec, exec, s[20:21]
	s_andn2_b64 s[16:17], s[16:17], exec
	s_and_b64 s[20:21], s[24:25], exec
	s_or_b64 s[16:17], s[16:17], s[20:21]
	s_andn2_b64 s[14:15], s[14:15], exec
	s_and_b64 s[20:21], s[22:23], exec
	s_or_b64 s[14:15], s[14:15], s[20:21]
.LBB109_110:
	s_or_b64 exec, exec, s[18:19]
	s_and_b64 s[18:19], s[16:17], exec
	s_and_b64 s[16:17], s[14:15], exec
                                        ; implicit-def: $vgpr5
.LBB109_111:
	s_andn2_saveexec_b64 s[12:13], s[12:13]
	s_cbranch_execz .LBB109_115
; %bb.112:
	v_mov_b32_e32 v3, 29
	v_cmp_eq_u16_sdwa s[24:25], v5, v3 src0_sel:BYTE_0 src1_sel:DWORD
	s_mov_b64 s[20:21], -1
	s_mov_b64 s[22:23], s[18:19]
                                        ; implicit-def: $vgpr3
	s_and_saveexec_b64 s[14:15], s[24:25]
	s_cbranch_execz .LBB109_114
; %bb.113:
	flat_load_dwordx2 v[3:4], v[1:2]
	s_or_b64 s[22:23], s[18:19], exec
	s_xor_b64 s[20:21], exec, -1
	s_waitcnt vmcnt(0) lgkmcnt(0)
	v_ffbh_u32_e32 v5, v4
	v_min_u32_e32 v5, 32, v5
	v_lshlrev_b64 v[3:4], v5, v[3:4]
	v_min_u32_e32 v3, 1, v3
	v_or_b32_e32 v3, v4, v3
	v_cvt_f32_u32_e32 v3, v3
	v_sub_u32_e32 v4, 32, v5
	v_ldexp_f32 v3, v3, v4
	v_cvt_f16_f32_e32 v3, v3
.LBB109_114:
	s_or_b64 exec, exec, s[14:15]
	s_andn2_b64 s[14:15], s[18:19], exec
	s_and_b64 s[18:19], s[22:23], exec
	s_or_b64 s[18:19], s[14:15], s[18:19]
	s_andn2_b64 s[14:15], s[16:17], exec
	s_and_b64 s[16:17], s[20:21], exec
	s_or_b64 s[16:17], s[14:15], s[16:17]
.LBB109_115:
	s_or_b64 exec, exec, s[12:13]
	s_and_b64 s[14:15], s[18:19], exec
	s_and_b64 s[12:13], s[16:17], exec
                                        ; implicit-def: $vgpr5
.LBB109_116:
	s_andn2_saveexec_b64 s[8:9], s[8:9]
	s_cbranch_execz .LBB109_130
; %bb.117:
	v_mov_b32_e32 v3, 26
	v_cmp_gt_i16_sdwa s[16:17], v5, v3 src0_sel:BYTE_0 src1_sel:DWORD
                                        ; implicit-def: $vgpr3
	s_and_saveexec_b64 s[18:19], s[16:17]
	s_xor_b64 s[16:17], exec, s[18:19]
	s_cbranch_execz .LBB109_123
; %bb.118:
	v_mov_b32_e32 v3, 27
	v_cmp_gt_i16_sdwa s[18:19], v5, v3 src0_sel:BYTE_0 src1_sel:DWORD
                                        ; implicit-def: $vgpr3
	s_and_saveexec_b64 s[20:21], s[18:19]
	s_xor_b64 s[18:19], exec, s[20:21]
	s_cbranch_execz .LBB109_120
; %bb.119:
	flat_load_dword v3, v[1:2]
	s_waitcnt vmcnt(0) lgkmcnt(0)
	v_cvt_f32_u32_e32 v3, v3
	v_cvt_f16_f32_e32 v3, v3
.LBB109_120:
	s_andn2_saveexec_b64 s[18:19], s[18:19]
	s_cbranch_execz .LBB109_122
; %bb.121:
	flat_load_ushort v3, v[1:2]
	s_waitcnt vmcnt(0) lgkmcnt(0)
	v_cvt_f16_u16_e32 v3, v3
.LBB109_122:
	s_or_b64 exec, exec, s[18:19]
.LBB109_123:
	s_andn2_saveexec_b64 s[16:17], s[16:17]
	s_cbranch_execz .LBB109_129
; %bb.124:
	flat_load_ubyte v4, v[1:2]
	s_movk_i32 s18, 0x7f
	s_waitcnt vmcnt(0) lgkmcnt(0)
	v_cmp_lt_i16_e32 vcc, s18, v4
	s_mov_b64 s[18:19], 0
	s_and_saveexec_b64 s[20:21], vcc
	s_xor_b64 s[20:21], exec, s[20:21]
	s_cbranch_execnz .LBB109_162
; %bb.125:
	s_or_saveexec_b64 s[20:21], s[20:21]
	v_mov_b32_e32 v3, 0x7e00
	s_xor_b64 exec, exec, s[20:21]
	s_cbranch_execnz .LBB109_165
.LBB109_126:
	s_or_b64 exec, exec, s[20:21]
	s_and_saveexec_b64 s[20:21], s[18:19]
	s_cbranch_execz .LBB109_128
.LBB109_127:
	v_lshlrev_b32_e32 v3, 24, v4
	v_and_b32_e32 v4, 0xffff, v4
	v_and_b32_e32 v5, 7, v4
	v_ffbh_u32_e32 v7, v5
	v_min_u32_e32 v7, 32, v7
	v_subrev_u32_e32 v8, 28, v7
	v_bfe_u32 v6, v4, 3, 4
	v_lshlrev_b32_e32 v4, v8, v4
	v_sub_u32_e32 v7, 29, v7
	v_and_b32_e32 v4, 7, v4
	v_cmp_eq_u32_e32 vcc, 0, v6
	v_cndmask_b32_e32 v6, v6, v7, vcc
	v_cndmask_b32_e32 v4, v5, v4, vcc
	v_mov_b32_e32 v5, 0x3b800000
	v_lshlrev_b32_e32 v4, 20, v4
	v_and_b32_e32 v3, 0x80000000, v3
	v_lshl_add_u32 v5, v6, 23, v5
	v_or3_b32 v3, v3, v5, v4
	v_cvt_f16_f32_e32 v3, v3
.LBB109_128:
	s_or_b64 exec, exec, s[20:21]
.LBB109_129:
	s_or_b64 exec, exec, s[16:17]
	s_or_b64 s[14:15], s[14:15], exec
.LBB109_130:
	s_or_b64 exec, exec, s[8:9]
	s_and_b64 s[8:9], s[14:15], exec
	s_and_b64 s[12:13], s[12:13], exec
                                        ; implicit-def: $vgpr5
	s_andn2_saveexec_b64 s[10:11], s[10:11]
	s_cbranch_execz .LBB109_6
.LBB109_131:
	v_mov_b32_e32 v3, 22
	v_cmp_gt_i16_sdwa s[6:7], v5, v3 src0_sel:BYTE_0 src1_sel:DWORD
	s_mov_b64 s[14:15], s[8:9]
                                        ; implicit-def: $vgpr3
	s_and_saveexec_b64 s[16:17], s[6:7]
	s_xor_b64 s[6:7], exec, s[16:17]
	s_cbranch_execz .LBB109_145
; %bb.132:
	v_mov_b32_e32 v3, 23
	v_cmp_gt_i16_sdwa s[14:15], v5, v3 src0_sel:BYTE_0 src1_sel:DWORD
                                        ; implicit-def: $vgpr3
	s_and_saveexec_b64 s[16:17], s[14:15]
	s_xor_b64 s[14:15], exec, s[16:17]
	s_cbranch_execz .LBB109_142
; %bb.133:
	v_mov_b32_e32 v3, 24
	v_cmp_gt_i16_sdwa s[16:17], v5, v3 src0_sel:BYTE_0 src1_sel:DWORD
                                        ; implicit-def: $vgpr3
	s_and_saveexec_b64 s[18:19], s[16:17]
	s_xor_b64 s[16:17], exec, s[18:19]
	s_cbranch_execz .LBB109_139
; %bb.134:
	flat_load_ubyte v4, v[1:2]
	s_movk_i32 s18, 0x7f
	s_waitcnt vmcnt(0) lgkmcnt(0)
	v_cmp_lt_i16_e32 vcc, s18, v4
	s_mov_b64 s[18:19], 0
	s_and_saveexec_b64 s[20:21], vcc
	s_xor_b64 s[20:21], exec, s[20:21]
	s_cbranch_execnz .LBB109_177
; %bb.135:
	s_or_saveexec_b64 s[20:21], s[20:21]
	v_mov_b32_e32 v3, 0x7e00
	s_xor_b64 exec, exec, s[20:21]
	s_cbranch_execnz .LBB109_180
.LBB109_136:
	s_or_b64 exec, exec, s[20:21]
	s_and_saveexec_b64 s[20:21], s[18:19]
	s_cbranch_execz .LBB109_138
.LBB109_137:
	v_lshlrev_b32_e32 v3, 24, v4
	v_and_b32_e32 v4, 0xffff, v4
	v_and_b32_e32 v5, 3, v4
	v_ffbh_u32_e32 v7, v5
	v_min_u32_e32 v7, 32, v7
	v_subrev_u32_e32 v8, 29, v7
	v_bfe_u32 v6, v4, 2, 5
	v_lshlrev_b32_e32 v4, v8, v4
	v_sub_u32_e32 v7, 30, v7
	v_and_b32_e32 v4, 3, v4
	v_cmp_eq_u32_e32 vcc, 0, v6
	v_cndmask_b32_e32 v6, v6, v7, vcc
	v_cndmask_b32_e32 v4, v5, v4, vcc
	v_mov_b32_e32 v5, 0x37800000
	v_lshlrev_b32_e32 v4, 21, v4
	v_and_b32_e32 v3, 0x80000000, v3
	v_lshl_add_u32 v5, v6, 23, v5
	v_or3_b32 v3, v3, v5, v4
	v_cvt_f16_f32_e32 v3, v3
.LBB109_138:
	s_or_b64 exec, exec, s[20:21]
.LBB109_139:
	s_andn2_saveexec_b64 s[16:17], s[16:17]
	s_cbranch_execz .LBB109_141
; %bb.140:
	flat_load_ubyte v3, v[1:2]
	s_mov_b32 s18, 0x7f800000
	s_waitcnt vmcnt(0) lgkmcnt(0)
	v_lshlrev_b32_e32 v3, 24, v3
	v_and_b32_e32 v4, 0x7f000000, v3
	v_ffbh_u32_e32 v5, v4
	v_min_u32_e32 v5, 32, v5
	v_sub_u32_e64 v5, v5, 4 clamp
	v_lshlrev_b32_e32 v7, v5, v4
	v_lshlrev_b32_e32 v5, 23, v5
	v_lshrrev_b32_e32 v7, 4, v7
	v_add_u32_e32 v6, 0x1000000, v4
	v_sub_u32_e32 v5, v7, v5
	v_ashrrev_i32_e32 v6, 8, v6
	v_add_u32_e32 v5, 0x3c000000, v5
	v_and_or_b32 v5, v6, s18, v5
	v_cmp_ne_u32_e32 vcc, 0, v4
	v_cndmask_b32_e32 v4, 0, v5, vcc
	s_brev_b32 s18, 1
	v_and_or_b32 v3, v3, s18, v4
	v_cvt_f16_f32_e32 v3, v3
.LBB109_141:
	s_or_b64 exec, exec, s[16:17]
.LBB109_142:
	s_andn2_saveexec_b64 s[14:15], s[14:15]
	s_cbranch_execz .LBB109_144
; %bb.143:
	flat_load_ubyte v3, v[1:2]
	s_movk_i32 s16, 0x7f00
	s_brev_b32 s17, 16
	s_waitcnt vmcnt(0) lgkmcnt(0)
	v_lshlrev_b16_e32 v4, 8, v3
	v_lshlrev_b32_e32 v3, 25, v3
	v_lshrrev_b32_e32 v5, 4, v3
	v_and_or_b32 v6, v4, s16, 0.5
	v_or_b32_e32 v5, 0x70000000, v5
	v_add_f32_e32 v6, -0.5, v6
	v_mul_f32_e32 v5, 0x7800000, v5
	v_cmp_gt_u32_e32 vcc, s17, v3
	v_bfe_i32 v4, v4, 0, 16
	v_cndmask_b32_e32 v3, v5, v6, vcc
	s_brev_b32 s16, 1
	v_and_or_b32 v3, v4, s16, v3
	v_cvt_f16_f32_e32 v3, v3
.LBB109_144:
	s_or_b64 exec, exec, s[14:15]
	s_or_b64 s[14:15], s[8:9], exec
                                        ; implicit-def: $vgpr5
.LBB109_145:
	s_or_saveexec_b64 s[6:7], s[6:7]
	s_mov_b64 s[18:19], 0
	s_mov_b64 s[16:17], s[12:13]
	s_xor_b64 exec, exec, s[6:7]
	s_cbranch_execz .LBB109_153
; %bb.146:
	v_mov_b32_e32 v3, 14
	v_cmp_gt_i16_sdwa s[20:21], v5, v3 src0_sel:BYTE_0 src1_sel:DWORD
	s_mov_b64 s[16:17], s[12:13]
	s_mov_b64 s[18:19], s[14:15]
                                        ; implicit-def: $vgpr3
	s_and_saveexec_b64 s[22:23], s[20:21]
	s_xor_b64 s[20:21], exec, s[22:23]
	s_cbranch_execz .LBB109_150
; %bb.147:
	v_mov_b32_e32 v3, 15
	v_cmp_eq_u16_sdwa s[24:25], v5, v3 src0_sel:BYTE_0 src1_sel:DWORD
	s_mov_b64 s[16:17], -1
	s_mov_b64 s[18:19], s[14:15]
                                        ; implicit-def: $vgpr3
	s_and_saveexec_b64 s[22:23], s[24:25]
	s_cbranch_execz .LBB109_149
; %bb.148:
	flat_load_ushort v3, v[1:2]
	s_or_b64 s[18:19], s[14:15], exec
	s_xor_b64 s[16:17], exec, -1
	s_waitcnt vmcnt(0) lgkmcnt(0)
	v_lshlrev_b32_e32 v3, 16, v3
	v_cvt_f16_f32_e32 v3, v3
.LBB109_149:
	s_or_b64 exec, exec, s[22:23]
	s_andn2_b64 s[22:23], s[14:15], exec
	s_and_b64 s[18:19], s[18:19], exec
	s_or_b64 s[18:19], s[22:23], s[18:19]
	s_andn2_b64 s[22:23], s[12:13], exec
	s_and_b64 s[16:17], s[16:17], exec
	s_or_b64 s[16:17], s[22:23], s[16:17]
                                        ; implicit-def: $vgpr5
.LBB109_150:
	s_or_saveexec_b64 s[20:21], s[20:21]
	s_mov_b64 s[22:23], 0
	s_xor_b64 exec, exec, s[20:21]
; %bb.151:
	v_mov_b32_e32 v4, 11
	v_cmp_ne_u16_sdwa s[24:25], v5, v4 src0_sel:BYTE_0 src1_sel:DWORD
	s_andn2_b64 s[16:17], s[16:17], exec
	s_and_b64 s[24:25], s[24:25], exec
	s_mov_b64 s[22:23], exec
	s_or_b64 s[16:17], s[16:17], s[24:25]
; %bb.152:
	s_or_b64 exec, exec, s[20:21]
	s_andn2_b64 s[14:15], s[14:15], exec
	s_and_b64 s[18:19], s[18:19], exec
	s_andn2_b64 s[20:21], s[12:13], exec
	s_and_b64 s[16:17], s[16:17], exec
	s_or_b64 s[14:15], s[14:15], s[18:19]
	s_and_b64 s[18:19], s[22:23], exec
	s_or_b64 s[16:17], s[20:21], s[16:17]
.LBB109_153:
	s_or_b64 exec, exec, s[6:7]
	s_andn2_b64 s[6:7], s[8:9], exec
	s_and_b64 s[8:9], s[14:15], exec
	s_andn2_b64 s[12:13], s[12:13], exec
	s_and_b64 s[14:15], s[16:17], exec
	s_or_b64 s[8:9], s[6:7], s[8:9]
	s_and_b64 s[6:7], s[18:19], exec
	s_or_b64 s[12:13], s[12:13], s[14:15]
	s_or_b64 exec, exec, s[10:11]
	s_and_saveexec_b64 s[10:11], s[12:13]
	s_cbranch_execz .LBB109_7
.LBB109_154:
	s_trap 2
	; divergent unreachable
	s_andn2_b64 s[6:7], s[6:7], exec
	s_or_b64 exec, exec, s[10:11]
	s_and_saveexec_b64 s[10:11], s[6:7]
	s_xor_b64 s[6:7], exec, s[10:11]
	s_cbranch_execnz .LBB109_8
	s_branch .LBB109_9
.LBB109_155:
	s_or_b64 exec, exec, s[18:19]
	s_xor_b64 s[6:7], s[20:21], -1
                                        ; implicit-def: $vgpr7
	s_and_saveexec_b64 s[8:9], s[6:7]
	s_xor_b64 s[6:7], exec, s[8:9]
	s_cbranch_execz .LBB109_171
; %bb.156:
	v_mul_f32_e32 v6, v5, v11
	v_add_f32_e32 v9, -1.0, v4
	v_div_scale_f32 v7, s[8:9], v9, v9, v6
	v_div_scale_f32 v8, vcc, v6, v9, v6
	s_mov_b64 s[8:9], 0
	s_mov_b32 s44, 0x25000000
	s_mov_b64 s[24:25], 0
                                        ; implicit-def: $sgpr18_sgpr19
                                        ; implicit-def: $sgpr20_sgpr21
                                        ; implicit-def: $sgpr22_sgpr23
	v_rcp_f32_e32 v10, v7
	v_fma_f32 v12, -v7, v10, 1.0
	v_fmac_f32_e32 v10, v12, v10
	v_mul_f32_e32 v12, v8, v10
	v_fma_f32 v13, -v7, v12, v8
	v_fmac_f32_e32 v12, v13, v10
	v_fma_f32 v7, -v7, v12, v8
	v_div_fmas_f32 v10, v7, v10, v12
	v_mov_b32_e32 v8, 1.0
	v_mov_b32_e32 v7, 0
	v_div_fixup_f32 v6, v10, v9, v6
	v_add_f32_e32 v6, v3, v6
	v_fmac_f32_e32 v6, -0.5, v11
	s_branch .LBB109_159
.LBB109_157:                            ;   in Loop: Header=BB109_159 Depth=1
	s_or_b64 exec, exec, s[28:29]
	s_andn2_b64 s[22:23], s[22:23], exec
	s_and_b64 s[28:29], s[42:43], exec
	s_or_b64 s[22:23], s[22:23], s[28:29]
	s_andn2_b64 s[20:21], s[20:21], exec
	s_and_b64 s[28:29], s[40:41], exec
	s_or_b64 s[20:21], s[20:21], s[28:29]
.LBB109_158:                            ;   in Loop: Header=BB109_159 Depth=1
	s_or_b64 exec, exec, s[26:27]
	s_and_b64 s[26:27], exec, s[20:21]
	s_or_b64 s[8:9], s[26:27], s[8:9]
	s_andn2_b64 s[18:19], s[18:19], exec
	s_and_b64 s[26:27], s[22:23], exec
	s_or_b64 s[18:19], s[18:19], s[26:27]
	s_andn2_b64 exec, exec, s[8:9]
	s_cbranch_execz .LBB109_166
.LBB109_159:                            ; =>This Inner Loop Header: Depth=1
	v_div_scale_f32 v9, s[26:27], v5, v5, v11
	v_div_scale_f32 v10, vcc, v11, v5, v11
	s_getpc_b64 s[26:27]
	s_add_u32 s26, s26, _ZZ4zetaIN3c104HalfELb1EET_S2_S2_E1A@rel32@lo+4
	s_addc_u32 s27, s27, _ZZ4zetaIN3c104HalfELb1EET_S2_S2_E1A@rel32@hi+12
	s_add_u32 s26, s26, s24
	s_addc_u32 s27, s27, s25
	s_load_dword s28, s[26:27], 0x0
	s_or_b64 s[22:23], s[22:23], exec
	s_or_b64 s[20:21], s[20:21], exec
	v_rcp_f32_e32 v12, v9
	v_fma_f32 v13, -v9, v12, 1.0
	v_fmac_f32_e32 v12, v13, v12
	v_mul_f32_e32 v13, v10, v12
	v_fma_f32 v14, -v9, v13, v10
	v_fmac_f32_e32 v13, v14, v12
	v_fma_f32 v9, -v9, v13, v10
	v_div_fmas_f32 v10, v9, v12, v13
	v_add_f32_e32 v9, v7, v4
	v_mul_f32_e32 v9, v8, v9
	v_div_fixup_f32 v10, v10, v5, v11
	v_mul_f32_e32 v8, v10, v9
	s_waitcnt lgkmcnt(0)
	v_div_scale_f32 v11, s[26:27], s28, s28, v8
	v_div_scale_f32 v12, vcc, v8, s28, v8
	v_rcp_f32_e32 v13, v11
	v_fma_f32 v14, -v11, v13, 1.0
	v_fmac_f32_e32 v13, v14, v13
	v_mul_f32_e32 v14, v12, v13
	v_fma_f32 v15, -v11, v14, v12
	v_fmac_f32_e32 v14, v15, v13
	v_fma_f32 v11, -v11, v14, v12
	v_div_fmas_f32 v11, v11, v13, v14
	v_div_fixup_f32 v8, v11, s28, v8
	v_add_f32_e32 v6, v6, v8
	v_div_scale_f32 v11, s[26:27], v6, v6, v8
	v_div_scale_f32 v12, vcc, v8, v6, v8
	v_rcp_f32_e32 v13, v11
	v_fma_f32 v14, -v11, v13, 1.0
	v_fmac_f32_e32 v13, v14, v13
	v_mul_f32_e32 v14, v12, v13
	v_fma_f32 v15, -v11, v14, v12
	v_fmac_f32_e32 v14, v15, v13
	v_fma_f32 v11, -v11, v14, v12
	v_div_fmas_f32 v11, v11, v13, v14
	v_div_fixup_f32 v8, v11, v6, v8
	v_cmp_nlt_f32_e64 s[28:29], |v8|, s44
                                        ; implicit-def: $vgpr11
                                        ; implicit-def: $vgpr8
	s_and_saveexec_b64 s[26:27], s[28:29]
	s_cbranch_execz .LBB109_158
; %bb.160:                              ;   in Loop: Header=BB109_159 Depth=1
	v_div_scale_f32 v8, s[28:29], v5, v5, v10
	v_div_scale_f32 v11, vcc, v10, v5, v10
	v_add_f32_e32 v7, 1.0, v7
	s_mov_b64 s[42:43], -1
	v_rcp_f32_e32 v12, v8
	v_fma_f32 v13, -v8, v12, 1.0
	v_fmac_f32_e32 v12, v13, v12
	v_mul_f32_e32 v13, v11, v12
	v_fma_f32 v14, -v8, v13, v11
	v_fmac_f32_e32 v13, v14, v12
	v_fma_f32 v8, -v8, v13, v11
	v_div_fmas_f32 v8, v8, v12, v13
	v_div_fixup_f32 v8, v8, v5, v10
	v_div_scale_f32 v10, s[28:29], v5, v5, v8
	v_div_scale_f32 v11, vcc, v8, v5, v8
	s_getpc_b64 s[28:29]
	s_add_u32 s28, s28, _ZZ4zetaIN3c104HalfELb1EET_S2_S2_E1A@rel32@lo+8
	s_addc_u32 s29, s29, _ZZ4zetaIN3c104HalfELb1EET_S2_S2_E1A@rel32@hi+16
	s_add_u32 s28, s28, s24
	s_addc_u32 s29, s29, s25
	s_load_dword s40, s[28:29], 0x0
	v_rcp_f32_e32 v12, v10
	v_fma_f32 v13, -v10, v12, 1.0
	v_fmac_f32_e32 v12, v13, v12
	v_mul_f32_e32 v13, v11, v12
	v_fma_f32 v14, -v10, v13, v11
	v_fmac_f32_e32 v13, v14, v12
	v_fma_f32 v10, -v10, v13, v11
	v_div_fmas_f32 v11, v10, v12, v13
	v_add_f32_e32 v12, v7, v4
	v_add_f32_e32 v10, 1.0, v7
	v_mul_f32_e32 v7, v12, v9
	v_add_f32_e32 v9, v10, v4
	v_mul_f32_e32 v12, v7, v9
	v_div_fixup_f32 v9, v11, v5, v8
	v_mul_f32_e32 v7, v9, v12
	s_waitcnt lgkmcnt(0)
	v_div_scale_f32 v8, s[28:29], s40, s40, v7
	v_div_scale_f32 v11, vcc, v7, s40, v7
	v_rcp_f32_e32 v13, v8
	v_fma_f32 v14, -v8, v13, 1.0
	v_fmac_f32_e32 v13, v14, v13
	v_mul_f32_e32 v14, v11, v13
	v_fma_f32 v15, -v8, v14, v11
	v_fmac_f32_e32 v14, v15, v13
	v_fma_f32 v8, -v8, v14, v11
	v_div_fmas_f32 v8, v8, v13, v14
	v_div_fixup_f32 v7, v8, s40, v7
	v_add_f32_e32 v6, v6, v7
	v_div_scale_f32 v8, s[28:29], v6, v6, v7
	v_div_scale_f32 v11, vcc, v7, v6, v7
	s_mov_b64 s[40:41], -1
	v_rcp_f32_e32 v13, v8
	v_fma_f32 v14, -v8, v13, 1.0
	v_fmac_f32_e32 v13, v14, v13
	v_mul_f32_e32 v14, v11, v13
	v_fma_f32 v15, -v8, v14, v11
	v_fmac_f32_e32 v14, v15, v13
	v_fma_f32 v8, -v8, v14, v11
	v_div_fmas_f32 v8, v8, v13, v14
                                        ; implicit-def: $vgpr11
	v_div_fixup_f32 v7, v8, v6, v7
	v_cmp_nlt_f32_e64 s[46:47], |v7|, s44
                                        ; implicit-def: $vgpr7
                                        ; implicit-def: $vgpr8
	s_and_saveexec_b64 s[28:29], s[46:47]
	s_cbranch_execz .LBB109_157
; %bb.161:                              ;   in Loop: Header=BB109_159 Depth=1
	v_div_scale_f32 v7, s[40:41], v5, v5, v9
	v_div_scale_f32 v8, vcc, v9, v5, v9
	s_add_u32 s24, s24, 8
	s_addc_u32 s25, s25, 0
	s_cmp_eq_u32 s24, 48
	s_cselect_b64 s[40:41], -1, 0
	s_xor_b64 s[42:43], exec, -1
	s_orn2_b64 s[40:41], s[40:41], exec
	v_rcp_f32_e32 v11, v7
	v_fma_f32 v13, -v7, v11, 1.0
	v_fmac_f32_e32 v11, v13, v11
	v_mul_f32_e32 v13, v8, v11
	v_fma_f32 v14, -v7, v13, v8
	v_fmac_f32_e32 v13, v14, v11
	v_fma_f32 v7, -v7, v13, v8
	v_div_fmas_f32 v11, v7, v11, v13
	v_add_f32_e32 v7, 1.0, v10
	v_add_f32_e32 v8, v7, v4
	v_add_f32_e32 v7, 1.0, v7
	v_mul_f32_e32 v8, v8, v12
	v_div_fixup_f32 v11, v11, v5, v9
	s_branch .LBB109_157
.LBB109_162:
	s_movk_i32 s18, 0x80
	v_cmp_eq_u16_e32 vcc, s18, v4
	s_mov_b64 s[18:19], -1
	s_and_saveexec_b64 s[22:23], vcc
; %bb.163:
	s_xor_b64 s[18:19], exec, -1
; %bb.164:
	s_or_b64 exec, exec, s[22:23]
	s_and_b64 s[18:19], s[18:19], exec
	s_or_saveexec_b64 s[20:21], s[20:21]
	v_mov_b32_e32 v3, 0x7e00
	s_xor_b64 exec, exec, s[20:21]
	s_cbranch_execz .LBB109_126
.LBB109_165:
	v_cmp_ne_u16_e32 vcc, 0, v4
	s_andn2_b64 s[18:19], s[18:19], exec
	s_and_b64 s[22:23], vcc, exec
	s_or_b64 s[18:19], s[18:19], s[22:23]
	v_mov_b32_e32 v3, v4
	s_or_b64 exec, exec, s[20:21]
	s_and_saveexec_b64 s[20:21], s[18:19]
	s_cbranch_execnz .LBB109_127
	s_branch .LBB109_128
.LBB109_166:
	s_or_b64 exec, exec, s[8:9]
	s_xor_b64 s[8:9], s[18:19], -1
                                        ; implicit-def: $vgpr7
	s_and_saveexec_b64 s[18:19], s[8:9]
	s_xor_b64 s[8:9], exec, s[18:19]
; %bb.167:
	v_cvt_f16_f32_e32 v7, v6
; %bb.168:
	s_andn2_saveexec_b64 s[8:9], s[8:9]
; %bb.169:
	v_cvt_f16_f32_e32 v7, v6
; %bb.170:
	s_or_b64 exec, exec, s[8:9]
.LBB109_171:
	s_andn2_saveexec_b64 s[6:7], s[6:7]
; %bb.172:
	v_cvt_f16_f32_e32 v7, v3
; %bb.173:
	s_or_b64 exec, exec, s[6:7]
.LBB109_174:
	s_or_b64 exec, exec, s[16:17]
.LBB109_175:
	s_or_b64 exec, exec, s[14:15]
.LBB109_176:
	s_or_b64 exec, exec, s[12:13]
	s_mov_b32 s6, 0x4b000000
	v_cmp_lt_f32_e64 s[6:7], |v1|, s6
	s_waitcnt vmcnt(0) lgkmcnt(0)
	v_mov_b32_e32 v3, 0x244
	v_mov_b32_e32 v4, 0x7f800000
	s_or_b64 vcc, s[4:5], s[6:7]
	v_cndmask_b32_e32 v2, v4, v2, vcc
	v_cmp_class_f32_e32 vcc, v1, v3
	v_cndmask_b32_e32 v1, v2, v4, vcc
	s_mov_b32 s4, 0x3fb8aa3b
	v_mul_f32_e32 v2, 0x3fb8aa3b, v1
	v_fma_f32 v3, v1, s4, -v2
	v_rndne_f32_e32 v5, v2
	v_fmac_f32_e32 v3, 0x32a5705f, v1
	v_sub_f32_e32 v2, v2, v5
	v_add_f32_e32 v2, v2, v3
	v_exp_f32_e32 v2, v2
	v_cvt_i32_f32_e32 v3, v5
	s_mov_b32 s4, 0xc2ce8ed0
	v_cmp_ngt_f32_e32 vcc, s4, v1
	s_mov_b32 s4, 0x42b17218
	v_ldexp_f32 v2, v2, v3
	v_cndmask_b32_e32 v2, 0, v2, vcc
	v_cmp_nlt_f32_e32 vcc, s4, v1
	v_and_b32_e32 v0, 1, v0
	v_cndmask_b32_e32 v1, v4, v2, vcc
	v_cmp_eq_u32_e32 vcc, 0, v0
	v_cndmask_b32_e64 v0, v1, -v1, vcc
	v_fma_mixlo_f16 v1, v0, v7, 0 op_sel_hi:[0,1,0]
	s_or_b64 exec, exec, s[10:11]
	v_mov_b32_e32 v0, v1
	s_setpc_b64 s[30:31]
.LBB109_177:
	s_movk_i32 s18, 0x80
	v_cmp_eq_u16_e32 vcc, s18, v4
	s_mov_b64 s[18:19], -1
	s_and_saveexec_b64 s[22:23], vcc
; %bb.178:
	s_xor_b64 s[18:19], exec, -1
; %bb.179:
	s_or_b64 exec, exec, s[22:23]
	s_and_b64 s[18:19], s[18:19], exec
	s_or_saveexec_b64 s[20:21], s[20:21]
	v_mov_b32_e32 v3, 0x7e00
	s_xor_b64 exec, exec, s[20:21]
	s_cbranch_execz .LBB109_136
.LBB109_180:
	v_cmp_ne_u16_e32 vcc, 0, v4
	s_andn2_b64 s[18:19], s[18:19], exec
	s_and_b64 s[22:23], vcc, exec
	s_or_b64 s[18:19], s[18:19], s[22:23]
	v_mov_b32_e32 v3, v4
	s_or_b64 exec, exec, s[20:21]
	s_and_saveexec_b64 s[20:21], s[18:19]
	s_cbranch_execnz .LBB109_137
	s_branch .LBB109_138
.Lfunc_end109:
	.size	_ZN2at6native6invokeIZZZNS0_21polygamma_kernel_cudaERNS_18TensorIteratorBaseElENKUlvE_clEvENKUlvE1_clEvEUlN3c104HalfEE_j15function_traitsIS8_EEENT1_11result_typeERKT_PrKPcPKT0_PKNS6_10ScalarTypeEi, .Lfunc_end109-_ZN2at6native6invokeIZZZNS0_21polygamma_kernel_cudaERNS_18TensorIteratorBaseElENKUlvE_clEvENKUlvE1_clEvEUlN3c104HalfEE_j15function_traitsIS8_EEENT1_11result_typeERKT_PrKPcPKT0_PKNS6_10ScalarTypeEi
                                        ; -- End function
	.set .L_ZN2at6native6invokeIZZZNS0_21polygamma_kernel_cudaERNS_18TensorIteratorBaseElENKUlvE_clEvENKUlvE1_clEvEUlN3c104HalfEE_j15function_traitsIS8_EEENT1_11result_typeERKT_PrKPcPKT0_PKNS6_10ScalarTypeEi.num_vgpr, 22
	.set .L_ZN2at6native6invokeIZZZNS0_21polygamma_kernel_cudaERNS_18TensorIteratorBaseElENKUlvE_clEvENKUlvE1_clEvEUlN3c104HalfEE_j15function_traitsIS8_EEENT1_11result_typeERKT_PrKPcPKT0_PKNS6_10ScalarTypeEi.num_agpr, 0
	.set .L_ZN2at6native6invokeIZZZNS0_21polygamma_kernel_cudaERNS_18TensorIteratorBaseElENKUlvE_clEvENKUlvE1_clEvEUlN3c104HalfEE_j15function_traitsIS8_EEENT1_11result_typeERKT_PrKPcPKT0_PKNS6_10ScalarTypeEi.numbered_sgpr, 48
	.set .L_ZN2at6native6invokeIZZZNS0_21polygamma_kernel_cudaERNS_18TensorIteratorBaseElENKUlvE_clEvENKUlvE1_clEvEUlN3c104HalfEE_j15function_traitsIS8_EEENT1_11result_typeERKT_PrKPcPKT0_PKNS6_10ScalarTypeEi.num_named_barrier, 0
	.set .L_ZN2at6native6invokeIZZZNS0_21polygamma_kernel_cudaERNS_18TensorIteratorBaseElENKUlvE_clEvENKUlvE1_clEvEUlN3c104HalfEE_j15function_traitsIS8_EEENT1_11result_typeERKT_PrKPcPKT0_PKNS6_10ScalarTypeEi.private_seg_size, 0
	.set .L_ZN2at6native6invokeIZZZNS0_21polygamma_kernel_cudaERNS_18TensorIteratorBaseElENKUlvE_clEvENKUlvE1_clEvEUlN3c104HalfEE_j15function_traitsIS8_EEENT1_11result_typeERKT_PrKPcPKT0_PKNS6_10ScalarTypeEi.uses_vcc, 1
	.set .L_ZN2at6native6invokeIZZZNS0_21polygamma_kernel_cudaERNS_18TensorIteratorBaseElENKUlvE_clEvENKUlvE1_clEvEUlN3c104HalfEE_j15function_traitsIS8_EEENT1_11result_typeERKT_PrKPcPKT0_PKNS6_10ScalarTypeEi.uses_flat_scratch, 0
	.set .L_ZN2at6native6invokeIZZZNS0_21polygamma_kernel_cudaERNS_18TensorIteratorBaseElENKUlvE_clEvENKUlvE1_clEvEUlN3c104HalfEE_j15function_traitsIS8_EEENT1_11result_typeERKT_PrKPcPKT0_PKNS6_10ScalarTypeEi.has_dyn_sized_stack, 0
	.set .L_ZN2at6native6invokeIZZZNS0_21polygamma_kernel_cudaERNS_18TensorIteratorBaseElENKUlvE_clEvENKUlvE1_clEvEUlN3c104HalfEE_j15function_traitsIS8_EEENT1_11result_typeERKT_PrKPcPKT0_PKNS6_10ScalarTypeEi.has_recursion, 0
	.set .L_ZN2at6native6invokeIZZZNS0_21polygamma_kernel_cudaERNS_18TensorIteratorBaseElENKUlvE_clEvENKUlvE1_clEvEUlN3c104HalfEE_j15function_traitsIS8_EEENT1_11result_typeERKT_PrKPcPKT0_PKNS6_10ScalarTypeEi.has_indirect_call, 0
	.section	.AMDGPU.csdata,"",@progbits
; Function info:
; codeLenInByte = 8652
; TotalNumSgprs: 52
; NumVgprs: 22
; ScratchSize: 0
; MemoryBound: 0
	.section	.text._ZN2at6native32elementwise_kernel_manual_unrollILi128ELi4EZNS0_15gpu_kernel_implIZZZNS0_21polygamma_kernel_cudaERNS_18TensorIteratorBaseElENKUlvE_clEvENKUlvE1_clEvEUlN3c104HalfEE_EEvS4_RKT_EUlibE0_EEviT1_,"axG",@progbits,_ZN2at6native32elementwise_kernel_manual_unrollILi128ELi4EZNS0_15gpu_kernel_implIZZZNS0_21polygamma_kernel_cudaERNS_18TensorIteratorBaseElENKUlvE_clEvENKUlvE1_clEvEUlN3c104HalfEE_EEvS4_RKT_EUlibE0_EEviT1_,comdat
	.globl	_ZN2at6native32elementwise_kernel_manual_unrollILi128ELi4EZNS0_15gpu_kernel_implIZZZNS0_21polygamma_kernel_cudaERNS_18TensorIteratorBaseElENKUlvE_clEvENKUlvE1_clEvEUlN3c104HalfEE_EEvS4_RKT_EUlibE0_EEviT1_ ; -- Begin function _ZN2at6native32elementwise_kernel_manual_unrollILi128ELi4EZNS0_15gpu_kernel_implIZZZNS0_21polygamma_kernel_cudaERNS_18TensorIteratorBaseElENKUlvE_clEvENKUlvE1_clEvEUlN3c104HalfEE_EEvS4_RKT_EUlibE0_EEviT1_
	.p2align	8
	.type	_ZN2at6native32elementwise_kernel_manual_unrollILi128ELi4EZNS0_15gpu_kernel_implIZZZNS0_21polygamma_kernel_cudaERNS_18TensorIteratorBaseElENKUlvE_clEvENKUlvE1_clEvEUlN3c104HalfEE_EEvS4_RKT_EUlibE0_EEviT1_,@function
_ZN2at6native32elementwise_kernel_manual_unrollILi128ELi4EZNS0_15gpu_kernel_implIZZZNS0_21polygamma_kernel_cudaERNS_18TensorIteratorBaseElENKUlvE_clEvENKUlvE1_clEvEUlN3c104HalfEE_EEvS4_RKT_EUlibE0_EEviT1_: ; @_ZN2at6native32elementwise_kernel_manual_unrollILi128ELi4EZNS0_15gpu_kernel_implIZZZNS0_21polygamma_kernel_cudaERNS_18TensorIteratorBaseElENKUlvE_clEvENKUlvE1_clEvEUlN3c104HalfEE_EEvS4_RKT_EUlibE0_EEviT1_
; %bb.0:
	s_load_dword s86, s[4:5], 0x0
	s_load_dword s33, s[4:5], 0x8
	s_add_u32 s0, s0, s7
	s_addc_u32 s1, s1, 0
	s_mov_b64 s[34:35], s[4:5]
	s_add_u32 s56, s34, 8
	s_addc_u32 s57, s35, 0
	v_lshl_or_b32 v24, s6, 9, v0
	s_waitcnt lgkmcnt(0)
	s_add_i32 s88, s33, -1
	v_or_b32_e32 v3, 0x180, v24
	s_cmp_gt_u32 s88, 1
	v_cmp_le_i32_e32 vcc, s86, v3
	s_cselect_b64 s[60:61], -1, 0
	s_mov_b64 s[58:59], 0
	s_mov_b64 s[48:49], 0
	s_mov_b32 s32, 0
	s_and_saveexec_b64 s[4:5], vcc
	s_xor_b64 s[62:63], exec, s[4:5]
	s_cbranch_execz .LBB110_566
; %bb.1:
	s_load_dwordx4 s[48:51], s[56:57], 0x4
	s_load_dwordx2 s[66:67], s[56:57], 0x14
	s_load_dwordx2 s[64:65], s[56:57], 0x158
	s_load_dword s89, s[56:57], 0x160
	s_cmp_lg_u32 s33, 0
	s_load_dwordx4 s[52:55], s[56:57], 0xc4
	s_load_dwordx4 s[36:39], s[56:57], 0x148
	s_cselect_b64 s[72:73], -1, 0
	s_add_u32 s70, s56, 0xc4
	s_addc_u32 s71, s57, 0
	s_min_u32 s91, s88, 15
	s_cmp_gt_u32 s33, 1
	s_cselect_b64 s[68:69], -1, 0
	s_waitcnt lgkmcnt(0)
	s_bfe_u32 s90, s89, 0x80008
	v_cmp_gt_i32_e32 vcc, s86, v24
	s_mov_b64 s[4:5], -1
	s_mov_b64 s[80:81], 0
	s_mov_b64 s[74:75], 0
	s_and_saveexec_b64 s[76:77], vcc
	s_cbranch_execz .LBB110_138
; %bb.2:
	s_andn2_b64 vcc, exec, s[60:61]
	s_cbranch_vccnz .LBB110_7
; %bb.3:
	s_andn2_b64 vcc, exec, s[72:73]
	s_cbranch_vccnz .LBB110_8
; %bb.4:
	s_add_i32 s29, s91, 1
	s_cmp_eq_u32 s88, 2
	s_cbranch_scc1 .LBB110_9
; %bb.5:
	s_and_b32 s28, s29, 28
	v_mov_b32_e32 v4, 0
	s_mov_b32 s30, 0
	s_mov_b64 s[24:25], s[56:57]
	s_mov_b64 s[26:27], s[70:71]
	v_mov_b32_e32 v22, 0
	v_mov_b32_e32 v0, v24
.LBB110_6:                              ; =>This Inner Loop Header: Depth=1
	s_load_dwordx8 s[12:19], s[24:25], 0x4
	s_load_dwordx4 s[20:23], s[24:25], 0x24
	s_load_dwordx8 s[4:11], s[26:27], 0x0
	s_add_u32 s24, s24, 48
	s_addc_u32 s25, s25, 0
	s_waitcnt lgkmcnt(0)
	v_mul_hi_u32 v1, s13, v0
	s_add_i32 s30, s30, 4
	s_add_u32 s26, s26, 32
	s_addc_u32 s27, s27, 0
	v_add_u32_e32 v1, v0, v1
	v_lshrrev_b32_e32 v1, s14, v1
	v_mul_lo_u32 v2, v1, s12
	v_mul_hi_u32 v3, s16, v1
	s_cmp_lg_u32 s28, s30
	v_sub_u32_e32 v0, v0, v2
	v_add_u32_e32 v2, v1, v3
	v_mul_lo_u32 v3, v0, s4
	v_mul_lo_u32 v5, v0, s5
	v_lshrrev_b32_e32 v0, s17, v2
	v_mul_lo_u32 v2, v0, s15
	v_mul_hi_u32 v6, s19, v0
	v_sub_u32_e32 v1, v1, v2
	v_add_u32_e32 v2, v0, v6
	v_lshrrev_b32_e32 v2, s20, v2
	v_mul_hi_u32 v7, s22, v2
	v_mul_lo_u32 v8, v2, s18
	v_mul_lo_u32 v6, v1, s6
	;; [unrolled: 1-line block ×3, first 2 shown]
	v_sub_u32_e32 v8, v0, v8
	v_add_u32_e32 v0, v2, v7
	v_lshrrev_b32_e32 v0, s23, v0
	v_mul_lo_u32 v7, v0, s21
	v_mul_lo_u32 v9, v8, s8
	;; [unrolled: 1-line block ×3, first 2 shown]
	v_add3_u32 v3, v3, v22, v6
	v_sub_u32_e32 v2, v2, v7
	v_mul_lo_u32 v7, v2, s10
	v_mul_lo_u32 v2, v2, s11
	v_add3_u32 v1, v5, v4, v1
	v_add3_u32 v22, v9, v3, v7
	v_add3_u32 v4, v8, v1, v2
	s_cbranch_scc1 .LBB110_6
	s_branch .LBB110_10
.LBB110_7:
                                        ; implicit-def: $vgpr22
                                        ; implicit-def: $vgpr4
	s_andn2_b64 vcc, exec, s[4:5]
	s_cbranch_vccz .LBB110_14
	s_branch .LBB110_16
.LBB110_8:
	v_mov_b32_e32 v22, 0
	v_mov_b32_e32 v4, 0
	s_branch .LBB110_13
.LBB110_9:
	s_mov_b32 s28, 0
	v_mov_b32_e32 v22, 0
	v_mov_b32_e32 v4, 0
	;; [unrolled: 1-line block ×3, first 2 shown]
.LBB110_10:
	s_and_b32 s8, s29, 3
	s_cmp_eq_u32 s8, 0
	s_cbranch_scc1 .LBB110_13
; %bb.11:
	s_lshl_b32 s4, s28, 3
	s_add_u32 s4, s56, s4
	s_addc_u32 s5, s57, 0
	s_add_u32 s4, s4, 0xc4
	s_addc_u32 s5, s5, 0
	s_mul_i32 s6, s28, 12
	s_add_u32 s6, s56, s6
	s_addc_u32 s7, s57, 0
.LBB110_12:                             ; =>This Inner Loop Header: Depth=1
	s_load_dwordx2 s[10:11], s[6:7], 0x4
	s_load_dword s9, s[6:7], 0xc
	s_load_dwordx2 s[12:13], s[4:5], 0x0
	s_add_u32 s6, s6, 12
	s_addc_u32 s7, s7, 0
	s_waitcnt lgkmcnt(0)
	v_mul_hi_u32 v1, s11, v0
	s_add_u32 s4, s4, 8
	s_addc_u32 s5, s5, 0
	s_add_i32 s8, s8, -1
	v_add_u32_e32 v1, v0, v1
	v_lshrrev_b32_e32 v1, s9, v1
	v_mul_lo_u32 v2, v1, s10
	s_cmp_lg_u32 s8, 0
	v_sub_u32_e32 v0, v0, v2
	v_mad_u64_u32 v[22:23], s[10:11], v0, s12, v[22:23]
	v_mad_u64_u32 v[4:5], s[10:11], v0, s13, v[4:5]
	v_mov_b32_e32 v0, v1
	s_cbranch_scc1 .LBB110_12
.LBB110_13:
	s_cbranch_execnz .LBB110_16
.LBB110_14:
	v_mul_hi_u32 v0, s49, v24
	s_andn2_b64 vcc, exec, s[68:69]
	v_add_u32_e32 v0, v24, v0
	v_lshrrev_b32_e32 v0, s50, v0
	v_mul_lo_u32 v1, v0, s48
	v_sub_u32_e32 v1, v24, v1
	v_mul_lo_u32 v22, v1, s52
	v_mul_lo_u32 v4, v1, s53
	s_cbranch_vccnz .LBB110_16
; %bb.15:
	v_mul_hi_u32 v1, s66, v0
	v_add_u32_e32 v1, v0, v1
	v_lshrrev_b32_e32 v1, s67, v1
	v_mul_lo_u32 v1, v1, s51
	v_sub_u32_e32 v0, v0, v1
	v_mad_u64_u32 v[22:23], s[4:5], v0, s54, v[22:23]
	v_mad_u64_u32 v[4:5], s[4:5], v0, s55, v[4:5]
.LBB110_16:
	s_getpc_b64 s[4:5]
	s_add_u32 s4, s4, _ZN2at6native6invokeIZZZNS0_21polygamma_kernel_cudaERNS_18TensorIteratorBaseElENKUlvE_clEvENKUlvE1_clEvEUlN3c104HalfEE_j15function_traitsIS8_EEENT1_11result_typeERKT_PrKPcPKT0_PKNS6_10ScalarTypeEi@rel32@lo+4
	s_addc_u32 s5, s5, _ZN2at6native6invokeIZZZNS0_21polygamma_kernel_cudaERNS_18TensorIteratorBaseElENKUlvE_clEvENKUlvE1_clEvEUlN3c104HalfEE_j15function_traitsIS8_EEENT1_11result_typeERKT_PrKPcPKT0_PKNS6_10ScalarTypeEi@rel32@hi+12
	v_mov_b32_e32 v0, s64
	v_mov_b32_e32 v1, s65
	v_mov_b32_e32 v2, s38
	v_mov_b32_e32 v3, s39
	v_mov_b32_e32 v5, s90
	s_swappc_b64 s[30:31], s[4:5]
	v_mov_b32_e32 v2, s37
	s_and_b32 s12, s89, 0xff
	v_add_co_u32_e32 v1, vcc, s36, v22
	s_cmp_lt_i32 s12, 11
	v_addc_co_u32_e32 v2, vcc, 0, v2, vcc
	s_cbranch_scc1 .LBB110_23
; %bb.17:
	s_and_b32 s13, 0xffff, s12
	s_cmp_gt_i32 s13, 25
	s_cbranch_scc0 .LBB110_26
; %bb.18:
	s_cmp_gt_i32 s13, 28
	s_cbranch_scc0 .LBB110_27
; %bb.19:
	;; [unrolled: 3-line block ×4, first 2 shown]
	s_mov_b64 s[8:9], 0
	s_mov_b64 s[4:5], -1
	s_cmp_eq_u32 s13, 46
	s_mov_b64 s[6:7], 0
	s_cbranch_scc0 .LBB110_30
; %bb.22:
	v_cvt_f32_f16_e32 v3, v0
	s_movk_i32 s4, 0x7fff
	v_cmp_o_f16_e32 vcc, v0, v0
	v_mov_b32_e32 v4, 0x7fc0
	v_bfe_u32 v5, v3, 16, 1
	v_add3_u32 v3, v3, v5, s4
	v_cndmask_b32_sdwa v3, v4, v3, vcc dst_sel:DWORD dst_unused:UNUSED_PAD src0_sel:DWORD src1_sel:WORD_1
	global_store_dword v[1:2], v3, off
	s_mov_b64 s[6:7], -1
	s_mov_b64 s[4:5], 0
	s_branch .LBB110_30
.LBB110_23:
	s_mov_b64 s[4:5], 0
	s_mov_b64 s[6:7], 0
	s_cbranch_execnz .LBB110_98
.LBB110_24:
	s_andn2_b64 vcc, exec, s[6:7]
	s_cbranch_vccnz .LBB110_136
.LBB110_25:
	v_add_u32_e32 v24, 0x80, v24
	s_mov_b64 s[6:7], -1
	s_branch .LBB110_137
.LBB110_26:
	s_mov_b64 s[4:5], 0
	s_mov_b64 s[6:7], 0
	s_cbranch_execnz .LBB110_57
	s_branch .LBB110_97
.LBB110_27:
	s_mov_b64 s[8:9], -1
	s_mov_b64 s[4:5], 0
	s_mov_b64 s[6:7], 0
	s_branch .LBB110_40
.LBB110_28:
	s_mov_b64 s[8:9], -1
	s_mov_b64 s[4:5], 0
	s_mov_b64 s[6:7], 0
	s_branch .LBB110_36
.LBB110_29:
	s_mov_b64 s[8:9], -1
	s_mov_b64 s[4:5], 0
	s_mov_b64 s[6:7], 0
.LBB110_30:
	s_and_b64 vcc, exec, s[8:9]
	s_cbranch_vccz .LBB110_35
; %bb.31:
	s_cmp_eq_u32 s13, 44
	s_mov_b64 s[4:5], -1
	s_cbranch_scc0 .LBB110_35
; %bb.32:
	v_cvt_f32_f16_e32 v3, v0
	s_movk_i32 s4, 0xff
	v_mov_b32_e32 v5, 0xff
	v_bfe_u32 v4, v3, 23, 8
	v_cmp_ne_u32_e32 vcc, s4, v4
	s_and_saveexec_b64 s[6:7], vcc
; %bb.33:
	s_mov_b32 s4, 0x3fffff
	v_lshrrev_b32_e32 v5, 23, v3
	v_and_b32_e32 v6, 0x400000, v3
	v_and_or_b32 v3, v3, s4, v4
	v_cmp_ne_u32_e32 vcc, 0, v6
	v_cmp_ne_u32_e64 s[4:5], 0, v3
	s_and_b64 s[4:5], vcc, s[4:5]
	v_cndmask_b32_e64 v3, 0, 1, s[4:5]
	v_add_u32_e32 v5, v5, v3
; %bb.34:
	s_or_b64 exec, exec, s[6:7]
	s_mov_b64 s[6:7], -1
	s_mov_b64 s[4:5], 0
	global_store_byte v[1:2], v5, off
.LBB110_35:
	s_mov_b64 s[8:9], 0
.LBB110_36:
	s_and_b64 vcc, exec, s[8:9]
	s_cbranch_vccz .LBB110_39
; %bb.37:
	s_cmp_eq_u32 s13, 29
	s_mov_b64 s[4:5], -1
	s_cbranch_scc0 .LBB110_39
; %bb.38:
	v_cvt_f32_f16_e32 v3, v0
	v_mov_b32_e32 v4, 0
	s_mov_b64 s[6:7], -1
	s_mov_b64 s[4:5], 0
	v_cvt_u32_f32_e32 v3, v3
	s_mov_b64 s[8:9], 0
	global_store_dwordx2 v[1:2], v[3:4], off
	s_branch .LBB110_40
.LBB110_39:
	s_mov_b64 s[8:9], 0
.LBB110_40:
	s_and_b64 vcc, exec, s[8:9]
	s_cbranch_vccz .LBB110_56
; %bb.41:
	s_cmp_lt_i32 s13, 27
	s_mov_b64 s[6:7], -1
	s_cbranch_scc1 .LBB110_47
; %bb.42:
	s_cmp_gt_i32 s13, 27
	s_cbranch_scc0 .LBB110_44
; %bb.43:
	v_cvt_f32_f16_e32 v3, v0
	s_mov_b64 s[6:7], 0
	v_cvt_u32_f32_e32 v3, v3
	global_store_dword v[1:2], v3, off
.LBB110_44:
	s_andn2_b64 vcc, exec, s[6:7]
	s_cbranch_vccnz .LBB110_46
; %bb.45:
	v_cvt_u16_f16_e32 v3, v0
	global_store_short v[1:2], v3, off
.LBB110_46:
	s_mov_b64 s[6:7], 0
.LBB110_47:
	s_andn2_b64 vcc, exec, s[6:7]
	s_cbranch_vccnz .LBB110_55
; %bb.48:
	v_cvt_f32_f16_e32 v3, v0
	s_mov_b32 s6, 0x43800000
	v_mov_b32_e32 v5, 0x80
	v_and_b32_e32 v4, 0x7fffffff, v3
	v_cmp_gt_u32_e32 vcc, s6, v4
	s_and_saveexec_b64 s[6:7], vcc
	s_cbranch_execz .LBB110_54
; %bb.49:
	s_mov_b32 s8, 0x3bffffff
	v_cmp_lt_u32_e32 vcc, s8, v4
	s_mov_b64 s[8:9], 0
                                        ; implicit-def: $vgpr4
	s_and_saveexec_b64 s[10:11], vcc
	s_xor_b64 s[10:11], exec, s[10:11]
	s_cbranch_execz .LBB110_169
; %bb.50:
	v_bfe_u32 v4, v3, 20, 1
	s_mov_b32 s14, 0x487ffff
	v_add3_u32 v4, v3, v4, s14
	s_mov_b64 s[8:9], exec
	v_lshrrev_b32_e32 v4, 20, v4
	s_andn2_saveexec_b64 s[10:11], s[10:11]
	s_cbranch_execnz .LBB110_170
.LBB110_51:
	s_or_b64 exec, exec, s[10:11]
	v_mov_b32_e32 v5, 0
	s_and_saveexec_b64 s[10:11], s[8:9]
.LBB110_52:
	v_lshrrev_b32_e32 v3, 24, v3
	s_movk_i32 s8, 0x80
	v_and_or_b32 v5, v3, s8, v4
.LBB110_53:
	s_or_b64 exec, exec, s[10:11]
.LBB110_54:
	s_or_b64 exec, exec, s[6:7]
	global_store_byte v[1:2], v5, off
.LBB110_55:
	s_mov_b64 s[6:7], -1
.LBB110_56:
	s_branch .LBB110_97
.LBB110_57:
	s_cmp_gt_i32 s13, 22
	s_mov_b64 s[8:9], -1
	s_cbranch_scc0 .LBB110_89
; %bb.58:
	s_cmp_lt_i32 s13, 24
	s_mov_b64 s[6:7], -1
	s_cbranch_scc1 .LBB110_78
; %bb.59:
	s_cmp_gt_i32 s13, 24
	s_cbranch_scc0 .LBB110_67
; %bb.60:
	v_cvt_f32_f16_e32 v3, v0
	s_mov_b32 s6, 0x47800000
	v_mov_b32_e32 v5, 0x80
	v_and_b32_e32 v4, 0x7fffffff, v3
	v_cmp_gt_u32_e32 vcc, s6, v4
	s_and_saveexec_b64 s[6:7], vcc
	s_cbranch_execz .LBB110_66
; %bb.61:
	s_mov_b32 s8, 0x37ffffff
	v_cmp_lt_u32_e32 vcc, s8, v4
	s_mov_b64 s[8:9], 0
                                        ; implicit-def: $vgpr4
	s_and_saveexec_b64 s[10:11], vcc
	s_xor_b64 s[10:11], exec, s[10:11]
	s_cbranch_execz .LBB110_172
; %bb.62:
	v_bfe_u32 v4, v3, 21, 1
	s_mov_b32 s14, 0x88fffff
	v_add3_u32 v4, v3, v4, s14
	s_mov_b64 s[8:9], exec
	v_lshrrev_b32_e32 v4, 21, v4
	s_andn2_saveexec_b64 s[10:11], s[10:11]
	s_cbranch_execnz .LBB110_173
.LBB110_63:
	s_or_b64 exec, exec, s[10:11]
	v_mov_b32_e32 v5, 0
	s_and_saveexec_b64 s[10:11], s[8:9]
.LBB110_64:
	v_lshrrev_b32_e32 v3, 24, v3
	s_movk_i32 s8, 0x80
	v_and_or_b32 v5, v3, s8, v4
.LBB110_65:
	s_or_b64 exec, exec, s[10:11]
.LBB110_66:
	s_or_b64 exec, exec, s[6:7]
	s_mov_b64 s[6:7], 0
	global_store_byte v[1:2], v5, off
.LBB110_67:
	s_and_b64 vcc, exec, s[6:7]
	s_cbranch_vccz .LBB110_77
; %bb.68:
	v_cvt_f32_f16_e32 v3, v0
	s_mov_b32 s6, 0x43f00000
                                        ; implicit-def: $vgpr4
	v_and_b32_e32 v5, 0x7fffffff, v3
	v_cmp_gt_u32_e32 vcc, s6, v5
	s_and_saveexec_b64 s[6:7], vcc
	s_xor_b64 s[6:7], exec, s[6:7]
	s_cbranch_execz .LBB110_74
; %bb.69:
	s_mov_b32 s8, 0x3c7fffff
	v_cmp_lt_u32_e32 vcc, s8, v5
                                        ; implicit-def: $vgpr4
	s_and_saveexec_b64 s[8:9], vcc
	s_xor_b64 s[8:9], exec, s[8:9]
; %bb.70:
	v_bfe_u32 v4, v3, 20, 1
	s_mov_b32 s10, 0x407ffff
	v_add3_u32 v4, v3, v4, s10
	v_lshrrev_b32_e32 v5, 20, v4
	v_and_b32_e32 v4, 0xff00000, v4
	s_mov_b32 s10, 0x7f00000
	v_mov_b32_e32 v6, 0x7e
	v_cmp_ne_u32_e32 vcc, s10, v4
	v_cndmask_b32_e32 v4, v6, v5, vcc
; %bb.71:
	s_andn2_saveexec_b64 s[8:9], s[8:9]
; %bb.72:
	s_mov_b32 s10, 0x46800000
	v_add_f32_e64 v4, |v3|, s10
; %bb.73:
	s_or_b64 exec, exec, s[8:9]
                                        ; implicit-def: $vgpr5
.LBB110_74:
	s_andn2_saveexec_b64 s[6:7], s[6:7]
; %bb.75:
	s_mov_b32 s8, 0x7f800000
	v_mov_b32_e32 v4, 0x7e
	v_mov_b32_e32 v6, 0x7f
	v_cmp_lt_u32_e32 vcc, s8, v5
	v_cndmask_b32_e32 v4, v4, v6, vcc
; %bb.76:
	s_or_b64 exec, exec, s[6:7]
	v_lshrrev_b32_e32 v3, 24, v3
	s_movk_i32 s6, 0x80
	v_and_or_b32 v3, v3, s6, v4
	global_store_byte v[1:2], v3, off
.LBB110_77:
	s_mov_b64 s[6:7], 0
.LBB110_78:
	s_andn2_b64 vcc, exec, s[6:7]
	s_cbranch_vccnz .LBB110_88
; %bb.79:
	v_cvt_f32_f16_e32 v3, v0
	s_mov_b32 s6, 0x47800000
                                        ; implicit-def: $vgpr4
	v_and_b32_e32 v5, 0x7fffffff, v3
	v_cmp_gt_u32_e32 vcc, s6, v5
	s_and_saveexec_b64 s[6:7], vcc
	s_xor_b64 s[6:7], exec, s[6:7]
	s_cbranch_execz .LBB110_85
; %bb.80:
	s_mov_b32 s8, 0x387fffff
	v_cmp_lt_u32_e32 vcc, s8, v5
                                        ; implicit-def: $vgpr4
	s_and_saveexec_b64 s[8:9], vcc
	s_xor_b64 s[8:9], exec, s[8:9]
; %bb.81:
	v_bfe_u32 v4, v3, 21, 1
	s_mov_b32 s10, 0x80fffff
	v_add3_u32 v4, v3, v4, s10
	v_lshrrev_b32_e32 v4, 21, v4
; %bb.82:
	s_andn2_saveexec_b64 s[8:9], s[8:9]
; %bb.83:
	s_mov_b32 s10, 0x43000000
	v_add_f32_e64 v4, |v3|, s10
; %bb.84:
	s_or_b64 exec, exec, s[8:9]
                                        ; implicit-def: $vgpr5
.LBB110_85:
	s_andn2_saveexec_b64 s[6:7], s[6:7]
; %bb.86:
	s_mov_b32 s8, 0x7f800000
	v_mov_b32_e32 v4, 0x7c
	v_mov_b32_e32 v6, 0x7f
	v_cmp_lt_u32_e32 vcc, s8, v5
	v_cndmask_b32_e32 v4, v4, v6, vcc
; %bb.87:
	s_or_b64 exec, exec, s[6:7]
	v_lshrrev_b32_e32 v3, 24, v3
	s_movk_i32 s6, 0x80
	v_and_or_b32 v3, v3, s6, v4
	global_store_byte v[1:2], v3, off
.LBB110_88:
	s_mov_b64 s[8:9], 0
	s_mov_b64 s[6:7], -1
.LBB110_89:
	s_andn2_b64 vcc, exec, s[8:9]
	s_cbranch_vccnz .LBB110_97
; %bb.90:
	s_cmp_gt_i32 s13, 14
	s_mov_b64 s[8:9], -1
	s_cbranch_scc0 .LBB110_94
; %bb.91:
	s_cmp_eq_u32 s13, 15
	s_mov_b64 s[4:5], -1
	s_cbranch_scc0 .LBB110_93
; %bb.92:
	v_cvt_f32_f16_e32 v3, v0
	s_movk_i32 s4, 0x7fff
	v_cmp_o_f16_e32 vcc, v0, v0
	v_mov_b32_e32 v4, 0x7fc0
	v_bfe_u32 v5, v3, 16, 1
	v_add3_u32 v3, v3, v5, s4
	v_cndmask_b32_sdwa v3, v4, v3, vcc dst_sel:DWORD dst_unused:UNUSED_PAD src0_sel:DWORD src1_sel:WORD_1
	global_store_short v[1:2], v3, off
	s_mov_b64 s[6:7], -1
	s_mov_b64 s[4:5], 0
.LBB110_93:
	s_mov_b64 s[8:9], 0
.LBB110_94:
	s_and_b64 vcc, exec, s[8:9]
	s_cbranch_vccz .LBB110_97
; %bb.95:
	s_cmp_eq_u32 s13, 11
	s_mov_b64 s[4:5], -1
	s_cbranch_scc0 .LBB110_97
; %bb.96:
	v_and_b32_e32 v3, 0x7fff, v0
	v_cmp_ne_u16_e32 vcc, 0, v3
	v_cndmask_b32_e64 v3, 0, 1, vcc
	s_mov_b64 s[6:7], -1
	s_mov_b64 s[4:5], 0
	global_store_byte v[1:2], v3, off
.LBB110_97:
	s_branch .LBB110_24
.LBB110_98:
	s_and_b32 s8, 0xffff, s12
	s_cmp_lt_i32 s8, 5
	s_mov_b64 s[6:7], -1
	s_cbranch_scc1 .LBB110_119
; %bb.99:
	s_cmp_lt_i32 s8, 8
	s_cbranch_scc1 .LBB110_109
; %bb.100:
	s_cmp_lt_i32 s8, 9
	s_cbranch_scc1 .LBB110_106
; %bb.101:
	s_cmp_gt_i32 s8, 9
	s_cbranch_scc0 .LBB110_103
; %bb.102:
	v_cvt_f32_f16_e32 v3, v0
	v_mov_b32_e32 v5, 0
	v_mov_b32_e32 v6, v5
	s_mov_b64 s[6:7], 0
	v_cvt_f64_f32_e32 v[3:4], v3
	global_store_dwordx4 v[1:2], v[3:6], off
.LBB110_103:
	s_andn2_b64 vcc, exec, s[6:7]
	s_cbranch_vccnz .LBB110_105
; %bb.104:
	v_cvt_f32_f16_e32 v3, v0
	v_mov_b32_e32 v4, 0
	global_store_dwordx2 v[1:2], v[3:4], off
.LBB110_105:
	s_mov_b64 s[6:7], 0
.LBB110_106:
	s_andn2_b64 vcc, exec, s[6:7]
	s_cbranch_vccnz .LBB110_108
; %bb.107:
	v_and_b32_e32 v3, 0xffff, v0
	global_store_dword v[1:2], v3, off
.LBB110_108:
	s_mov_b64 s[6:7], 0
.LBB110_109:
	s_andn2_b64 vcc, exec, s[6:7]
	s_cbranch_vccnz .LBB110_118
; %bb.110:
	s_cmp_lt_i32 s8, 6
	s_mov_b64 s[6:7], -1
	s_cbranch_scc1 .LBB110_116
; %bb.111:
	s_cmp_gt_i32 s8, 6
	s_cbranch_scc0 .LBB110_113
; %bb.112:
	v_cvt_f32_f16_e32 v3, v0
	s_mov_b64 s[6:7], 0
	v_cvt_f64_f32_e32 v[3:4], v3
	global_store_dwordx2 v[1:2], v[3:4], off
.LBB110_113:
	s_andn2_b64 vcc, exec, s[6:7]
	s_cbranch_vccnz .LBB110_115
; %bb.114:
	v_cvt_f32_f16_e32 v3, v0
	global_store_dword v[1:2], v3, off
.LBB110_115:
	s_mov_b64 s[6:7], 0
.LBB110_116:
	s_andn2_b64 vcc, exec, s[6:7]
	s_cbranch_vccnz .LBB110_118
; %bb.117:
	global_store_short v[1:2], v0, off
.LBB110_118:
	s_mov_b64 s[6:7], 0
.LBB110_119:
	s_andn2_b64 vcc, exec, s[6:7]
	s_cbranch_vccnz .LBB110_135
; %bb.120:
	s_cmp_lt_i32 s8, 2
	s_mov_b64 s[6:7], -1
	s_cbranch_scc1 .LBB110_130
; %bb.121:
	s_cmp_lt_i32 s8, 3
	s_cbranch_scc1 .LBB110_127
; %bb.122:
	s_cmp_gt_i32 s8, 3
	s_cbranch_scc0 .LBB110_124
; %bb.123:
	v_cvt_f32_f16_e32 v3, v0
	s_mov_b64 s[6:7], 0
	v_cvt_i32_f32_e32 v3, v3
	v_ashrrev_i32_e32 v4, 31, v3
	global_store_dwordx2 v[1:2], v[3:4], off
.LBB110_124:
	s_andn2_b64 vcc, exec, s[6:7]
	s_cbranch_vccnz .LBB110_126
; %bb.125:
	v_cvt_f32_f16_e32 v3, v0
	v_cvt_i32_f32_e32 v3, v3
	global_store_dword v[1:2], v3, off
.LBB110_126:
	s_mov_b64 s[6:7], 0
.LBB110_127:
	s_andn2_b64 vcc, exec, s[6:7]
	s_cbranch_vccnz .LBB110_129
; %bb.128:
	v_cvt_i16_f16_e32 v3, v0
	global_store_short v[1:2], v3, off
.LBB110_129:
	s_mov_b64 s[6:7], 0
.LBB110_130:
	s_andn2_b64 vcc, exec, s[6:7]
	s_cbranch_vccnz .LBB110_135
; %bb.131:
	s_cmp_gt_i32 s8, 0
	s_mov_b64 s[6:7], -1
	s_cbranch_scc0 .LBB110_133
; %bb.132:
	v_cvt_i16_f16_e32 v3, v0
	global_store_byte v[1:2], v3, off
	s_mov_b64 s[6:7], 0
.LBB110_133:
	s_andn2_b64 vcc, exec, s[6:7]
	s_cbranch_vccnz .LBB110_135
; %bb.134:
	v_cvt_f32_f16_e32 v0, v0
	v_cvt_i32_f32_e32 v0, v0
	global_store_byte v[1:2], v0, off
.LBB110_135:
	s_branch .LBB110_25
.LBB110_136:
	s_mov_b64 s[6:7], 0
                                        ; implicit-def: $vgpr24
.LBB110_137:
	s_and_b64 s[74:75], s[4:5], exec
	s_orn2_b64 s[4:5], s[6:7], exec
.LBB110_138:
	s_or_b64 exec, exec, s[76:77]
	s_mov_b64 s[6:7], 0
                                        ; implicit-def: $sgpr14
                                        ; implicit-def: $vgpr1_vgpr2
                                        ; implicit-def: $vgpr0
	s_and_saveexec_b64 s[76:77], s[4:5]
	s_cbranch_execz .LBB110_145
; %bb.139:
	v_cmp_gt_i32_e32 vcc, s86, v24
	s_mov_b64 s[8:9], -1
	s_mov_b64 s[78:79], s[74:75]
	s_and_saveexec_b64 s[80:81], vcc
	s_cbranch_execz .LBB110_284
; %bb.140:
	s_andn2_b64 vcc, exec, s[60:61]
	s_cbranch_vccnz .LBB110_148
; %bb.141:
	s_andn2_b64 vcc, exec, s[72:73]
	s_cbranch_vccnz .LBB110_149
; %bb.142:
	s_add_i32 s29, s91, 1
	s_cmp_eq_u32 s88, 2
	s_cbranch_scc1 .LBB110_150
; %bb.143:
	s_and_b32 s28, s29, 28
	v_mov_b32_e32 v4, 0
	s_mov_b32 s30, 0
	s_mov_b64 s[24:25], s[56:57]
	s_mov_b64 s[26:27], s[70:71]
	v_mov_b32_e32 v22, 0
	v_mov_b32_e32 v0, v24
.LBB110_144:                            ; =>This Inner Loop Header: Depth=1
	s_load_dwordx8 s[12:19], s[24:25], 0x4
	s_load_dwordx4 s[20:23], s[24:25], 0x24
	s_load_dwordx8 s[4:11], s[26:27], 0x0
	s_add_u32 s24, s24, 48
	s_addc_u32 s25, s25, 0
	s_waitcnt lgkmcnt(0)
	v_mul_hi_u32 v1, s13, v0
	s_add_i32 s30, s30, 4
	s_add_u32 s26, s26, 32
	s_addc_u32 s27, s27, 0
	v_add_u32_e32 v1, v0, v1
	v_lshrrev_b32_e32 v1, s14, v1
	v_mul_lo_u32 v2, v1, s12
	v_mul_hi_u32 v3, s16, v1
	s_cmp_eq_u32 s28, s30
	v_sub_u32_e32 v0, v0, v2
	v_add_u32_e32 v2, v1, v3
	v_mul_lo_u32 v3, v0, s4
	v_mul_lo_u32 v5, v0, s5
	v_lshrrev_b32_e32 v0, s17, v2
	v_mul_lo_u32 v2, v0, s15
	v_mul_hi_u32 v6, s19, v0
	v_sub_u32_e32 v1, v1, v2
	v_add_u32_e32 v2, v0, v6
	v_lshrrev_b32_e32 v2, s20, v2
	v_mul_hi_u32 v7, s22, v2
	v_mul_lo_u32 v8, v2, s18
	v_mul_lo_u32 v6, v1, s6
	;; [unrolled: 1-line block ×3, first 2 shown]
	v_sub_u32_e32 v8, v0, v8
	v_add_u32_e32 v0, v2, v7
	v_lshrrev_b32_e32 v0, s23, v0
	v_mul_lo_u32 v7, v0, s21
	v_mul_lo_u32 v9, v8, s8
	;; [unrolled: 1-line block ×3, first 2 shown]
	v_add3_u32 v3, v3, v22, v6
	v_sub_u32_e32 v2, v2, v7
	v_mul_lo_u32 v7, v2, s10
	v_mul_lo_u32 v2, v2, s11
	v_add3_u32 v1, v5, v4, v1
	v_add3_u32 v22, v9, v3, v7
	;; [unrolled: 1-line block ×3, first 2 shown]
	s_cbranch_scc0 .LBB110_144
	s_branch .LBB110_151
.LBB110_145:
	s_or_b64 exec, exec, s[76:77]
	s_mov_b64 s[4:5], 0
	s_and_saveexec_b64 s[8:9], s[74:75]
	s_cbranch_execnz .LBB110_526
.LBB110_146:
	s_or_b64 exec, exec, s[8:9]
	s_and_saveexec_b64 s[8:9], s[80:81]
	s_xor_b64 s[8:9], exec, s[8:9]
	s_cbranch_execz .LBB110_527
.LBB110_147:
	v_and_b32_e32 v3, 0x7fff, v0
	v_cmp_ne_u16_e32 vcc, 0, v3
	v_cndmask_b32_e64 v3, 0, 1, vcc
	global_store_byte v[1:2], v3, off
	s_or_b64 exec, exec, s[8:9]
	s_and_saveexec_b64 s[8:9], s[6:7]
	s_xor_b64 s[6:7], exec, s[8:9]
	s_cbranch_execz .LBB110_565
	s_branch .LBB110_528
.LBB110_148:
                                        ; implicit-def: $vgpr22
                                        ; implicit-def: $vgpr4
	s_branch .LBB110_155
.LBB110_149:
	v_mov_b32_e32 v22, 0
	v_mov_b32_e32 v4, 0
	s_branch .LBB110_154
.LBB110_150:
	s_mov_b32 s28, 0
	v_mov_b32_e32 v22, 0
	v_mov_b32_e32 v4, 0
	;; [unrolled: 1-line block ×3, first 2 shown]
.LBB110_151:
	s_and_b32 s8, s29, 3
	s_cmp_eq_u32 s8, 0
	s_cbranch_scc1 .LBB110_154
; %bb.152:
	s_lshl_b32 s4, s28, 3
	s_add_u32 s4, s56, s4
	s_addc_u32 s5, s57, 0
	s_add_u32 s4, s4, 0xc4
	s_addc_u32 s5, s5, 0
	s_mul_i32 s6, s28, 12
	s_add_u32 s6, s56, s6
	s_addc_u32 s7, s57, 0
.LBB110_153:                            ; =>This Inner Loop Header: Depth=1
	s_load_dwordx2 s[10:11], s[6:7], 0x4
	s_load_dword s9, s[6:7], 0xc
	s_load_dwordx2 s[12:13], s[4:5], 0x0
	s_add_u32 s6, s6, 12
	s_addc_u32 s7, s7, 0
	s_waitcnt lgkmcnt(0)
	v_mul_hi_u32 v1, s11, v0
	s_add_u32 s4, s4, 8
	s_addc_u32 s5, s5, 0
	s_add_i32 s8, s8, -1
	v_add_u32_e32 v1, v0, v1
	v_lshrrev_b32_e32 v1, s9, v1
	v_mul_lo_u32 v2, v1, s10
	s_cmp_lg_u32 s8, 0
	v_sub_u32_e32 v0, v0, v2
	v_mad_u64_u32 v[22:23], s[10:11], v0, s12, v[22:23]
	v_mad_u64_u32 v[4:5], s[10:11], v0, s13, v[4:5]
	v_mov_b32_e32 v0, v1
	s_cbranch_scc1 .LBB110_153
.LBB110_154:
	s_cbranch_execnz .LBB110_157
.LBB110_155:
	v_mul_hi_u32 v0, s49, v24
	s_andn2_b64 vcc, exec, s[68:69]
	v_add_u32_e32 v0, v24, v0
	v_lshrrev_b32_e32 v0, s50, v0
	v_mul_lo_u32 v1, v0, s48
	v_sub_u32_e32 v1, v24, v1
	v_mul_lo_u32 v22, v1, s52
	v_mul_lo_u32 v4, v1, s53
	s_cbranch_vccnz .LBB110_157
; %bb.156:
	v_mul_hi_u32 v1, s66, v0
	v_add_u32_e32 v1, v0, v1
	v_lshrrev_b32_e32 v1, s67, v1
	v_mul_lo_u32 v1, v1, s51
	v_sub_u32_e32 v0, v0, v1
	v_mad_u64_u32 v[22:23], s[4:5], v0, s54, v[22:23]
	v_mad_u64_u32 v[4:5], s[4:5], v0, s55, v[4:5]
.LBB110_157:
	s_getpc_b64 s[4:5]
	s_add_u32 s4, s4, _ZN2at6native6invokeIZZZNS0_21polygamma_kernel_cudaERNS_18TensorIteratorBaseElENKUlvE_clEvENKUlvE1_clEvEUlN3c104HalfEE_j15function_traitsIS8_EEENT1_11result_typeERKT_PrKPcPKT0_PKNS6_10ScalarTypeEi@rel32@lo+4
	s_addc_u32 s5, s5, _ZN2at6native6invokeIZZZNS0_21polygamma_kernel_cudaERNS_18TensorIteratorBaseElENKUlvE_clEvENKUlvE1_clEvEUlN3c104HalfEE_j15function_traitsIS8_EEENT1_11result_typeERKT_PrKPcPKT0_PKNS6_10ScalarTypeEi@rel32@hi+12
	v_mov_b32_e32 v0, s64
	v_mov_b32_e32 v1, s65
	;; [unrolled: 1-line block ×5, first 2 shown]
	s_swappc_b64 s[30:31], s[4:5]
	v_mov_b32_e32 v2, s37
	s_and_b32 s12, s89, 0xff
	v_add_co_u32_e32 v1, vcc, s36, v22
	s_cmp_lt_i32 s12, 11
	v_addc_co_u32_e32 v2, vcc, 0, v2, vcc
	s_cbranch_scc1 .LBB110_164
; %bb.158:
	s_and_b32 s13, 0xffff, s12
	s_cmp_gt_i32 s13, 25
	s_cbranch_scc0 .LBB110_167
; %bb.159:
	s_cmp_gt_i32 s13, 28
	s_cbranch_scc0 .LBB110_168
; %bb.160:
	;; [unrolled: 3-line block ×4, first 2 shown]
	s_mov_b64 s[8:9], 0
	s_mov_b64 s[4:5], -1
	s_cmp_eq_u32 s13, 46
	s_mov_b64 s[6:7], 0
	s_cbranch_scc0 .LBB110_175
; %bb.163:
	v_cvt_f32_f16_e32 v3, v0
	s_movk_i32 s4, 0x7fff
	v_cmp_o_f16_e32 vcc, v0, v0
	v_mov_b32_e32 v4, 0x7fc0
	v_bfe_u32 v5, v3, 16, 1
	v_add3_u32 v3, v3, v5, s4
	v_cndmask_b32_sdwa v3, v4, v3, vcc dst_sel:DWORD dst_unused:UNUSED_PAD src0_sel:DWORD src1_sel:WORD_1
	global_store_dword v[1:2], v3, off
	s_mov_b64 s[6:7], -1
	s_mov_b64 s[4:5], 0
	s_branch .LBB110_175
.LBB110_164:
	s_mov_b64 s[6:7], 0
	s_mov_b64 s[4:5], s[74:75]
	s_cbranch_execnz .LBB110_244
.LBB110_165:
	s_andn2_b64 vcc, exec, s[6:7]
	s_cbranch_vccnz .LBB110_282
.LBB110_166:
	v_add_u32_e32 v24, 0x80, v24
	s_mov_b64 s[6:7], -1
	s_branch .LBB110_283
.LBB110_167:
	s_mov_b64 s[8:9], -1
	s_mov_b64 s[6:7], 0
	s_mov_b64 s[4:5], s[74:75]
	s_branch .LBB110_202
.LBB110_168:
	s_mov_b64 s[8:9], -1
	s_mov_b64 s[6:7], 0
	s_mov_b64 s[4:5], s[74:75]
	s_branch .LBB110_185
.LBB110_169:
	s_andn2_saveexec_b64 s[10:11], s[10:11]
	s_cbranch_execz .LBB110_51
.LBB110_170:
	s_mov_b32 s14, 0x46000000
	v_add_f32_e64 v4, |v3|, s14
	v_and_b32_e32 v4, 0xff, v4
	v_cmp_ne_u32_e32 vcc, 0, v4
	s_andn2_b64 s[8:9], s[8:9], exec
	s_and_b64 s[14:15], vcc, exec
	s_or_b64 s[8:9], s[8:9], s[14:15]
	s_or_b64 exec, exec, s[10:11]
	v_mov_b32_e32 v5, 0
	s_and_saveexec_b64 s[10:11], s[8:9]
	s_cbranch_execnz .LBB110_52
	s_branch .LBB110_53
.LBB110_171:
	s_mov_b64 s[8:9], -1
	s_mov_b64 s[6:7], 0
	s_mov_b64 s[4:5], s[74:75]
	s_branch .LBB110_181
.LBB110_172:
	s_andn2_saveexec_b64 s[10:11], s[10:11]
	s_cbranch_execz .LBB110_63
.LBB110_173:
	s_mov_b32 s14, 0x42800000
	v_add_f32_e64 v4, |v3|, s14
	v_and_b32_e32 v4, 0xff, v4
	v_cmp_ne_u32_e32 vcc, 0, v4
	s_andn2_b64 s[8:9], s[8:9], exec
	s_and_b64 s[14:15], vcc, exec
	s_or_b64 s[8:9], s[8:9], s[14:15]
	s_or_b64 exec, exec, s[10:11]
	v_mov_b32_e32 v5, 0
	s_and_saveexec_b64 s[10:11], s[8:9]
	s_cbranch_execnz .LBB110_64
	s_branch .LBB110_65
.LBB110_174:
	s_mov_b64 s[8:9], -1
	s_mov_b64 s[6:7], 0
	s_mov_b64 s[4:5], s[74:75]
.LBB110_175:
	s_and_b64 vcc, exec, s[8:9]
	s_cbranch_vccz .LBB110_180
; %bb.176:
	s_cmp_eq_u32 s13, 44
	s_mov_b64 s[4:5], -1
	s_cbranch_scc0 .LBB110_180
; %bb.177:
	v_cvt_f32_f16_e32 v3, v0
	s_movk_i32 s4, 0xff
	v_mov_b32_e32 v5, 0xff
	v_bfe_u32 v4, v3, 23, 8
	v_cmp_ne_u32_e32 vcc, s4, v4
	s_and_saveexec_b64 s[6:7], vcc
; %bb.178:
	s_mov_b32 s4, 0x3fffff
	v_lshrrev_b32_e32 v5, 23, v3
	v_and_b32_e32 v6, 0x400000, v3
	v_and_or_b32 v3, v3, s4, v4
	v_cmp_ne_u32_e32 vcc, 0, v6
	v_cmp_ne_u32_e64 s[4:5], 0, v3
	s_and_b64 s[4:5], vcc, s[4:5]
	v_cndmask_b32_e64 v3, 0, 1, s[4:5]
	v_add_u32_e32 v5, v5, v3
; %bb.179:
	s_or_b64 exec, exec, s[6:7]
	s_mov_b64 s[6:7], -1
	s_mov_b64 s[4:5], 0
	global_store_byte v[1:2], v5, off
.LBB110_180:
	s_mov_b64 s[8:9], 0
.LBB110_181:
	s_and_b64 vcc, exec, s[8:9]
	s_cbranch_vccz .LBB110_184
; %bb.182:
	s_cmp_eq_u32 s13, 29
	s_mov_b64 s[4:5], -1
	s_cbranch_scc0 .LBB110_184
; %bb.183:
	v_cvt_f32_f16_e32 v3, v0
	v_mov_b32_e32 v4, 0
	s_mov_b64 s[6:7], -1
	s_mov_b64 s[4:5], 0
	v_cvt_u32_f32_e32 v3, v3
	s_mov_b64 s[8:9], 0
	global_store_dwordx2 v[1:2], v[3:4], off
	s_branch .LBB110_185
.LBB110_184:
	s_mov_b64 s[8:9], 0
.LBB110_185:
	s_and_b64 vcc, exec, s[8:9]
	s_cbranch_vccz .LBB110_201
; %bb.186:
	s_cmp_lt_i32 s13, 27
	s_mov_b64 s[6:7], -1
	s_cbranch_scc1 .LBB110_192
; %bb.187:
	s_cmp_gt_i32 s13, 27
	s_cbranch_scc0 .LBB110_189
; %bb.188:
	v_cvt_f32_f16_e32 v3, v0
	s_mov_b64 s[6:7], 0
	v_cvt_u32_f32_e32 v3, v3
	global_store_dword v[1:2], v3, off
.LBB110_189:
	s_andn2_b64 vcc, exec, s[6:7]
	s_cbranch_vccnz .LBB110_191
; %bb.190:
	v_cvt_u16_f16_e32 v3, v0
	global_store_short v[1:2], v3, off
.LBB110_191:
	s_mov_b64 s[6:7], 0
.LBB110_192:
	s_andn2_b64 vcc, exec, s[6:7]
	s_cbranch_vccnz .LBB110_200
; %bb.193:
	v_cvt_f32_f16_e32 v3, v0
	s_mov_b32 s6, 0x43800000
	v_mov_b32_e32 v5, 0x80
	v_and_b32_e32 v4, 0x7fffffff, v3
	v_cmp_gt_u32_e32 vcc, s6, v4
	s_and_saveexec_b64 s[6:7], vcc
	s_cbranch_execz .LBB110_199
; %bb.194:
	s_mov_b32 s8, 0x3bffffff
	v_cmp_lt_u32_e32 vcc, s8, v4
	s_mov_b64 s[8:9], 0
                                        ; implicit-def: $vgpr4
	s_and_saveexec_b64 s[10:11], vcc
	s_xor_b64 s[10:11], exec, s[10:11]
	s_cbranch_execz .LBB110_311
; %bb.195:
	v_bfe_u32 v4, v3, 20, 1
	s_mov_b32 s14, 0x487ffff
	v_add3_u32 v4, v3, v4, s14
	s_mov_b64 s[8:9], exec
	v_lshrrev_b32_e32 v4, 20, v4
	s_andn2_saveexec_b64 s[10:11], s[10:11]
	s_cbranch_execnz .LBB110_312
.LBB110_196:
	s_or_b64 exec, exec, s[10:11]
	v_mov_b32_e32 v5, 0
	s_and_saveexec_b64 s[10:11], s[8:9]
.LBB110_197:
	v_lshrrev_b32_e32 v3, 24, v3
	s_movk_i32 s8, 0x80
	v_and_or_b32 v5, v3, s8, v4
.LBB110_198:
	s_or_b64 exec, exec, s[10:11]
.LBB110_199:
	s_or_b64 exec, exec, s[6:7]
	global_store_byte v[1:2], v5, off
.LBB110_200:
	s_mov_b64 s[6:7], -1
.LBB110_201:
	s_mov_b64 s[8:9], 0
.LBB110_202:
	s_and_b64 vcc, exec, s[8:9]
	s_cbranch_vccz .LBB110_243
; %bb.203:
	s_cmp_gt_i32 s13, 22
	s_mov_b64 s[8:9], -1
	s_cbranch_scc0 .LBB110_235
; %bb.204:
	s_cmp_lt_i32 s13, 24
	s_mov_b64 s[6:7], -1
	s_cbranch_scc1 .LBB110_224
; %bb.205:
	s_cmp_gt_i32 s13, 24
	s_cbranch_scc0 .LBB110_213
; %bb.206:
	v_cvt_f32_f16_e32 v3, v0
	s_mov_b32 s6, 0x47800000
	v_mov_b32_e32 v5, 0x80
	v_and_b32_e32 v4, 0x7fffffff, v3
	v_cmp_gt_u32_e32 vcc, s6, v4
	s_and_saveexec_b64 s[6:7], vcc
	s_cbranch_execz .LBB110_212
; %bb.207:
	s_mov_b32 s8, 0x37ffffff
	v_cmp_lt_u32_e32 vcc, s8, v4
	s_mov_b64 s[8:9], 0
                                        ; implicit-def: $vgpr4
	s_and_saveexec_b64 s[10:11], vcc
	s_xor_b64 s[10:11], exec, s[10:11]
	s_cbranch_execz .LBB110_314
; %bb.208:
	v_bfe_u32 v4, v3, 21, 1
	s_mov_b32 s14, 0x88fffff
	v_add3_u32 v4, v3, v4, s14
	s_mov_b64 s[8:9], exec
	v_lshrrev_b32_e32 v4, 21, v4
	s_andn2_saveexec_b64 s[10:11], s[10:11]
	s_cbranch_execnz .LBB110_315
.LBB110_209:
	s_or_b64 exec, exec, s[10:11]
	v_mov_b32_e32 v5, 0
	s_and_saveexec_b64 s[10:11], s[8:9]
.LBB110_210:
	v_lshrrev_b32_e32 v3, 24, v3
	s_movk_i32 s8, 0x80
	v_and_or_b32 v5, v3, s8, v4
.LBB110_211:
	s_or_b64 exec, exec, s[10:11]
.LBB110_212:
	s_or_b64 exec, exec, s[6:7]
	s_mov_b64 s[6:7], 0
	global_store_byte v[1:2], v5, off
.LBB110_213:
	s_and_b64 vcc, exec, s[6:7]
	s_cbranch_vccz .LBB110_223
; %bb.214:
	v_cvt_f32_f16_e32 v3, v0
	s_mov_b32 s6, 0x43f00000
                                        ; implicit-def: $vgpr4
	v_and_b32_e32 v5, 0x7fffffff, v3
	v_cmp_gt_u32_e32 vcc, s6, v5
	s_and_saveexec_b64 s[6:7], vcc
	s_xor_b64 s[6:7], exec, s[6:7]
	s_cbranch_execz .LBB110_220
; %bb.215:
	s_mov_b32 s8, 0x3c7fffff
	v_cmp_lt_u32_e32 vcc, s8, v5
                                        ; implicit-def: $vgpr4
	s_and_saveexec_b64 s[8:9], vcc
	s_xor_b64 s[8:9], exec, s[8:9]
; %bb.216:
	v_bfe_u32 v4, v3, 20, 1
	s_mov_b32 s10, 0x407ffff
	v_add3_u32 v4, v3, v4, s10
	v_lshrrev_b32_e32 v5, 20, v4
	v_and_b32_e32 v4, 0xff00000, v4
	s_mov_b32 s10, 0x7f00000
	v_mov_b32_e32 v6, 0x7e
	v_cmp_ne_u32_e32 vcc, s10, v4
	v_cndmask_b32_e32 v4, v6, v5, vcc
; %bb.217:
	s_andn2_saveexec_b64 s[8:9], s[8:9]
; %bb.218:
	s_mov_b32 s10, 0x46800000
	v_add_f32_e64 v4, |v3|, s10
; %bb.219:
	s_or_b64 exec, exec, s[8:9]
                                        ; implicit-def: $vgpr5
.LBB110_220:
	s_andn2_saveexec_b64 s[6:7], s[6:7]
; %bb.221:
	s_mov_b32 s8, 0x7f800000
	v_mov_b32_e32 v4, 0x7e
	v_mov_b32_e32 v6, 0x7f
	v_cmp_lt_u32_e32 vcc, s8, v5
	v_cndmask_b32_e32 v4, v4, v6, vcc
; %bb.222:
	s_or_b64 exec, exec, s[6:7]
	v_lshrrev_b32_e32 v3, 24, v3
	s_movk_i32 s6, 0x80
	v_and_or_b32 v3, v3, s6, v4
	global_store_byte v[1:2], v3, off
.LBB110_223:
	s_mov_b64 s[6:7], 0
.LBB110_224:
	s_andn2_b64 vcc, exec, s[6:7]
	s_cbranch_vccnz .LBB110_234
; %bb.225:
	v_cvt_f32_f16_e32 v3, v0
	s_mov_b32 s6, 0x47800000
                                        ; implicit-def: $vgpr4
	v_and_b32_e32 v5, 0x7fffffff, v3
	v_cmp_gt_u32_e32 vcc, s6, v5
	s_and_saveexec_b64 s[6:7], vcc
	s_xor_b64 s[6:7], exec, s[6:7]
	s_cbranch_execz .LBB110_231
; %bb.226:
	s_mov_b32 s8, 0x387fffff
	v_cmp_lt_u32_e32 vcc, s8, v5
                                        ; implicit-def: $vgpr4
	s_and_saveexec_b64 s[8:9], vcc
	s_xor_b64 s[8:9], exec, s[8:9]
; %bb.227:
	v_bfe_u32 v4, v3, 21, 1
	s_mov_b32 s10, 0x80fffff
	v_add3_u32 v4, v3, v4, s10
	v_lshrrev_b32_e32 v4, 21, v4
; %bb.228:
	s_andn2_saveexec_b64 s[8:9], s[8:9]
; %bb.229:
	s_mov_b32 s10, 0x43000000
	v_add_f32_e64 v4, |v3|, s10
; %bb.230:
	s_or_b64 exec, exec, s[8:9]
                                        ; implicit-def: $vgpr5
.LBB110_231:
	s_andn2_saveexec_b64 s[6:7], s[6:7]
; %bb.232:
	s_mov_b32 s8, 0x7f800000
	v_mov_b32_e32 v4, 0x7c
	v_mov_b32_e32 v6, 0x7f
	v_cmp_lt_u32_e32 vcc, s8, v5
	v_cndmask_b32_e32 v4, v4, v6, vcc
; %bb.233:
	s_or_b64 exec, exec, s[6:7]
	v_lshrrev_b32_e32 v3, 24, v3
	s_movk_i32 s6, 0x80
	v_and_or_b32 v3, v3, s6, v4
	global_store_byte v[1:2], v3, off
.LBB110_234:
	s_mov_b64 s[8:9], 0
	s_mov_b64 s[6:7], -1
.LBB110_235:
	s_andn2_b64 vcc, exec, s[8:9]
	s_cbranch_vccnz .LBB110_243
; %bb.236:
	s_cmp_gt_i32 s13, 14
	s_mov_b64 s[8:9], -1
	s_cbranch_scc0 .LBB110_240
; %bb.237:
	s_cmp_eq_u32 s13, 15
	s_mov_b64 s[4:5], -1
	s_cbranch_scc0 .LBB110_239
; %bb.238:
	v_cvt_f32_f16_e32 v3, v0
	s_movk_i32 s4, 0x7fff
	v_cmp_o_f16_e32 vcc, v0, v0
	v_mov_b32_e32 v4, 0x7fc0
	v_bfe_u32 v5, v3, 16, 1
	v_add3_u32 v3, v3, v5, s4
	v_cndmask_b32_sdwa v3, v4, v3, vcc dst_sel:DWORD dst_unused:UNUSED_PAD src0_sel:DWORD src1_sel:WORD_1
	global_store_short v[1:2], v3, off
	s_mov_b64 s[6:7], -1
	s_mov_b64 s[4:5], 0
.LBB110_239:
	s_mov_b64 s[8:9], 0
.LBB110_240:
	s_and_b64 vcc, exec, s[8:9]
	s_cbranch_vccz .LBB110_243
; %bb.241:
	s_cmp_eq_u32 s13, 11
	s_mov_b64 s[4:5], -1
	s_cbranch_scc0 .LBB110_243
; %bb.242:
	v_and_b32_e32 v3, 0x7fff, v0
	v_cmp_ne_u16_e32 vcc, 0, v3
	v_cndmask_b32_e64 v3, 0, 1, vcc
	s_mov_b64 s[6:7], -1
	s_mov_b64 s[4:5], 0
	global_store_byte v[1:2], v3, off
.LBB110_243:
	s_branch .LBB110_165
.LBB110_244:
	s_and_b32 s8, 0xffff, s12
	s_cmp_lt_i32 s8, 5
	s_mov_b64 s[6:7], -1
	s_cbranch_scc1 .LBB110_265
; %bb.245:
	s_cmp_lt_i32 s8, 8
	s_cbranch_scc1 .LBB110_255
; %bb.246:
	s_cmp_lt_i32 s8, 9
	s_cbranch_scc1 .LBB110_252
; %bb.247:
	s_cmp_gt_i32 s8, 9
	s_cbranch_scc0 .LBB110_249
; %bb.248:
	v_cvt_f32_f16_e32 v3, v0
	v_mov_b32_e32 v5, 0
	v_mov_b32_e32 v6, v5
	s_mov_b64 s[6:7], 0
	v_cvt_f64_f32_e32 v[3:4], v3
	global_store_dwordx4 v[1:2], v[3:6], off
.LBB110_249:
	s_andn2_b64 vcc, exec, s[6:7]
	s_cbranch_vccnz .LBB110_251
; %bb.250:
	v_cvt_f32_f16_e32 v3, v0
	v_mov_b32_e32 v4, 0
	global_store_dwordx2 v[1:2], v[3:4], off
.LBB110_251:
	s_mov_b64 s[6:7], 0
.LBB110_252:
	s_andn2_b64 vcc, exec, s[6:7]
	s_cbranch_vccnz .LBB110_254
; %bb.253:
	v_and_b32_e32 v3, 0xffff, v0
	global_store_dword v[1:2], v3, off
.LBB110_254:
	s_mov_b64 s[6:7], 0
.LBB110_255:
	s_andn2_b64 vcc, exec, s[6:7]
	s_cbranch_vccnz .LBB110_264
; %bb.256:
	s_cmp_lt_i32 s8, 6
	s_mov_b64 s[6:7], -1
	s_cbranch_scc1 .LBB110_262
; %bb.257:
	s_cmp_gt_i32 s8, 6
	s_cbranch_scc0 .LBB110_259
; %bb.258:
	v_cvt_f32_f16_e32 v3, v0
	s_mov_b64 s[6:7], 0
	v_cvt_f64_f32_e32 v[3:4], v3
	global_store_dwordx2 v[1:2], v[3:4], off
.LBB110_259:
	s_andn2_b64 vcc, exec, s[6:7]
	s_cbranch_vccnz .LBB110_261
; %bb.260:
	v_cvt_f32_f16_e32 v3, v0
	global_store_dword v[1:2], v3, off
.LBB110_261:
	s_mov_b64 s[6:7], 0
.LBB110_262:
	s_andn2_b64 vcc, exec, s[6:7]
	s_cbranch_vccnz .LBB110_264
; %bb.263:
	global_store_short v[1:2], v0, off
.LBB110_264:
	s_mov_b64 s[6:7], 0
.LBB110_265:
	s_andn2_b64 vcc, exec, s[6:7]
	s_cbranch_vccnz .LBB110_281
; %bb.266:
	s_cmp_lt_i32 s8, 2
	s_mov_b64 s[6:7], -1
	s_cbranch_scc1 .LBB110_276
; %bb.267:
	s_cmp_lt_i32 s8, 3
	s_cbranch_scc1 .LBB110_273
; %bb.268:
	s_cmp_gt_i32 s8, 3
	s_cbranch_scc0 .LBB110_270
; %bb.269:
	v_cvt_f32_f16_e32 v3, v0
	s_mov_b64 s[6:7], 0
	v_cvt_i32_f32_e32 v3, v3
	v_ashrrev_i32_e32 v4, 31, v3
	global_store_dwordx2 v[1:2], v[3:4], off
.LBB110_270:
	s_andn2_b64 vcc, exec, s[6:7]
	s_cbranch_vccnz .LBB110_272
; %bb.271:
	v_cvt_f32_f16_e32 v3, v0
	v_cvt_i32_f32_e32 v3, v3
	global_store_dword v[1:2], v3, off
.LBB110_272:
	s_mov_b64 s[6:7], 0
.LBB110_273:
	s_andn2_b64 vcc, exec, s[6:7]
	s_cbranch_vccnz .LBB110_275
; %bb.274:
	v_cvt_i16_f16_e32 v3, v0
	global_store_short v[1:2], v3, off
.LBB110_275:
	s_mov_b64 s[6:7], 0
.LBB110_276:
	s_andn2_b64 vcc, exec, s[6:7]
	s_cbranch_vccnz .LBB110_281
; %bb.277:
	s_cmp_gt_i32 s8, 0
	s_mov_b64 s[6:7], -1
	s_cbranch_scc0 .LBB110_279
; %bb.278:
	v_cvt_i16_f16_e32 v3, v0
	s_mov_b64 s[6:7], 0
	global_store_byte v[1:2], v3, off
.LBB110_279:
	s_andn2_b64 vcc, exec, s[6:7]
	s_cbranch_vccnz .LBB110_281
; %bb.280:
	v_cvt_f32_f16_e32 v0, v0
	v_cvt_i32_f32_e32 v0, v0
	global_store_byte v[1:2], v0, off
.LBB110_281:
	s_branch .LBB110_166
.LBB110_282:
	s_mov_b64 s[6:7], 0
                                        ; implicit-def: $vgpr24
.LBB110_283:
	s_andn2_b64 s[8:9], s[74:75], exec
	s_and_b64 s[4:5], s[4:5], exec
	s_or_b64 s[78:79], s[8:9], s[4:5]
	s_orn2_b64 s[8:9], s[6:7], exec
.LBB110_284:
	s_or_b64 exec, exec, s[80:81]
	s_mov_b64 s[4:5], 0
	s_mov_b64 s[6:7], 0
                                        ; implicit-def: $sgpr14
                                        ; implicit-def: $vgpr1_vgpr2
                                        ; implicit-def: $vgpr0
	s_and_saveexec_b64 s[80:81], s[8:9]
	s_cbranch_execz .LBB110_525
; %bb.285:
	v_cmp_gt_i32_e32 vcc, s86, v24
	s_mov_b64 s[6:7], -1
	s_mov_b64 s[84:85], s[78:79]
	s_and_saveexec_b64 s[82:83], vcc
	s_cbranch_execz .LBB110_429
; %bb.286:
	s_andn2_b64 vcc, exec, s[60:61]
	s_cbranch_vccnz .LBB110_291
; %bb.287:
	s_andn2_b64 vcc, exec, s[72:73]
	s_cbranch_vccnz .LBB110_292
; %bb.288:
	s_add_i32 s29, s91, 1
	s_cmp_eq_u32 s88, 2
	s_cbranch_scc1 .LBB110_293
; %bb.289:
	s_and_b32 s28, s29, 28
	v_mov_b32_e32 v4, 0
	s_mov_b32 s30, 0
	s_mov_b64 s[24:25], s[56:57]
	s_mov_b64 s[26:27], s[70:71]
	v_mov_b32_e32 v22, 0
	v_mov_b32_e32 v0, v24
.LBB110_290:                            ; =>This Inner Loop Header: Depth=1
	s_load_dwordx8 s[12:19], s[24:25], 0x4
	s_load_dwordx4 s[20:23], s[24:25], 0x24
	s_load_dwordx8 s[4:11], s[26:27], 0x0
	s_add_u32 s24, s24, 48
	s_addc_u32 s25, s25, 0
	s_waitcnt lgkmcnt(0)
	v_mul_hi_u32 v1, s13, v0
	s_add_i32 s30, s30, 4
	s_add_u32 s26, s26, 32
	s_addc_u32 s27, s27, 0
	v_add_u32_e32 v1, v0, v1
	v_lshrrev_b32_e32 v1, s14, v1
	v_mul_lo_u32 v2, v1, s12
	v_mul_hi_u32 v3, s16, v1
	s_cmp_eq_u32 s28, s30
	v_sub_u32_e32 v0, v0, v2
	v_add_u32_e32 v2, v1, v3
	v_mul_lo_u32 v3, v0, s4
	v_mul_lo_u32 v5, v0, s5
	v_lshrrev_b32_e32 v0, s17, v2
	v_mul_lo_u32 v2, v0, s15
	v_mul_hi_u32 v6, s19, v0
	v_sub_u32_e32 v1, v1, v2
	v_add_u32_e32 v2, v0, v6
	v_lshrrev_b32_e32 v2, s20, v2
	v_mul_hi_u32 v7, s22, v2
	v_mul_lo_u32 v8, v2, s18
	v_mul_lo_u32 v6, v1, s6
	;; [unrolled: 1-line block ×3, first 2 shown]
	v_sub_u32_e32 v8, v0, v8
	v_add_u32_e32 v0, v2, v7
	v_lshrrev_b32_e32 v0, s23, v0
	v_mul_lo_u32 v7, v0, s21
	v_mul_lo_u32 v9, v8, s8
	;; [unrolled: 1-line block ×3, first 2 shown]
	v_add3_u32 v3, v3, v22, v6
	v_sub_u32_e32 v2, v2, v7
	v_mul_lo_u32 v7, v2, s10
	v_mul_lo_u32 v2, v2, s11
	v_add3_u32 v1, v5, v4, v1
	v_add3_u32 v22, v9, v3, v7
	;; [unrolled: 1-line block ×3, first 2 shown]
	s_cbranch_scc0 .LBB110_290
	s_branch .LBB110_294
.LBB110_291:
	s_mov_b64 s[4:5], -1
                                        ; implicit-def: $vgpr22
                                        ; implicit-def: $vgpr4
	s_branch .LBB110_298
.LBB110_292:
	v_mov_b32_e32 v22, 0
	v_mov_b32_e32 v4, 0
	s_branch .LBB110_297
.LBB110_293:
	s_mov_b32 s28, 0
	v_mov_b32_e32 v22, 0
	v_mov_b32_e32 v4, 0
	;; [unrolled: 1-line block ×3, first 2 shown]
.LBB110_294:
	s_and_b32 s8, s29, 3
	s_cmp_eq_u32 s8, 0
	s_cbranch_scc1 .LBB110_297
; %bb.295:
	s_lshl_b32 s4, s28, 3
	s_add_u32 s4, s56, s4
	s_addc_u32 s5, s57, 0
	s_add_u32 s4, s4, 0xc4
	s_addc_u32 s5, s5, 0
	s_mul_i32 s6, s28, 12
	s_add_u32 s6, s56, s6
	s_addc_u32 s7, s57, 0
.LBB110_296:                            ; =>This Inner Loop Header: Depth=1
	s_load_dwordx2 s[10:11], s[6:7], 0x4
	s_load_dword s9, s[6:7], 0xc
	s_load_dwordx2 s[12:13], s[4:5], 0x0
	s_add_u32 s6, s6, 12
	s_addc_u32 s7, s7, 0
	s_waitcnt lgkmcnt(0)
	v_mul_hi_u32 v1, s11, v0
	s_add_u32 s4, s4, 8
	s_addc_u32 s5, s5, 0
	s_add_i32 s8, s8, -1
	v_add_u32_e32 v1, v0, v1
	v_lshrrev_b32_e32 v1, s9, v1
	v_mul_lo_u32 v2, v1, s10
	s_cmp_lg_u32 s8, 0
	v_sub_u32_e32 v0, v0, v2
	v_mad_u64_u32 v[22:23], s[10:11], v0, s12, v[22:23]
	v_mad_u64_u32 v[4:5], s[10:11], v0, s13, v[4:5]
	v_mov_b32_e32 v0, v1
	s_cbranch_scc1 .LBB110_296
.LBB110_297:
	s_mov_b64 s[4:5], 0
.LBB110_298:
	s_andn2_b64 vcc, exec, s[4:5]
	s_cbranch_vccnz .LBB110_301
; %bb.299:
	v_mul_hi_u32 v0, s49, v24
	s_andn2_b64 vcc, exec, s[68:69]
	v_add_u32_e32 v0, v24, v0
	v_lshrrev_b32_e32 v0, s50, v0
	v_mul_lo_u32 v1, v0, s48
	v_sub_u32_e32 v1, v24, v1
	v_mul_lo_u32 v22, v1, s52
	v_mul_lo_u32 v4, v1, s53
	s_cbranch_vccnz .LBB110_301
; %bb.300:
	v_mul_hi_u32 v1, s66, v0
	v_add_u32_e32 v1, v0, v1
	v_lshrrev_b32_e32 v1, s67, v1
	v_mul_lo_u32 v1, v1, s51
	v_sub_u32_e32 v0, v0, v1
	v_mad_u64_u32 v[22:23], s[4:5], v0, s54, v[22:23]
	v_mad_u64_u32 v[4:5], s[4:5], v0, s55, v[4:5]
.LBB110_301:
	s_getpc_b64 s[4:5]
	s_add_u32 s4, s4, _ZN2at6native6invokeIZZZNS0_21polygamma_kernel_cudaERNS_18TensorIteratorBaseElENKUlvE_clEvENKUlvE1_clEvEUlN3c104HalfEE_j15function_traitsIS8_EEENT1_11result_typeERKT_PrKPcPKT0_PKNS6_10ScalarTypeEi@rel32@lo+4
	s_addc_u32 s5, s5, _ZN2at6native6invokeIZZZNS0_21polygamma_kernel_cudaERNS_18TensorIteratorBaseElENKUlvE_clEvENKUlvE1_clEvEUlN3c104HalfEE_j15function_traitsIS8_EEENT1_11result_typeERKT_PrKPcPKT0_PKNS6_10ScalarTypeEi@rel32@hi+12
	v_mov_b32_e32 v0, s64
	v_mov_b32_e32 v1, s65
	;; [unrolled: 1-line block ×5, first 2 shown]
	s_swappc_b64 s[30:31], s[4:5]
	v_mov_b32_e32 v2, s37
	s_and_b32 s12, s89, 0xff
	v_add_co_u32_e32 v1, vcc, s36, v22
	s_cmp_lt_i32 s12, 11
	v_addc_co_u32_e32 v2, vcc, 0, v2, vcc
	s_cbranch_scc1 .LBB110_308
; %bb.302:
	s_and_b32 s13, 0xffff, s12
	s_cmp_gt_i32 s13, 25
	s_cbranch_scc0 .LBB110_309
; %bb.303:
	s_cmp_gt_i32 s13, 28
	s_cbranch_scc0 .LBB110_310
; %bb.304:
	;; [unrolled: 3-line block ×4, first 2 shown]
	s_mov_b64 s[8:9], 0
	s_mov_b64 s[4:5], -1
	s_cmp_eq_u32 s13, 46
	s_mov_b64 s[6:7], 0
	s_cbranch_scc0 .LBB110_317
; %bb.307:
	v_cvt_f32_f16_e32 v3, v0
	s_movk_i32 s4, 0x7fff
	v_cmp_o_f16_e32 vcc, v0, v0
	v_mov_b32_e32 v4, 0x7fc0
	v_bfe_u32 v5, v3, 16, 1
	v_add3_u32 v3, v3, v5, s4
	v_cndmask_b32_sdwa v3, v4, v3, vcc dst_sel:DWORD dst_unused:UNUSED_PAD src0_sel:DWORD src1_sel:WORD_1
	global_store_dword v[1:2], v3, off
	s_mov_b64 s[6:7], -1
	s_mov_b64 s[4:5], 0
	s_branch .LBB110_317
.LBB110_308:
	s_mov_b64 s[8:9], -1
	s_mov_b64 s[6:7], 0
	s_mov_b64 s[4:5], s[78:79]
	s_branch .LBB110_386
.LBB110_309:
	s_mov_b64 s[8:9], -1
	s_mov_b64 s[6:7], 0
	s_mov_b64 s[4:5], s[78:79]
	s_branch .LBB110_344
.LBB110_310:
	s_mov_b64 s[8:9], -1
	s_mov_b64 s[6:7], 0
	s_mov_b64 s[4:5], s[78:79]
	s_branch .LBB110_327
.LBB110_311:
	s_andn2_saveexec_b64 s[10:11], s[10:11]
	s_cbranch_execz .LBB110_196
.LBB110_312:
	s_mov_b32 s14, 0x46000000
	v_add_f32_e64 v4, |v3|, s14
	v_and_b32_e32 v4, 0xff, v4
	v_cmp_ne_u32_e32 vcc, 0, v4
	s_andn2_b64 s[8:9], s[8:9], exec
	s_and_b64 s[14:15], vcc, exec
	s_or_b64 s[8:9], s[8:9], s[14:15]
	s_or_b64 exec, exec, s[10:11]
	v_mov_b32_e32 v5, 0
	s_and_saveexec_b64 s[10:11], s[8:9]
	s_cbranch_execnz .LBB110_197
	s_branch .LBB110_198
.LBB110_313:
	s_mov_b64 s[8:9], -1
	s_mov_b64 s[6:7], 0
	s_mov_b64 s[4:5], s[78:79]
	s_branch .LBB110_323
.LBB110_314:
	s_andn2_saveexec_b64 s[10:11], s[10:11]
	s_cbranch_execz .LBB110_209
.LBB110_315:
	s_mov_b32 s14, 0x42800000
	v_add_f32_e64 v4, |v3|, s14
	v_and_b32_e32 v4, 0xff, v4
	v_cmp_ne_u32_e32 vcc, 0, v4
	s_andn2_b64 s[8:9], s[8:9], exec
	s_and_b64 s[14:15], vcc, exec
	s_or_b64 s[8:9], s[8:9], s[14:15]
	s_or_b64 exec, exec, s[10:11]
	v_mov_b32_e32 v5, 0
	s_and_saveexec_b64 s[10:11], s[8:9]
	s_cbranch_execnz .LBB110_210
	s_branch .LBB110_211
.LBB110_316:
	s_mov_b64 s[8:9], -1
	s_mov_b64 s[6:7], 0
	s_mov_b64 s[4:5], s[78:79]
.LBB110_317:
	s_and_b64 vcc, exec, s[8:9]
	s_cbranch_vccz .LBB110_322
; %bb.318:
	s_cmp_eq_u32 s13, 44
	s_mov_b64 s[4:5], -1
	s_cbranch_scc0 .LBB110_322
; %bb.319:
	v_cvt_f32_f16_e32 v3, v0
	s_movk_i32 s4, 0xff
	v_mov_b32_e32 v5, 0xff
	v_bfe_u32 v4, v3, 23, 8
	v_cmp_ne_u32_e32 vcc, s4, v4
	s_and_saveexec_b64 s[6:7], vcc
; %bb.320:
	s_mov_b32 s4, 0x3fffff
	v_lshrrev_b32_e32 v5, 23, v3
	v_and_b32_e32 v6, 0x400000, v3
	v_and_or_b32 v3, v3, s4, v4
	v_cmp_ne_u32_e32 vcc, 0, v6
	v_cmp_ne_u32_e64 s[4:5], 0, v3
	s_and_b64 s[4:5], vcc, s[4:5]
	v_cndmask_b32_e64 v3, 0, 1, s[4:5]
	v_add_u32_e32 v5, v5, v3
; %bb.321:
	s_or_b64 exec, exec, s[6:7]
	s_mov_b64 s[6:7], -1
	s_mov_b64 s[4:5], 0
	global_store_byte v[1:2], v5, off
.LBB110_322:
	s_mov_b64 s[8:9], 0
.LBB110_323:
	s_and_b64 vcc, exec, s[8:9]
	s_cbranch_vccz .LBB110_326
; %bb.324:
	s_cmp_eq_u32 s13, 29
	s_mov_b64 s[4:5], -1
	s_cbranch_scc0 .LBB110_326
; %bb.325:
	v_cvt_f32_f16_e32 v3, v0
	v_mov_b32_e32 v4, 0
	s_mov_b64 s[6:7], -1
	s_mov_b64 s[4:5], 0
	v_cvt_u32_f32_e32 v3, v3
	s_mov_b64 s[8:9], 0
	global_store_dwordx2 v[1:2], v[3:4], off
	s_branch .LBB110_327
.LBB110_326:
	s_mov_b64 s[8:9], 0
.LBB110_327:
	s_and_b64 vcc, exec, s[8:9]
	s_cbranch_vccz .LBB110_343
; %bb.328:
	s_cmp_lt_i32 s13, 27
	s_mov_b64 s[6:7], -1
	s_cbranch_scc1 .LBB110_334
; %bb.329:
	s_cmp_gt_i32 s13, 27
	s_cbranch_scc0 .LBB110_331
; %bb.330:
	v_cvt_f32_f16_e32 v3, v0
	s_mov_b64 s[6:7], 0
	v_cvt_u32_f32_e32 v3, v3
	global_store_dword v[1:2], v3, off
.LBB110_331:
	s_andn2_b64 vcc, exec, s[6:7]
	s_cbranch_vccnz .LBB110_333
; %bb.332:
	v_cvt_u16_f16_e32 v3, v0
	global_store_short v[1:2], v3, off
.LBB110_333:
	s_mov_b64 s[6:7], 0
.LBB110_334:
	s_andn2_b64 vcc, exec, s[6:7]
	s_cbranch_vccnz .LBB110_342
; %bb.335:
	v_cvt_f32_f16_e32 v3, v0
	s_mov_b32 s6, 0x43800000
	v_mov_b32_e32 v5, 0x80
	v_and_b32_e32 v4, 0x7fffffff, v3
	v_cmp_gt_u32_e32 vcc, s6, v4
	s_and_saveexec_b64 s[6:7], vcc
	s_cbranch_execz .LBB110_341
; %bb.336:
	s_mov_b32 s8, 0x3bffffff
	v_cmp_lt_u32_e32 vcc, s8, v4
	s_mov_b64 s[8:9], 0
                                        ; implicit-def: $vgpr4
	s_and_saveexec_b64 s[10:11], vcc
	s_xor_b64 s[10:11], exec, s[10:11]
	s_cbranch_execz .LBB110_1112
; %bb.337:
	v_bfe_u32 v4, v3, 20, 1
	s_mov_b32 s14, 0x487ffff
	v_add3_u32 v4, v3, v4, s14
	s_mov_b64 s[8:9], exec
	v_lshrrev_b32_e32 v4, 20, v4
	s_andn2_saveexec_b64 s[10:11], s[10:11]
	s_cbranch_execnz .LBB110_1113
.LBB110_338:
	s_or_b64 exec, exec, s[10:11]
	v_mov_b32_e32 v5, 0
	s_and_saveexec_b64 s[10:11], s[8:9]
.LBB110_339:
	v_lshrrev_b32_e32 v3, 24, v3
	s_movk_i32 s8, 0x80
	v_and_or_b32 v5, v3, s8, v4
.LBB110_340:
	s_or_b64 exec, exec, s[10:11]
.LBB110_341:
	s_or_b64 exec, exec, s[6:7]
	global_store_byte v[1:2], v5, off
.LBB110_342:
	s_mov_b64 s[6:7], -1
.LBB110_343:
	s_mov_b64 s[8:9], 0
.LBB110_344:
	s_and_b64 vcc, exec, s[8:9]
	s_cbranch_vccz .LBB110_385
; %bb.345:
	s_cmp_gt_i32 s13, 22
	s_mov_b64 s[8:9], -1
	s_cbranch_scc0 .LBB110_377
; %bb.346:
	s_cmp_lt_i32 s13, 24
	s_mov_b64 s[6:7], -1
	s_cbranch_scc1 .LBB110_366
; %bb.347:
	s_cmp_gt_i32 s13, 24
	s_cbranch_scc0 .LBB110_355
; %bb.348:
	v_cvt_f32_f16_e32 v3, v0
	s_mov_b32 s6, 0x47800000
	v_mov_b32_e32 v5, 0x80
	v_and_b32_e32 v4, 0x7fffffff, v3
	v_cmp_gt_u32_e32 vcc, s6, v4
	s_and_saveexec_b64 s[6:7], vcc
	s_cbranch_execz .LBB110_354
; %bb.349:
	s_mov_b32 s8, 0x37ffffff
	v_cmp_lt_u32_e32 vcc, s8, v4
	s_mov_b64 s[8:9], 0
                                        ; implicit-def: $vgpr4
	s_and_saveexec_b64 s[10:11], vcc
	s_xor_b64 s[10:11], exec, s[10:11]
	s_cbranch_execz .LBB110_1119
; %bb.350:
	v_bfe_u32 v4, v3, 21, 1
	s_mov_b32 s14, 0x88fffff
	v_add3_u32 v4, v3, v4, s14
	s_mov_b64 s[8:9], exec
	v_lshrrev_b32_e32 v4, 21, v4
	s_andn2_saveexec_b64 s[10:11], s[10:11]
	s_cbranch_execnz .LBB110_1120
.LBB110_351:
	s_or_b64 exec, exec, s[10:11]
	v_mov_b32_e32 v5, 0
	s_and_saveexec_b64 s[10:11], s[8:9]
.LBB110_352:
	v_lshrrev_b32_e32 v3, 24, v3
	s_movk_i32 s8, 0x80
	v_and_or_b32 v5, v3, s8, v4
.LBB110_353:
	s_or_b64 exec, exec, s[10:11]
.LBB110_354:
	s_or_b64 exec, exec, s[6:7]
	s_mov_b64 s[6:7], 0
	global_store_byte v[1:2], v5, off
.LBB110_355:
	s_and_b64 vcc, exec, s[6:7]
	s_cbranch_vccz .LBB110_365
; %bb.356:
	v_cvt_f32_f16_e32 v3, v0
	s_mov_b32 s6, 0x43f00000
                                        ; implicit-def: $vgpr4
	v_and_b32_e32 v5, 0x7fffffff, v3
	v_cmp_gt_u32_e32 vcc, s6, v5
	s_and_saveexec_b64 s[6:7], vcc
	s_xor_b64 s[6:7], exec, s[6:7]
	s_cbranch_execz .LBB110_362
; %bb.357:
	s_mov_b32 s8, 0x3c7fffff
	v_cmp_lt_u32_e32 vcc, s8, v5
                                        ; implicit-def: $vgpr4
	s_and_saveexec_b64 s[8:9], vcc
	s_xor_b64 s[8:9], exec, s[8:9]
; %bb.358:
	v_bfe_u32 v4, v3, 20, 1
	s_mov_b32 s10, 0x407ffff
	v_add3_u32 v4, v3, v4, s10
	v_lshrrev_b32_e32 v5, 20, v4
	v_and_b32_e32 v4, 0xff00000, v4
	s_mov_b32 s10, 0x7f00000
	v_mov_b32_e32 v6, 0x7e
	v_cmp_ne_u32_e32 vcc, s10, v4
	v_cndmask_b32_e32 v4, v6, v5, vcc
; %bb.359:
	s_andn2_saveexec_b64 s[8:9], s[8:9]
; %bb.360:
	s_mov_b32 s10, 0x46800000
	v_add_f32_e64 v4, |v3|, s10
; %bb.361:
	s_or_b64 exec, exec, s[8:9]
                                        ; implicit-def: $vgpr5
.LBB110_362:
	s_andn2_saveexec_b64 s[6:7], s[6:7]
; %bb.363:
	s_mov_b32 s8, 0x7f800000
	v_mov_b32_e32 v4, 0x7e
	v_mov_b32_e32 v6, 0x7f
	v_cmp_lt_u32_e32 vcc, s8, v5
	v_cndmask_b32_e32 v4, v4, v6, vcc
; %bb.364:
	s_or_b64 exec, exec, s[6:7]
	v_lshrrev_b32_e32 v3, 24, v3
	s_movk_i32 s6, 0x80
	v_and_or_b32 v3, v3, s6, v4
	global_store_byte v[1:2], v3, off
.LBB110_365:
	s_mov_b64 s[6:7], 0
.LBB110_366:
	s_andn2_b64 vcc, exec, s[6:7]
	s_cbranch_vccnz .LBB110_376
; %bb.367:
	v_cvt_f32_f16_e32 v3, v0
	s_mov_b32 s6, 0x47800000
                                        ; implicit-def: $vgpr4
	v_and_b32_e32 v5, 0x7fffffff, v3
	v_cmp_gt_u32_e32 vcc, s6, v5
	s_and_saveexec_b64 s[6:7], vcc
	s_xor_b64 s[6:7], exec, s[6:7]
	s_cbranch_execz .LBB110_373
; %bb.368:
	s_mov_b32 s8, 0x387fffff
	v_cmp_lt_u32_e32 vcc, s8, v5
                                        ; implicit-def: $vgpr4
	s_and_saveexec_b64 s[8:9], vcc
	s_xor_b64 s[8:9], exec, s[8:9]
; %bb.369:
	v_bfe_u32 v4, v3, 21, 1
	s_mov_b32 s10, 0x80fffff
	v_add3_u32 v4, v3, v4, s10
	v_lshrrev_b32_e32 v4, 21, v4
; %bb.370:
	s_andn2_saveexec_b64 s[8:9], s[8:9]
; %bb.371:
	s_mov_b32 s10, 0x43000000
	v_add_f32_e64 v4, |v3|, s10
; %bb.372:
	s_or_b64 exec, exec, s[8:9]
                                        ; implicit-def: $vgpr5
.LBB110_373:
	s_andn2_saveexec_b64 s[6:7], s[6:7]
; %bb.374:
	s_mov_b32 s8, 0x7f800000
	v_mov_b32_e32 v4, 0x7c
	v_mov_b32_e32 v6, 0x7f
	v_cmp_lt_u32_e32 vcc, s8, v5
	v_cndmask_b32_e32 v4, v4, v6, vcc
; %bb.375:
	s_or_b64 exec, exec, s[6:7]
	v_lshrrev_b32_e32 v3, 24, v3
	s_movk_i32 s6, 0x80
	v_and_or_b32 v3, v3, s6, v4
	global_store_byte v[1:2], v3, off
.LBB110_376:
	s_mov_b64 s[8:9], 0
	s_mov_b64 s[6:7], -1
.LBB110_377:
	s_andn2_b64 vcc, exec, s[8:9]
	s_cbranch_vccnz .LBB110_385
; %bb.378:
	s_cmp_gt_i32 s13, 14
	s_mov_b64 s[8:9], -1
	s_cbranch_scc0 .LBB110_382
; %bb.379:
	s_cmp_eq_u32 s13, 15
	s_mov_b64 s[4:5], -1
	s_cbranch_scc0 .LBB110_381
; %bb.380:
	v_cvt_f32_f16_e32 v3, v0
	s_movk_i32 s4, 0x7fff
	v_cmp_o_f16_e32 vcc, v0, v0
	v_mov_b32_e32 v4, 0x7fc0
	v_bfe_u32 v5, v3, 16, 1
	v_add3_u32 v3, v3, v5, s4
	v_cndmask_b32_sdwa v3, v4, v3, vcc dst_sel:DWORD dst_unused:UNUSED_PAD src0_sel:DWORD src1_sel:WORD_1
	global_store_short v[1:2], v3, off
	s_mov_b64 s[6:7], -1
	s_mov_b64 s[4:5], 0
.LBB110_381:
	s_mov_b64 s[8:9], 0
.LBB110_382:
	s_and_b64 vcc, exec, s[8:9]
	s_cbranch_vccz .LBB110_385
; %bb.383:
	s_cmp_eq_u32 s13, 11
	s_mov_b64 s[4:5], -1
	s_cbranch_scc0 .LBB110_385
; %bb.384:
	v_and_b32_e32 v3, 0x7fff, v0
	v_cmp_ne_u16_e32 vcc, 0, v3
	v_cndmask_b32_e64 v3, 0, 1, vcc
	s_mov_b64 s[6:7], -1
	s_mov_b64 s[4:5], 0
	global_store_byte v[1:2], v3, off
.LBB110_385:
	s_mov_b64 s[8:9], 0
.LBB110_386:
	s_and_b64 vcc, exec, s[8:9]
	s_cbranch_vccz .LBB110_425
; %bb.387:
	s_and_b32 s8, 0xffff, s12
	s_cmp_lt_i32 s8, 5
	s_mov_b64 s[6:7], -1
	s_cbranch_scc1 .LBB110_408
; %bb.388:
	s_cmp_lt_i32 s8, 8
	s_cbranch_scc1 .LBB110_398
; %bb.389:
	s_cmp_lt_i32 s8, 9
	s_cbranch_scc1 .LBB110_395
; %bb.390:
	s_cmp_gt_i32 s8, 9
	s_cbranch_scc0 .LBB110_392
; %bb.391:
	v_cvt_f32_f16_e32 v3, v0
	v_mov_b32_e32 v5, 0
	v_mov_b32_e32 v6, v5
	s_mov_b64 s[6:7], 0
	v_cvt_f64_f32_e32 v[3:4], v3
	global_store_dwordx4 v[1:2], v[3:6], off
.LBB110_392:
	s_andn2_b64 vcc, exec, s[6:7]
	s_cbranch_vccnz .LBB110_394
; %bb.393:
	v_cvt_f32_f16_e32 v3, v0
	v_mov_b32_e32 v4, 0
	global_store_dwordx2 v[1:2], v[3:4], off
.LBB110_394:
	s_mov_b64 s[6:7], 0
.LBB110_395:
	s_andn2_b64 vcc, exec, s[6:7]
	s_cbranch_vccnz .LBB110_397
; %bb.396:
	v_and_b32_e32 v3, 0xffff, v0
	global_store_dword v[1:2], v3, off
.LBB110_397:
	s_mov_b64 s[6:7], 0
.LBB110_398:
	s_andn2_b64 vcc, exec, s[6:7]
	s_cbranch_vccnz .LBB110_407
; %bb.399:
	s_cmp_lt_i32 s8, 6
	s_mov_b64 s[6:7], -1
	s_cbranch_scc1 .LBB110_405
; %bb.400:
	s_cmp_gt_i32 s8, 6
	s_cbranch_scc0 .LBB110_402
; %bb.401:
	v_cvt_f32_f16_e32 v3, v0
	s_mov_b64 s[6:7], 0
	v_cvt_f64_f32_e32 v[3:4], v3
	global_store_dwordx2 v[1:2], v[3:4], off
.LBB110_402:
	s_andn2_b64 vcc, exec, s[6:7]
	s_cbranch_vccnz .LBB110_404
; %bb.403:
	v_cvt_f32_f16_e32 v3, v0
	global_store_dword v[1:2], v3, off
.LBB110_404:
	s_mov_b64 s[6:7], 0
.LBB110_405:
	s_andn2_b64 vcc, exec, s[6:7]
	s_cbranch_vccnz .LBB110_407
; %bb.406:
	global_store_short v[1:2], v0, off
.LBB110_407:
	s_mov_b64 s[6:7], 0
.LBB110_408:
	s_andn2_b64 vcc, exec, s[6:7]
	s_cbranch_vccnz .LBB110_424
; %bb.409:
	s_cmp_lt_i32 s8, 2
	s_mov_b64 s[6:7], -1
	s_cbranch_scc1 .LBB110_419
; %bb.410:
	s_cmp_lt_i32 s8, 3
	s_cbranch_scc1 .LBB110_416
; %bb.411:
	s_cmp_gt_i32 s8, 3
	s_cbranch_scc0 .LBB110_413
; %bb.412:
	v_cvt_f32_f16_e32 v3, v0
	s_mov_b64 s[6:7], 0
	v_cvt_i32_f32_e32 v3, v3
	v_ashrrev_i32_e32 v4, 31, v3
	global_store_dwordx2 v[1:2], v[3:4], off
.LBB110_413:
	s_andn2_b64 vcc, exec, s[6:7]
	s_cbranch_vccnz .LBB110_415
; %bb.414:
	v_cvt_f32_f16_e32 v3, v0
	v_cvt_i32_f32_e32 v3, v3
	global_store_dword v[1:2], v3, off
.LBB110_415:
	s_mov_b64 s[6:7], 0
.LBB110_416:
	s_andn2_b64 vcc, exec, s[6:7]
	s_cbranch_vccnz .LBB110_418
; %bb.417:
	v_cvt_i16_f16_e32 v3, v0
	global_store_short v[1:2], v3, off
.LBB110_418:
	s_mov_b64 s[6:7], 0
.LBB110_419:
	s_andn2_b64 vcc, exec, s[6:7]
	s_cbranch_vccnz .LBB110_424
; %bb.420:
	s_cmp_gt_i32 s8, 0
	s_mov_b64 s[6:7], -1
	s_cbranch_scc0 .LBB110_422
; %bb.421:
	v_cvt_i16_f16_e32 v3, v0
	s_mov_b64 s[6:7], 0
	global_store_byte v[1:2], v3, off
.LBB110_422:
	s_andn2_b64 vcc, exec, s[6:7]
	s_cbranch_vccnz .LBB110_424
; %bb.423:
	v_cvt_f32_f16_e32 v0, v0
	v_cvt_i32_f32_e32 v0, v0
	global_store_byte v[1:2], v0, off
.LBB110_424:
	s_mov_b64 s[6:7], -1
.LBB110_425:
	s_andn2_b64 vcc, exec, s[6:7]
	s_cbranch_vccnz .LBB110_427
; %bb.426:
	v_add_u32_e32 v24, 0x80, v24
	s_mov_b64 s[6:7], -1
	s_branch .LBB110_428
.LBB110_427:
	s_mov_b64 s[6:7], 0
                                        ; implicit-def: $vgpr24
.LBB110_428:
	s_andn2_b64 s[8:9], s[78:79], exec
	s_and_b64 s[4:5], s[4:5], exec
	s_or_b64 s[84:85], s[8:9], s[4:5]
	s_orn2_b64 s[6:7], s[6:7], exec
.LBB110_429:
	s_or_b64 exec, exec, s[82:83]
	s_mov_b64 s[4:5], 0
	s_mov_b64 s[10:11], 0
                                        ; implicit-def: $sgpr14
                                        ; implicit-def: $vgpr1_vgpr2
                                        ; implicit-def: $vgpr0
	s_and_saveexec_b64 s[82:83], s[6:7]
	s_cbranch_execz .LBB110_524
; %bb.430:
	v_cmp_gt_i32_e32 vcc, s86, v24
	s_mov_b64 s[6:7], 0
	s_mov_b64 s[8:9], s[84:85]
                                        ; implicit-def: $sgpr14
                                        ; implicit-def: $vgpr1_vgpr2
                                        ; implicit-def: $vgpr0
	s_and_saveexec_b64 s[86:87], vcc
	s_cbranch_execz .LBB110_523
; %bb.431:
	s_andn2_b64 vcc, exec, s[60:61]
	s_cbranch_vccnz .LBB110_436
; %bb.432:
	s_andn2_b64 vcc, exec, s[72:73]
	s_cbranch_vccnz .LBB110_437
; %bb.433:
	s_add_i32 s91, s91, 1
	s_cmp_eq_u32 s88, 2
	s_cbranch_scc1 .LBB110_438
; %bb.434:
	s_and_b32 s26, s91, 28
	v_mov_b32_e32 v4, 0
	s_mov_b32 s27, 0
	s_mov_b64 s[24:25], s[56:57]
	v_mov_b32_e32 v22, 0
	v_mov_b32_e32 v0, v24
.LBB110_435:                            ; =>This Inner Loop Header: Depth=1
	s_load_dwordx8 s[12:19], s[24:25], 0x4
	s_load_dwordx4 s[20:23], s[24:25], 0x24
	s_load_dwordx8 s[4:11], s[70:71], 0x0
	s_add_u32 s24, s24, 48
	s_addc_u32 s25, s25, 0
	s_waitcnt lgkmcnt(0)
	v_mul_hi_u32 v1, s13, v0
	s_add_i32 s27, s27, 4
	s_add_u32 s70, s70, 32
	s_addc_u32 s71, s71, 0
	v_add_u32_e32 v1, v0, v1
	v_lshrrev_b32_e32 v1, s14, v1
	v_mul_lo_u32 v2, v1, s12
	v_mul_hi_u32 v3, s16, v1
	s_cmp_eq_u32 s26, s27
	v_sub_u32_e32 v0, v0, v2
	v_add_u32_e32 v2, v1, v3
	v_mul_lo_u32 v3, v0, s4
	v_mul_lo_u32 v5, v0, s5
	v_lshrrev_b32_e32 v0, s17, v2
	v_mul_lo_u32 v2, v0, s15
	v_mul_hi_u32 v6, s19, v0
	v_sub_u32_e32 v1, v1, v2
	v_add_u32_e32 v2, v0, v6
	v_lshrrev_b32_e32 v2, s20, v2
	v_mul_hi_u32 v7, s22, v2
	v_mul_lo_u32 v8, v2, s18
	v_mul_lo_u32 v6, v1, s6
	v_mul_lo_u32 v1, v1, s7
	v_sub_u32_e32 v8, v0, v8
	v_add_u32_e32 v0, v2, v7
	v_lshrrev_b32_e32 v0, s23, v0
	v_mul_lo_u32 v7, v0, s21
	v_mul_lo_u32 v9, v8, s8
	;; [unrolled: 1-line block ×3, first 2 shown]
	v_add3_u32 v3, v3, v22, v6
	v_sub_u32_e32 v2, v2, v7
	v_mul_lo_u32 v7, v2, s10
	v_mul_lo_u32 v2, v2, s11
	v_add3_u32 v1, v5, v4, v1
	v_add3_u32 v22, v9, v3, v7
	;; [unrolled: 1-line block ×3, first 2 shown]
	s_cbranch_scc0 .LBB110_435
	s_branch .LBB110_439
.LBB110_436:
	s_mov_b64 s[4:5], -1
                                        ; implicit-def: $vgpr22
                                        ; implicit-def: $vgpr4
	s_branch .LBB110_443
.LBB110_437:
	v_mov_b32_e32 v22, 0
	v_mov_b32_e32 v4, 0
	s_branch .LBB110_442
.LBB110_438:
	s_mov_b32 s26, 0
	v_mov_b32_e32 v22, 0
	v_mov_b32_e32 v4, 0
	;; [unrolled: 1-line block ×3, first 2 shown]
.LBB110_439:
	s_and_b32 s8, s91, 3
	s_cmp_eq_u32 s8, 0
	s_cbranch_scc1 .LBB110_442
; %bb.440:
	s_lshl_b32 s4, s26, 3
	s_add_u32 s4, s56, s4
	s_addc_u32 s5, s57, 0
	s_add_u32 s4, s4, 0xc4
	s_addc_u32 s5, s5, 0
	s_mul_i32 s6, s26, 12
	s_add_u32 s6, s56, s6
	s_addc_u32 s7, s57, 0
.LBB110_441:                            ; =>This Inner Loop Header: Depth=1
	s_load_dwordx2 s[10:11], s[6:7], 0x4
	s_load_dword s9, s[6:7], 0xc
	s_load_dwordx2 s[12:13], s[4:5], 0x0
	s_add_u32 s6, s6, 12
	s_addc_u32 s7, s7, 0
	s_waitcnt lgkmcnt(0)
	v_mul_hi_u32 v1, s11, v0
	s_add_u32 s4, s4, 8
	s_addc_u32 s5, s5, 0
	s_add_i32 s8, s8, -1
	v_add_u32_e32 v1, v0, v1
	v_lshrrev_b32_e32 v1, s9, v1
	v_mul_lo_u32 v2, v1, s10
	s_cmp_lg_u32 s8, 0
	v_sub_u32_e32 v0, v0, v2
	v_mad_u64_u32 v[22:23], s[10:11], v0, s12, v[22:23]
	v_mad_u64_u32 v[4:5], s[10:11], v0, s13, v[4:5]
	v_mov_b32_e32 v0, v1
	s_cbranch_scc1 .LBB110_441
.LBB110_442:
	s_mov_b64 s[4:5], 0
.LBB110_443:
	s_andn2_b64 vcc, exec, s[4:5]
	s_cbranch_vccnz .LBB110_446
; %bb.444:
	v_mul_hi_u32 v0, s49, v24
	s_andn2_b64 vcc, exec, s[68:69]
	v_add_u32_e32 v0, v24, v0
	v_lshrrev_b32_e32 v0, s50, v0
	v_mul_lo_u32 v1, v0, s48
	v_sub_u32_e32 v1, v24, v1
	v_mul_lo_u32 v22, v1, s52
	v_mul_lo_u32 v4, v1, s53
	s_cbranch_vccnz .LBB110_446
; %bb.445:
	v_mul_hi_u32 v1, s66, v0
	v_add_u32_e32 v1, v0, v1
	v_lshrrev_b32_e32 v1, s67, v1
	v_mul_lo_u32 v1, v1, s51
	v_sub_u32_e32 v0, v0, v1
	v_mad_u64_u32 v[22:23], s[4:5], v0, s54, v[22:23]
	v_mad_u64_u32 v[4:5], s[4:5], v0, s55, v[4:5]
.LBB110_446:
	s_getpc_b64 s[4:5]
	s_add_u32 s4, s4, _ZN2at6native6invokeIZZZNS0_21polygamma_kernel_cudaERNS_18TensorIteratorBaseElENKUlvE_clEvENKUlvE1_clEvEUlN3c104HalfEE_j15function_traitsIS8_EEENT1_11result_typeERKT_PrKPcPKT0_PKNS6_10ScalarTypeEi@rel32@lo+4
	s_addc_u32 s5, s5, _ZN2at6native6invokeIZZZNS0_21polygamma_kernel_cudaERNS_18TensorIteratorBaseElENKUlvE_clEvENKUlvE1_clEvEUlN3c104HalfEE_j15function_traitsIS8_EEENT1_11result_typeERKT_PrKPcPKT0_PKNS6_10ScalarTypeEi@rel32@hi+12
	v_mov_b32_e32 v0, s64
	v_mov_b32_e32 v1, s65
	;; [unrolled: 1-line block ×5, first 2 shown]
	s_swappc_b64 s[30:31], s[4:5]
	v_mov_b32_e32 v2, s37
	s_and_b32 s14, s89, 0xff
	v_add_co_u32_e32 v1, vcc, s36, v22
	s_cmp_lt_i32 s14, 11
	v_addc_co_u32_e32 v2, vcc, 0, v2, vcc
	s_cbranch_scc1 .LBB110_463
; %bb.447:
	s_and_b32 s15, 0xffff, s14
	s_mov_b64 s[8:9], -1
	s_cmp_gt_i32 s15, 25
	s_mov_b64 s[4:5], s[84:85]
	s_cbranch_scc0 .LBB110_481
; %bb.448:
	s_mov_b64 s[6:7], -1
	s_cmp_gt_i32 s15, 28
	s_mov_b64 s[4:5], s[84:85]
	s_cbranch_scc0 .LBB110_465
; %bb.449:
	s_cmp_gt_i32 s15, 43
	s_mov_b64 s[4:5], s[84:85]
	s_cbranch_scc0 .LBB110_460
; %bb.450:
	;; [unrolled: 4-line block ×3, first 2 shown]
	s_cmp_eq_u32 s15, 46
	s_mov_b64 s[4:5], -1
	s_cbranch_scc0 .LBB110_453
; %bb.452:
	v_cvt_f32_f16_e32 v3, v0
	s_movk_i32 s4, 0x7fff
	v_cmp_o_f16_e32 vcc, v0, v0
	v_mov_b32_e32 v4, 0x7fc0
	v_bfe_u32 v5, v3, 16, 1
	v_add3_u32 v3, v3, v5, s4
	v_cndmask_b32_sdwa v3, v4, v3, vcc dst_sel:DWORD dst_unused:UNUSED_PAD src0_sel:DWORD src1_sel:WORD_1
	global_store_dword v[1:2], v3, off
	s_mov_b64 s[4:5], 0
.LBB110_453:
	s_mov_b64 s[6:7], 0
.LBB110_454:
	s_and_b64 vcc, exec, s[6:7]
	s_cbranch_vccz .LBB110_459
; %bb.455:
	s_cmp_eq_u32 s15, 44
	s_mov_b64 s[4:5], -1
	s_cbranch_scc0 .LBB110_459
; %bb.456:
	v_cvt_f32_f16_e32 v3, v0
	s_movk_i32 s4, 0xff
	v_mov_b32_e32 v5, 0xff
	v_bfe_u32 v4, v3, 23, 8
	v_cmp_ne_u32_e32 vcc, s4, v4
	s_and_saveexec_b64 s[6:7], vcc
; %bb.457:
	s_mov_b32 s4, 0x3fffff
	v_lshrrev_b32_e32 v5, 23, v3
	v_and_b32_e32 v6, 0x400000, v3
	v_and_or_b32 v3, v3, s4, v4
	v_cmp_ne_u32_e32 vcc, 0, v6
	v_cmp_ne_u32_e64 s[4:5], 0, v3
	s_and_b64 s[4:5], vcc, s[4:5]
	v_cndmask_b32_e64 v3, 0, 1, s[4:5]
	v_add_u32_e32 v5, v5, v3
; %bb.458:
	s_or_b64 exec, exec, s[6:7]
	s_mov_b64 s[4:5], 0
	global_store_byte v[1:2], v5, off
.LBB110_459:
	s_mov_b64 s[6:7], 0
.LBB110_460:
	s_and_b64 vcc, exec, s[6:7]
	s_cbranch_vccz .LBB110_464
; %bb.461:
	s_cmp_eq_u32 s15, 29
	s_mov_b64 s[4:5], -1
	s_cbranch_scc0 .LBB110_464
; %bb.462:
	v_cvt_f32_f16_e32 v3, v0
	v_mov_b32_e32 v4, 0
	s_mov_b64 s[4:5], 0
	s_mov_b64 s[6:7], 0
	v_cvt_u32_f32_e32 v3, v3
	global_store_dwordx2 v[1:2], v[3:4], off
	s_branch .LBB110_465
.LBB110_463:
	s_mov_b64 s[8:9], 0
	s_mov_b64 s[6:7], -1
	s_mov_b64 s[4:5], s[84:85]
	s_branch .LBB110_522
.LBB110_464:
	s_mov_b64 s[6:7], 0
.LBB110_465:
	s_and_b64 vcc, exec, s[6:7]
	s_cbranch_vccz .LBB110_480
; %bb.466:
	s_cmp_lt_i32 s15, 27
	s_mov_b64 s[6:7], -1
	s_cbranch_scc1 .LBB110_472
; %bb.467:
	s_cmp_gt_i32 s15, 27
	s_cbranch_scc0 .LBB110_469
; %bb.468:
	v_cvt_f32_f16_e32 v3, v0
	s_mov_b64 s[6:7], 0
	v_cvt_u32_f32_e32 v3, v3
	global_store_dword v[1:2], v3, off
.LBB110_469:
	s_andn2_b64 vcc, exec, s[6:7]
	s_cbranch_vccnz .LBB110_471
; %bb.470:
	v_cvt_u16_f16_e32 v3, v0
	global_store_short v[1:2], v3, off
.LBB110_471:
	s_mov_b64 s[6:7], 0
.LBB110_472:
	s_andn2_b64 vcc, exec, s[6:7]
	s_cbranch_vccnz .LBB110_480
; %bb.473:
	v_cvt_f32_f16_e32 v3, v0
	s_mov_b32 s6, 0x43800000
	v_mov_b32_e32 v5, 0x80
	v_and_b32_e32 v4, 0x7fffffff, v3
	v_cmp_gt_u32_e32 vcc, s6, v4
	s_and_saveexec_b64 s[6:7], vcc
	s_cbranch_execz .LBB110_479
; %bb.474:
	s_mov_b32 s8, 0x3bffffff
	v_cmp_lt_u32_e32 vcc, s8, v4
	s_mov_b64 s[8:9], 0
                                        ; implicit-def: $vgpr4
	s_and_saveexec_b64 s[10:11], vcc
	s_xor_b64 s[10:11], exec, s[10:11]
	s_cbranch_execz .LBB110_1121
; %bb.475:
	v_bfe_u32 v4, v3, 20, 1
	s_mov_b32 s12, 0x487ffff
	v_add3_u32 v4, v3, v4, s12
	s_mov_b64 s[8:9], exec
	v_lshrrev_b32_e32 v4, 20, v4
	s_andn2_saveexec_b64 s[10:11], s[10:11]
	s_cbranch_execnz .LBB110_1122
.LBB110_476:
	s_or_b64 exec, exec, s[10:11]
	v_mov_b32_e32 v5, 0
	s_and_saveexec_b64 s[10:11], s[8:9]
.LBB110_477:
	v_lshrrev_b32_e32 v3, 24, v3
	s_movk_i32 s8, 0x80
	v_and_or_b32 v5, v3, s8, v4
.LBB110_478:
	s_or_b64 exec, exec, s[10:11]
.LBB110_479:
	s_or_b64 exec, exec, s[6:7]
	global_store_byte v[1:2], v5, off
.LBB110_480:
	s_mov_b64 s[8:9], 0
.LBB110_481:
	s_mov_b64 s[6:7], 0
	s_and_b64 vcc, exec, s[8:9]
	s_cbranch_vccz .LBB110_521
; %bb.482:
	s_cmp_gt_i32 s15, 22
	s_mov_b64 s[8:9], -1
	s_cbranch_scc0 .LBB110_514
; %bb.483:
	s_cmp_lt_i32 s15, 24
	s_cbranch_scc1 .LBB110_503
; %bb.484:
	s_cmp_gt_i32 s15, 24
	s_cbranch_scc0 .LBB110_492
; %bb.485:
	v_cvt_f32_f16_e32 v3, v0
	s_mov_b32 s8, 0x47800000
	v_mov_b32_e32 v5, 0x80
	v_and_b32_e32 v4, 0x7fffffff, v3
	v_cmp_gt_u32_e32 vcc, s8, v4
	s_and_saveexec_b64 s[8:9], vcc
	s_cbranch_execz .LBB110_491
; %bb.486:
	s_mov_b32 s10, 0x37ffffff
	v_cmp_lt_u32_e32 vcc, s10, v4
	s_mov_b64 s[10:11], 0
                                        ; implicit-def: $vgpr4
	s_and_saveexec_b64 s[12:13], vcc
	s_xor_b64 s[12:13], exec, s[12:13]
	s_cbranch_execz .LBB110_1125
; %bb.487:
	v_bfe_u32 v4, v3, 21, 1
	s_mov_b32 s16, 0x88fffff
	v_add3_u32 v4, v3, v4, s16
	s_mov_b64 s[10:11], exec
	v_lshrrev_b32_e32 v4, 21, v4
	s_andn2_saveexec_b64 s[12:13], s[12:13]
	s_cbranch_execnz .LBB110_1126
.LBB110_488:
	s_or_b64 exec, exec, s[12:13]
	v_mov_b32_e32 v5, 0
	s_and_saveexec_b64 s[12:13], s[10:11]
.LBB110_489:
	v_lshrrev_b32_e32 v3, 24, v3
	s_movk_i32 s10, 0x80
	v_and_or_b32 v5, v3, s10, v4
.LBB110_490:
	s_or_b64 exec, exec, s[12:13]
.LBB110_491:
	s_or_b64 exec, exec, s[8:9]
	s_mov_b64 s[8:9], 0
	global_store_byte v[1:2], v5, off
.LBB110_492:
	s_and_b64 vcc, exec, s[8:9]
	s_cbranch_vccz .LBB110_502
; %bb.493:
	v_cvt_f32_f16_e32 v3, v0
	s_mov_b32 s8, 0x43f00000
                                        ; implicit-def: $vgpr4
	v_and_b32_e32 v5, 0x7fffffff, v3
	v_cmp_gt_u32_e32 vcc, s8, v5
	s_and_saveexec_b64 s[8:9], vcc
	s_xor_b64 s[8:9], exec, s[8:9]
	s_cbranch_execz .LBB110_499
; %bb.494:
	s_mov_b32 s10, 0x3c7fffff
	v_cmp_lt_u32_e32 vcc, s10, v5
                                        ; implicit-def: $vgpr4
	s_and_saveexec_b64 s[10:11], vcc
	s_xor_b64 s[10:11], exec, s[10:11]
; %bb.495:
	v_bfe_u32 v4, v3, 20, 1
	s_mov_b32 s12, 0x407ffff
	v_add3_u32 v4, v3, v4, s12
	v_lshrrev_b32_e32 v5, 20, v4
	v_and_b32_e32 v4, 0xff00000, v4
	s_mov_b32 s12, 0x7f00000
	v_mov_b32_e32 v6, 0x7e
	v_cmp_ne_u32_e32 vcc, s12, v4
	v_cndmask_b32_e32 v4, v6, v5, vcc
; %bb.496:
	s_andn2_saveexec_b64 s[10:11], s[10:11]
; %bb.497:
	s_mov_b32 s12, 0x46800000
	v_add_f32_e64 v4, |v3|, s12
; %bb.498:
	s_or_b64 exec, exec, s[10:11]
                                        ; implicit-def: $vgpr5
.LBB110_499:
	s_andn2_saveexec_b64 s[8:9], s[8:9]
; %bb.500:
	s_mov_b32 s10, 0x7f800000
	v_mov_b32_e32 v4, 0x7e
	v_mov_b32_e32 v6, 0x7f
	v_cmp_lt_u32_e32 vcc, s10, v5
	v_cndmask_b32_e32 v4, v4, v6, vcc
; %bb.501:
	s_or_b64 exec, exec, s[8:9]
	v_lshrrev_b32_e32 v3, 24, v3
	s_movk_i32 s8, 0x80
	v_and_or_b32 v3, v3, s8, v4
	global_store_byte v[1:2], v3, off
.LBB110_502:
	s_mov_b64 s[8:9], 0
.LBB110_503:
	s_andn2_b64 vcc, exec, s[8:9]
	s_cbranch_vccnz .LBB110_513
; %bb.504:
	v_cvt_f32_f16_e32 v3, v0
	s_mov_b32 s8, 0x47800000
                                        ; implicit-def: $vgpr4
	v_and_b32_e32 v5, 0x7fffffff, v3
	v_cmp_gt_u32_e32 vcc, s8, v5
	s_and_saveexec_b64 s[8:9], vcc
	s_xor_b64 s[8:9], exec, s[8:9]
	s_cbranch_execz .LBB110_510
; %bb.505:
	s_mov_b32 s10, 0x387fffff
	v_cmp_lt_u32_e32 vcc, s10, v5
                                        ; implicit-def: $vgpr4
	s_and_saveexec_b64 s[10:11], vcc
	s_xor_b64 s[10:11], exec, s[10:11]
; %bb.506:
	v_bfe_u32 v4, v3, 21, 1
	s_mov_b32 s12, 0x80fffff
	v_add3_u32 v4, v3, v4, s12
	v_lshrrev_b32_e32 v4, 21, v4
; %bb.507:
	s_andn2_saveexec_b64 s[10:11], s[10:11]
; %bb.508:
	s_mov_b32 s12, 0x43000000
	v_add_f32_e64 v4, |v3|, s12
; %bb.509:
	s_or_b64 exec, exec, s[10:11]
                                        ; implicit-def: $vgpr5
.LBB110_510:
	s_andn2_saveexec_b64 s[8:9], s[8:9]
; %bb.511:
	s_mov_b32 s10, 0x7f800000
	v_mov_b32_e32 v4, 0x7c
	v_mov_b32_e32 v6, 0x7f
	v_cmp_lt_u32_e32 vcc, s10, v5
	v_cndmask_b32_e32 v4, v4, v6, vcc
; %bb.512:
	s_or_b64 exec, exec, s[8:9]
	v_lshrrev_b32_e32 v3, 24, v3
	s_movk_i32 s8, 0x80
	v_and_or_b32 v3, v3, s8, v4
	global_store_byte v[1:2], v3, off
.LBB110_513:
	s_mov_b64 s[8:9], 0
.LBB110_514:
	s_andn2_b64 vcc, exec, s[8:9]
	s_mov_b64 s[8:9], 0
	s_cbranch_vccnz .LBB110_522
; %bb.515:
	s_cmp_gt_i32 s15, 14
	s_mov_b64 s[10:11], -1
	s_cbranch_scc0 .LBB110_519
; %bb.516:
	s_cmp_eq_u32 s15, 15
	s_mov_b64 s[4:5], -1
	s_cbranch_scc0 .LBB110_518
; %bb.517:
	v_cvt_f32_f16_e32 v3, v0
	s_movk_i32 s4, 0x7fff
	v_cmp_o_f16_e32 vcc, v0, v0
	v_mov_b32_e32 v4, 0x7fc0
	v_bfe_u32 v5, v3, 16, 1
	v_add3_u32 v3, v3, v5, s4
	v_cndmask_b32_sdwa v3, v4, v3, vcc dst_sel:DWORD dst_unused:UNUSED_PAD src0_sel:DWORD src1_sel:WORD_1
	global_store_short v[1:2], v3, off
	s_mov_b64 s[4:5], 0
.LBB110_518:
	s_mov_b64 s[10:11], 0
.LBB110_519:
	s_and_b64 vcc, exec, s[10:11]
	s_cbranch_vccz .LBB110_522
; %bb.520:
	s_cmp_lg_u32 s15, 11
	s_cselect_b64 s[10:11], -1, 0
	s_andn2_b64 s[4:5], s[4:5], exec
	s_and_b64 s[10:11], s[10:11], exec
	s_mov_b64 s[8:9], -1
	s_or_b64 s[4:5], s[4:5], s[10:11]
	s_branch .LBB110_522
.LBB110_521:
	s_mov_b64 s[8:9], 0
.LBB110_522:
	s_and_b64 s[10:11], s[6:7], exec
	s_and_b64 s[6:7], s[8:9], exec
	s_andn2_b64 s[8:9], s[84:85], exec
	s_and_b64 s[4:5], s[4:5], exec
	s_or_b64 s[8:9], s[8:9], s[4:5]
.LBB110_523:
	s_or_b64 exec, exec, s[86:87]
	s_and_b64 s[4:5], s[6:7], exec
	s_andn2_b64 s[6:7], s[84:85], exec
	s_and_b64 s[8:9], s[8:9], exec
	s_and_b64 s[10:11], s[10:11], exec
	s_or_b64 s[84:85], s[6:7], s[8:9]
.LBB110_524:
	s_or_b64 exec, exec, s[82:83]
	s_and_b64 s[6:7], s[10:11], exec
	s_andn2_b64 s[8:9], s[78:79], exec
	s_and_b64 s[10:11], s[84:85], exec
	s_and_b64 s[4:5], s[4:5], exec
	s_or_b64 s[78:79], s[8:9], s[10:11]
.LBB110_525:
	s_or_b64 exec, exec, s[80:81]
	s_and_b64 s[80:81], s[4:5], exec
	s_andn2_b64 s[4:5], s[74:75], exec
	s_and_b64 s[8:9], s[78:79], exec
	s_and_b64 s[6:7], s[6:7], exec
	s_or_b64 s[74:75], s[4:5], s[8:9]
	s_or_b64 exec, exec, s[76:77]
	s_mov_b64 s[4:5], 0
	s_and_saveexec_b64 s[8:9], s[74:75]
	s_cbranch_execz .LBB110_146
.LBB110_526:
	s_mov_b64 s[4:5], exec
	s_andn2_b64 s[80:81], s[80:81], exec
	s_trap 2
	s_or_b64 exec, exec, s[8:9]
	s_and_saveexec_b64 s[8:9], s[80:81]
	s_xor_b64 s[8:9], exec, s[8:9]
	s_cbranch_execnz .LBB110_147
.LBB110_527:
	s_or_b64 exec, exec, s[8:9]
	s_and_saveexec_b64 s[8:9], s[6:7]
	s_xor_b64 s[6:7], exec, s[8:9]
	s_cbranch_execz .LBB110_565
.LBB110_528:
	s_sext_i32_i16 s10, s14
	s_cmp_lt_i32 s10, 5
	s_mov_b64 s[8:9], -1
	s_cbranch_scc1 .LBB110_549
; %bb.529:
	s_cmp_lt_i32 s10, 8
	s_cbranch_scc1 .LBB110_539
; %bb.530:
	s_cmp_lt_i32 s10, 9
	s_cbranch_scc1 .LBB110_536
; %bb.531:
	s_cmp_gt_i32 s10, 9
	s_cbranch_scc0 .LBB110_533
; %bb.532:
	v_cvt_f32_f16_e32 v3, v0
	v_mov_b32_e32 v5, 0
	v_mov_b32_e32 v6, v5
	s_mov_b64 s[8:9], 0
	v_cvt_f64_f32_e32 v[3:4], v3
	global_store_dwordx4 v[1:2], v[3:6], off
.LBB110_533:
	s_andn2_b64 vcc, exec, s[8:9]
	s_cbranch_vccnz .LBB110_535
; %bb.534:
	v_cvt_f32_f16_e32 v3, v0
	v_mov_b32_e32 v4, 0
	global_store_dwordx2 v[1:2], v[3:4], off
.LBB110_535:
	s_mov_b64 s[8:9], 0
.LBB110_536:
	s_andn2_b64 vcc, exec, s[8:9]
	s_cbranch_vccnz .LBB110_538
; %bb.537:
	v_and_b32_e32 v3, 0xffff, v0
	global_store_dword v[1:2], v3, off
.LBB110_538:
	s_mov_b64 s[8:9], 0
.LBB110_539:
	s_andn2_b64 vcc, exec, s[8:9]
	s_cbranch_vccnz .LBB110_548
; %bb.540:
	s_sext_i32_i16 s10, s14
	s_cmp_lt_i32 s10, 6
	s_mov_b64 s[8:9], -1
	s_cbranch_scc1 .LBB110_546
; %bb.541:
	s_cmp_gt_i32 s10, 6
	s_cbranch_scc0 .LBB110_543
; %bb.542:
	v_cvt_f32_f16_e32 v3, v0
	s_mov_b64 s[8:9], 0
	v_cvt_f64_f32_e32 v[3:4], v3
	global_store_dwordx2 v[1:2], v[3:4], off
.LBB110_543:
	s_andn2_b64 vcc, exec, s[8:9]
	s_cbranch_vccnz .LBB110_545
; %bb.544:
	v_cvt_f32_f16_e32 v3, v0
	global_store_dword v[1:2], v3, off
.LBB110_545:
	s_mov_b64 s[8:9], 0
.LBB110_546:
	s_andn2_b64 vcc, exec, s[8:9]
	s_cbranch_vccnz .LBB110_548
; %bb.547:
	global_store_short v[1:2], v0, off
.LBB110_548:
	s_mov_b64 s[8:9], 0
.LBB110_549:
	s_andn2_b64 vcc, exec, s[8:9]
	s_cbranch_vccnz .LBB110_565
; %bb.550:
	s_sext_i32_i16 s10, s14
	s_cmp_lt_i32 s10, 2
	s_mov_b64 s[8:9], -1
	s_cbranch_scc1 .LBB110_560
; %bb.551:
	s_cmp_lt_i32 s10, 3
	s_cbranch_scc1 .LBB110_557
; %bb.552:
	s_cmp_gt_i32 s10, 3
	s_cbranch_scc0 .LBB110_554
; %bb.553:
	v_cvt_f32_f16_e32 v3, v0
	s_mov_b64 s[8:9], 0
	v_cvt_i32_f32_e32 v3, v3
	v_ashrrev_i32_e32 v4, 31, v3
	global_store_dwordx2 v[1:2], v[3:4], off
.LBB110_554:
	s_andn2_b64 vcc, exec, s[8:9]
	s_cbranch_vccnz .LBB110_556
; %bb.555:
	v_cvt_f32_f16_e32 v3, v0
	v_cvt_i32_f32_e32 v3, v3
	global_store_dword v[1:2], v3, off
.LBB110_556:
	s_mov_b64 s[8:9], 0
.LBB110_557:
	s_andn2_b64 vcc, exec, s[8:9]
	s_cbranch_vccnz .LBB110_559
; %bb.558:
	v_cvt_i16_f16_e32 v3, v0
	global_store_short v[1:2], v3, off
.LBB110_559:
	s_mov_b64 s[8:9], 0
.LBB110_560:
	s_andn2_b64 vcc, exec, s[8:9]
	s_cbranch_vccnz .LBB110_565
; %bb.561:
	s_sext_i32_i16 s8, s14
	s_cmp_gt_i32 s8, 0
	s_mov_b64 s[8:9], -1
	s_cbranch_scc0 .LBB110_563
; %bb.562:
	v_cvt_i16_f16_e32 v3, v0
	s_mov_b64 s[8:9], 0
	global_store_byte v[1:2], v3, off
.LBB110_563:
	s_andn2_b64 vcc, exec, s[8:9]
	s_cbranch_vccnz .LBB110_565
; %bb.564:
	v_cvt_f32_f16_e32 v0, v0
	v_cvt_i32_f32_e32 v0, v0
	global_store_byte v[1:2], v0, off
.LBB110_565:
	s_or_b64 exec, exec, s[6:7]
	s_and_b64 s[48:49], s[4:5], exec
                                        ; implicit-def: $vgpr3
                                        ; implicit-def: $vgpr24
.LBB110_566:
	s_or_saveexec_b64 s[50:51], s[62:63]
	s_mov_b64 s[4:5], 0
                                        ; implicit-def: $sgpr16
                                        ; implicit-def: $vgpr1_vgpr2
                                        ; implicit-def: $vgpr0
	s_xor_b64 exec, exec, s[50:51]
	s_cbranch_execz .LBB110_1055
; %bb.567:
	v_cndmask_b32_e64 v0, 0, 1, s[60:61]
	v_cmp_ne_u32_e64 s[4:5], 1, v0
	s_andn2_b64 vcc, exec, s[60:61]
	s_cbranch_vccnz .LBB110_573
; %bb.568:
	s_cmp_lg_u32 s33, 0
	s_mov_b32 s30, 0
	s_cbranch_scc0 .LBB110_574
; %bb.569:
	s_min_u32 s31, s88, 15
	s_add_i32 s31, s31, 1
	s_cmp_eq_u32 s88, 2
	s_cbranch_scc1 .LBB110_575
; %bb.570:
	s_and_b32 s30, s31, 28
	s_add_u32 s6, s56, 0xc4
	s_addc_u32 s7, s57, 0
	v_mov_b32_e32 v4, 0
	s_mov_b32 s36, 0
	s_mov_b64 s[28:29], s[56:57]
	v_mov_b32_e32 v33, 0
	v_mov_b32_e32 v0, v24
.LBB110_571:                            ; =>This Inner Loop Header: Depth=1
	s_load_dwordx8 s[16:23], s[28:29], 0x4
	s_load_dwordx4 s[24:27], s[28:29], 0x24
	s_load_dwordx8 s[8:15], s[6:7], 0x0
	s_add_u32 s28, s28, 48
	s_addc_u32 s29, s29, 0
	s_waitcnt lgkmcnt(0)
	v_mul_hi_u32 v1, s17, v0
	s_add_i32 s36, s36, 4
	s_add_u32 s6, s6, 32
	s_addc_u32 s7, s7, 0
	v_add_u32_e32 v1, v0, v1
	v_lshrrev_b32_e32 v1, s18, v1
	v_mul_lo_u32 v2, v1, s16
	v_mul_hi_u32 v5, s20, v1
	s_cmp_lg_u32 s30, s36
	v_sub_u32_e32 v0, v0, v2
	v_add_u32_e32 v2, v1, v5
	v_mul_lo_u32 v5, v0, s8
	v_mul_lo_u32 v6, v0, s9
	v_lshrrev_b32_e32 v0, s21, v2
	v_mul_lo_u32 v2, v0, s19
	v_mul_hi_u32 v7, s23, v0
	v_sub_u32_e32 v1, v1, v2
	v_add_u32_e32 v2, v0, v7
	v_lshrrev_b32_e32 v2, s24, v2
	v_mul_hi_u32 v8, s26, v2
	v_mul_lo_u32 v9, v2, s22
	v_mul_lo_u32 v7, v1, s10
	;; [unrolled: 1-line block ×3, first 2 shown]
	v_sub_u32_e32 v9, v0, v9
	v_add_u32_e32 v0, v2, v8
	v_lshrrev_b32_e32 v0, s27, v0
	v_mul_lo_u32 v8, v0, s25
	v_mul_lo_u32 v10, v9, s12
	;; [unrolled: 1-line block ×3, first 2 shown]
	v_add3_u32 v5, v5, v33, v7
	v_sub_u32_e32 v2, v2, v8
	v_mul_lo_u32 v8, v2, s14
	v_mul_lo_u32 v2, v2, s15
	v_add3_u32 v1, v6, v4, v1
	v_add3_u32 v33, v10, v5, v8
	;; [unrolled: 1-line block ×3, first 2 shown]
	s_cbranch_scc1 .LBB110_571
; %bb.572:
	s_and_b32 s10, s31, 3
	s_cmp_eq_u32 s10, 0
	s_cbranch_scc0 .LBB110_576
	s_branch .LBB110_578
.LBB110_573:
                                        ; implicit-def: $vgpr33
                                        ; implicit-def: $vgpr4
	s_branch .LBB110_579
.LBB110_574:
	v_mov_b32_e32 v33, 0
	v_mov_b32_e32 v4, 0
	s_branch .LBB110_578
.LBB110_575:
	v_mov_b32_e32 v33, 0
	v_mov_b32_e32 v4, 0
	;; [unrolled: 1-line block ×3, first 2 shown]
	s_and_b32 s10, s31, 3
	s_cmp_eq_u32 s10, 0
	s_cbranch_scc1 .LBB110_578
.LBB110_576:
	s_lshl_b32 s6, s30, 3
	s_add_u32 s6, s56, s6
	s_addc_u32 s7, s57, 0
	s_add_u32 s6, s6, 0xc4
	s_addc_u32 s7, s7, 0
	s_mul_i32 s8, s30, 12
	s_add_u32 s8, s56, s8
	s_addc_u32 s9, s57, 0
.LBB110_577:                            ; =>This Inner Loop Header: Depth=1
	s_load_dwordx2 s[12:13], s[8:9], 0x4
	s_load_dword s11, s[8:9], 0xc
	s_load_dwordx2 s[14:15], s[6:7], 0x0
	s_add_u32 s8, s8, 12
	s_addc_u32 s9, s9, 0
	s_waitcnt lgkmcnt(0)
	v_mul_hi_u32 v1, s13, v0
	s_add_u32 s6, s6, 8
	s_addc_u32 s7, s7, 0
	s_add_i32 s10, s10, -1
	v_add_u32_e32 v1, v0, v1
	v_lshrrev_b32_e32 v1, s11, v1
	v_mul_lo_u32 v2, v1, s12
	s_cmp_lg_u32 s10, 0
	v_sub_u32_e32 v0, v0, v2
	v_mad_u64_u32 v[33:34], s[12:13], v0, s14, v[33:34]
	v_mad_u64_u32 v[4:5], s[12:13], v0, s15, v[4:5]
	v_mov_b32_e32 v0, v1
	s_cbranch_scc1 .LBB110_577
.LBB110_578:
	s_cbranch_execnz .LBB110_581
.LBB110_579:
	s_load_dwordx4 s[8:11], s[56:57], 0x4
	s_load_dwordx2 s[6:7], s[56:57], 0xc4
	s_cmp_lt_u32 s33, 2
	s_waitcnt lgkmcnt(0)
	v_mul_hi_u32 v0, s9, v24
	v_add_u32_e32 v0, v24, v0
	v_lshrrev_b32_e32 v0, s10, v0
	v_mul_lo_u32 v1, v0, s8
	v_sub_u32_e32 v1, v24, v1
	v_mul_lo_u32 v33, v1, s6
	v_mul_lo_u32 v4, v1, s7
	s_cbranch_scc1 .LBB110_581
; %bb.580:
	s_load_dwordx4 s[8:11], s[56:57], 0x10
	s_load_dwordx2 s[6:7], s[56:57], 0xcc
	s_waitcnt lgkmcnt(0)
	v_mul_hi_u32 v1, s9, v0
	v_add_u32_e32 v1, v0, v1
	v_lshrrev_b32_e32 v1, s10, v1
	v_mul_lo_u32 v1, v1, s8
	v_sub_u32_e32 v0, v0, v1
	v_mad_u64_u32 v[33:34], s[8:9], v0, s6, v[33:34]
	v_mad_u64_u32 v[4:5], s[6:7], v0, s7, v[4:5]
.LBB110_581:
	s_and_b64 vcc, exec, s[4:5]
	v_add_u32_e32 v0, 0x80, v24
	s_cbranch_vccnz .LBB110_587
; %bb.582:
	s_cmp_lg_u32 s33, 0
	s_mov_b32 s30, 0
	s_cbranch_scc0 .LBB110_588
; %bb.583:
	s_min_u32 s31, s88, 15
	s_add_i32 s31, s31, 1
	s_cmp_eq_u32 s88, 2
	s_cbranch_scc1 .LBB110_589
; %bb.584:
	s_and_b32 s30, s31, 28
	s_add_u32 s6, s56, 0xc4
	s_addc_u32 s7, s57, 0
	v_mov_b32_e32 v22, 0
	s_mov_b32 s36, 0
	s_mov_b64 s[28:29], s[56:57]
	v_mov_b32_e32 v31, 0
	v_mov_b32_e32 v1, v0
.LBB110_585:                            ; =>This Inner Loop Header: Depth=1
	s_load_dwordx8 s[16:23], s[28:29], 0x4
	s_load_dwordx4 s[24:27], s[28:29], 0x24
	s_load_dwordx8 s[8:15], s[6:7], 0x0
	s_add_u32 s28, s28, 48
	s_addc_u32 s29, s29, 0
	s_waitcnt lgkmcnt(0)
	v_mul_hi_u32 v2, s17, v1
	s_add_i32 s36, s36, 4
	s_add_u32 s6, s6, 32
	s_addc_u32 s7, s7, 0
	v_add_u32_e32 v2, v1, v2
	v_lshrrev_b32_e32 v2, s18, v2
	v_mul_lo_u32 v5, v2, s16
	v_mul_hi_u32 v6, s20, v2
	s_cmp_lg_u32 s30, s36
	v_sub_u32_e32 v1, v1, v5
	v_add_u32_e32 v5, v2, v6
	v_mul_lo_u32 v6, v1, s8
	v_mul_lo_u32 v7, v1, s9
	v_lshrrev_b32_e32 v1, s21, v5
	v_mul_lo_u32 v5, v1, s19
	v_mul_hi_u32 v8, s23, v1
	v_sub_u32_e32 v2, v2, v5
	v_add_u32_e32 v5, v1, v8
	v_lshrrev_b32_e32 v5, s24, v5
	v_mul_hi_u32 v9, s26, v5
	v_mul_lo_u32 v10, v5, s22
	v_mul_lo_u32 v8, v2, s10
	;; [unrolled: 1-line block ×3, first 2 shown]
	v_sub_u32_e32 v10, v1, v10
	v_add_u32_e32 v1, v5, v9
	v_lshrrev_b32_e32 v1, s27, v1
	v_mul_lo_u32 v9, v1, s25
	v_mul_lo_u32 v11, v10, s12
	;; [unrolled: 1-line block ×3, first 2 shown]
	v_add3_u32 v6, v6, v31, v8
	v_sub_u32_e32 v5, v5, v9
	v_mul_lo_u32 v9, v5, s14
	v_mul_lo_u32 v5, v5, s15
	v_add3_u32 v2, v7, v22, v2
	v_add3_u32 v31, v11, v6, v9
	;; [unrolled: 1-line block ×3, first 2 shown]
	s_cbranch_scc1 .LBB110_585
; %bb.586:
	s_and_b32 s10, s31, 3
	s_cmp_eq_u32 s10, 0
	s_cbranch_scc0 .LBB110_590
	s_branch .LBB110_592
.LBB110_587:
                                        ; implicit-def: $vgpr31
                                        ; implicit-def: $vgpr22
	s_branch .LBB110_593
.LBB110_588:
	v_mov_b32_e32 v31, 0
	v_mov_b32_e32 v22, 0
	s_branch .LBB110_592
.LBB110_589:
	v_mov_b32_e32 v31, 0
	v_mov_b32_e32 v22, 0
	v_mov_b32_e32 v1, v0
	s_and_b32 s10, s31, 3
	s_cmp_eq_u32 s10, 0
	s_cbranch_scc1 .LBB110_592
.LBB110_590:
	s_lshl_b32 s6, s30, 3
	s_add_u32 s6, s56, s6
	s_addc_u32 s7, s57, 0
	s_add_u32 s6, s6, 0xc4
	s_addc_u32 s7, s7, 0
	s_mul_i32 s8, s30, 12
	s_add_u32 s8, s56, s8
	s_addc_u32 s9, s57, 0
.LBB110_591:                            ; =>This Inner Loop Header: Depth=1
	s_load_dwordx2 s[12:13], s[8:9], 0x4
	s_load_dword s11, s[8:9], 0xc
	s_load_dwordx2 s[14:15], s[6:7], 0x0
	s_add_u32 s8, s8, 12
	s_addc_u32 s9, s9, 0
	s_waitcnt lgkmcnt(0)
	v_mul_hi_u32 v2, s13, v1
	s_add_u32 s6, s6, 8
	s_addc_u32 s7, s7, 0
	s_add_i32 s10, s10, -1
	v_add_u32_e32 v2, v1, v2
	v_lshrrev_b32_e32 v2, s11, v2
	v_mul_lo_u32 v5, v2, s12
	s_cmp_lg_u32 s10, 0
	v_sub_u32_e32 v1, v1, v5
	v_mad_u64_u32 v[31:32], s[12:13], v1, s14, v[31:32]
	v_mad_u64_u32 v[22:23], s[12:13], v1, s15, v[22:23]
	v_mov_b32_e32 v1, v2
	s_cbranch_scc1 .LBB110_591
.LBB110_592:
	s_cbranch_execnz .LBB110_595
.LBB110_593:
	s_load_dwordx4 s[8:11], s[56:57], 0x4
	s_load_dwordx2 s[6:7], s[56:57], 0xc4
	s_cmp_lt_u32 s33, 2
	s_waitcnt lgkmcnt(0)
	v_mul_hi_u32 v1, s9, v0
	v_add_u32_e32 v1, v0, v1
	v_lshrrev_b32_e32 v1, s10, v1
	v_mul_lo_u32 v2, v1, s8
	v_sub_u32_e32 v0, v0, v2
	v_mul_lo_u32 v31, v0, s6
	v_mul_lo_u32 v22, v0, s7
	s_cbranch_scc1 .LBB110_595
; %bb.594:
	s_load_dwordx4 s[8:11], s[56:57], 0x10
	s_load_dwordx2 s[6:7], s[56:57], 0xcc
	s_waitcnt lgkmcnt(0)
	v_mul_hi_u32 v0, s9, v1
	v_add_u32_e32 v0, v1, v0
	v_lshrrev_b32_e32 v0, s10, v0
	v_mul_lo_u32 v0, v0, s8
	v_sub_u32_e32 v0, v1, v0
	v_mad_u64_u32 v[31:32], s[8:9], v0, s6, v[31:32]
	v_mad_u64_u32 v[22:23], s[6:7], v0, s7, v[22:23]
.LBB110_595:
	s_and_b64 vcc, exec, s[4:5]
	v_add_u32_e32 v0, 0x100, v24
	s_cbranch_vccnz .LBB110_601
; %bb.596:
	s_cmp_lg_u32 s33, 0
	s_mov_b32 s30, 0
	s_cbranch_scc0 .LBB110_602
; %bb.597:
	s_min_u32 s31, s88, 15
	s_add_i32 s31, s31, 1
	s_cmp_eq_u32 s88, 2
	s_cbranch_scc1 .LBB110_603
; %bb.598:
	s_and_b32 s30, s31, 28
	s_add_u32 s6, s56, 0xc4
	s_addc_u32 s7, s57, 0
	v_mov_b32_e32 v23, 0
	s_mov_b32 s36, 0
	s_mov_b64 s[28:29], s[56:57]
	v_mov_b32_e32 v29, 0
	v_mov_b32_e32 v1, v0
.LBB110_599:                            ; =>This Inner Loop Header: Depth=1
	s_load_dwordx8 s[16:23], s[28:29], 0x4
	s_load_dwordx4 s[24:27], s[28:29], 0x24
	s_load_dwordx8 s[8:15], s[6:7], 0x0
	s_add_u32 s28, s28, 48
	s_addc_u32 s29, s29, 0
	s_waitcnt lgkmcnt(0)
	v_mul_hi_u32 v2, s17, v1
	s_add_i32 s36, s36, 4
	s_add_u32 s6, s6, 32
	s_addc_u32 s7, s7, 0
	v_add_u32_e32 v2, v1, v2
	v_lshrrev_b32_e32 v2, s18, v2
	v_mul_lo_u32 v5, v2, s16
	v_mul_hi_u32 v6, s20, v2
	s_cmp_lg_u32 s30, s36
	v_sub_u32_e32 v1, v1, v5
	v_add_u32_e32 v5, v2, v6
	v_mul_lo_u32 v6, v1, s8
	v_mul_lo_u32 v7, v1, s9
	v_lshrrev_b32_e32 v1, s21, v5
	v_mul_lo_u32 v5, v1, s19
	v_mul_hi_u32 v8, s23, v1
	v_sub_u32_e32 v2, v2, v5
	v_add_u32_e32 v5, v1, v8
	v_lshrrev_b32_e32 v5, s24, v5
	v_mul_hi_u32 v9, s26, v5
	v_mul_lo_u32 v10, v5, s22
	v_mul_lo_u32 v8, v2, s10
	v_mul_lo_u32 v2, v2, s11
	v_sub_u32_e32 v10, v1, v10
	v_add_u32_e32 v1, v5, v9
	v_lshrrev_b32_e32 v1, s27, v1
	v_mul_lo_u32 v9, v1, s25
	v_mul_lo_u32 v11, v10, s12
	;; [unrolled: 1-line block ×3, first 2 shown]
	v_add3_u32 v6, v6, v29, v8
	v_sub_u32_e32 v5, v5, v9
	v_mul_lo_u32 v9, v5, s14
	v_mul_lo_u32 v5, v5, s15
	v_add3_u32 v2, v7, v23, v2
	v_add3_u32 v29, v11, v6, v9
	;; [unrolled: 1-line block ×3, first 2 shown]
	s_cbranch_scc1 .LBB110_599
; %bb.600:
	s_and_b32 s10, s31, 3
	s_cmp_eq_u32 s10, 0
	s_cbranch_scc0 .LBB110_604
	s_branch .LBB110_606
.LBB110_601:
                                        ; implicit-def: $vgpr29
                                        ; implicit-def: $vgpr23
	s_branch .LBB110_607
.LBB110_602:
	v_mov_b32_e32 v29, 0
	v_mov_b32_e32 v23, 0
	s_branch .LBB110_606
.LBB110_603:
	v_mov_b32_e32 v29, 0
	v_mov_b32_e32 v23, 0
	;; [unrolled: 1-line block ×3, first 2 shown]
	s_and_b32 s10, s31, 3
	s_cmp_eq_u32 s10, 0
	s_cbranch_scc1 .LBB110_606
.LBB110_604:
	s_lshl_b32 s6, s30, 3
	s_add_u32 s6, s56, s6
	s_addc_u32 s7, s57, 0
	s_add_u32 s6, s6, 0xc4
	s_addc_u32 s7, s7, 0
	s_mul_i32 s8, s30, 12
	s_add_u32 s8, s56, s8
	s_addc_u32 s9, s57, 0
.LBB110_605:                            ; =>This Inner Loop Header: Depth=1
	s_load_dwordx2 s[12:13], s[8:9], 0x4
	s_load_dword s11, s[8:9], 0xc
	s_load_dwordx2 s[14:15], s[6:7], 0x0
	s_add_u32 s8, s8, 12
	s_addc_u32 s9, s9, 0
	s_waitcnt lgkmcnt(0)
	v_mul_hi_u32 v2, s13, v1
	s_add_u32 s6, s6, 8
	s_addc_u32 s7, s7, 0
	s_add_i32 s10, s10, -1
	v_add_u32_e32 v2, v1, v2
	v_lshrrev_b32_e32 v2, s11, v2
	v_mul_lo_u32 v5, v2, s12
	s_cmp_lg_u32 s10, 0
	v_sub_u32_e32 v1, v1, v5
	v_mad_u64_u32 v[29:30], s[12:13], v1, s14, v[29:30]
	v_mad_u64_u32 v[23:24], s[12:13], v1, s15, v[23:24]
	v_mov_b32_e32 v1, v2
	s_cbranch_scc1 .LBB110_605
.LBB110_606:
	s_cbranch_execnz .LBB110_609
.LBB110_607:
	s_load_dwordx4 s[8:11], s[56:57], 0x4
	s_load_dwordx2 s[6:7], s[56:57], 0xc4
	s_cmp_lt_u32 s33, 2
	s_waitcnt lgkmcnt(0)
	v_mul_hi_u32 v1, s9, v0
	v_add_u32_e32 v1, v0, v1
	v_lshrrev_b32_e32 v1, s10, v1
	v_mul_lo_u32 v2, v1, s8
	v_sub_u32_e32 v0, v0, v2
	v_mul_lo_u32 v29, v0, s6
	v_mul_lo_u32 v23, v0, s7
	s_cbranch_scc1 .LBB110_609
; %bb.608:
	s_load_dwordx4 s[8:11], s[56:57], 0x10
	s_load_dwordx2 s[6:7], s[56:57], 0xcc
	s_waitcnt lgkmcnt(0)
	v_mul_hi_u32 v0, s9, v1
	v_add_u32_e32 v0, v1, v0
	v_lshrrev_b32_e32 v0, s10, v0
	v_mul_lo_u32 v0, v0, s8
	v_sub_u32_e32 v0, v1, v0
	v_mad_u64_u32 v[29:30], s[8:9], v0, s6, v[29:30]
	v_mad_u64_u32 v[23:24], s[6:7], v0, s7, v[23:24]
.LBB110_609:
	s_and_b64 vcc, exec, s[4:5]
	s_cbranch_vccnz .LBB110_615
; %bb.610:
	s_cmp_lg_u32 s33, 0
	s_mov_b32 s28, 0
	s_cbranch_scc0 .LBB110_616
; %bb.611:
	s_min_u32 s29, s88, 15
	s_add_i32 s29, s29, 1
	s_cmp_eq_u32 s88, 2
	s_cbranch_scc1 .LBB110_617
; %bb.612:
	s_and_b32 s28, s29, 28
	s_add_u32 s24, s56, 0xc4
	s_addc_u32 s25, s57, 0
	v_mov_b32_e32 v24, 0
	s_mov_b32 s30, 0
	s_mov_b64 s[26:27], s[56:57]
	v_mov_b32_e32 v27, 0
	v_mov_b32_e32 v0, v3
.LBB110_613:                            ; =>This Inner Loop Header: Depth=1
	s_load_dwordx8 s[12:19], s[26:27], 0x4
	s_load_dwordx4 s[20:23], s[26:27], 0x24
	s_load_dwordx8 s[4:11], s[24:25], 0x0
	s_add_u32 s26, s26, 48
	s_addc_u32 s27, s27, 0
	s_waitcnt lgkmcnt(0)
	v_mul_hi_u32 v1, s13, v0
	s_add_i32 s30, s30, 4
	s_add_u32 s24, s24, 32
	s_addc_u32 s25, s25, 0
	v_add_u32_e32 v1, v0, v1
	v_lshrrev_b32_e32 v1, s14, v1
	v_mul_lo_u32 v2, v1, s12
	v_mul_hi_u32 v5, s16, v1
	s_cmp_lg_u32 s28, s30
	v_sub_u32_e32 v0, v0, v2
	v_add_u32_e32 v2, v1, v5
	v_mul_lo_u32 v5, v0, s4
	v_mul_lo_u32 v6, v0, s5
	v_lshrrev_b32_e32 v0, s17, v2
	v_mul_lo_u32 v2, v0, s15
	v_mul_hi_u32 v7, s19, v0
	v_sub_u32_e32 v1, v1, v2
	v_add_u32_e32 v2, v0, v7
	v_lshrrev_b32_e32 v2, s20, v2
	v_mul_hi_u32 v8, s22, v2
	v_mul_lo_u32 v9, v2, s18
	v_mul_lo_u32 v7, v1, s6
	;; [unrolled: 1-line block ×3, first 2 shown]
	v_sub_u32_e32 v9, v0, v9
	v_add_u32_e32 v0, v2, v8
	v_lshrrev_b32_e32 v0, s23, v0
	v_mul_lo_u32 v8, v0, s21
	v_mul_lo_u32 v10, v9, s8
	;; [unrolled: 1-line block ×3, first 2 shown]
	v_add3_u32 v5, v5, v27, v7
	v_sub_u32_e32 v2, v2, v8
	v_mul_lo_u32 v8, v2, s10
	v_mul_lo_u32 v2, v2, s11
	v_add3_u32 v1, v6, v24, v1
	v_add3_u32 v27, v10, v5, v8
	;; [unrolled: 1-line block ×3, first 2 shown]
	s_cbranch_scc1 .LBB110_613
; %bb.614:
	s_and_b32 s8, s29, 3
	s_cmp_eq_u32 s8, 0
	s_cbranch_scc0 .LBB110_618
	s_branch .LBB110_620
.LBB110_615:
                                        ; implicit-def: $vgpr27
                                        ; implicit-def: $vgpr24
	s_branch .LBB110_621
.LBB110_616:
	v_mov_b32_e32 v27, 0
	v_mov_b32_e32 v24, 0
	s_branch .LBB110_620
.LBB110_617:
	v_mov_b32_e32 v27, 0
	v_mov_b32_e32 v24, 0
	;; [unrolled: 1-line block ×3, first 2 shown]
	s_and_b32 s8, s29, 3
	s_cmp_eq_u32 s8, 0
	s_cbranch_scc1 .LBB110_620
.LBB110_618:
	s_lshl_b32 s4, s28, 3
	s_add_u32 s4, s56, s4
	s_addc_u32 s5, s57, 0
	s_add_u32 s4, s4, 0xc4
	s_addc_u32 s5, s5, 0
	s_mul_i32 s6, s28, 12
	s_add_u32 s6, s56, s6
	s_addc_u32 s7, s57, 0
.LBB110_619:                            ; =>This Inner Loop Header: Depth=1
	s_load_dwordx2 s[10:11], s[6:7], 0x4
	s_load_dword s9, s[6:7], 0xc
	s_load_dwordx2 s[12:13], s[4:5], 0x0
	s_add_u32 s6, s6, 12
	s_addc_u32 s7, s7, 0
	s_waitcnt lgkmcnt(0)
	v_mul_hi_u32 v1, s11, v0
	s_add_u32 s4, s4, 8
	s_addc_u32 s5, s5, 0
	s_add_i32 s8, s8, -1
	v_add_u32_e32 v1, v0, v1
	v_lshrrev_b32_e32 v1, s9, v1
	v_mul_lo_u32 v2, v1, s10
	s_cmp_lg_u32 s8, 0
	v_sub_u32_e32 v0, v0, v2
	v_mad_u64_u32 v[27:28], s[10:11], v0, s12, v[27:28]
	v_mad_u64_u32 v[24:25], s[10:11], v0, s13, v[24:25]
	v_mov_b32_e32 v0, v1
	s_cbranch_scc1 .LBB110_619
.LBB110_620:
	s_cbranch_execnz .LBB110_623
.LBB110_621:
	s_load_dwordx4 s[4:7], s[56:57], 0x4
	s_load_dwordx2 s[8:9], s[56:57], 0xc4
	s_cmp_lt_u32 s33, 2
	s_waitcnt lgkmcnt(0)
	v_mul_hi_u32 v0, s5, v3
	v_add_u32_e32 v0, v3, v0
	v_lshrrev_b32_e32 v0, s6, v0
	v_mul_lo_u32 v1, v0, s4
	v_sub_u32_e32 v1, v3, v1
	v_mul_lo_u32 v27, v1, s8
	v_mul_lo_u32 v24, v1, s9
	s_cbranch_scc1 .LBB110_623
; %bb.622:
	s_load_dwordx4 s[4:7], s[56:57], 0x10
	s_load_dwordx2 s[8:9], s[56:57], 0xcc
	s_waitcnt lgkmcnt(0)
	v_mul_hi_u32 v1, s5, v0
	v_add_u32_e32 v1, v0, v1
	v_lshrrev_b32_e32 v1, s6, v1
	v_mul_lo_u32 v1, v1, s4
	v_sub_u32_e32 v0, v0, v1
	v_mad_u64_u32 v[27:28], s[4:5], v0, s8, v[27:28]
	v_mad_u64_u32 v[24:25], s[4:5], v0, s9, v[24:25]
.LBB110_623:
	s_load_dword s4, s[34:35], 0x168
	s_load_dwordx2 s[52:53], s[56:57], 0x158
	s_load_dwordx4 s[36:39], s[56:57], 0x148
	s_getpc_b64 s[34:35]
	s_add_u32 s34, s34, _ZN2at6native6invokeIZZZNS0_21polygamma_kernel_cudaERNS_18TensorIteratorBaseElENKUlvE_clEvENKUlvE1_clEvEUlN3c104HalfEE_j15function_traitsIS8_EEENT1_11result_typeERKT_PrKPcPKT0_PKNS6_10ScalarTypeEi@rel32@lo+4
	s_addc_u32 s35, s35, _ZN2at6native6invokeIZZZNS0_21polygamma_kernel_cudaERNS_18TensorIteratorBaseElENKUlvE_clEvENKUlvE1_clEvEUlN3c104HalfEE_j15function_traitsIS8_EEENT1_11result_typeERKT_PrKPcPKT0_PKNS6_10ScalarTypeEi@rel32@hi+12
	s_waitcnt lgkmcnt(0)
	s_lshr_b32 s33, s4, 8
	v_mov_b32_e32 v0, s52
	v_mov_b32_e32 v1, s53
	v_mov_b32_e32 v2, s38
	v_mov_b32_e32 v3, s39
	v_mov_b32_e32 v5, s33
	s_swappc_b64 s[30:31], s[34:35]
	v_mov_b32_e32 v26, v0
	v_mov_b32_e32 v0, s52
	v_mov_b32_e32 v1, s53
	v_mov_b32_e32 v2, s38
	v_mov_b32_e32 v3, s39
	v_mov_b32_e32 v4, v22
	v_mov_b32_e32 v5, s33
	s_swappc_b64 s[30:31], s[34:35]
	v_mov_b32_e32 v25, v0
	v_mov_b32_e32 v0, s52
	;; [unrolled: 8-line block ×3, first 2 shown]
	v_mov_b32_e32 v1, s53
	v_mov_b32_e32 v2, s38
	;; [unrolled: 1-line block ×5, first 2 shown]
	s_swappc_b64 s[30:31], s[34:35]
	s_load_dword s4, s[56:57], 0x160
	v_mov_b32_e32 v2, s37
	v_add_co_u32_e32 v1, vcc, s36, v33
	v_addc_co_u32_e32 v2, vcc, 0, v2, vcc
	s_waitcnt lgkmcnt(0)
	s_and_b32 s16, s4, 0xff
	s_cmp_lt_i32 s16, 11
	s_cbranch_scc1 .LBB110_702
; %bb.624:
	s_and_b32 s14, 0xffff, s16
	s_mov_b64 s[6:7], -1
	s_mov_b64 s[8:9], 0
	s_cmp_gt_i32 s14, 25
	s_mov_b64 s[10:11], 0
	s_mov_b64 s[4:5], 0
	s_cbranch_scc0 .LBB110_657
; %bb.625:
	s_cmp_gt_i32 s14, 28
	s_cbranch_scc0 .LBB110_640
; %bb.626:
	s_cmp_gt_i32 s14, 43
	;; [unrolled: 3-line block ×3, first 2 shown]
	s_cbranch_scc0 .LBB110_630
; %bb.628:
	s_mov_b64 s[4:5], -1
	s_mov_b64 s[6:7], 0
	s_cmp_eq_u32 s14, 46
	s_cbranch_scc0 .LBB110_630
; %bb.629:
	v_cvt_f32_f16_e32 v3, v26
	s_movk_i32 s4, 0x7fff
	v_cmp_o_f16_e32 vcc, v26, v26
	v_mov_b32_e32 v4, 0x7fc0
	v_bfe_u32 v5, v3, 16, 1
	v_add3_u32 v3, v3, v5, s4
	v_cndmask_b32_sdwa v3, v4, v3, vcc dst_sel:DWORD dst_unused:UNUSED_PAD src0_sel:DWORD src1_sel:WORD_1
	global_store_dword v[1:2], v3, off
	s_mov_b64 s[4:5], 0
	s_mov_b64 s[10:11], -1
.LBB110_630:
	s_and_b64 vcc, exec, s[6:7]
	s_cbranch_vccz .LBB110_635
; %bb.631:
	s_cmp_eq_u32 s14, 44
	s_mov_b64 s[4:5], -1
	s_cbranch_scc0 .LBB110_635
; %bb.632:
	v_cvt_f32_f16_e32 v3, v26
	s_movk_i32 s4, 0xff
	v_mov_b32_e32 v5, 0xff
	v_bfe_u32 v4, v3, 23, 8
	v_cmp_ne_u32_e32 vcc, s4, v4
	s_and_saveexec_b64 s[6:7], vcc
; %bb.633:
	s_mov_b32 s4, 0x3fffff
	v_lshrrev_b32_e32 v5, 23, v3
	v_and_b32_e32 v6, 0x400000, v3
	v_and_or_b32 v3, v3, s4, v4
	v_cmp_ne_u32_e32 vcc, 0, v6
	v_cmp_ne_u32_e64 s[4:5], 0, v3
	s_and_b64 s[4:5], vcc, s[4:5]
	v_cndmask_b32_e64 v3, 0, 1, s[4:5]
	v_add_u32_e32 v5, v5, v3
; %bb.634:
	s_or_b64 exec, exec, s[6:7]
	s_mov_b64 s[4:5], 0
	s_mov_b64 s[10:11], -1
	global_store_byte v[1:2], v5, off
.LBB110_635:
	s_mov_b64 s[6:7], 0
.LBB110_636:
	s_and_b64 vcc, exec, s[6:7]
	s_cbranch_vccz .LBB110_639
; %bb.637:
	s_cmp_eq_u32 s14, 29
	s_mov_b64 s[4:5], -1
	s_cbranch_scc0 .LBB110_639
; %bb.638:
	v_cvt_f32_f16_e32 v3, v26
	v_mov_b32_e32 v4, 0
	s_mov_b64 s[4:5], 0
	s_mov_b64 s[10:11], -1
	v_cvt_u32_f32_e32 v3, v3
	global_store_dwordx2 v[1:2], v[3:4], off
.LBB110_639:
	s_mov_b64 s[6:7], 0
.LBB110_640:
	s_and_b64 vcc, exec, s[6:7]
	s_cbranch_vccz .LBB110_656
; %bb.641:
	s_cmp_lt_i32 s14, 27
	s_mov_b64 s[6:7], -1
	s_cbranch_scc1 .LBB110_647
; %bb.642:
	s_cmp_gt_i32 s14, 27
	s_cbranch_scc0 .LBB110_644
; %bb.643:
	v_cvt_f32_f16_e32 v3, v26
	s_mov_b64 s[6:7], 0
	v_cvt_u32_f32_e32 v3, v3
	global_store_dword v[1:2], v3, off
.LBB110_644:
	s_andn2_b64 vcc, exec, s[6:7]
	s_cbranch_vccnz .LBB110_646
; %bb.645:
	v_cvt_u16_f16_e32 v3, v26
	global_store_short v[1:2], v3, off
.LBB110_646:
	s_mov_b64 s[6:7], 0
.LBB110_647:
	s_andn2_b64 vcc, exec, s[6:7]
	s_cbranch_vccnz .LBB110_655
; %bb.648:
	v_cvt_f32_f16_e32 v3, v26
	s_mov_b32 s6, 0x43800000
	v_mov_b32_e32 v5, 0x80
	v_and_b32_e32 v4, 0x7fffffff, v3
	v_cmp_gt_u32_e32 vcc, s6, v4
	s_and_saveexec_b64 s[6:7], vcc
	s_cbranch_execz .LBB110_654
; %bb.649:
	s_mov_b32 s10, 0x3bffffff
	v_cmp_lt_u32_e32 vcc, s10, v4
	s_mov_b64 s[10:11], 0
                                        ; implicit-def: $vgpr4
	s_and_saveexec_b64 s[12:13], vcc
	s_xor_b64 s[12:13], exec, s[12:13]
	s_cbranch_execz .LBB110_1099
; %bb.650:
	v_bfe_u32 v4, v3, 20, 1
	s_mov_b32 s15, 0x487ffff
	v_add3_u32 v4, v3, v4, s15
	s_mov_b64 s[10:11], exec
	v_lshrrev_b32_e32 v4, 20, v4
	s_andn2_saveexec_b64 s[12:13], s[12:13]
	s_cbranch_execnz .LBB110_1100
.LBB110_651:
	s_or_b64 exec, exec, s[12:13]
	v_mov_b32_e32 v5, 0
	s_and_saveexec_b64 s[12:13], s[10:11]
.LBB110_652:
	v_lshrrev_b32_e32 v3, 24, v3
	s_movk_i32 s10, 0x80
	v_and_or_b32 v5, v3, s10, v4
.LBB110_653:
	s_or_b64 exec, exec, s[12:13]
.LBB110_654:
	s_or_b64 exec, exec, s[6:7]
	global_store_byte v[1:2], v5, off
.LBB110_655:
	s_mov_b64 s[10:11], -1
.LBB110_656:
	s_mov_b64 s[6:7], 0
.LBB110_657:
	s_and_b64 vcc, exec, s[6:7]
	s_cbranch_vccz .LBB110_697
; %bb.658:
	s_cmp_gt_i32 s14, 22
	s_mov_b64 s[6:7], -1
	s_cbranch_scc0 .LBB110_690
; %bb.659:
	s_cmp_lt_i32 s14, 24
	s_cbranch_scc1 .LBB110_679
; %bb.660:
	s_cmp_gt_i32 s14, 24
	s_cbranch_scc0 .LBB110_668
; %bb.661:
	v_cvt_f32_f16_e32 v3, v26
	s_mov_b32 s6, 0x47800000
	v_mov_b32_e32 v5, 0x80
	v_and_b32_e32 v4, 0x7fffffff, v3
	v_cmp_gt_u32_e32 vcc, s6, v4
	s_and_saveexec_b64 s[6:7], vcc
	s_cbranch_execz .LBB110_667
; %bb.662:
	s_mov_b32 s8, 0x37ffffff
	v_cmp_lt_u32_e32 vcc, s8, v4
	s_mov_b64 s[8:9], 0
                                        ; implicit-def: $vgpr4
	s_and_saveexec_b64 s[10:11], vcc
	s_xor_b64 s[10:11], exec, s[10:11]
	s_cbranch_execz .LBB110_1102
; %bb.663:
	v_bfe_u32 v4, v3, 21, 1
	s_mov_b32 s12, 0x88fffff
	v_add3_u32 v4, v3, v4, s12
	s_mov_b64 s[8:9], exec
	v_lshrrev_b32_e32 v4, 21, v4
	s_andn2_saveexec_b64 s[10:11], s[10:11]
	s_cbranch_execnz .LBB110_1103
.LBB110_664:
	s_or_b64 exec, exec, s[10:11]
	v_mov_b32_e32 v5, 0
	s_and_saveexec_b64 s[10:11], s[8:9]
.LBB110_665:
	v_lshrrev_b32_e32 v3, 24, v3
	s_movk_i32 s8, 0x80
	v_and_or_b32 v5, v3, s8, v4
.LBB110_666:
	s_or_b64 exec, exec, s[10:11]
.LBB110_667:
	s_or_b64 exec, exec, s[6:7]
	s_mov_b64 s[6:7], 0
	global_store_byte v[1:2], v5, off
.LBB110_668:
	s_and_b64 vcc, exec, s[6:7]
	s_cbranch_vccz .LBB110_678
; %bb.669:
	v_cvt_f32_f16_e32 v3, v26
	s_mov_b32 s6, 0x43f00000
                                        ; implicit-def: $vgpr4
	v_and_b32_e32 v5, 0x7fffffff, v3
	v_cmp_gt_u32_e32 vcc, s6, v5
	s_and_saveexec_b64 s[6:7], vcc
	s_xor_b64 s[6:7], exec, s[6:7]
	s_cbranch_execz .LBB110_675
; %bb.670:
	s_mov_b32 s8, 0x3c7fffff
	v_cmp_lt_u32_e32 vcc, s8, v5
                                        ; implicit-def: $vgpr4
	s_and_saveexec_b64 s[8:9], vcc
	s_xor_b64 s[8:9], exec, s[8:9]
; %bb.671:
	v_bfe_u32 v4, v3, 20, 1
	s_mov_b32 s10, 0x407ffff
	v_add3_u32 v4, v3, v4, s10
	v_lshrrev_b32_e32 v5, 20, v4
	v_and_b32_e32 v4, 0xff00000, v4
	s_mov_b32 s10, 0x7f00000
	v_mov_b32_e32 v6, 0x7e
	v_cmp_ne_u32_e32 vcc, s10, v4
	v_cndmask_b32_e32 v4, v6, v5, vcc
; %bb.672:
	s_andn2_saveexec_b64 s[8:9], s[8:9]
; %bb.673:
	s_mov_b32 s10, 0x46800000
	v_add_f32_e64 v4, |v3|, s10
; %bb.674:
	s_or_b64 exec, exec, s[8:9]
                                        ; implicit-def: $vgpr5
.LBB110_675:
	s_andn2_saveexec_b64 s[6:7], s[6:7]
; %bb.676:
	s_mov_b32 s8, 0x7f800000
	v_mov_b32_e32 v4, 0x7e
	v_mov_b32_e32 v6, 0x7f
	v_cmp_lt_u32_e32 vcc, s8, v5
	v_cndmask_b32_e32 v4, v4, v6, vcc
; %bb.677:
	s_or_b64 exec, exec, s[6:7]
	v_lshrrev_b32_e32 v3, 24, v3
	s_movk_i32 s6, 0x80
	v_and_or_b32 v3, v3, s6, v4
	global_store_byte v[1:2], v3, off
.LBB110_678:
	s_mov_b64 s[6:7], 0
.LBB110_679:
	s_andn2_b64 vcc, exec, s[6:7]
	s_cbranch_vccnz .LBB110_689
; %bb.680:
	v_cvt_f32_f16_e32 v3, v26
	s_mov_b32 s6, 0x47800000
                                        ; implicit-def: $vgpr4
	v_and_b32_e32 v5, 0x7fffffff, v3
	v_cmp_gt_u32_e32 vcc, s6, v5
	s_and_saveexec_b64 s[6:7], vcc
	s_xor_b64 s[6:7], exec, s[6:7]
	s_cbranch_execz .LBB110_686
; %bb.681:
	s_mov_b32 s8, 0x387fffff
	v_cmp_lt_u32_e32 vcc, s8, v5
                                        ; implicit-def: $vgpr4
	s_and_saveexec_b64 s[8:9], vcc
	s_xor_b64 s[8:9], exec, s[8:9]
; %bb.682:
	v_bfe_u32 v4, v3, 21, 1
	s_mov_b32 s10, 0x80fffff
	v_add3_u32 v4, v3, v4, s10
	v_lshrrev_b32_e32 v4, 21, v4
; %bb.683:
	s_andn2_saveexec_b64 s[8:9], s[8:9]
; %bb.684:
	s_mov_b32 s10, 0x43000000
	v_add_f32_e64 v4, |v3|, s10
; %bb.685:
	s_or_b64 exec, exec, s[8:9]
                                        ; implicit-def: $vgpr5
.LBB110_686:
	s_andn2_saveexec_b64 s[6:7], s[6:7]
; %bb.687:
	s_mov_b32 s8, 0x7f800000
	v_mov_b32_e32 v4, 0x7c
	v_mov_b32_e32 v6, 0x7f
	v_cmp_lt_u32_e32 vcc, s8, v5
	v_cndmask_b32_e32 v4, v4, v6, vcc
; %bb.688:
	s_or_b64 exec, exec, s[6:7]
	v_lshrrev_b32_e32 v3, 24, v3
	s_movk_i32 s6, 0x80
	v_and_or_b32 v3, v3, s6, v4
	global_store_byte v[1:2], v3, off
.LBB110_689:
	s_mov_b64 s[6:7], 0
	s_mov_b64 s[10:11], -1
.LBB110_690:
	s_andn2_b64 vcc, exec, s[6:7]
	s_mov_b64 s[8:9], 0
	s_cbranch_vccnz .LBB110_697
; %bb.691:
	s_cmp_gt_i32 s14, 14
	s_mov_b64 s[6:7], -1
	s_cbranch_scc0 .LBB110_695
; %bb.692:
	s_cmp_eq_u32 s14, 15
	s_mov_b64 s[4:5], -1
	s_cbranch_scc0 .LBB110_694
; %bb.693:
	v_cvt_f32_f16_e32 v3, v26
	s_movk_i32 s4, 0x7fff
	v_cmp_o_f16_e32 vcc, v26, v26
	v_mov_b32_e32 v4, 0x7fc0
	v_bfe_u32 v5, v3, 16, 1
	v_add3_u32 v3, v3, v5, s4
	v_cndmask_b32_sdwa v3, v4, v3, vcc dst_sel:DWORD dst_unused:UNUSED_PAD src0_sel:DWORD src1_sel:WORD_1
	global_store_short v[1:2], v3, off
	s_mov_b64 s[4:5], 0
	s_mov_b64 s[10:11], -1
.LBB110_694:
	s_mov_b64 s[6:7], 0
.LBB110_695:
	s_and_b64 vcc, exec, s[6:7]
	s_cbranch_vccz .LBB110_697
; %bb.696:
	s_cmp_lg_u32 s14, 11
	s_mov_b64 s[8:9], -1
	s_cselect_b64 s[4:5], -1, 0
.LBB110_697:
	s_and_b64 vcc, exec, s[4:5]
	s_mov_b64 s[6:7], s[48:49]
	s_cbranch_vccnz .LBB110_1101
; %bb.698:
	s_andn2_b64 vcc, exec, s[8:9]
	s_cbranch_vccnz .LBB110_700
.LBB110_699:
	v_and_b32_e32 v3, 0x7fff, v26
	v_cmp_ne_u16_e32 vcc, 0, v3
	v_cndmask_b32_e64 v3, 0, 1, vcc
	global_store_byte v[1:2], v3, off
	s_mov_b64 s[10:11], -1
.LBB110_700:
.LBB110_701:
	s_andn2_b64 vcc, exec, s[10:11]
	s_cbranch_vccz .LBB110_741
	s_branch .LBB110_1053
.LBB110_702:
	s_mov_b64 s[10:11], 0
	s_mov_b64 s[6:7], s[48:49]
	s_cbranch_execz .LBB110_701
; %bb.703:
	s_and_b32 s8, 0xffff, s16
	s_cmp_lt_i32 s8, 5
	s_mov_b64 s[4:5], -1
	s_cbranch_scc1 .LBB110_724
; %bb.704:
	s_cmp_lt_i32 s8, 8
	s_cbranch_scc1 .LBB110_714
; %bb.705:
	s_cmp_lt_i32 s8, 9
	s_cbranch_scc1 .LBB110_711
; %bb.706:
	s_cmp_gt_i32 s8, 9
	s_cbranch_scc0 .LBB110_708
; %bb.707:
	v_cvt_f32_f16_e32 v3, v26
	v_mov_b32_e32 v5, 0
	v_mov_b32_e32 v6, v5
	s_mov_b64 s[4:5], 0
	v_cvt_f64_f32_e32 v[3:4], v3
	global_store_dwordx4 v[1:2], v[3:6], off
.LBB110_708:
	s_andn2_b64 vcc, exec, s[4:5]
	s_cbranch_vccnz .LBB110_710
; %bb.709:
	v_cvt_f32_f16_e32 v3, v26
	v_mov_b32_e32 v4, 0
	global_store_dwordx2 v[1:2], v[3:4], off
.LBB110_710:
	s_mov_b64 s[4:5], 0
.LBB110_711:
	s_andn2_b64 vcc, exec, s[4:5]
	s_cbranch_vccnz .LBB110_713
; %bb.712:
	v_and_b32_e32 v3, 0xffff, v26
	global_store_dword v[1:2], v3, off
.LBB110_713:
	s_mov_b64 s[4:5], 0
.LBB110_714:
	s_andn2_b64 vcc, exec, s[4:5]
	s_cbranch_vccnz .LBB110_723
; %bb.715:
	s_cmp_lt_i32 s8, 6
	s_mov_b64 s[4:5], -1
	s_cbranch_scc1 .LBB110_721
; %bb.716:
	s_cmp_gt_i32 s8, 6
	s_cbranch_scc0 .LBB110_718
; %bb.717:
	v_cvt_f32_f16_e32 v3, v26
	s_mov_b64 s[4:5], 0
	v_cvt_f64_f32_e32 v[3:4], v3
	global_store_dwordx2 v[1:2], v[3:4], off
.LBB110_718:
	s_andn2_b64 vcc, exec, s[4:5]
	s_cbranch_vccnz .LBB110_720
; %bb.719:
	v_cvt_f32_f16_e32 v3, v26
	global_store_dword v[1:2], v3, off
.LBB110_720:
	s_mov_b64 s[4:5], 0
.LBB110_721:
	s_andn2_b64 vcc, exec, s[4:5]
	s_cbranch_vccnz .LBB110_723
; %bb.722:
	global_store_short v[1:2], v26, off
.LBB110_723:
	s_mov_b64 s[4:5], 0
.LBB110_724:
	s_andn2_b64 vcc, exec, s[4:5]
	s_cbranch_vccnz .LBB110_740
; %bb.725:
	s_cmp_lt_i32 s8, 2
	s_mov_b64 s[4:5], -1
	s_cbranch_scc1 .LBB110_735
; %bb.726:
	s_cmp_lt_i32 s8, 3
	s_cbranch_scc1 .LBB110_732
; %bb.727:
	s_cmp_gt_i32 s8, 3
	s_cbranch_scc0 .LBB110_729
; %bb.728:
	v_cvt_f32_f16_e32 v3, v26
	s_mov_b64 s[4:5], 0
	v_cvt_i32_f32_e32 v3, v3
	v_ashrrev_i32_e32 v4, 31, v3
	global_store_dwordx2 v[1:2], v[3:4], off
.LBB110_729:
	s_andn2_b64 vcc, exec, s[4:5]
	s_cbranch_vccnz .LBB110_731
; %bb.730:
	v_cvt_f32_f16_e32 v3, v26
	v_cvt_i32_f32_e32 v3, v3
	global_store_dword v[1:2], v3, off
.LBB110_731:
	s_mov_b64 s[4:5], 0
.LBB110_732:
	s_andn2_b64 vcc, exec, s[4:5]
	s_cbranch_vccnz .LBB110_734
; %bb.733:
	v_cvt_i16_f16_e32 v3, v26
	global_store_short v[1:2], v3, off
.LBB110_734:
	s_mov_b64 s[4:5], 0
.LBB110_735:
	s_andn2_b64 vcc, exec, s[4:5]
	s_cbranch_vccnz .LBB110_740
; %bb.736:
	s_cmp_gt_i32 s8, 0
	s_mov_b64 s[4:5], -1
	s_cbranch_scc0 .LBB110_738
; %bb.737:
	v_cvt_i16_f16_e32 v3, v26
	global_store_byte v[1:2], v3, off
	s_mov_b64 s[4:5], 0
.LBB110_738:
	s_andn2_b64 vcc, exec, s[4:5]
	s_cbranch_vccnz .LBB110_740
; %bb.739:
	v_cvt_f32_f16_e32 v3, v26
	v_cvt_i32_f32_e32 v3, v3
	global_store_byte v[1:2], v3, off
.LBB110_740:
.LBB110_741:
	v_mov_b32_e32 v2, s37
	s_and_b32 s17, 0xffff, s16
	v_add_co_u32_e32 v1, vcc, s36, v31
	s_cmp_lt_i32 s17, 11
	v_addc_co_u32_e32 v2, vcc, 0, v2, vcc
	s_cbranch_scc1 .LBB110_820
; %bb.742:
	s_mov_b64 s[12:13], -1
	s_mov_b64 s[8:9], 0
	s_cmp_gt_i32 s17, 25
	s_mov_b64 s[10:11], 0
	s_mov_b64 s[4:5], 0
	s_cbranch_scc0 .LBB110_775
; %bb.743:
	s_cmp_gt_i32 s17, 28
	s_cbranch_scc0 .LBB110_758
; %bb.744:
	s_cmp_gt_i32 s17, 43
	;; [unrolled: 3-line block ×3, first 2 shown]
	s_cbranch_scc0 .LBB110_748
; %bb.746:
	s_mov_b64 s[4:5], -1
	s_mov_b64 s[12:13], 0
	s_cmp_eq_u32 s17, 46
	s_cbranch_scc0 .LBB110_748
; %bb.747:
	v_cvt_f32_f16_e32 v3, v25
	s_movk_i32 s4, 0x7fff
	v_cmp_o_f16_e32 vcc, v25, v25
	v_mov_b32_e32 v4, 0x7fc0
	v_bfe_u32 v5, v3, 16, 1
	v_add3_u32 v3, v3, v5, s4
	v_cndmask_b32_sdwa v3, v4, v3, vcc dst_sel:DWORD dst_unused:UNUSED_PAD src0_sel:DWORD src1_sel:WORD_1
	global_store_dword v[1:2], v3, off
	s_mov_b64 s[4:5], 0
	s_mov_b64 s[10:11], -1
.LBB110_748:
	s_and_b64 vcc, exec, s[12:13]
	s_cbranch_vccz .LBB110_753
; %bb.749:
	s_cmp_eq_u32 s17, 44
	s_mov_b64 s[4:5], -1
	s_cbranch_scc0 .LBB110_753
; %bb.750:
	v_cvt_f32_f16_e32 v3, v25
	s_movk_i32 s4, 0xff
	v_mov_b32_e32 v5, 0xff
	v_bfe_u32 v4, v3, 23, 8
	v_cmp_ne_u32_e32 vcc, s4, v4
	s_and_saveexec_b64 s[10:11], vcc
; %bb.751:
	s_mov_b32 s4, 0x3fffff
	v_lshrrev_b32_e32 v5, 23, v3
	v_and_b32_e32 v6, 0x400000, v3
	v_and_or_b32 v3, v3, s4, v4
	v_cmp_ne_u32_e32 vcc, 0, v6
	v_cmp_ne_u32_e64 s[4:5], 0, v3
	s_and_b64 s[4:5], vcc, s[4:5]
	v_cndmask_b32_e64 v3, 0, 1, s[4:5]
	v_add_u32_e32 v5, v5, v3
; %bb.752:
	s_or_b64 exec, exec, s[10:11]
	s_mov_b64 s[4:5], 0
	s_mov_b64 s[10:11], -1
	global_store_byte v[1:2], v5, off
.LBB110_753:
	s_mov_b64 s[12:13], 0
.LBB110_754:
	s_and_b64 vcc, exec, s[12:13]
	s_cbranch_vccz .LBB110_757
; %bb.755:
	s_cmp_eq_u32 s17, 29
	s_mov_b64 s[4:5], -1
	s_cbranch_scc0 .LBB110_757
; %bb.756:
	v_cvt_f32_f16_e32 v3, v25
	v_mov_b32_e32 v4, 0
	s_mov_b64 s[4:5], 0
	s_mov_b64 s[10:11], -1
	v_cvt_u32_f32_e32 v3, v3
	global_store_dwordx2 v[1:2], v[3:4], off
.LBB110_757:
	s_mov_b64 s[12:13], 0
.LBB110_758:
	s_and_b64 vcc, exec, s[12:13]
	s_cbranch_vccz .LBB110_774
; %bb.759:
	s_cmp_lt_i32 s17, 27
	s_mov_b64 s[10:11], -1
	s_cbranch_scc1 .LBB110_765
; %bb.760:
	s_cmp_gt_i32 s17, 27
	s_cbranch_scc0 .LBB110_762
; %bb.761:
	v_cvt_f32_f16_e32 v3, v25
	s_mov_b64 s[10:11], 0
	v_cvt_u32_f32_e32 v3, v3
	global_store_dword v[1:2], v3, off
.LBB110_762:
	s_andn2_b64 vcc, exec, s[10:11]
	s_cbranch_vccnz .LBB110_764
; %bb.763:
	v_cvt_u16_f16_e32 v3, v25
	global_store_short v[1:2], v3, off
.LBB110_764:
	s_mov_b64 s[10:11], 0
.LBB110_765:
	s_andn2_b64 vcc, exec, s[10:11]
	s_cbranch_vccnz .LBB110_773
; %bb.766:
	v_cvt_f32_f16_e32 v3, v25
	s_mov_b32 s10, 0x43800000
	v_mov_b32_e32 v5, 0x80
	v_and_b32_e32 v4, 0x7fffffff, v3
	v_cmp_gt_u32_e32 vcc, s10, v4
	s_and_saveexec_b64 s[10:11], vcc
	s_cbranch_execz .LBB110_772
; %bb.767:
	s_mov_b32 s12, 0x3bffffff
	v_cmp_lt_u32_e32 vcc, s12, v4
	s_mov_b64 s[12:13], 0
                                        ; implicit-def: $vgpr4
	s_and_saveexec_b64 s[14:15], vcc
	s_xor_b64 s[14:15], exec, s[14:15]
	s_cbranch_execz .LBB110_1104
; %bb.768:
	v_bfe_u32 v4, v3, 20, 1
	s_mov_b32 s18, 0x487ffff
	v_add3_u32 v4, v3, v4, s18
	s_mov_b64 s[12:13], exec
	v_lshrrev_b32_e32 v4, 20, v4
	s_andn2_saveexec_b64 s[14:15], s[14:15]
	s_cbranch_execnz .LBB110_1105
.LBB110_769:
	s_or_b64 exec, exec, s[14:15]
	v_mov_b32_e32 v5, 0
	s_and_saveexec_b64 s[14:15], s[12:13]
.LBB110_770:
	v_lshrrev_b32_e32 v3, 24, v3
	s_movk_i32 s12, 0x80
	v_and_or_b32 v5, v3, s12, v4
.LBB110_771:
	s_or_b64 exec, exec, s[14:15]
.LBB110_772:
	s_or_b64 exec, exec, s[10:11]
	global_store_byte v[1:2], v5, off
.LBB110_773:
	s_mov_b64 s[10:11], -1
.LBB110_774:
	s_mov_b64 s[12:13], 0
.LBB110_775:
	s_and_b64 vcc, exec, s[12:13]
	s_cbranch_vccz .LBB110_815
; %bb.776:
	s_cmp_gt_i32 s17, 22
	s_mov_b64 s[8:9], -1
	s_cbranch_scc0 .LBB110_808
; %bb.777:
	s_cmp_lt_i32 s17, 24
	s_cbranch_scc1 .LBB110_797
; %bb.778:
	s_cmp_gt_i32 s17, 24
	s_cbranch_scc0 .LBB110_786
; %bb.779:
	v_cvt_f32_f16_e32 v3, v25
	s_mov_b32 s8, 0x47800000
	v_mov_b32_e32 v5, 0x80
	v_and_b32_e32 v4, 0x7fffffff, v3
	v_cmp_gt_u32_e32 vcc, s8, v4
	s_and_saveexec_b64 s[8:9], vcc
	s_cbranch_execz .LBB110_785
; %bb.780:
	s_mov_b32 s10, 0x37ffffff
	v_cmp_lt_u32_e32 vcc, s10, v4
	s_mov_b64 s[10:11], 0
                                        ; implicit-def: $vgpr4
	s_and_saveexec_b64 s[12:13], vcc
	s_xor_b64 s[12:13], exec, s[12:13]
	s_cbranch_execz .LBB110_1107
; %bb.781:
	v_bfe_u32 v4, v3, 21, 1
	s_mov_b32 s14, 0x88fffff
	v_add3_u32 v4, v3, v4, s14
	s_mov_b64 s[10:11], exec
	v_lshrrev_b32_e32 v4, 21, v4
	s_andn2_saveexec_b64 s[12:13], s[12:13]
	s_cbranch_execnz .LBB110_1108
.LBB110_782:
	s_or_b64 exec, exec, s[12:13]
	v_mov_b32_e32 v5, 0
	s_and_saveexec_b64 s[12:13], s[10:11]
.LBB110_783:
	v_lshrrev_b32_e32 v3, 24, v3
	s_movk_i32 s10, 0x80
	v_and_or_b32 v5, v3, s10, v4
.LBB110_784:
	s_or_b64 exec, exec, s[12:13]
.LBB110_785:
	s_or_b64 exec, exec, s[8:9]
	s_mov_b64 s[8:9], 0
	global_store_byte v[1:2], v5, off
.LBB110_786:
	s_and_b64 vcc, exec, s[8:9]
	s_cbranch_vccz .LBB110_796
; %bb.787:
	v_cvt_f32_f16_e32 v3, v25
	s_mov_b32 s8, 0x43f00000
                                        ; implicit-def: $vgpr4
	v_and_b32_e32 v5, 0x7fffffff, v3
	v_cmp_gt_u32_e32 vcc, s8, v5
	s_and_saveexec_b64 s[8:9], vcc
	s_xor_b64 s[8:9], exec, s[8:9]
	s_cbranch_execz .LBB110_793
; %bb.788:
	s_mov_b32 s10, 0x3c7fffff
	v_cmp_lt_u32_e32 vcc, s10, v5
                                        ; implicit-def: $vgpr4
	s_and_saveexec_b64 s[10:11], vcc
	s_xor_b64 s[10:11], exec, s[10:11]
; %bb.789:
	v_bfe_u32 v4, v3, 20, 1
	s_mov_b32 s12, 0x407ffff
	v_add3_u32 v4, v3, v4, s12
	v_lshrrev_b32_e32 v5, 20, v4
	v_and_b32_e32 v4, 0xff00000, v4
	s_mov_b32 s12, 0x7f00000
	v_mov_b32_e32 v6, 0x7e
	v_cmp_ne_u32_e32 vcc, s12, v4
	v_cndmask_b32_e32 v4, v6, v5, vcc
; %bb.790:
	s_andn2_saveexec_b64 s[10:11], s[10:11]
; %bb.791:
	s_mov_b32 s12, 0x46800000
	v_add_f32_e64 v4, |v3|, s12
; %bb.792:
	s_or_b64 exec, exec, s[10:11]
                                        ; implicit-def: $vgpr5
.LBB110_793:
	s_andn2_saveexec_b64 s[8:9], s[8:9]
; %bb.794:
	s_mov_b32 s10, 0x7f800000
	v_mov_b32_e32 v4, 0x7e
	v_mov_b32_e32 v6, 0x7f
	v_cmp_lt_u32_e32 vcc, s10, v5
	v_cndmask_b32_e32 v4, v4, v6, vcc
; %bb.795:
	s_or_b64 exec, exec, s[8:9]
	v_lshrrev_b32_e32 v3, 24, v3
	s_movk_i32 s8, 0x80
	v_and_or_b32 v3, v3, s8, v4
	global_store_byte v[1:2], v3, off
.LBB110_796:
	s_mov_b64 s[8:9], 0
.LBB110_797:
	s_andn2_b64 vcc, exec, s[8:9]
	s_cbranch_vccnz .LBB110_807
; %bb.798:
	v_cvt_f32_f16_e32 v3, v25
	s_mov_b32 s8, 0x47800000
                                        ; implicit-def: $vgpr4
	v_and_b32_e32 v5, 0x7fffffff, v3
	v_cmp_gt_u32_e32 vcc, s8, v5
	s_and_saveexec_b64 s[8:9], vcc
	s_xor_b64 s[8:9], exec, s[8:9]
	s_cbranch_execz .LBB110_804
; %bb.799:
	s_mov_b32 s10, 0x387fffff
	v_cmp_lt_u32_e32 vcc, s10, v5
                                        ; implicit-def: $vgpr4
	s_and_saveexec_b64 s[10:11], vcc
	s_xor_b64 s[10:11], exec, s[10:11]
; %bb.800:
	v_bfe_u32 v4, v3, 21, 1
	s_mov_b32 s12, 0x80fffff
	v_add3_u32 v4, v3, v4, s12
	v_lshrrev_b32_e32 v4, 21, v4
; %bb.801:
	s_andn2_saveexec_b64 s[10:11], s[10:11]
; %bb.802:
	s_mov_b32 s12, 0x43000000
	v_add_f32_e64 v4, |v3|, s12
; %bb.803:
	s_or_b64 exec, exec, s[10:11]
                                        ; implicit-def: $vgpr5
.LBB110_804:
	s_andn2_saveexec_b64 s[8:9], s[8:9]
; %bb.805:
	s_mov_b32 s10, 0x7f800000
	v_mov_b32_e32 v4, 0x7c
	v_mov_b32_e32 v6, 0x7f
	v_cmp_lt_u32_e32 vcc, s10, v5
	v_cndmask_b32_e32 v4, v4, v6, vcc
; %bb.806:
	s_or_b64 exec, exec, s[8:9]
	v_lshrrev_b32_e32 v3, 24, v3
	s_movk_i32 s8, 0x80
	v_and_or_b32 v3, v3, s8, v4
	global_store_byte v[1:2], v3, off
.LBB110_807:
	s_mov_b64 s[8:9], 0
	s_mov_b64 s[10:11], -1
.LBB110_808:
	s_andn2_b64 vcc, exec, s[8:9]
	s_mov_b64 s[8:9], 0
	s_cbranch_vccnz .LBB110_815
; %bb.809:
	s_cmp_gt_i32 s17, 14
	s_mov_b64 s[12:13], -1
	s_cbranch_scc0 .LBB110_813
; %bb.810:
	s_cmp_eq_u32 s17, 15
	s_mov_b64 s[4:5], -1
	s_cbranch_scc0 .LBB110_812
; %bb.811:
	v_cvt_f32_f16_e32 v3, v25
	s_movk_i32 s4, 0x7fff
	v_cmp_o_f16_e32 vcc, v25, v25
	v_mov_b32_e32 v4, 0x7fc0
	v_bfe_u32 v5, v3, 16, 1
	v_add3_u32 v3, v3, v5, s4
	v_cndmask_b32_sdwa v3, v4, v3, vcc dst_sel:DWORD dst_unused:UNUSED_PAD src0_sel:DWORD src1_sel:WORD_1
	global_store_short v[1:2], v3, off
	s_mov_b64 s[4:5], 0
	s_mov_b64 s[10:11], -1
.LBB110_812:
	s_mov_b64 s[12:13], 0
.LBB110_813:
	s_and_b64 vcc, exec, s[12:13]
	s_cbranch_vccz .LBB110_815
; %bb.814:
	s_cmp_lg_u32 s17, 11
	s_mov_b64 s[8:9], -1
	s_cselect_b64 s[4:5], -1, 0
.LBB110_815:
	s_and_b64 vcc, exec, s[4:5]
	s_cbranch_vccnz .LBB110_1106
; %bb.816:
	s_andn2_b64 vcc, exec, s[8:9]
	s_cbranch_vccnz .LBB110_818
.LBB110_817:
	v_and_b32_e32 v3, 0x7fff, v25
	v_cmp_ne_u16_e32 vcc, 0, v3
	v_cndmask_b32_e64 v3, 0, 1, vcc
	s_mov_b64 s[10:11], -1
	global_store_byte v[1:2], v3, off
.LBB110_818:
.LBB110_819:
	s_andn2_b64 vcc, exec, s[10:11]
	s_cbranch_vccz .LBB110_859
	s_branch .LBB110_1053
.LBB110_820:
	s_mov_b64 s[10:11], 0
	s_cbranch_execz .LBB110_819
; %bb.821:
	s_cmp_lt_i32 s17, 5
	s_mov_b64 s[4:5], -1
	s_cbranch_scc1 .LBB110_842
; %bb.822:
	s_cmp_lt_i32 s17, 8
	s_cbranch_scc1 .LBB110_832
; %bb.823:
	s_cmp_lt_i32 s17, 9
	s_cbranch_scc1 .LBB110_829
; %bb.824:
	s_cmp_gt_i32 s17, 9
	s_cbranch_scc0 .LBB110_826
; %bb.825:
	v_cvt_f32_f16_e32 v3, v25
	v_mov_b32_e32 v5, 0
	v_mov_b32_e32 v6, v5
	s_mov_b64 s[4:5], 0
	v_cvt_f64_f32_e32 v[3:4], v3
	global_store_dwordx4 v[1:2], v[3:6], off
.LBB110_826:
	s_andn2_b64 vcc, exec, s[4:5]
	s_cbranch_vccnz .LBB110_828
; %bb.827:
	v_cvt_f32_f16_e32 v3, v25
	v_mov_b32_e32 v4, 0
	global_store_dwordx2 v[1:2], v[3:4], off
.LBB110_828:
	s_mov_b64 s[4:5], 0
.LBB110_829:
	s_andn2_b64 vcc, exec, s[4:5]
	s_cbranch_vccnz .LBB110_831
; %bb.830:
	v_and_b32_e32 v3, 0xffff, v25
	global_store_dword v[1:2], v3, off
.LBB110_831:
	s_mov_b64 s[4:5], 0
.LBB110_832:
	s_andn2_b64 vcc, exec, s[4:5]
	s_cbranch_vccnz .LBB110_841
; %bb.833:
	s_cmp_lt_i32 s17, 6
	s_mov_b64 s[4:5], -1
	s_cbranch_scc1 .LBB110_839
; %bb.834:
	s_cmp_gt_i32 s17, 6
	s_cbranch_scc0 .LBB110_836
; %bb.835:
	v_cvt_f32_f16_e32 v3, v25
	s_mov_b64 s[4:5], 0
	v_cvt_f64_f32_e32 v[3:4], v3
	global_store_dwordx2 v[1:2], v[3:4], off
.LBB110_836:
	s_andn2_b64 vcc, exec, s[4:5]
	s_cbranch_vccnz .LBB110_838
; %bb.837:
	v_cvt_f32_f16_e32 v3, v25
	global_store_dword v[1:2], v3, off
.LBB110_838:
	s_mov_b64 s[4:5], 0
.LBB110_839:
	s_andn2_b64 vcc, exec, s[4:5]
	s_cbranch_vccnz .LBB110_841
; %bb.840:
	global_store_short v[1:2], v25, off
.LBB110_841:
	s_mov_b64 s[4:5], 0
.LBB110_842:
	s_andn2_b64 vcc, exec, s[4:5]
	s_cbranch_vccnz .LBB110_858
; %bb.843:
	s_cmp_lt_i32 s17, 2
	s_mov_b64 s[4:5], -1
	s_cbranch_scc1 .LBB110_853
; %bb.844:
	s_cmp_lt_i32 s17, 3
	s_cbranch_scc1 .LBB110_850
; %bb.845:
	s_cmp_gt_i32 s17, 3
	s_cbranch_scc0 .LBB110_847
; %bb.846:
	v_cvt_f32_f16_e32 v3, v25
	s_mov_b64 s[4:5], 0
	v_cvt_i32_f32_e32 v3, v3
	v_ashrrev_i32_e32 v4, 31, v3
	global_store_dwordx2 v[1:2], v[3:4], off
.LBB110_847:
	s_andn2_b64 vcc, exec, s[4:5]
	s_cbranch_vccnz .LBB110_849
; %bb.848:
	v_cvt_f32_f16_e32 v3, v25
	v_cvt_i32_f32_e32 v3, v3
	global_store_dword v[1:2], v3, off
.LBB110_849:
	s_mov_b64 s[4:5], 0
.LBB110_850:
	s_andn2_b64 vcc, exec, s[4:5]
	s_cbranch_vccnz .LBB110_852
; %bb.851:
	v_cvt_i16_f16_e32 v3, v25
	global_store_short v[1:2], v3, off
.LBB110_852:
	s_mov_b64 s[4:5], 0
.LBB110_853:
	s_andn2_b64 vcc, exec, s[4:5]
	s_cbranch_vccnz .LBB110_858
; %bb.854:
	s_cmp_gt_i32 s17, 0
	s_mov_b64 s[4:5], -1
	s_cbranch_scc0 .LBB110_856
; %bb.855:
	v_cvt_i16_f16_e32 v3, v25
	global_store_byte v[1:2], v3, off
	s_mov_b64 s[4:5], 0
.LBB110_856:
	s_andn2_b64 vcc, exec, s[4:5]
	s_cbranch_vccnz .LBB110_858
; %bb.857:
	v_cvt_f32_f16_e32 v3, v25
	v_cvt_i32_f32_e32 v3, v3
	global_store_byte v[1:2], v3, off
.LBB110_858:
.LBB110_859:
	v_mov_b32_e32 v2, s37
	v_add_co_u32_e32 v1, vcc, s36, v29
	s_cmp_lt_i32 s17, 11
	v_addc_co_u32_e32 v2, vcc, 0, v2, vcc
	s_cbranch_scc1 .LBB110_1014
; %bb.860:
	s_mov_b64 s[12:13], -1
	s_mov_b64 s[8:9], 0
	s_cmp_gt_i32 s17, 25
	s_mov_b64 s[10:11], 0
	s_mov_b64 s[4:5], 0
	s_cbranch_scc0 .LBB110_893
; %bb.861:
	s_cmp_gt_i32 s17, 28
	s_cbranch_scc0 .LBB110_876
; %bb.862:
	s_cmp_gt_i32 s17, 43
	;; [unrolled: 3-line block ×3, first 2 shown]
	s_cbranch_scc0 .LBB110_866
; %bb.864:
	s_mov_b64 s[4:5], -1
	s_mov_b64 s[12:13], 0
	s_cmp_eq_u32 s17, 46
	s_cbranch_scc0 .LBB110_866
; %bb.865:
	v_cvt_f32_f16_e32 v3, v22
	s_movk_i32 s4, 0x7fff
	v_cmp_o_f16_e32 vcc, v22, v22
	v_mov_b32_e32 v4, 0x7fc0
	v_bfe_u32 v5, v3, 16, 1
	v_add3_u32 v3, v3, v5, s4
	v_cndmask_b32_sdwa v3, v4, v3, vcc dst_sel:DWORD dst_unused:UNUSED_PAD src0_sel:DWORD src1_sel:WORD_1
	global_store_dword v[1:2], v3, off
	s_mov_b64 s[4:5], 0
	s_mov_b64 s[10:11], -1
.LBB110_866:
	s_and_b64 vcc, exec, s[12:13]
	s_cbranch_vccz .LBB110_871
; %bb.867:
	s_cmp_eq_u32 s17, 44
	s_mov_b64 s[4:5], -1
	s_cbranch_scc0 .LBB110_871
; %bb.868:
	v_cvt_f32_f16_e32 v3, v22
	s_movk_i32 s4, 0xff
	v_mov_b32_e32 v5, 0xff
	v_bfe_u32 v4, v3, 23, 8
	v_cmp_ne_u32_e32 vcc, s4, v4
	s_and_saveexec_b64 s[10:11], vcc
; %bb.869:
	s_mov_b32 s4, 0x3fffff
	v_lshrrev_b32_e32 v5, 23, v3
	v_and_b32_e32 v6, 0x400000, v3
	v_and_or_b32 v3, v3, s4, v4
	v_cmp_ne_u32_e32 vcc, 0, v6
	v_cmp_ne_u32_e64 s[4:5], 0, v3
	s_and_b64 s[4:5], vcc, s[4:5]
	v_cndmask_b32_e64 v3, 0, 1, s[4:5]
	v_add_u32_e32 v5, v5, v3
; %bb.870:
	s_or_b64 exec, exec, s[10:11]
	s_mov_b64 s[4:5], 0
	s_mov_b64 s[10:11], -1
	global_store_byte v[1:2], v5, off
.LBB110_871:
	s_mov_b64 s[12:13], 0
.LBB110_872:
	s_and_b64 vcc, exec, s[12:13]
	s_cbranch_vccz .LBB110_875
; %bb.873:
	s_cmp_eq_u32 s17, 29
	s_mov_b64 s[4:5], -1
	s_cbranch_scc0 .LBB110_875
; %bb.874:
	v_cvt_f32_f16_e32 v3, v22
	v_mov_b32_e32 v4, 0
	s_mov_b64 s[4:5], 0
	s_mov_b64 s[10:11], -1
	v_cvt_u32_f32_e32 v3, v3
	global_store_dwordx2 v[1:2], v[3:4], off
.LBB110_875:
	s_mov_b64 s[12:13], 0
.LBB110_876:
	s_and_b64 vcc, exec, s[12:13]
	s_cbranch_vccz .LBB110_892
; %bb.877:
	s_cmp_lt_i32 s17, 27
	s_mov_b64 s[10:11], -1
	s_cbranch_scc1 .LBB110_883
; %bb.878:
	s_cmp_gt_i32 s17, 27
	s_cbranch_scc0 .LBB110_880
; %bb.879:
	v_cvt_f32_f16_e32 v3, v22
	s_mov_b64 s[10:11], 0
	v_cvt_u32_f32_e32 v3, v3
	global_store_dword v[1:2], v3, off
.LBB110_880:
	s_andn2_b64 vcc, exec, s[10:11]
	s_cbranch_vccnz .LBB110_882
; %bb.881:
	v_cvt_u16_f16_e32 v3, v22
	global_store_short v[1:2], v3, off
.LBB110_882:
	s_mov_b64 s[10:11], 0
.LBB110_883:
	s_andn2_b64 vcc, exec, s[10:11]
	s_cbranch_vccnz .LBB110_891
; %bb.884:
	v_cvt_f32_f16_e32 v3, v22
	s_mov_b32 s10, 0x43800000
	v_mov_b32_e32 v5, 0x80
	v_and_b32_e32 v4, 0x7fffffff, v3
	v_cmp_gt_u32_e32 vcc, s10, v4
	s_and_saveexec_b64 s[10:11], vcc
	s_cbranch_execz .LBB110_890
; %bb.885:
	s_mov_b32 s12, 0x3bffffff
	v_cmp_lt_u32_e32 vcc, s12, v4
	s_mov_b64 s[12:13], 0
                                        ; implicit-def: $vgpr4
	s_and_saveexec_b64 s[14:15], vcc
	s_xor_b64 s[14:15], exec, s[14:15]
	s_cbranch_execz .LBB110_1109
; %bb.886:
	v_bfe_u32 v4, v3, 20, 1
	s_mov_b32 s18, 0x487ffff
	v_add3_u32 v4, v3, v4, s18
	s_mov_b64 s[12:13], exec
	v_lshrrev_b32_e32 v4, 20, v4
	s_andn2_saveexec_b64 s[14:15], s[14:15]
	s_cbranch_execnz .LBB110_1110
.LBB110_887:
	s_or_b64 exec, exec, s[14:15]
	v_mov_b32_e32 v5, 0
	s_and_saveexec_b64 s[14:15], s[12:13]
.LBB110_888:
	v_lshrrev_b32_e32 v3, 24, v3
	s_movk_i32 s12, 0x80
	v_and_or_b32 v5, v3, s12, v4
.LBB110_889:
	s_or_b64 exec, exec, s[14:15]
.LBB110_890:
	s_or_b64 exec, exec, s[10:11]
	global_store_byte v[1:2], v5, off
.LBB110_891:
	s_mov_b64 s[10:11], -1
.LBB110_892:
	s_mov_b64 s[12:13], 0
.LBB110_893:
	s_and_b64 vcc, exec, s[12:13]
	s_cbranch_vccz .LBB110_933
; %bb.894:
	s_cmp_gt_i32 s17, 22
	s_mov_b64 s[8:9], -1
	s_cbranch_scc0 .LBB110_926
; %bb.895:
	s_cmp_lt_i32 s17, 24
	s_cbranch_scc1 .LBB110_915
; %bb.896:
	s_cmp_gt_i32 s17, 24
	s_cbranch_scc0 .LBB110_904
; %bb.897:
	v_cvt_f32_f16_e32 v3, v22
	s_mov_b32 s8, 0x47800000
	v_mov_b32_e32 v5, 0x80
	v_and_b32_e32 v4, 0x7fffffff, v3
	v_cmp_gt_u32_e32 vcc, s8, v4
	s_and_saveexec_b64 s[8:9], vcc
	s_cbranch_execz .LBB110_903
; %bb.898:
	s_mov_b32 s10, 0x37ffffff
	v_cmp_lt_u32_e32 vcc, s10, v4
	s_mov_b64 s[10:11], 0
                                        ; implicit-def: $vgpr4
	s_and_saveexec_b64 s[12:13], vcc
	s_xor_b64 s[12:13], exec, s[12:13]
	s_cbranch_execz .LBB110_1114
; %bb.899:
	v_bfe_u32 v4, v3, 21, 1
	s_mov_b32 s14, 0x88fffff
	v_add3_u32 v4, v3, v4, s14
	s_mov_b64 s[10:11], exec
	v_lshrrev_b32_e32 v4, 21, v4
	s_andn2_saveexec_b64 s[12:13], s[12:13]
	s_cbranch_execnz .LBB110_1115
.LBB110_900:
	s_or_b64 exec, exec, s[12:13]
	v_mov_b32_e32 v5, 0
	s_and_saveexec_b64 s[12:13], s[10:11]
.LBB110_901:
	v_lshrrev_b32_e32 v3, 24, v3
	s_movk_i32 s10, 0x80
	v_and_or_b32 v5, v3, s10, v4
.LBB110_902:
	s_or_b64 exec, exec, s[12:13]
.LBB110_903:
	s_or_b64 exec, exec, s[8:9]
	s_mov_b64 s[8:9], 0
	global_store_byte v[1:2], v5, off
.LBB110_904:
	s_and_b64 vcc, exec, s[8:9]
	s_cbranch_vccz .LBB110_914
; %bb.905:
	v_cvt_f32_f16_e32 v3, v22
	s_mov_b32 s8, 0x43f00000
                                        ; implicit-def: $vgpr4
	v_and_b32_e32 v5, 0x7fffffff, v3
	v_cmp_gt_u32_e32 vcc, s8, v5
	s_and_saveexec_b64 s[8:9], vcc
	s_xor_b64 s[8:9], exec, s[8:9]
	s_cbranch_execz .LBB110_911
; %bb.906:
	s_mov_b32 s10, 0x3c7fffff
	v_cmp_lt_u32_e32 vcc, s10, v5
                                        ; implicit-def: $vgpr4
	s_and_saveexec_b64 s[10:11], vcc
	s_xor_b64 s[10:11], exec, s[10:11]
; %bb.907:
	v_bfe_u32 v4, v3, 20, 1
	s_mov_b32 s12, 0x407ffff
	v_add3_u32 v4, v3, v4, s12
	v_lshrrev_b32_e32 v5, 20, v4
	v_and_b32_e32 v4, 0xff00000, v4
	s_mov_b32 s12, 0x7f00000
	v_mov_b32_e32 v6, 0x7e
	v_cmp_ne_u32_e32 vcc, s12, v4
	v_cndmask_b32_e32 v4, v6, v5, vcc
; %bb.908:
	s_andn2_saveexec_b64 s[10:11], s[10:11]
; %bb.909:
	s_mov_b32 s12, 0x46800000
	v_add_f32_e64 v4, |v3|, s12
; %bb.910:
	s_or_b64 exec, exec, s[10:11]
                                        ; implicit-def: $vgpr5
.LBB110_911:
	s_andn2_saveexec_b64 s[8:9], s[8:9]
; %bb.912:
	s_mov_b32 s10, 0x7f800000
	v_mov_b32_e32 v4, 0x7e
	v_mov_b32_e32 v6, 0x7f
	v_cmp_lt_u32_e32 vcc, s10, v5
	v_cndmask_b32_e32 v4, v4, v6, vcc
; %bb.913:
	s_or_b64 exec, exec, s[8:9]
	v_lshrrev_b32_e32 v3, 24, v3
	s_movk_i32 s8, 0x80
	v_and_or_b32 v3, v3, s8, v4
	global_store_byte v[1:2], v3, off
.LBB110_914:
	s_mov_b64 s[8:9], 0
.LBB110_915:
	s_andn2_b64 vcc, exec, s[8:9]
	s_cbranch_vccnz .LBB110_925
; %bb.916:
	v_cvt_f32_f16_e32 v3, v22
	s_mov_b32 s8, 0x47800000
                                        ; implicit-def: $vgpr4
	v_and_b32_e32 v5, 0x7fffffff, v3
	v_cmp_gt_u32_e32 vcc, s8, v5
	s_and_saveexec_b64 s[8:9], vcc
	s_xor_b64 s[8:9], exec, s[8:9]
	s_cbranch_execz .LBB110_922
; %bb.917:
	s_mov_b32 s10, 0x387fffff
	v_cmp_lt_u32_e32 vcc, s10, v5
                                        ; implicit-def: $vgpr4
	s_and_saveexec_b64 s[10:11], vcc
	s_xor_b64 s[10:11], exec, s[10:11]
; %bb.918:
	v_bfe_u32 v4, v3, 21, 1
	s_mov_b32 s12, 0x80fffff
	v_add3_u32 v4, v3, v4, s12
	v_lshrrev_b32_e32 v4, 21, v4
; %bb.919:
	s_andn2_saveexec_b64 s[10:11], s[10:11]
; %bb.920:
	s_mov_b32 s12, 0x43000000
	v_add_f32_e64 v4, |v3|, s12
; %bb.921:
	s_or_b64 exec, exec, s[10:11]
                                        ; implicit-def: $vgpr5
.LBB110_922:
	s_andn2_saveexec_b64 s[8:9], s[8:9]
; %bb.923:
	s_mov_b32 s10, 0x7f800000
	v_mov_b32_e32 v4, 0x7c
	v_mov_b32_e32 v6, 0x7f
	v_cmp_lt_u32_e32 vcc, s10, v5
	v_cndmask_b32_e32 v4, v4, v6, vcc
; %bb.924:
	s_or_b64 exec, exec, s[8:9]
	v_lshrrev_b32_e32 v3, 24, v3
	s_movk_i32 s8, 0x80
	v_and_or_b32 v3, v3, s8, v4
	global_store_byte v[1:2], v3, off
.LBB110_925:
	s_mov_b64 s[8:9], 0
	s_mov_b64 s[10:11], -1
.LBB110_926:
	s_andn2_b64 vcc, exec, s[8:9]
	s_mov_b64 s[8:9], 0
	s_cbranch_vccnz .LBB110_933
; %bb.927:
	s_cmp_gt_i32 s17, 14
	s_mov_b64 s[12:13], -1
	s_cbranch_scc0 .LBB110_931
; %bb.928:
	s_cmp_eq_u32 s17, 15
	s_mov_b64 s[4:5], -1
	s_cbranch_scc0 .LBB110_930
; %bb.929:
	v_cvt_f32_f16_e32 v3, v22
	s_movk_i32 s4, 0x7fff
	v_cmp_o_f16_e32 vcc, v22, v22
	v_mov_b32_e32 v4, 0x7fc0
	v_bfe_u32 v5, v3, 16, 1
	v_add3_u32 v3, v3, v5, s4
	v_cndmask_b32_sdwa v3, v4, v3, vcc dst_sel:DWORD dst_unused:UNUSED_PAD src0_sel:DWORD src1_sel:WORD_1
	global_store_short v[1:2], v3, off
	s_mov_b64 s[4:5], 0
	s_mov_b64 s[10:11], -1
.LBB110_930:
	s_mov_b64 s[12:13], 0
.LBB110_931:
	s_and_b64 vcc, exec, s[12:13]
	s_cbranch_vccz .LBB110_933
; %bb.932:
	s_cmp_lg_u32 s17, 11
	s_mov_b64 s[8:9], -1
	s_cselect_b64 s[4:5], -1, 0
.LBB110_933:
	s_and_b64 vcc, exec, s[4:5]
	s_cbranch_vccnz .LBB110_1111
; %bb.934:
	s_andn2_b64 vcc, exec, s[8:9]
	s_cbranch_vccnz .LBB110_936
.LBB110_935:
	v_and_b32_e32 v3, 0x7fff, v22
	v_cmp_ne_u16_e32 vcc, 0, v3
	v_cndmask_b32_e64 v3, 0, 1, vcc
	s_mov_b64 s[10:11], -1
	global_store_byte v[1:2], v3, off
.LBB110_936:
.LBB110_937:
	s_andn2_b64 vcc, exec, s[10:11]
	s_cbranch_vccnz .LBB110_1053
.LBB110_938:
	v_mov_b32_e32 v2, s37
	v_add_co_u32_e32 v1, vcc, s36, v27
	s_cmp_lt_i32 s17, 11
	v_addc_co_u32_e32 v2, vcc, 0, v2, vcc
	s_cbranch_scc1 .LBB110_1098
; %bb.939:
	s_mov_b64 s[10:11], -1
	s_mov_b64 s[8:9], 0
	s_cmp_gt_i32 s17, 25
	s_mov_b64 s[4:5], 0
	s_cbranch_scc0 .LBB110_972
; %bb.940:
	s_cmp_gt_i32 s17, 28
	s_cbranch_scc0 .LBB110_956
; %bb.941:
	s_cmp_gt_i32 s17, 43
	;; [unrolled: 3-line block ×3, first 2 shown]
	s_cbranch_scc0 .LBB110_946
; %bb.943:
	s_cmp_eq_u32 s17, 46
	s_mov_b64 s[4:5], -1
	s_cbranch_scc0 .LBB110_945
; %bb.944:
	v_cvt_f32_f16_e32 v3, v0
	s_movk_i32 s4, 0x7fff
	v_cmp_o_f16_e32 vcc, v0, v0
	v_mov_b32_e32 v4, 0x7fc0
	v_bfe_u32 v5, v3, 16, 1
	v_add3_u32 v3, v3, v5, s4
	v_cndmask_b32_sdwa v3, v4, v3, vcc dst_sel:DWORD dst_unused:UNUSED_PAD src0_sel:DWORD src1_sel:WORD_1
	global_store_dword v[1:2], v3, off
	s_mov_b64 s[4:5], 0
.LBB110_945:
	s_mov_b64 s[10:11], 0
.LBB110_946:
	s_and_b64 vcc, exec, s[10:11]
	s_cbranch_vccz .LBB110_951
; %bb.947:
	s_cmp_eq_u32 s17, 44
	s_mov_b64 s[4:5], -1
	s_cbranch_scc0 .LBB110_951
; %bb.948:
	v_cvt_f32_f16_e32 v3, v0
	s_movk_i32 s4, 0xff
	v_mov_b32_e32 v5, 0xff
	v_bfe_u32 v4, v3, 23, 8
	v_cmp_ne_u32_e32 vcc, s4, v4
	s_and_saveexec_b64 s[10:11], vcc
; %bb.949:
	s_mov_b32 s4, 0x3fffff
	v_lshrrev_b32_e32 v5, 23, v3
	v_and_b32_e32 v6, 0x400000, v3
	v_and_or_b32 v3, v3, s4, v4
	v_cmp_ne_u32_e32 vcc, 0, v6
	v_cmp_ne_u32_e64 s[4:5], 0, v3
	s_and_b64 s[4:5], vcc, s[4:5]
	v_cndmask_b32_e64 v3, 0, 1, s[4:5]
	v_add_u32_e32 v5, v5, v3
; %bb.950:
	s_or_b64 exec, exec, s[10:11]
	s_mov_b64 s[4:5], 0
	global_store_byte v[1:2], v5, off
.LBB110_951:
	s_mov_b64 s[10:11], 0
.LBB110_952:
	s_and_b64 vcc, exec, s[10:11]
	s_cbranch_vccz .LBB110_955
; %bb.953:
	s_cmp_eq_u32 s17, 29
	s_mov_b64 s[4:5], -1
	s_cbranch_scc0 .LBB110_955
; %bb.954:
	v_cvt_f32_f16_e32 v3, v0
	v_mov_b32_e32 v4, 0
	s_mov_b64 s[4:5], 0
	v_cvt_u32_f32_e32 v3, v3
	global_store_dwordx2 v[1:2], v[3:4], off
.LBB110_955:
	s_mov_b64 s[10:11], 0
.LBB110_956:
	s_and_b64 vcc, exec, s[10:11]
	s_cbranch_vccz .LBB110_971
; %bb.957:
	s_cmp_lt_i32 s17, 27
	s_mov_b64 s[10:11], -1
	s_cbranch_scc1 .LBB110_963
; %bb.958:
	s_cmp_gt_i32 s17, 27
	s_cbranch_scc0 .LBB110_960
; %bb.959:
	v_cvt_f32_f16_e32 v3, v0
	s_mov_b64 s[10:11], 0
	v_cvt_u32_f32_e32 v3, v3
	global_store_dword v[1:2], v3, off
.LBB110_960:
	s_andn2_b64 vcc, exec, s[10:11]
	s_cbranch_vccnz .LBB110_962
; %bb.961:
	v_cvt_u16_f16_e32 v3, v0
	global_store_short v[1:2], v3, off
.LBB110_962:
	s_mov_b64 s[10:11], 0
.LBB110_963:
	s_andn2_b64 vcc, exec, s[10:11]
	s_cbranch_vccnz .LBB110_971
; %bb.964:
	v_cvt_f32_f16_e32 v3, v0
	s_mov_b32 s10, 0x43800000
	v_mov_b32_e32 v5, 0x80
	v_and_b32_e32 v4, 0x7fffffff, v3
	v_cmp_gt_u32_e32 vcc, s10, v4
	s_and_saveexec_b64 s[10:11], vcc
	s_cbranch_execz .LBB110_970
; %bb.965:
	s_mov_b32 s12, 0x3bffffff
	v_cmp_lt_u32_e32 vcc, s12, v4
	s_mov_b64 s[12:13], 0
                                        ; implicit-def: $vgpr4
	s_and_saveexec_b64 s[14:15], vcc
	s_xor_b64 s[14:15], exec, s[14:15]
	s_cbranch_execz .LBB110_1116
; %bb.966:
	v_bfe_u32 v4, v3, 20, 1
	s_mov_b32 s18, 0x487ffff
	v_add3_u32 v4, v3, v4, s18
	s_mov_b64 s[12:13], exec
	v_lshrrev_b32_e32 v4, 20, v4
	s_andn2_saveexec_b64 s[14:15], s[14:15]
	s_cbranch_execnz .LBB110_1117
.LBB110_967:
	s_or_b64 exec, exec, s[14:15]
	v_mov_b32_e32 v5, 0
	s_and_saveexec_b64 s[14:15], s[12:13]
.LBB110_968:
	v_lshrrev_b32_e32 v3, 24, v3
	s_movk_i32 s12, 0x80
	v_and_or_b32 v5, v3, s12, v4
.LBB110_969:
	s_or_b64 exec, exec, s[14:15]
.LBB110_970:
	s_or_b64 exec, exec, s[10:11]
	global_store_byte v[1:2], v5, off
.LBB110_971:
	s_mov_b64 s[10:11], 0
.LBB110_972:
	s_and_b64 vcc, exec, s[10:11]
	s_cbranch_vccz .LBB110_1012
; %bb.973:
	s_cmp_gt_i32 s17, 22
	s_mov_b64 s[8:9], -1
	s_cbranch_scc0 .LBB110_1005
; %bb.974:
	s_cmp_lt_i32 s17, 24
	s_cbranch_scc1 .LBB110_994
; %bb.975:
	s_cmp_gt_i32 s17, 24
	s_cbranch_scc0 .LBB110_983
; %bb.976:
	v_cvt_f32_f16_e32 v3, v0
	s_mov_b32 s8, 0x47800000
	v_mov_b32_e32 v5, 0x80
	v_and_b32_e32 v4, 0x7fffffff, v3
	v_cmp_gt_u32_e32 vcc, s8, v4
	s_and_saveexec_b64 s[8:9], vcc
	s_cbranch_execz .LBB110_982
; %bb.977:
	s_mov_b32 s10, 0x37ffffff
	v_cmp_lt_u32_e32 vcc, s10, v4
	s_mov_b64 s[10:11], 0
                                        ; implicit-def: $vgpr4
	s_and_saveexec_b64 s[12:13], vcc
	s_xor_b64 s[12:13], exec, s[12:13]
	s_cbranch_execz .LBB110_1123
; %bb.978:
	v_bfe_u32 v4, v3, 21, 1
	s_mov_b32 s14, 0x88fffff
	v_add3_u32 v4, v3, v4, s14
	s_mov_b64 s[10:11], exec
	v_lshrrev_b32_e32 v4, 21, v4
	s_andn2_saveexec_b64 s[12:13], s[12:13]
	s_cbranch_execnz .LBB110_1124
.LBB110_979:
	s_or_b64 exec, exec, s[12:13]
	v_mov_b32_e32 v5, 0
	s_and_saveexec_b64 s[12:13], s[10:11]
.LBB110_980:
	v_lshrrev_b32_e32 v3, 24, v3
	s_movk_i32 s10, 0x80
	v_and_or_b32 v5, v3, s10, v4
.LBB110_981:
	s_or_b64 exec, exec, s[12:13]
.LBB110_982:
	s_or_b64 exec, exec, s[8:9]
	s_mov_b64 s[8:9], 0
	global_store_byte v[1:2], v5, off
.LBB110_983:
	s_and_b64 vcc, exec, s[8:9]
	s_cbranch_vccz .LBB110_993
; %bb.984:
	v_cvt_f32_f16_e32 v3, v0
	s_mov_b32 s8, 0x43f00000
                                        ; implicit-def: $vgpr4
	v_and_b32_e32 v5, 0x7fffffff, v3
	v_cmp_gt_u32_e32 vcc, s8, v5
	s_and_saveexec_b64 s[8:9], vcc
	s_xor_b64 s[8:9], exec, s[8:9]
	s_cbranch_execz .LBB110_990
; %bb.985:
	s_mov_b32 s10, 0x3c7fffff
	v_cmp_lt_u32_e32 vcc, s10, v5
                                        ; implicit-def: $vgpr4
	s_and_saveexec_b64 s[10:11], vcc
	s_xor_b64 s[10:11], exec, s[10:11]
; %bb.986:
	v_bfe_u32 v4, v3, 20, 1
	s_mov_b32 s12, 0x407ffff
	v_add3_u32 v4, v3, v4, s12
	v_lshrrev_b32_e32 v5, 20, v4
	v_and_b32_e32 v4, 0xff00000, v4
	s_mov_b32 s12, 0x7f00000
	v_mov_b32_e32 v6, 0x7e
	v_cmp_ne_u32_e32 vcc, s12, v4
	v_cndmask_b32_e32 v4, v6, v5, vcc
; %bb.987:
	s_andn2_saveexec_b64 s[10:11], s[10:11]
; %bb.988:
	s_mov_b32 s12, 0x46800000
	v_add_f32_e64 v4, |v3|, s12
; %bb.989:
	s_or_b64 exec, exec, s[10:11]
                                        ; implicit-def: $vgpr5
.LBB110_990:
	s_andn2_saveexec_b64 s[8:9], s[8:9]
; %bb.991:
	s_mov_b32 s10, 0x7f800000
	v_mov_b32_e32 v4, 0x7e
	v_mov_b32_e32 v6, 0x7f
	v_cmp_lt_u32_e32 vcc, s10, v5
	v_cndmask_b32_e32 v4, v4, v6, vcc
; %bb.992:
	s_or_b64 exec, exec, s[8:9]
	v_lshrrev_b32_e32 v3, 24, v3
	s_movk_i32 s8, 0x80
	v_and_or_b32 v3, v3, s8, v4
	global_store_byte v[1:2], v3, off
.LBB110_993:
	s_mov_b64 s[8:9], 0
.LBB110_994:
	s_andn2_b64 vcc, exec, s[8:9]
	s_cbranch_vccnz .LBB110_1004
; %bb.995:
	v_cvt_f32_f16_e32 v3, v0
	s_mov_b32 s8, 0x47800000
                                        ; implicit-def: $vgpr4
	v_and_b32_e32 v5, 0x7fffffff, v3
	v_cmp_gt_u32_e32 vcc, s8, v5
	s_and_saveexec_b64 s[8:9], vcc
	s_xor_b64 s[8:9], exec, s[8:9]
	s_cbranch_execz .LBB110_1001
; %bb.996:
	s_mov_b32 s10, 0x387fffff
	v_cmp_lt_u32_e32 vcc, s10, v5
                                        ; implicit-def: $vgpr4
	s_and_saveexec_b64 s[10:11], vcc
	s_xor_b64 s[10:11], exec, s[10:11]
; %bb.997:
	v_bfe_u32 v4, v3, 21, 1
	s_mov_b32 s12, 0x80fffff
	v_add3_u32 v4, v3, v4, s12
	v_lshrrev_b32_e32 v4, 21, v4
; %bb.998:
	s_andn2_saveexec_b64 s[10:11], s[10:11]
; %bb.999:
	s_mov_b32 s12, 0x43000000
	v_add_f32_e64 v4, |v3|, s12
; %bb.1000:
	s_or_b64 exec, exec, s[10:11]
                                        ; implicit-def: $vgpr5
.LBB110_1001:
	s_andn2_saveexec_b64 s[8:9], s[8:9]
; %bb.1002:
	s_mov_b32 s10, 0x7f800000
	v_mov_b32_e32 v4, 0x7c
	v_mov_b32_e32 v6, 0x7f
	v_cmp_lt_u32_e32 vcc, s10, v5
	v_cndmask_b32_e32 v4, v4, v6, vcc
; %bb.1003:
	s_or_b64 exec, exec, s[8:9]
	v_lshrrev_b32_e32 v3, 24, v3
	s_movk_i32 s8, 0x80
	v_and_or_b32 v3, v3, s8, v4
	global_store_byte v[1:2], v3, off
.LBB110_1004:
	s_mov_b64 s[8:9], 0
.LBB110_1005:
	s_andn2_b64 vcc, exec, s[8:9]
	s_mov_b64 s[8:9], 0
	s_cbranch_vccnz .LBB110_1012
; %bb.1006:
	s_cmp_gt_i32 s17, 14
	s_mov_b64 s[10:11], -1
	s_cbranch_scc0 .LBB110_1010
; %bb.1007:
	s_cmp_eq_u32 s17, 15
	s_mov_b64 s[4:5], -1
	s_cbranch_scc0 .LBB110_1009
; %bb.1008:
	v_cvt_f32_f16_e32 v3, v0
	s_movk_i32 s4, 0x7fff
	v_cmp_o_f16_e32 vcc, v0, v0
	v_mov_b32_e32 v4, 0x7fc0
	v_bfe_u32 v5, v3, 16, 1
	v_add3_u32 v3, v3, v5, s4
	v_cndmask_b32_sdwa v3, v4, v3, vcc dst_sel:DWORD dst_unused:UNUSED_PAD src0_sel:DWORD src1_sel:WORD_1
	global_store_short v[1:2], v3, off
	s_mov_b64 s[4:5], 0
.LBB110_1009:
	s_mov_b64 s[10:11], 0
.LBB110_1010:
	s_and_b64 vcc, exec, s[10:11]
	s_cbranch_vccz .LBB110_1012
; %bb.1011:
	s_cmp_lg_u32 s17, 11
	s_mov_b64 s[8:9], -1
	s_cselect_b64 s[4:5], -1, 0
.LBB110_1012:
	s_and_b64 vcc, exec, s[4:5]
	s_cbranch_vccnz .LBB110_1118
.LBB110_1013:
	s_mov_b64 s[4:5], 0
	s_branch .LBB110_1054
.LBB110_1014:
	s_mov_b64 s[10:11], 0
	s_cbranch_execz .LBB110_937
; %bb.1015:
	s_cmp_lt_i32 s17, 5
	s_mov_b64 s[4:5], -1
	s_cbranch_scc1 .LBB110_1036
; %bb.1016:
	s_cmp_lt_i32 s17, 8
	s_cbranch_scc1 .LBB110_1026
; %bb.1017:
	s_cmp_lt_i32 s17, 9
	s_cbranch_scc1 .LBB110_1023
; %bb.1018:
	s_cmp_gt_i32 s17, 9
	s_cbranch_scc0 .LBB110_1020
; %bb.1019:
	v_cvt_f32_f16_e32 v3, v22
	v_mov_b32_e32 v5, 0
	v_mov_b32_e32 v6, v5
	s_mov_b64 s[4:5], 0
	v_cvt_f64_f32_e32 v[3:4], v3
	global_store_dwordx4 v[1:2], v[3:6], off
.LBB110_1020:
	s_andn2_b64 vcc, exec, s[4:5]
	s_cbranch_vccnz .LBB110_1022
; %bb.1021:
	v_cvt_f32_f16_e32 v3, v22
	v_mov_b32_e32 v4, 0
	global_store_dwordx2 v[1:2], v[3:4], off
.LBB110_1022:
	s_mov_b64 s[4:5], 0
.LBB110_1023:
	s_andn2_b64 vcc, exec, s[4:5]
	s_cbranch_vccnz .LBB110_1025
; %bb.1024:
	v_and_b32_e32 v3, 0xffff, v22
	global_store_dword v[1:2], v3, off
.LBB110_1025:
	s_mov_b64 s[4:5], 0
.LBB110_1026:
	s_andn2_b64 vcc, exec, s[4:5]
	s_cbranch_vccnz .LBB110_1035
; %bb.1027:
	s_cmp_lt_i32 s17, 6
	s_mov_b64 s[4:5], -1
	s_cbranch_scc1 .LBB110_1033
; %bb.1028:
	s_cmp_gt_i32 s17, 6
	s_cbranch_scc0 .LBB110_1030
; %bb.1029:
	v_cvt_f32_f16_e32 v3, v22
	s_mov_b64 s[4:5], 0
	v_cvt_f64_f32_e32 v[3:4], v3
	global_store_dwordx2 v[1:2], v[3:4], off
.LBB110_1030:
	s_andn2_b64 vcc, exec, s[4:5]
	s_cbranch_vccnz .LBB110_1032
; %bb.1031:
	v_cvt_f32_f16_e32 v3, v22
	global_store_dword v[1:2], v3, off
.LBB110_1032:
	s_mov_b64 s[4:5], 0
.LBB110_1033:
	s_andn2_b64 vcc, exec, s[4:5]
	s_cbranch_vccnz .LBB110_1035
; %bb.1034:
	global_store_short v[1:2], v22, off
.LBB110_1035:
	s_mov_b64 s[4:5], 0
.LBB110_1036:
	s_andn2_b64 vcc, exec, s[4:5]
	s_cbranch_vccnz .LBB110_1052
; %bb.1037:
	s_cmp_lt_i32 s17, 2
	s_mov_b64 s[4:5], -1
	s_cbranch_scc1 .LBB110_1047
; %bb.1038:
	s_cmp_lt_i32 s17, 3
	s_cbranch_scc1 .LBB110_1044
; %bb.1039:
	s_cmp_gt_i32 s17, 3
	s_cbranch_scc0 .LBB110_1041
; %bb.1040:
	v_cvt_f32_f16_e32 v3, v22
	s_mov_b64 s[4:5], 0
	v_cvt_i32_f32_e32 v3, v3
	v_ashrrev_i32_e32 v4, 31, v3
	global_store_dwordx2 v[1:2], v[3:4], off
.LBB110_1041:
	s_andn2_b64 vcc, exec, s[4:5]
	s_cbranch_vccnz .LBB110_1043
; %bb.1042:
	v_cvt_f32_f16_e32 v3, v22
	v_cvt_i32_f32_e32 v3, v3
	global_store_dword v[1:2], v3, off
.LBB110_1043:
	s_mov_b64 s[4:5], 0
.LBB110_1044:
	s_andn2_b64 vcc, exec, s[4:5]
	s_cbranch_vccnz .LBB110_1046
; %bb.1045:
	v_cvt_i16_f16_e32 v3, v22
	global_store_short v[1:2], v3, off
.LBB110_1046:
	s_mov_b64 s[4:5], 0
.LBB110_1047:
	s_andn2_b64 vcc, exec, s[4:5]
	s_cbranch_vccnz .LBB110_1052
; %bb.1048:
	s_cmp_gt_i32 s17, 0
	s_mov_b64 s[4:5], -1
	s_cbranch_scc0 .LBB110_1050
; %bb.1049:
	v_cvt_i16_f16_e32 v3, v22
	global_store_byte v[1:2], v3, off
	s_mov_b64 s[4:5], 0
.LBB110_1050:
	s_andn2_b64 vcc, exec, s[4:5]
	s_cbranch_vccnz .LBB110_1052
; %bb.1051:
	v_cvt_f32_f16_e32 v3, v22
	v_cvt_i32_f32_e32 v3, v3
	global_store_byte v[1:2], v3, off
.LBB110_1052:
	s_branch .LBB110_938
.LBB110_1053:
	s_mov_b64 s[4:5], 0
	s_mov_b64 s[8:9], 0
                                        ; implicit-def: $sgpr16
                                        ; implicit-def: $vgpr1_vgpr2
.LBB110_1054:
	s_and_b64 s[58:59], s[8:9], exec
	s_andn2_b64 s[8:9], s[48:49], exec
	s_and_b64 s[6:7], s[6:7], exec
	s_and_b64 s[4:5], s[4:5], exec
	s_or_b64 s[48:49], s[8:9], s[6:7]
.LBB110_1055:
	s_or_b64 exec, exec, s[50:51]
	s_and_saveexec_b64 s[6:7], s[48:49]
	s_cbranch_execz .LBB110_1058
; %bb.1056:
	; divergent unreachable
	s_or_b64 exec, exec, s[6:7]
	s_and_saveexec_b64 s[6:7], s[58:59]
	s_xor_b64 s[6:7], exec, s[6:7]
	s_cbranch_execnz .LBB110_1059
.LBB110_1057:
	s_or_b64 exec, exec, s[6:7]
	s_and_saveexec_b64 s[6:7], s[4:5]
	s_cbranch_execnz .LBB110_1060
	s_branch .LBB110_1097
.LBB110_1058:
	s_or_b64 exec, exec, s[6:7]
	s_and_saveexec_b64 s[6:7], s[58:59]
	s_xor_b64 s[6:7], exec, s[6:7]
	s_cbranch_execz .LBB110_1057
.LBB110_1059:
	v_and_b32_e32 v3, 0x7fff, v0
	v_cmp_ne_u16_e32 vcc, 0, v3
	v_cndmask_b32_e64 v3, 0, 1, vcc
	global_store_byte v[1:2], v3, off
	s_or_b64 exec, exec, s[6:7]
	s_and_saveexec_b64 s[6:7], s[4:5]
	s_cbranch_execz .LBB110_1097
.LBB110_1060:
	s_sext_i32_i16 s6, s16
	s_cmp_lt_i32 s6, 5
	s_mov_b64 s[4:5], -1
	s_cbranch_scc1 .LBB110_1081
; %bb.1061:
	s_cmp_lt_i32 s6, 8
	s_cbranch_scc1 .LBB110_1071
; %bb.1062:
	s_cmp_lt_i32 s6, 9
	s_cbranch_scc1 .LBB110_1068
; %bb.1063:
	s_cmp_gt_i32 s6, 9
	s_cbranch_scc0 .LBB110_1065
; %bb.1064:
	v_cvt_f32_f16_e32 v3, v0
	v_mov_b32_e32 v5, 0
	v_mov_b32_e32 v6, v5
	s_mov_b64 s[4:5], 0
	v_cvt_f64_f32_e32 v[3:4], v3
	global_store_dwordx4 v[1:2], v[3:6], off
.LBB110_1065:
	s_andn2_b64 vcc, exec, s[4:5]
	s_cbranch_vccnz .LBB110_1067
; %bb.1066:
	v_cvt_f32_f16_e32 v3, v0
	v_mov_b32_e32 v4, 0
	global_store_dwordx2 v[1:2], v[3:4], off
.LBB110_1067:
	s_mov_b64 s[4:5], 0
.LBB110_1068:
	s_andn2_b64 vcc, exec, s[4:5]
	s_cbranch_vccnz .LBB110_1070
; %bb.1069:
	v_and_b32_e32 v3, 0xffff, v0
	global_store_dword v[1:2], v3, off
.LBB110_1070:
	s_mov_b64 s[4:5], 0
.LBB110_1071:
	s_andn2_b64 vcc, exec, s[4:5]
	s_cbranch_vccnz .LBB110_1080
; %bb.1072:
	s_sext_i32_i16 s6, s16
	s_cmp_lt_i32 s6, 6
	s_mov_b64 s[4:5], -1
	s_cbranch_scc1 .LBB110_1078
; %bb.1073:
	s_cmp_gt_i32 s6, 6
	s_cbranch_scc0 .LBB110_1075
; %bb.1074:
	v_cvt_f32_f16_e32 v3, v0
	s_mov_b64 s[4:5], 0
	v_cvt_f64_f32_e32 v[3:4], v3
	global_store_dwordx2 v[1:2], v[3:4], off
.LBB110_1075:
	s_andn2_b64 vcc, exec, s[4:5]
	s_cbranch_vccnz .LBB110_1077
; %bb.1076:
	v_cvt_f32_f16_e32 v3, v0
	global_store_dword v[1:2], v3, off
.LBB110_1077:
	s_mov_b64 s[4:5], 0
.LBB110_1078:
	s_andn2_b64 vcc, exec, s[4:5]
	s_cbranch_vccnz .LBB110_1080
; %bb.1079:
	global_store_short v[1:2], v0, off
.LBB110_1080:
	s_mov_b64 s[4:5], 0
.LBB110_1081:
	s_andn2_b64 vcc, exec, s[4:5]
	s_cbranch_vccnz .LBB110_1097
; %bb.1082:
	s_sext_i32_i16 s6, s16
	s_cmp_lt_i32 s6, 2
	s_mov_b64 s[4:5], -1
	s_cbranch_scc1 .LBB110_1092
; %bb.1083:
	s_cmp_lt_i32 s6, 3
	s_cbranch_scc1 .LBB110_1089
; %bb.1084:
	s_cmp_gt_i32 s6, 3
	s_cbranch_scc0 .LBB110_1086
; %bb.1085:
	v_cvt_f32_f16_e32 v3, v0
	s_mov_b64 s[4:5], 0
	v_cvt_i32_f32_e32 v3, v3
	v_ashrrev_i32_e32 v4, 31, v3
	global_store_dwordx2 v[1:2], v[3:4], off
.LBB110_1086:
	s_andn2_b64 vcc, exec, s[4:5]
	s_cbranch_vccnz .LBB110_1088
; %bb.1087:
	v_cvt_f32_f16_e32 v3, v0
	v_cvt_i32_f32_e32 v3, v3
	global_store_dword v[1:2], v3, off
.LBB110_1088:
	s_mov_b64 s[4:5], 0
.LBB110_1089:
	s_andn2_b64 vcc, exec, s[4:5]
	s_cbranch_vccnz .LBB110_1091
; %bb.1090:
	v_cvt_i16_f16_e32 v3, v0
	global_store_short v[1:2], v3, off
.LBB110_1091:
	s_mov_b64 s[4:5], 0
.LBB110_1092:
	s_andn2_b64 vcc, exec, s[4:5]
	s_cbranch_vccnz .LBB110_1097
; %bb.1093:
	s_sext_i32_i16 s4, s16
	s_cmp_gt_i32 s4, 0
	s_mov_b64 s[4:5], -1
	s_cbranch_scc0 .LBB110_1095
; %bb.1094:
	v_cvt_i16_f16_e32 v3, v0
	global_store_byte v[1:2], v3, off
	s_mov_b64 s[4:5], 0
.LBB110_1095:
	s_andn2_b64 vcc, exec, s[4:5]
	s_cbranch_vccnz .LBB110_1097
; %bb.1096:
	v_cvt_f32_f16_e32 v0, v0
	v_cvt_i32_f32_e32 v0, v0
	global_store_byte v[1:2], v0, off
	s_endpgm
.LBB110_1097:
	s_endpgm
.LBB110_1098:
	s_mov_b64 s[8:9], 0
	s_mov_b64 s[4:5], -1
	s_branch .LBB110_1054
.LBB110_1099:
	s_andn2_saveexec_b64 s[12:13], s[12:13]
	s_cbranch_execz .LBB110_651
.LBB110_1100:
	s_mov_b32 s15, 0x46000000
	v_add_f32_e64 v4, |v3|, s15
	v_and_b32_e32 v4, 0xff, v4
	v_cmp_ne_u32_e32 vcc, 0, v4
	s_andn2_b64 s[10:11], s[10:11], exec
	s_and_b64 s[18:19], vcc, exec
	s_or_b64 s[10:11], s[10:11], s[18:19]
	s_or_b64 exec, exec, s[12:13]
	v_mov_b32_e32 v5, 0
	s_and_saveexec_b64 s[12:13], s[10:11]
	s_cbranch_execnz .LBB110_652
	s_branch .LBB110_653
.LBB110_1101:
	s_or_b64 s[6:7], s[48:49], exec
	s_trap 2
	s_cbranch_execz .LBB110_699
	s_branch .LBB110_700
.LBB110_1102:
	s_andn2_saveexec_b64 s[10:11], s[10:11]
	s_cbranch_execz .LBB110_664
.LBB110_1103:
	s_mov_b32 s12, 0x42800000
	v_add_f32_e64 v4, |v3|, s12
	v_and_b32_e32 v4, 0xff, v4
	v_cmp_ne_u32_e32 vcc, 0, v4
	s_andn2_b64 s[8:9], s[8:9], exec
	s_and_b64 s[12:13], vcc, exec
	s_or_b64 s[8:9], s[8:9], s[12:13]
	s_or_b64 exec, exec, s[10:11]
	v_mov_b32_e32 v5, 0
	s_and_saveexec_b64 s[10:11], s[8:9]
	s_cbranch_execnz .LBB110_665
	s_branch .LBB110_666
.LBB110_1104:
	s_andn2_saveexec_b64 s[14:15], s[14:15]
	s_cbranch_execz .LBB110_769
.LBB110_1105:
	s_mov_b32 s18, 0x46000000
	v_add_f32_e64 v4, |v3|, s18
	v_and_b32_e32 v4, 0xff, v4
	v_cmp_ne_u32_e32 vcc, 0, v4
	s_andn2_b64 s[12:13], s[12:13], exec
	s_and_b64 s[18:19], vcc, exec
	s_or_b64 s[12:13], s[12:13], s[18:19]
	s_or_b64 exec, exec, s[14:15]
	v_mov_b32_e32 v5, 0
	s_and_saveexec_b64 s[14:15], s[12:13]
	s_cbranch_execnz .LBB110_770
	s_branch .LBB110_771
.LBB110_1106:
	s_trap 2
	s_or_b64 s[6:7], s[6:7], exec
	s_cbranch_execz .LBB110_817
	s_branch .LBB110_818
.LBB110_1107:
	s_andn2_saveexec_b64 s[12:13], s[12:13]
	s_cbranch_execz .LBB110_782
.LBB110_1108:
	s_mov_b32 s14, 0x42800000
	v_add_f32_e64 v4, |v3|, s14
	v_and_b32_e32 v4, 0xff, v4
	v_cmp_ne_u32_e32 vcc, 0, v4
	s_andn2_b64 s[10:11], s[10:11], exec
	s_and_b64 s[14:15], vcc, exec
	s_or_b64 s[10:11], s[10:11], s[14:15]
	s_or_b64 exec, exec, s[12:13]
	v_mov_b32_e32 v5, 0
	s_and_saveexec_b64 s[12:13], s[10:11]
	s_cbranch_execnz .LBB110_783
	s_branch .LBB110_784
.LBB110_1109:
	s_andn2_saveexec_b64 s[14:15], s[14:15]
	s_cbranch_execz .LBB110_887
.LBB110_1110:
	s_mov_b32 s18, 0x46000000
	v_add_f32_e64 v4, |v3|, s18
	v_and_b32_e32 v4, 0xff, v4
	v_cmp_ne_u32_e32 vcc, 0, v4
	s_andn2_b64 s[12:13], s[12:13], exec
	s_and_b64 s[18:19], vcc, exec
	s_or_b64 s[12:13], s[12:13], s[18:19]
	s_or_b64 exec, exec, s[14:15]
	v_mov_b32_e32 v5, 0
	s_and_saveexec_b64 s[14:15], s[12:13]
	s_cbranch_execnz .LBB110_888
	s_branch .LBB110_889
.LBB110_1111:
	s_trap 2
	s_or_b64 s[6:7], s[6:7], exec
	s_cbranch_execz .LBB110_935
	s_branch .LBB110_936
.LBB110_1112:
	s_andn2_saveexec_b64 s[10:11], s[10:11]
	s_cbranch_execz .LBB110_338
.LBB110_1113:
	s_mov_b32 s14, 0x46000000
	v_add_f32_e64 v4, |v3|, s14
	v_and_b32_e32 v4, 0xff, v4
	v_cmp_ne_u32_e32 vcc, 0, v4
	s_andn2_b64 s[8:9], s[8:9], exec
	s_and_b64 s[14:15], vcc, exec
	s_or_b64 s[8:9], s[8:9], s[14:15]
	s_or_b64 exec, exec, s[10:11]
	v_mov_b32_e32 v5, 0
	s_and_saveexec_b64 s[10:11], s[8:9]
	s_cbranch_execnz .LBB110_339
	s_branch .LBB110_340
.LBB110_1114:
	s_andn2_saveexec_b64 s[12:13], s[12:13]
	s_cbranch_execz .LBB110_900
.LBB110_1115:
	s_mov_b32 s14, 0x42800000
	v_add_f32_e64 v4, |v3|, s14
	v_and_b32_e32 v4, 0xff, v4
	v_cmp_ne_u32_e32 vcc, 0, v4
	s_andn2_b64 s[10:11], s[10:11], exec
	s_and_b64 s[14:15], vcc, exec
	s_or_b64 s[10:11], s[10:11], s[14:15]
	s_or_b64 exec, exec, s[12:13]
	v_mov_b32_e32 v5, 0
	s_and_saveexec_b64 s[12:13], s[10:11]
	s_cbranch_execnz .LBB110_901
	s_branch .LBB110_902
.LBB110_1116:
	s_andn2_saveexec_b64 s[14:15], s[14:15]
	s_cbranch_execz .LBB110_967
.LBB110_1117:
	s_mov_b32 s18, 0x46000000
	v_add_f32_e64 v4, |v3|, s18
	v_and_b32_e32 v4, 0xff, v4
	v_cmp_ne_u32_e32 vcc, 0, v4
	s_andn2_b64 s[12:13], s[12:13], exec
	s_and_b64 s[18:19], vcc, exec
	s_or_b64 s[12:13], s[12:13], s[18:19]
	s_or_b64 exec, exec, s[14:15]
	v_mov_b32_e32 v5, 0
	s_and_saveexec_b64 s[14:15], s[12:13]
	s_cbranch_execnz .LBB110_968
	s_branch .LBB110_969
.LBB110_1118:
	s_mov_b64 s[8:9], 0
	s_or_b64 s[6:7], s[6:7], exec
	s_trap 2
	s_branch .LBB110_1013
.LBB110_1119:
	s_andn2_saveexec_b64 s[10:11], s[10:11]
	s_cbranch_execz .LBB110_351
.LBB110_1120:
	s_mov_b32 s14, 0x42800000
	v_add_f32_e64 v4, |v3|, s14
	v_and_b32_e32 v4, 0xff, v4
	v_cmp_ne_u32_e32 vcc, 0, v4
	s_andn2_b64 s[8:9], s[8:9], exec
	s_and_b64 s[14:15], vcc, exec
	s_or_b64 s[8:9], s[8:9], s[14:15]
	s_or_b64 exec, exec, s[10:11]
	v_mov_b32_e32 v5, 0
	s_and_saveexec_b64 s[10:11], s[8:9]
	s_cbranch_execnz .LBB110_352
	s_branch .LBB110_353
.LBB110_1121:
	s_andn2_saveexec_b64 s[10:11], s[10:11]
	s_cbranch_execz .LBB110_476
.LBB110_1122:
	s_mov_b32 s12, 0x46000000
	v_add_f32_e64 v4, |v3|, s12
	v_and_b32_e32 v4, 0xff, v4
	v_cmp_ne_u32_e32 vcc, 0, v4
	s_andn2_b64 s[8:9], s[8:9], exec
	s_and_b64 s[12:13], vcc, exec
	s_or_b64 s[8:9], s[8:9], s[12:13]
	s_or_b64 exec, exec, s[10:11]
	v_mov_b32_e32 v5, 0
	s_and_saveexec_b64 s[10:11], s[8:9]
	s_cbranch_execnz .LBB110_477
	s_branch .LBB110_478
.LBB110_1123:
	s_andn2_saveexec_b64 s[12:13], s[12:13]
	s_cbranch_execz .LBB110_979
.LBB110_1124:
	s_mov_b32 s14, 0x42800000
	v_add_f32_e64 v4, |v3|, s14
	v_and_b32_e32 v4, 0xff, v4
	v_cmp_ne_u32_e32 vcc, 0, v4
	s_andn2_b64 s[10:11], s[10:11], exec
	s_and_b64 s[14:15], vcc, exec
	s_or_b64 s[10:11], s[10:11], s[14:15]
	s_or_b64 exec, exec, s[12:13]
	v_mov_b32_e32 v5, 0
	s_and_saveexec_b64 s[12:13], s[10:11]
	s_cbranch_execnz .LBB110_980
	s_branch .LBB110_981
.LBB110_1125:
	s_andn2_saveexec_b64 s[12:13], s[12:13]
	s_cbranch_execz .LBB110_488
.LBB110_1126:
	s_mov_b32 s16, 0x42800000
	v_add_f32_e64 v4, |v3|, s16
	v_and_b32_e32 v4, 0xff, v4
	v_cmp_ne_u32_e32 vcc, 0, v4
	s_andn2_b64 s[10:11], s[10:11], exec
	s_and_b64 s[16:17], vcc, exec
	s_or_b64 s[10:11], s[10:11], s[16:17]
	s_or_b64 exec, exec, s[12:13]
	v_mov_b32_e32 v5, 0
	s_and_saveexec_b64 s[12:13], s[10:11]
	s_cbranch_execnz .LBB110_489
	s_branch .LBB110_490
	.section	.rodata,"a",@progbits
	.p2align	6, 0x0
	.amdhsa_kernel _ZN2at6native32elementwise_kernel_manual_unrollILi128ELi4EZNS0_15gpu_kernel_implIZZZNS0_21polygamma_kernel_cudaERNS_18TensorIteratorBaseElENKUlvE_clEvENKUlvE1_clEvEUlN3c104HalfEE_EEvS4_RKT_EUlibE0_EEviT1_
		.amdhsa_group_segment_fixed_size 0
		.amdhsa_private_segment_fixed_size 0
		.amdhsa_kernarg_size 368
		.amdhsa_user_sgpr_count 6
		.amdhsa_user_sgpr_private_segment_buffer 1
		.amdhsa_user_sgpr_dispatch_ptr 0
		.amdhsa_user_sgpr_queue_ptr 0
		.amdhsa_user_sgpr_kernarg_segment_ptr 1
		.amdhsa_user_sgpr_dispatch_id 0
		.amdhsa_user_sgpr_flat_scratch_init 0
		.amdhsa_user_sgpr_private_segment_size 0
		.amdhsa_uses_dynamic_stack 0
		.amdhsa_system_sgpr_private_segment_wavefront_offset 0
		.amdhsa_system_sgpr_workgroup_id_x 1
		.amdhsa_system_sgpr_workgroup_id_y 0
		.amdhsa_system_sgpr_workgroup_id_z 0
		.amdhsa_system_sgpr_workgroup_info 0
		.amdhsa_system_vgpr_workitem_id 0
		.amdhsa_next_free_vgpr 35
		.amdhsa_next_free_sgpr 92
		.amdhsa_reserve_vcc 1
		.amdhsa_reserve_flat_scratch 0
		.amdhsa_float_round_mode_32 0
		.amdhsa_float_round_mode_16_64 0
		.amdhsa_float_denorm_mode_32 3
		.amdhsa_float_denorm_mode_16_64 3
		.amdhsa_dx10_clamp 1
		.amdhsa_ieee_mode 1
		.amdhsa_fp16_overflow 0
		.amdhsa_exception_fp_ieee_invalid_op 0
		.amdhsa_exception_fp_denorm_src 0
		.amdhsa_exception_fp_ieee_div_zero 0
		.amdhsa_exception_fp_ieee_overflow 0
		.amdhsa_exception_fp_ieee_underflow 0
		.amdhsa_exception_fp_ieee_inexact 0
		.amdhsa_exception_int_div_zero 0
	.end_amdhsa_kernel
	.section	.text._ZN2at6native32elementwise_kernel_manual_unrollILi128ELi4EZNS0_15gpu_kernel_implIZZZNS0_21polygamma_kernel_cudaERNS_18TensorIteratorBaseElENKUlvE_clEvENKUlvE1_clEvEUlN3c104HalfEE_EEvS4_RKT_EUlibE0_EEviT1_,"axG",@progbits,_ZN2at6native32elementwise_kernel_manual_unrollILi128ELi4EZNS0_15gpu_kernel_implIZZZNS0_21polygamma_kernel_cudaERNS_18TensorIteratorBaseElENKUlvE_clEvENKUlvE1_clEvEUlN3c104HalfEE_EEvS4_RKT_EUlibE0_EEviT1_,comdat
.Lfunc_end110:
	.size	_ZN2at6native32elementwise_kernel_manual_unrollILi128ELi4EZNS0_15gpu_kernel_implIZZZNS0_21polygamma_kernel_cudaERNS_18TensorIteratorBaseElENKUlvE_clEvENKUlvE1_clEvEUlN3c104HalfEE_EEvS4_RKT_EUlibE0_EEviT1_, .Lfunc_end110-_ZN2at6native32elementwise_kernel_manual_unrollILi128ELi4EZNS0_15gpu_kernel_implIZZZNS0_21polygamma_kernel_cudaERNS_18TensorIteratorBaseElENKUlvE_clEvENKUlvE1_clEvEUlN3c104HalfEE_EEvS4_RKT_EUlibE0_EEviT1_
                                        ; -- End function
	.set _ZN2at6native32elementwise_kernel_manual_unrollILi128ELi4EZNS0_15gpu_kernel_implIZZZNS0_21polygamma_kernel_cudaERNS_18TensorIteratorBaseElENKUlvE_clEvENKUlvE1_clEvEUlN3c104HalfEE_EEvS4_RKT_EUlibE0_EEviT1_.num_vgpr, max(35, .L_ZN2at6native6invokeIZZZNS0_21polygamma_kernel_cudaERNS_18TensorIteratorBaseElENKUlvE_clEvENKUlvE1_clEvEUlN3c104HalfEE_j15function_traitsIS8_EEENT1_11result_typeERKT_PrKPcPKT0_PKNS6_10ScalarTypeEi.num_vgpr)
	.set _ZN2at6native32elementwise_kernel_manual_unrollILi128ELi4EZNS0_15gpu_kernel_implIZZZNS0_21polygamma_kernel_cudaERNS_18TensorIteratorBaseElENKUlvE_clEvENKUlvE1_clEvEUlN3c104HalfEE_EEvS4_RKT_EUlibE0_EEviT1_.num_agpr, max(0, .L_ZN2at6native6invokeIZZZNS0_21polygamma_kernel_cudaERNS_18TensorIteratorBaseElENKUlvE_clEvENKUlvE1_clEvEUlN3c104HalfEE_j15function_traitsIS8_EEENT1_11result_typeERKT_PrKPcPKT0_PKNS6_10ScalarTypeEi.num_agpr)
	.set _ZN2at6native32elementwise_kernel_manual_unrollILi128ELi4EZNS0_15gpu_kernel_implIZZZNS0_21polygamma_kernel_cudaERNS_18TensorIteratorBaseElENKUlvE_clEvENKUlvE1_clEvEUlN3c104HalfEE_EEvS4_RKT_EUlibE0_EEviT1_.numbered_sgpr, max(92, .L_ZN2at6native6invokeIZZZNS0_21polygamma_kernel_cudaERNS_18TensorIteratorBaseElENKUlvE_clEvENKUlvE1_clEvEUlN3c104HalfEE_j15function_traitsIS8_EEENT1_11result_typeERKT_PrKPcPKT0_PKNS6_10ScalarTypeEi.numbered_sgpr)
	.set _ZN2at6native32elementwise_kernel_manual_unrollILi128ELi4EZNS0_15gpu_kernel_implIZZZNS0_21polygamma_kernel_cudaERNS_18TensorIteratorBaseElENKUlvE_clEvENKUlvE1_clEvEUlN3c104HalfEE_EEvS4_RKT_EUlibE0_EEviT1_.num_named_barrier, max(0, .L_ZN2at6native6invokeIZZZNS0_21polygamma_kernel_cudaERNS_18TensorIteratorBaseElENKUlvE_clEvENKUlvE1_clEvEUlN3c104HalfEE_j15function_traitsIS8_EEENT1_11result_typeERKT_PrKPcPKT0_PKNS6_10ScalarTypeEi.num_named_barrier)
	.set _ZN2at6native32elementwise_kernel_manual_unrollILi128ELi4EZNS0_15gpu_kernel_implIZZZNS0_21polygamma_kernel_cudaERNS_18TensorIteratorBaseElENKUlvE_clEvENKUlvE1_clEvEUlN3c104HalfEE_EEvS4_RKT_EUlibE0_EEviT1_.private_seg_size, 0+max(.L_ZN2at6native6invokeIZZZNS0_21polygamma_kernel_cudaERNS_18TensorIteratorBaseElENKUlvE_clEvENKUlvE1_clEvEUlN3c104HalfEE_j15function_traitsIS8_EEENT1_11result_typeERKT_PrKPcPKT0_PKNS6_10ScalarTypeEi.private_seg_size)
	.set _ZN2at6native32elementwise_kernel_manual_unrollILi128ELi4EZNS0_15gpu_kernel_implIZZZNS0_21polygamma_kernel_cudaERNS_18TensorIteratorBaseElENKUlvE_clEvENKUlvE1_clEvEUlN3c104HalfEE_EEvS4_RKT_EUlibE0_EEviT1_.uses_vcc, or(1, .L_ZN2at6native6invokeIZZZNS0_21polygamma_kernel_cudaERNS_18TensorIteratorBaseElENKUlvE_clEvENKUlvE1_clEvEUlN3c104HalfEE_j15function_traitsIS8_EEENT1_11result_typeERKT_PrKPcPKT0_PKNS6_10ScalarTypeEi.uses_vcc)
	.set _ZN2at6native32elementwise_kernel_manual_unrollILi128ELi4EZNS0_15gpu_kernel_implIZZZNS0_21polygamma_kernel_cudaERNS_18TensorIteratorBaseElENKUlvE_clEvENKUlvE1_clEvEUlN3c104HalfEE_EEvS4_RKT_EUlibE0_EEviT1_.uses_flat_scratch, or(0, .L_ZN2at6native6invokeIZZZNS0_21polygamma_kernel_cudaERNS_18TensorIteratorBaseElENKUlvE_clEvENKUlvE1_clEvEUlN3c104HalfEE_j15function_traitsIS8_EEENT1_11result_typeERKT_PrKPcPKT0_PKNS6_10ScalarTypeEi.uses_flat_scratch)
	.set _ZN2at6native32elementwise_kernel_manual_unrollILi128ELi4EZNS0_15gpu_kernel_implIZZZNS0_21polygamma_kernel_cudaERNS_18TensorIteratorBaseElENKUlvE_clEvENKUlvE1_clEvEUlN3c104HalfEE_EEvS4_RKT_EUlibE0_EEviT1_.has_dyn_sized_stack, or(0, .L_ZN2at6native6invokeIZZZNS0_21polygamma_kernel_cudaERNS_18TensorIteratorBaseElENKUlvE_clEvENKUlvE1_clEvEUlN3c104HalfEE_j15function_traitsIS8_EEENT1_11result_typeERKT_PrKPcPKT0_PKNS6_10ScalarTypeEi.has_dyn_sized_stack)
	.set _ZN2at6native32elementwise_kernel_manual_unrollILi128ELi4EZNS0_15gpu_kernel_implIZZZNS0_21polygamma_kernel_cudaERNS_18TensorIteratorBaseElENKUlvE_clEvENKUlvE1_clEvEUlN3c104HalfEE_EEvS4_RKT_EUlibE0_EEviT1_.has_recursion, or(0, .L_ZN2at6native6invokeIZZZNS0_21polygamma_kernel_cudaERNS_18TensorIteratorBaseElENKUlvE_clEvENKUlvE1_clEvEUlN3c104HalfEE_j15function_traitsIS8_EEENT1_11result_typeERKT_PrKPcPKT0_PKNS6_10ScalarTypeEi.has_recursion)
	.set _ZN2at6native32elementwise_kernel_manual_unrollILi128ELi4EZNS0_15gpu_kernel_implIZZZNS0_21polygamma_kernel_cudaERNS_18TensorIteratorBaseElENKUlvE_clEvENKUlvE1_clEvEUlN3c104HalfEE_EEvS4_RKT_EUlibE0_EEviT1_.has_indirect_call, or(0, .L_ZN2at6native6invokeIZZZNS0_21polygamma_kernel_cudaERNS_18TensorIteratorBaseElENKUlvE_clEvENKUlvE1_clEvEUlN3c104HalfEE_j15function_traitsIS8_EEENT1_11result_typeERKT_PrKPcPKT0_PKNS6_10ScalarTypeEi.has_indirect_call)
	.section	.AMDGPU.csdata,"",@progbits
; Kernel info:
; codeLenInByte = 21628
; TotalNumSgprs: 96
; NumVgprs: 35
; ScratchSize: 0
; MemoryBound: 0
; FloatMode: 240
; IeeeMode: 1
; LDSByteSize: 0 bytes/workgroup (compile time only)
; SGPRBlocks: 11
; VGPRBlocks: 8
; NumSGPRsForWavesPerEU: 96
; NumVGPRsForWavesPerEU: 35
; Occupancy: 7
; WaveLimiterHint : 1
; COMPUTE_PGM_RSRC2:SCRATCH_EN: 0
; COMPUTE_PGM_RSRC2:USER_SGPR: 6
; COMPUTE_PGM_RSRC2:TRAP_HANDLER: 0
; COMPUTE_PGM_RSRC2:TGID_X_EN: 1
; COMPUTE_PGM_RSRC2:TGID_Y_EN: 0
; COMPUTE_PGM_RSRC2:TGID_Z_EN: 0
; COMPUTE_PGM_RSRC2:TIDIG_COMP_CNT: 0
	.text
	.p2align	2                               ; -- Begin function _ZN3c104guts5applyIRZZZN2at6native21polygamma_kernel_cudaERNS2_18TensorIteratorBaseElENKUlvE_clEvENKUlvE2_clEvEUlNS_8BFloat16EE_RSt5tupleIJS8_EEEEDaOT_OT0_
	.type	_ZN3c104guts5applyIRZZZN2at6native21polygamma_kernel_cudaERNS2_18TensorIteratorBaseElENKUlvE_clEvENKUlvE2_clEvEUlNS_8BFloat16EE_RSt5tupleIJS8_EEEEDaOT_OT0_,@function
_ZN3c104guts5applyIRZZZN2at6native21polygamma_kernel_cudaERNS2_18TensorIteratorBaseElENKUlvE_clEvENKUlvE2_clEvEUlNS_8BFloat16EE_RSt5tupleIJS8_EEEEDaOT_OT0_: ; @_ZN3c104guts5applyIRZZZN2at6native21polygamma_kernel_cudaERNS2_18TensorIteratorBaseElENKUlvE_clEvENKUlvE2_clEvEUlNS_8BFloat16EE_RSt5tupleIJS8_EEEEDaOT_OT0_
; %bb.0:
	s_waitcnt vmcnt(0) expcnt(0) lgkmcnt(0)
	v_cvt_f32_i32_e32 v1, v0
	s_movk_i32 s4, 0x7fff
	v_mov_b32_e32 v3, 0x7fc00000
	v_bfe_u32 v4, v1, 16, 1
	v_add3_u32 v1, v1, v4, s4
	v_and_b32_e32 v1, 0xffff0000, v1
	v_add_f32_e32 v1, 1.0, v1
	v_bfe_u32 v4, v1, 16, 1
	v_add3_u32 v4, v1, v4, s4
	v_and_b32_e32 v4, 0xffff0000, v4
	v_cmp_o_f32_e32 vcc, v1, v1
	v_cndmask_b32_e32 v1, v3, v4, vcc
	s_mov_b32 s4, 0x3c800000
	v_and_b32_e32 v4, 0x7fffffff, v1
	v_cmp_nlt_f32_e64 s[4:5], |v1|, s4
                                        ; implicit-def: $vgpr3
	s_and_saveexec_b64 s[6:7], s[4:5]
	s_xor_b64 s[6:7], exec, s[6:7]
	s_cbranch_execz .LBB111_30
; %bb.1:
	v_cmp_nlt_f32_e64 s[4:5], |v1|, 2.0
                                        ; implicit-def: $vgpr3
	s_and_saveexec_b64 s[8:9], s[4:5]
	s_xor_b64 s[8:9], exec, s[8:9]
	s_cbranch_execz .LBB111_11
; %bb.2:
	s_mov_b32 s4, 0x41000000
	v_cmp_nlt_f32_e64 s[4:5], |v1|, s4
                                        ; implicit-def: $vgpr3
	s_and_saveexec_b64 s[10:11], s[4:5]
	s_xor_b64 s[10:11], exec, s[10:11]
	s_cbranch_execz .LBB111_8
; %bb.3:
	s_mov_b32 s4, 0x5c800000
	v_cmp_nlt_f32_e64 s[4:5], |v1|, s4
                                        ; implicit-def: $vgpr3
	s_and_saveexec_b64 s[12:13], s[4:5]
	s_xor_b64 s[12:13], exec, s[12:13]
	s_cbranch_execz .LBB111_5
; %bb.4:
	s_mov_b32 s4, 0x800000
	v_cmp_lt_f32_e64 vcc, |v1|, s4
	v_cndmask_b32_e64 v3, 0, 32, vcc
	v_ldexp_f32 v3, |v1|, v3
	v_log_f32_e32 v3, v3
	s_mov_b32 s4, 0x3f317217
	s_mov_b32 s5, 0x7f800000
	v_mul_f32_e32 v5, 0x3f317217, v3
	v_fma_f32 v6, v3, s4, -v5
	v_fmac_f32_e32 v6, 0x3377d1cf, v3
	v_add_f32_e32 v5, v5, v6
	v_cmp_lt_f32_e64 s[4:5], |v3|, s5
	v_cndmask_b32_e64 v3, v3, v5, s[4:5]
	v_mov_b32_e32 v5, 0x41b17218
	v_cndmask_b32_e32 v5, 0, v5, vcc
	v_sub_f32_e32 v3, v3, v5
	v_fma_f32 v3, |v1|, v3, -|v1|
.LBB111_5:
	s_andn2_saveexec_b64 s[12:13], s[12:13]
	s_cbranch_execz .LBB111_7
; %bb.6:
	v_rcp_f32_e64 v5, |v1|
	v_mov_b32_e32 v3, 0x3a5b3dd2
	v_mov_b32_e32 v6, 0xba1c065c
	v_mov_b32_e32 v7, 0x3a500cfd
	v_mul_f32_e32 v8, v5, v5
	v_fmac_f32_e32 v3, 0xbad5c4e8, v8
	v_fmac_f32_e32 v6, v8, v3
	s_mov_b32 s4, 0x800000
	v_fmac_f32_e32 v7, v8, v6
	v_mov_b32_e32 v3, 0xbb360b61
	v_cmp_lt_f32_e64 vcc, |v1|, s4
	v_fmac_f32_e32 v3, v8, v7
	v_cndmask_b32_e64 v7, 0, 32, vcc
	v_ldexp_f32 v7, |v1|, v7
	v_log_f32_e32 v7, v7
	v_mov_b32_e32 v6, 0x3daaaaab
	v_fmac_f32_e32 v6, v8, v3
	v_mov_b32_e32 v3, 0x3ed67f1d
	v_fmac_f32_e32 v3, v5, v6
	s_mov_b32 s4, 0x3f317217
	v_mul_f32_e32 v6, 0x3f317217, v7
	v_fma_f32 v8, v7, s4, -v6
	v_fmac_f32_e32 v8, 0x3377d1cf, v7
	s_mov_b32 s4, 0x7f800000
	v_add_f32_e32 v6, v6, v8
	v_cmp_lt_f32_e64 s[4:5], |v7|, s4
	v_cndmask_b32_e64 v6, v7, v6, s[4:5]
	v_mov_b32_e32 v7, 0x41b17218
	v_cndmask_b32_e32 v7, 0, v7, vcc
	v_sub_f32_e32 v6, v6, v7
	v_add_f32_e64 v5, |v1|, -0.5
	v_add_f32_e32 v6, -1.0, v6
	v_fmac_f32_e32 v3, v5, v6
.LBB111_7:
	s_or_b64 exec, exec, s[12:13]
.LBB111_8:
	s_andn2_saveexec_b64 s[10:11], s[10:11]
	s_cbranch_execz .LBB111_10
; %bb.9:
	v_cvt_i32_f32_e32 v3, v4
	v_mov_b32_e32 v5, 0x3af135b4
	v_mov_b32_e32 v6, 0x3cda40e4
	v_mov_b32_e32 v7, 0x3e15dce6
	v_cvt_f32_i32_e32 v8, v3
	v_mov_b32_e32 v9, 0x3ea6cc7a
	v_mov_b32_e32 v10, 0x3e5c245a
	v_cmp_lt_i32_e32 vcc, 2, v3
	v_sub_f32_e64 v8, |v1|, v8
	v_fmac_f32_e32 v5, 0x3805ff67, v8
	v_fmac_f32_e32 v6, v8, v5
	;; [unrolled: 1-line block ×3, first 2 shown]
	v_mov_b32_e32 v6, 0x3a4beed6
	v_fmac_f32_e32 v9, v8, v7
	v_fmac_f32_e32 v6, 0x36f5d7bd, v8
	v_mov_b32_e32 v7, 0x3c98bf54
	v_fmac_f32_e32 v7, v8, v6
	v_mov_b32_e32 v6, 0x3e300f6e
	;; [unrolled: 2-line block ×4, first 2 shown]
	v_fmac_f32_e32 v6, v8, v7
	v_add_f32_e32 v7, 2.0, v8
	v_mov_b32_e32 v11, 0xbd9e233f
	v_fmac_f32_e32 v10, v8, v9
	v_add_f32_e32 v9, 0x40400000, v8
	v_cndmask_b32_e32 v7, 1.0, v7, vcc
	v_cmp_lt_i32_e32 vcc, 3, v3
	v_fmac_f32_e32 v11, v8, v10
	v_add_f32_e32 v10, 4.0, v8
	v_cndmask_b32_e32 v9, 1.0, v9, vcc
	v_cmp_lt_i32_e32 vcc, 4, v3
	v_mul_f32_e32 v5, v8, v11
	v_add_f32_e32 v11, 0x40a00000, v8
	v_mul_f32_e32 v7, v7, v9
	v_cndmask_b32_e32 v9, 1.0, v10, vcc
	v_cmp_lt_i32_e32 vcc, 5, v3
	v_add_f32_e32 v12, 0x40c00000, v8
	v_mul_f32_e32 v7, v9, v7
	v_cndmask_b32_e32 v9, 1.0, v11, vcc
	v_cmp_lt_i32_e32 vcc, 6, v3
	v_mul_f32_e32 v7, v9, v7
	v_cndmask_b32_e32 v3, 1.0, v12, vcc
	v_mul_f32_e32 v3, v3, v7
	s_mov_b32 s4, 0x800000
	v_cmp_gt_f32_e32 vcc, s4, v3
	v_cndmask_b32_e64 v7, 0, 32, vcc
	v_fma_f32 v6, v8, v6, 1.0
	v_ldexp_f32 v3, v3, v7
	v_rcp_f32_e32 v6, v6
	v_log_f32_e32 v3, v3
	s_mov_b32 s4, 0x3f317217
	v_mul_f32_e32 v5, v5, v6
	v_mul_f32_e32 v6, 0x3f317217, v3
	v_fma_f32 v7, v3, s4, -v6
	v_fmac_f32_e32 v7, 0x3377d1cf, v3
	s_mov_b32 s4, 0x7f800000
	v_add_f32_e32 v6, v6, v7
	v_cmp_lt_f32_e64 s[4:5], |v3|, s4
	v_cndmask_b32_e64 v3, v3, v6, s[4:5]
	v_mov_b32_e32 v6, 0x41b17218
	v_cndmask_b32_e32 v6, 0, v6, vcc
	v_fmac_f32_e32 v5, 0.5, v8
	v_sub_f32_e32 v3, v3, v6
	v_add_f32_e32 v3, v3, v5
.LBB111_10:
	s_or_b64 exec, exec, s[10:11]
.LBB111_11:
	s_andn2_saveexec_b64 s[8:9], s[8:9]
	s_cbranch_execz .LBB111_29
; %bb.12:
	s_mov_b32 s4, 0x3f666666
	v_cmp_le_f32_e64 s[4:5], |v1|, s4
                                        ; implicit-def: $vgpr3
                                        ; implicit-def: $vgpr6
                                        ; implicit-def: $vgpr5
	s_and_saveexec_b64 s[10:11], s[4:5]
	s_xor_b64 s[10:11], exec, s[10:11]
	s_cbranch_execz .LBB111_14
; %bb.13:
	s_mov_b32 s4, 0x800000
	v_cmp_lt_f32_e64 vcc, |v1|, s4
	v_cndmask_b32_e64 v3, 0, 32, vcc
	v_ldexp_f32 v3, |v1|, v3
	v_log_f32_e32 v3, v3
	s_mov_b32 s4, 0x3f317217
	s_mov_b32 s5, 0x7f800000
	v_mul_f32_e32 v5, 0x3f317217, v3
	v_fma_f32 v6, v3, s4, -v5
	v_fmac_f32_e32 v6, 0x3377d1cf, v3
	v_add_f32_e32 v5, v5, v6
	v_cmp_lt_f32_e64 s[4:5], |v3|, s5
	v_cndmask_b32_e64 v3, v3, v5, s[4:5]
	v_mov_b32_e32 v5, 0x41b17218
	v_cndmask_b32_e32 v5, 0, v5, vcc
	s_mov_b32 s4, 0x3f3b4a23
	s_mov_b32 s5, 0xbeec5b0c
	v_sub_f32_e32 v3, v3, v5
	v_sub_f32_e64 v5, 1.0, |v1|
	v_add_f32_e64 v6, |v1|, s5
	v_cmp_lt_f32_e64 vcc, |v1|, s4
	s_mov_b32 s4, 0x3e6d3309
	v_cndmask_b32_e32 v5, v5, v6, vcc
	v_cndmask_b32_e64 v6, 0, 1, vcc
	v_cmp_lt_f32_e64 s[4:5], |v1|, s4
	v_xor_b32_e32 v3, 0x80000000, v3
	v_cndmask_b32_e64 v5, v5, |v1|, s[4:5]
	v_cndmask_b32_e64 v6, v6, 2, s[4:5]
.LBB111_14:
	s_andn2_saveexec_b64 s[4:5], s[10:11]
	s_cbranch_execz .LBB111_16
; %bb.15:
	s_mov_b32 s10, 0x3fdda512
	s_mov_b32 s11, 0xbfbb16c3
	v_sub_f32_e64 v3, 2.0, |v1|
	v_add_f32_e64 v5, |v1|, s11
	v_cmp_lt_f32_e64 vcc, |v1|, s10
	v_cndmask_b32_e32 v5, v3, v5, vcc
	v_cndmask_b32_e64 v3, v3, 1.0, vcc
	v_cvt_i32_f32_e32 v3, v3
	s_mov_b32 s10, 0x3f9d70a4
	v_add_f32_e64 v6, |v1|, -1.0
	v_cmp_lt_f32_e64 vcc, |v1|, s10
	v_cndmask_b32_e32 v5, v5, v6, vcc
	v_cndmask_b32_e64 v6, v3, 2, vcc
	v_mov_b32_e32 v3, 0
.LBB111_16:
	s_or_b64 exec, exec, s[4:5]
	v_cmp_lt_i32_e32 vcc, 0, v6
	s_and_saveexec_b64 s[4:5], vcc
	s_xor_b64 s[4:5], exec, s[4:5]
	s_cbranch_execz .LBB111_24
; %bb.17:
	v_cmp_lt_i32_e32 vcc, 1, v6
	s_and_saveexec_b64 s[10:11], vcc
	s_xor_b64 s[10:11], exec, s[10:11]
	s_cbranch_execz .LBB111_21
; %bb.18:
	v_cmp_eq_u32_e32 vcc, 2, v6
	s_and_saveexec_b64 s[12:13], vcc
	s_cbranch_execz .LBB111_20
; %bb.19:
	v_mov_b32_e32 v6, 0x3e6a7578
	v_fmac_f32_e32 v6, 0x3c5b3c5e, v5
	v_mov_b32_e32 v7, 0x3f7a4bb2
	v_fmac_f32_e32 v7, v5, v6
	;; [unrolled: 2-line block ×8, first 2 shown]
	v_fma_f32 v6, v5, v8, 1.0
	v_rcp_f32_e32 v6, v6
	v_mov_b32_e32 v8, 0xbd9e233f
	v_fmac_f32_e32 v8, v5, v7
	v_mul_f32_e32 v7, v5, v8
	v_mul_f32_e32 v6, v7, v6
	v_fmac_f32_e32 v6, -0.5, v5
	v_add_f32_e32 v3, v3, v6
.LBB111_20:
	s_or_b64 exec, exec, s[12:13]
                                        ; implicit-def: $vgpr5
.LBB111_21:
	s_andn2_saveexec_b64 s[10:11], s[10:11]
	s_cbranch_execz .LBB111_23
; %bb.22:
	v_mul_f32_e32 v6, v5, v5
	v_mul_f32_e32 v7, v5, v6
	v_mov_b32_e32 v8, 0xbab7f476
	v_fmac_f32_e32 v8, 0x39a57b6b, v7
	v_mov_b32_e32 v9, 0x3bc7e707
	v_fmac_f32_e32 v9, v7, v8
	;; [unrolled: 2-line block ×12, first 2 shown]
	v_fmac_f32_e32 v10, v5, v11
	s_mov_b32 s12, 0xa2863e55
	v_fma_f32 v5, v7, -v10, s12
	v_fma_f32 v5, v6, v9, -v5
	v_add_f32_e32 v5, 0xbdf8cdce, v5
	v_add_f32_e32 v3, v3, v5
.LBB111_23:
	s_or_b64 exec, exec, s[10:11]
                                        ; implicit-def: $vgpr6
                                        ; implicit-def: $vgpr5
.LBB111_24:
	s_andn2_saveexec_b64 s[4:5], s[4:5]
	s_cbranch_execz .LBB111_28
; %bb.25:
	v_cmp_eq_u32_e32 vcc, 0, v6
	s_and_saveexec_b64 s[10:11], vcc
	s_cbranch_execz .LBB111_27
; %bb.26:
	v_mul_f32_e32 v6, v5, v5
	v_mov_b32_e32 v7, 0x39679767
	v_fmac_f32_e32 v7, 0x37d383a2, v6
	v_mov_b32_e32 v8, 0x3a9c54a1
	v_fmac_f32_e32 v8, v6, v7
	v_mov_b32_e32 v7, 0x3bf2027e
	v_fmac_f32_e32 v7, v6, v8
	v_mov_b32_e32 v8, 0x3d89f001
	v_fmac_f32_e32 v8, v6, v7
	v_mov_b32_e32 v7, 0x3d9e233f
	v_fmac_f32_e32 v7, v6, v8
	v_mov_b32_e32 v8, 0x38e28445
	v_fmac_f32_e32 v8, 0x383c2c75, v6
	v_mov_b32_e32 v9, 0x3a05b634
	v_fmac_f32_e32 v9, v6, v8
	v_mov_b32_e32 v8, 0x3b3d6ec6
	v_fmac_f32_e32 v8, v6, v9
	v_mov_b32_e32 v9, 0x3ca89915
	v_fmac_f32_e32 v9, v6, v8
	v_mov_b32_e32 v8, 0x3ea51a66
	v_fmac_f32_e32 v8, v6, v9
	v_mul_f32_e32 v6, v6, v8
	v_fmac_f32_e32 v6, v5, v7
	v_fmac_f32_e32 v6, -0.5, v5
	v_add_f32_e32 v3, v3, v6
.LBB111_27:
	s_or_b64 exec, exec, s[10:11]
.LBB111_28:
	s_or_b64 exec, exec, s[4:5]
.LBB111_29:
	s_or_b64 exec, exec, s[8:9]
.LBB111_30:
	s_andn2_saveexec_b64 s[6:7], s[6:7]
	s_cbranch_execz .LBB111_32
; %bb.31:
	s_mov_b32 s4, 0x3e8a8991
	v_mov_b32_e32 v3, 0xbecd26ab
	v_fma_f32 v3, |v1|, s4, v3
	s_mov_b32 s4, 0x3f528d33
	v_fma_f32 v3, |v1|, v3, s4
	s_mov_b32 s4, 0x800000
	v_cmp_lt_f32_e64 vcc, |v1|, s4
	v_cndmask_b32_e64 v5, 0, 32, vcc
	v_ldexp_f32 v5, |v1|, v5
	v_log_f32_e32 v5, v5
	s_mov_b32 s4, 0xbf13c468
	v_fma_f32 v3, |v1|, v3, s4
	s_mov_b32 s4, 0x3f317217
	v_mul_f32_e32 v6, 0x3f317217, v5
	v_fma_f32 v7, v5, s4, -v6
	v_fmac_f32_e32 v7, 0x3377d1cf, v5
	s_mov_b32 s4, 0x7f800000
	v_add_f32_e32 v6, v6, v7
	v_cmp_lt_f32_e64 s[4:5], |v5|, s4
	v_cndmask_b32_e64 v5, v5, v6, s[4:5]
	v_mov_b32_e32 v6, 0x41b17218
	v_cndmask_b32_e32 v6, 0, v6, vcc
	v_sub_f32_e32 v5, v5, v6
	v_fma_f32 v3, |v1|, v3, -v5
.LBB111_32:
	s_or_b64 exec, exec, s[6:7]
	v_cmp_le_f32_e64 s[4:5], 0, v1
	v_cmp_nle_f32_e32 vcc, 0, v1
	s_and_saveexec_b64 s[6:7], vcc
	s_xor_b64 s[8:9], exec, s[6:7]
	s_cbranch_execz .LBB111_36
; %bb.33:
	s_mov_b32 s6, 0x4b000000
	s_mov_b32 s10, 0x35000000
	v_cmp_lt_f32_e64 s[6:7], |v1|, s6
	v_cmp_gt_f32_e64 s[10:11], |v1|, s10
	s_and_b64 s[6:7], s[6:7], s[10:11]
	s_and_saveexec_b64 s[10:11], s[6:7]
	s_cbranch_execz .LBB111_35
; %bb.34:
	v_mul_f32_e64 v5, |v1|, 0.5
	v_floor_f32_e32 v6, v5
	v_sub_f32_e32 v6, v5, v6
	v_min_f32_e32 v6, 0x3f7fffff, v6
	s_mov_b32 s12, 0x7f800000
	v_add_f32_e32 v6, v6, v6
	v_cmp_neq_f32_e32 vcc, s12, v5
	v_cndmask_b32_e32 v5, 0, v6, vcc
	v_cmp_gt_f32_e64 s[6:7], |v1|, 1.0
	v_cndmask_b32_e64 v5, |v1|, v5, s[6:7]
	v_add_f32_e32 v6, v5, v5
	v_rndne_f32_e32 v6, v6
	v_fmac_f32_e32 v5, -0.5, v6
	v_mul_f32_e32 v7, v5, v5
	v_mov_b32_e32 v8, 0xbf1f24be
	v_fmac_f32_e32 v8, 0x3e75aa41, v7
	v_mov_b32_e32 v9, 0x40234736
	v_fmac_f32_e32 v9, v7, v8
	;; [unrolled: 2-line block ×3, first 2 shown]
	v_mul_f32_e32 v9, v5, v7
	v_mul_f32_e32 v8, v9, v8
	v_fmac_f32_e32 v8, 0x40490fdb, v5
	v_mov_b32_e32 v5, 0x3e642e9d
	v_cvt_i32_f32_e32 v6, v6
	v_fmac_f32_e32 v5, 0x3d4be544, v7
	v_mov_b32_e32 v9, 0xbfaad1da
	v_fmac_f32_e32 v9, v7, v5
	v_mov_b32_e32 v5, 0x4081e0d3
	;; [unrolled: 2-line block ×3, first 2 shown]
	v_fmac_f32_e32 v9, v7, v5
	v_fma_f32 v5, v7, v9, 1.0
	v_and_b32_e32 v7, 1, v6
	v_cmp_eq_u32_e32 vcc, 0, v7
	v_lshlrev_b32_e32 v6, 30, v6
	s_brev_b32 s6, 1
	v_cndmask_b32_e32 v5, v5, v8, vcc
	v_and_or_b32 v4, v6, s6, v4
	v_xor_b32_e32 v4, v4, v5
	v_xor_b32_e32 v4, v4, v1
	v_mul_f32_e32 v4, v1, v4
	v_frexp_mant_f32_e64 v5, |v4|
	v_rcp_f32_e32 v5, v5
	v_frexp_exp_i32_f32_e32 v4, v4
	v_sub_u32_e32 v4, 2, v4
	s_mov_b32 s6, 0x800000
	v_mul_f32_e32 v5, 0x3f490fdb, v5
	v_ldexp_f32 v4, v5, v4
	v_cmp_gt_f32_e32 vcc, s6, v4
	v_cndmask_b32_e64 v5, 0, 32, vcc
	v_ldexp_f32 v4, v4, v5
	v_log_f32_e32 v4, v4
	s_mov_b32 s6, 0x3f317217
	v_mul_f32_e32 v5, 0x3f317217, v4
	v_fma_f32 v6, v4, s6, -v5
	v_fmac_f32_e32 v6, 0x3377d1cf, v4
	v_add_f32_e32 v5, v5, v6
	v_cmp_lt_f32_e64 s[6:7], |v4|, s12
	v_cndmask_b32_e64 v4, v4, v5, s[6:7]
	v_mov_b32_e32 v5, 0x41b17218
	v_cndmask_b32_e32 v5, 0, v5, vcc
	v_sub_f32_e32 v4, v4, v5
	v_sub_f32_e32 v3, v4, v3
	v_floor_f32_e32 v4, v1
	v_sub_f32_e32 v4, v1, v4
	v_min_f32_e32 v4, 0x3f7fffff, v4
	v_mov_b32_e32 v5, 0x7f800000
	v_cmp_neq_f32_e32 vcc, 0, v4
	v_cndmask_b32_e32 v3, v5, v3, vcc
.LBB111_35:
	s_or_b64 exec, exec, s[10:11]
.LBB111_36:
	s_andn2_saveexec_b64 s[8:9], s[8:9]
; %bb.37:
	v_cmp_eq_f32_e32 vcc, 1.0, v1
	v_cmp_eq_f32_e64 s[6:7], 2.0, v1
	s_or_b64 s[6:7], vcc, s[6:7]
	v_cndmask_b32_e64 v3, v3, 0, s[6:7]
; %bb.38:
	s_or_b64 exec, exec, s[8:9]
	v_add_u32_e32 v4, 1, v0
	v_cvt_f32_i32_e32 v5, v4
	s_movk_i32 s42, 0x7fff
	v_mov_b32_e32 v4, 0x7f800000
	v_mov_b32_e32 v8, 0x7f800000
	v_bfe_u32 v6, v5, 16, 1
	v_add3_u32 v5, v5, v6, s42
	v_and_b32_e32 v5, 0xffff0000, v5
	v_cmp_neq_f32_e32 vcc, 1.0, v5
	s_and_saveexec_b64 s[12:13], vcc
	s_cbranch_execz .LBB111_66
; %bb.39:
	v_cmp_ngt_f32_e32 vcc, 1.0, v5
	v_mov_b32_e32 v8, 0x7fc00000
	s_and_saveexec_b64 s[14:15], vcc
	s_cbranch_execz .LBB111_65
; %bb.40:
	v_lshlrev_b32_e32 v2, 16, v2
	v_cmp_ge_f32_e32 vcc, 0, v2
	s_mov_b64 s[8:9], -1
                                        ; implicit-def: $vgpr8
	s_and_saveexec_b64 s[6:7], vcc
	s_cbranch_execz .LBB111_44
; %bb.41:
	v_floor_f32_e32 v6, v2
	v_cmp_neq_f32_e32 vcc, v6, v2
	s_mov_b64 s[8:9], 0
	v_mov_b32_e32 v8, 0x7f800000
	s_and_saveexec_b64 s[10:11], vcc
; %bb.42:
	v_floor_f32_e32 v6, v5
	v_cmp_eq_f32_e32 vcc, v6, v5
	v_mov_b32_e32 v8, 0x7fc00000
	s_and_b64 s[8:9], vcc, exec
; %bb.43:
	s_or_b64 exec, exec, s[10:11]
	s_orn2_b64 s[8:9], s[8:9], exec
.LBB111_44:
	s_or_b64 exec, exec, s[6:7]
	s_and_saveexec_b64 s[16:17], s[8:9]
	s_cbranch_execz .LBB111_64
; %bb.45:
	v_xor_b32_e32 v6, 0x80000000, v5
	v_bfe_u32 v7, v6, 16, 1
	s_movk_i32 s6, 0x7fff
	v_add3_u32 v6, v6, v7, s6
	v_and_b32_e32 v6, 0xffff0000, v6
	v_mov_b32_e32 v7, 0x7fc00000
	v_cmp_o_f32_e32 vcc, v5, v5
	v_cndmask_b32_e32 v8, v7, v6, vcc
	v_cmp_neq_f32_e32 vcc, 1.0, v2
	v_cndmask_b32_e32 v6, 1.0, v8, vcc
	v_cmp_neq_f32_e32 vcc, 0, v6
	v_cndmask_b32_e32 v12, 1.0, v2, vcc
	v_frexp_mant_f32_e64 v9, |v12|
	s_mov_b32 s26, 0x3f2aaaab
	v_cmp_gt_f32_e32 vcc, s26, v9
	v_cndmask_b32_e64 v10, 1.0, 2.0, vcc
	v_mul_f32_e32 v9, v9, v10
	v_add_f32_e32 v10, 1.0, v9
	v_rcp_f32_e32 v11, v10
	v_add_f32_e32 v13, -1.0, v9
	v_add_f32_e32 v14, -1.0, v10
	v_sub_f32_e32 v9, v9, v14
	v_mul_f32_e32 v14, v13, v11
	v_mul_f32_e32 v15, v10, v14
	v_fma_f32 v10, v14, v10, -v15
	v_fmac_f32_e32 v10, v14, v9
	v_add_f32_e32 v9, v15, v10
	v_sub_f32_e32 v16, v13, v9
	v_sub_f32_e32 v15, v9, v15
	;; [unrolled: 1-line block ×5, first 2 shown]
	v_add_f32_e32 v9, v10, v9
	v_add_f32_e32 v9, v16, v9
	v_mul_f32_e32 v9, v11, v9
	v_add_f32_e32 v13, v14, v9
	v_sub_f32_e32 v10, v13, v14
	v_sub_f32_e32 v14, v9, v10
	v_mul_f32_e32 v10, v13, v13
	v_fma_f32 v11, v13, v13, -v10
	v_add_f32_e32 v9, v14, v14
	v_fmac_f32_e32 v11, v13, v9
	v_add_f32_e32 v15, v10, v11
	v_sub_f32_e32 v10, v15, v10
	v_sub_f32_e32 v10, v11, v10
	v_mul_f32_e32 v11, v13, v15
	v_fma_f32 v17, v15, v13, -v11
	v_fmac_f32_e32 v17, v15, v14
	v_mov_b32_e32 v16, 0x3e91f4c4
	v_fmac_f32_e32 v17, v10, v13
	v_fmac_f32_e32 v16, 0x3e76c4e1, v15
	v_mov_b32_e32 v9, 0x3ecccdef
	v_add_f32_e32 v18, v11, v17
	v_fma_f32 v16, v15, v16, v9
	v_sub_f32_e32 v11, v18, v11
	v_sub_f32_e32 v17, v17, v11
	v_mul_f32_e32 v11, v15, v16
	v_fma_f32 v15, v15, v16, -v11
	v_fmac_f32_e32 v15, v10, v16
	v_add_f32_e32 v16, v11, v15
	v_sub_f32_e32 v10, v16, v11
	v_sub_f32_e32 v15, v15, v10
	v_cvt_f64_f32_e64 v[10:11], |v12|
	v_add_f32_e32 v19, 0x3f2aaaaa, v16
	v_add_f32_e32 v20, 0xbf2aaaaa, v19
	;; [unrolled: 1-line block ×3, first 2 shown]
	v_frexp_exp_i32_f64_e32 v10, v[10:11]
	v_sub_f32_e32 v16, v16, v20
	v_add_f32_e32 v11, v15, v16
	v_add_f32_e32 v15, v19, v11
	v_sub_f32_e32 v16, v19, v15
	v_add_f32_e32 v11, v11, v16
	v_mul_f32_e32 v16, v18, v15
	v_fma_f32 v19, v18, v15, -v16
	v_subbrev_co_u32_e32 v10, vcc, 0, v10, vcc
	v_cvt_f32_i32_e32 v10, v10
	v_fmac_f32_e32 v19, v18, v11
	s_mov_b32 s28, 0x3f317218
	v_fmac_f32_e32 v19, v17, v15
	v_mul_f32_e32 v11, 0x3f317218, v10
	v_fma_f32 v15, v10, s28, -v11
	v_fmac_f32_e32 v15, 0xb102e308, v10
	v_ldexp_f32 v10, v14, 1
	v_add_f32_e32 v14, v11, v15
	v_sub_f32_e32 v11, v14, v11
	v_ldexp_f32 v13, v13, 1
	v_sub_f32_e32 v11, v15, v11
	v_add_f32_e32 v15, v16, v19
	v_sub_f32_e32 v16, v15, v16
	v_add_f32_e32 v17, v13, v15
	v_sub_f32_e32 v16, v19, v16
	v_sub_f32_e32 v13, v17, v13
	;; [unrolled: 1-line block ×3, first 2 shown]
	v_add_f32_e32 v10, v10, v16
	v_add_f32_e32 v10, v10, v13
	;; [unrolled: 1-line block ×3, first 2 shown]
	v_sub_f32_e32 v15, v13, v17
	v_sub_f32_e32 v10, v10, v15
	v_add_f32_e32 v15, v14, v13
	v_sub_f32_e32 v16, v15, v14
	v_sub_f32_e32 v17, v15, v16
	v_sub_f32_e32 v14, v14, v17
	v_sub_f32_e32 v13, v13, v16
	v_add_f32_e32 v13, v13, v14
	v_add_f32_e32 v14, v11, v10
	v_sub_f32_e32 v16, v14, v11
	v_sub_f32_e32 v17, v14, v16
	;; [unrolled: 1-line block ×4, first 2 shown]
	v_add_f32_e32 v10, v10, v11
	v_add_f32_e32 v11, v14, v13
	;; [unrolled: 1-line block ×3, first 2 shown]
	v_sub_f32_e32 v14, v13, v15
	v_sub_f32_e32 v11, v11, v14
	v_add_f32_e32 v10, v10, v11
	v_add_f32_e32 v11, v13, v10
	v_sub_f32_e32 v13, v11, v13
	v_sub_f32_e32 v10, v10, v13
	v_mul_f32_e32 v13, v6, v11
	v_fma_f32 v11, v6, v11, -v13
	v_fmac_f32_e32 v11, v6, v10
	s_movk_i32 s29, 0x204
	v_add_f32_e32 v10, v13, v11
	v_cmp_class_f32_e64 vcc, v13, s29
	v_sub_f32_e32 v14, v10, v13
	v_cndmask_b32_e32 v13, v10, v13, vcc
	s_mov_b32 s41, 0x42b17218
	v_mov_b32_e32 v10, 0x37000000
	v_cmp_eq_f32_e32 vcc, s41, v13
	v_sub_f32_e32 v11, v11, v14
	v_cndmask_b32_e32 v14, 0, v10, vcc
	v_sub_f32_e32 v15, v13, v14
	s_mov_b32 s43, 0x3fb8aa3b
	v_mul_f32_e32 v16, 0x3fb8aa3b, v15
	v_fma_f32 v17, v15, s43, -v16
	v_rndne_f32_e32 v18, v16
	v_fmac_f32_e32 v17, 0x32a5705f, v15
	v_sub_f32_e32 v16, v16, v18
	v_add_f32_e32 v16, v16, v17
	v_exp_f32_e32 v16, v16
	v_cvt_i32_f32_e32 v17, v18
	s_mov_b32 s40, 0x7f800000
	v_cmp_neq_f32_e64 vcc, |v13|, s40
	v_cndmask_b32_e32 v11, 0, v11, vcc
	s_mov_b32 s44, 0xc2ce8ed0
	v_add_f32_e32 v13, v14, v11
	v_ldexp_f32 v11, v16, v17
	v_cmp_ngt_f32_e32 vcc, s44, v15
	v_cndmask_b32_e32 v14, 0, v11, vcc
	v_mov_b32_e32 v11, 0x7f800000
	v_cmp_nlt_f32_e32 vcc, s41, v15
	v_cndmask_b32_e32 v14, v11, v14, vcc
	v_fma_f32 v13, v14, v13, v14
	v_cmp_class_f32_e64 vcc, v14, s29
	v_cndmask_b32_e32 v13, v13, v14, vcc
	v_trunc_f32_e32 v14, v6
	v_cmp_eq_f32_e32 vcc, v14, v6
	v_mul_f32_e32 v14, 0.5, v6
	v_trunc_f32_e32 v15, v14
	v_cmp_neq_f32_e64 s[6:7], v15, v14
	s_and_b64 s[6:7], vcc, s[6:7]
	v_cndmask_b32_e64 v14, 1.0, v12, s[6:7]
	s_brev_b32 s45, -2
	v_bfi_b32 v13, s45, v13, v14
	v_cmp_neq_f32_e64 s[8:9], v6, |v6|
	v_cmp_lt_f32_e64 s[10:11], |v12|, 1.0
	v_cndmask_b32_e32 v14, v7, v13, vcc
	v_cmp_gt_f32_e32 vcc, 0, v12
	s_xor_b64 s[8:9], s[8:9], s[10:11]
	v_cndmask_b32_e32 v13, v13, v14, vcc
	v_cndmask_b32_e64 v14, v11, 0, s[8:9]
	v_cmp_neq_f32_e64 vcc, |v12|, 1.0
	v_cndmask_b32_e32 v14, 1.0, v14, vcc
	v_cmp_class_f32_e64 vcc, v6, s29
	v_cndmask_b32_e32 v13, v13, v14, vcc
	v_cmp_eq_f32_e32 vcc, 0, v12
	v_cmp_gt_f32_e64 s[8:9], 0, v6
	s_xor_b64 s[8:9], s[8:9], vcc
	v_cmp_class_f32_e64 s[10:11], v12, s29
	v_cndmask_b32_e64 v14, v11, 0, s[8:9]
	v_cndmask_b32_e64 v15, 0, v12, s[6:7]
	v_bfi_b32 v14, s45, v14, v15
	s_or_b64 vcc, vcc, s[10:11]
	v_cndmask_b32_e32 v13, v13, v14, vcc
	v_cmp_o_f32_e32 vcc, v12, v6
	s_mov_b32 s27, 0
	v_cndmask_b32_e32 v6, v7, v13, vcc
	s_mov_b64 s[18:19], 0
	s_mov_b32 s46, 0x41100000
                                        ; implicit-def: $sgpr20_sgpr21
                                        ; implicit-def: $sgpr24_sgpr25
                                        ; implicit-def: $sgpr22_sgpr23
	s_branch .LBB111_47
.LBB111_46:                             ;   in Loop: Header=BB111_47 Depth=1
	s_or_b64 exec, exec, s[6:7]
	s_and_b64 s[6:7], exec, s[24:25]
	s_or_b64 s[18:19], s[6:7], s[18:19]
	s_andn2_b64 s[6:7], s[20:21], exec
	s_and_b64 s[8:9], s[22:23], exec
	s_or_b64 s[20:21], s[6:7], s[8:9]
	s_andn2_b64 exec, exec, s[18:19]
	s_cbranch_execz .LBB111_49
.LBB111_47:                             ; =>This Inner Loop Header: Depth=1
	v_add_f32_e32 v2, 1.0, v2
	v_cmp_neq_f32_e32 vcc, 1.0, v2
	v_cndmask_b32_e32 v14, 1.0, v8, vcc
	v_cmp_neq_f32_e32 vcc, 0, v14
	v_cndmask_b32_e32 v15, 1.0, v2, vcc
	v_frexp_mant_f32_e64 v12, |v15|
	v_cmp_gt_f32_e32 vcc, s26, v12
	v_cndmask_b32_e64 v13, 1.0, 2.0, vcc
	v_mul_f32_e32 v12, v12, v13
	v_add_f32_e32 v16, 1.0, v12
	v_add_f32_e32 v17, -1.0, v16
	v_add_f32_e32 v13, -1.0, v12
	v_sub_f32_e32 v12, v12, v17
	v_rcp_f32_e32 v17, v16
	v_cmp_gt_f32_e64 s[8:9], 0, v15
	v_cmp_lt_f32_e64 s[10:11], |v15|, 1.0
	s_or_b64 s[22:23], s[22:23], exec
	v_mul_f32_e32 v18, v13, v17
	v_mul_f32_e32 v19, v16, v18
	v_fma_f32 v16, v18, v16, -v19
	v_fmac_f32_e32 v16, v18, v12
	v_add_f32_e32 v12, v19, v16
	v_sub_f32_e32 v20, v13, v12
	v_sub_f32_e32 v19, v12, v19
	;; [unrolled: 1-line block ×5, first 2 shown]
	v_add_f32_e32 v12, v13, v12
	v_add_f32_e32 v12, v20, v12
	v_mul_f32_e32 v12, v17, v12
	v_add_f32_e32 v16, v18, v12
	v_sub_f32_e32 v13, v16, v18
	v_sub_f32_e32 v17, v12, v13
	v_mul_f32_e32 v12, v16, v16
	v_fma_f32 v13, v16, v16, -v12
	v_add_f32_e32 v18, v17, v17
	v_fmac_f32_e32 v13, v16, v18
	v_add_f32_e32 v18, v12, v13
	v_sub_f32_e32 v12, v18, v12
	v_sub_f32_e32 v12, v13, v12
	v_mul_f32_e32 v13, v16, v18
	v_fma_f32 v20, v18, v16, -v13
	v_fmac_f32_e32 v20, v18, v17
	v_mov_b32_e32 v19, 0x3e91f4c4
	v_fmac_f32_e32 v20, v12, v16
	v_fmac_f32_e32 v19, 0x3e76c4e1, v18
	v_add_f32_e32 v21, v13, v20
	v_fma_f32 v19, v18, v19, v9
	v_sub_f32_e32 v13, v21, v13
	v_sub_f32_e32 v13, v20, v13
	v_mul_f32_e32 v20, v18, v19
	v_fma_f32 v18, v18, v19, -v20
	v_fmac_f32_e32 v18, v12, v19
	v_add_f32_e32 v12, v20, v18
	v_add_f32_e32 v19, 0x3f2aaaaa, v12
	v_sub_f32_e32 v20, v12, v20
	v_sub_f32_e32 v18, v18, v20
	v_add_f32_e32 v20, 0xbf2aaaaa, v19
	v_add_f32_e32 v18, 0x31739010, v18
	v_sub_f32_e32 v12, v12, v20
	v_add_f32_e32 v12, v18, v12
	v_add_f32_e32 v18, v19, v12
	v_sub_f32_e32 v19, v19, v18
	v_add_f32_e32 v12, v12, v19
	v_mul_f32_e32 v19, v21, v18
	v_fma_f32 v20, v21, v18, -v19
	v_fmac_f32_e32 v20, v21, v12
	v_fmac_f32_e32 v20, v13, v18
	v_cvt_f64_f32_e64 v[12:13], |v15|
	v_ldexp_f32 v16, v16, 1
	s_or_b64 s[24:25], s[24:25], exec
	v_frexp_exp_i32_f64_e32 v12, v[12:13]
	v_subbrev_co_u32_e32 v12, vcc, 0, v12, vcc
	v_cvt_f32_i32_e32 v12, v12
	v_mul_f32_e32 v13, 0x3f317218, v12
	v_fma_f32 v18, v12, s28, -v13
	v_fmac_f32_e32 v18, 0xb102e308, v12
	v_ldexp_f32 v12, v17, 1
	v_add_f32_e32 v17, v13, v18
	v_sub_f32_e32 v13, v17, v13
	v_sub_f32_e32 v13, v18, v13
	v_add_f32_e32 v18, v19, v20
	v_sub_f32_e32 v19, v18, v19
	v_sub_f32_e32 v19, v20, v19
	;; [unrolled: 3-line block ×3, first 2 shown]
	v_add_f32_e32 v12, v12, v19
	v_add_f32_e32 v12, v12, v16
	;; [unrolled: 1-line block ×3, first 2 shown]
	v_sub_f32_e32 v18, v16, v20
	v_sub_f32_e32 v12, v12, v18
	v_add_f32_e32 v18, v17, v16
	v_sub_f32_e32 v19, v18, v17
	v_sub_f32_e32 v20, v18, v19
	;; [unrolled: 1-line block ×4, first 2 shown]
	v_add_f32_e32 v16, v16, v17
	v_add_f32_e32 v17, v13, v12
	v_sub_f32_e32 v19, v17, v13
	v_sub_f32_e32 v20, v17, v19
	;; [unrolled: 1-line block ×4, first 2 shown]
	v_add_f32_e32 v12, v12, v13
	v_add_f32_e32 v13, v17, v16
	;; [unrolled: 1-line block ×3, first 2 shown]
	v_sub_f32_e32 v17, v16, v18
	v_sub_f32_e32 v13, v13, v17
	v_add_f32_e32 v12, v12, v13
	v_add_f32_e32 v13, v16, v12
	v_sub_f32_e32 v16, v13, v16
	v_sub_f32_e32 v12, v12, v16
	v_mul_f32_e32 v16, v14, v13
	v_fma_f32 v13, v14, v13, -v16
	v_fmac_f32_e32 v13, v14, v12
	v_add_f32_e32 v12, v16, v13
	v_cmp_class_f32_e64 vcc, v16, s29
	v_sub_f32_e32 v17, v12, v16
	v_cndmask_b32_e32 v12, v12, v16, vcc
	v_sub_f32_e32 v13, v13, v17
	v_cmp_neq_f32_e64 vcc, |v12|, s40
	v_cndmask_b32_e32 v13, 0, v13, vcc
	v_cmp_eq_f32_e32 vcc, s41, v12
	v_cndmask_b32_e32 v16, 0, v10, vcc
	v_sub_f32_e32 v12, v12, v16
	v_add_f32_e32 v13, v16, v13
	v_mul_f32_e32 v16, 0x3fb8aa3b, v12
	v_fma_f32 v17, v12, s43, -v16
	v_rndne_f32_e32 v18, v16
	v_fmac_f32_e32 v17, 0x32a5705f, v12
	v_sub_f32_e32 v16, v16, v18
	v_add_f32_e32 v16, v16, v17
	v_exp_f32_e32 v16, v16
	v_cvt_i32_f32_e32 v17, v18
	v_cmp_ngt_f32_e32 vcc, s44, v12
	v_ldexp_f32 v16, v16, v17
	v_cndmask_b32_e32 v16, 0, v16, vcc
	v_cmp_nlt_f32_e32 vcc, s41, v12
	v_cndmask_b32_e32 v12, v11, v16, vcc
	v_fma_f32 v13, v12, v13, v12
	v_cmp_class_f32_e64 vcc, v12, s29
	v_cndmask_b32_e32 v12, v13, v12, vcc
	v_trunc_f32_e32 v13, v14
	v_cmp_eq_f32_e32 vcc, v13, v14
	v_mul_f32_e32 v13, 0.5, v14
	v_trunc_f32_e32 v16, v13
	v_cmp_neq_f32_e64 s[6:7], v16, v13
	s_and_b64 s[6:7], vcc, s[6:7]
	v_cndmask_b32_e64 v13, 1.0, v15, s[6:7]
	v_bfi_b32 v12, s45, v12, v13
	v_cndmask_b32_e32 v13, v7, v12, vcc
	v_cndmask_b32_e64 v12, v12, v13, s[8:9]
	v_cmp_neq_f32_e64 s[8:9], v14, |v14|
	s_xor_b64 s[8:9], s[8:9], s[10:11]
	v_cndmask_b32_e64 v13, v11, 0, s[8:9]
	v_cmp_neq_f32_e64 s[8:9], |v15|, 1.0
	v_cmp_class_f32_e64 vcc, v14, s29
	v_cndmask_b32_e64 v13, 1.0, v13, s[8:9]
	v_cndmask_b32_e32 v12, v12, v13, vcc
	v_cmp_eq_f32_e32 vcc, 0, v15
	v_cmp_gt_f32_e64 s[10:11], 0, v14
	s_xor_b64 s[10:11], s[10:11], vcc
	v_cmp_class_f32_e64 s[8:9], v15, s29
	v_cndmask_b32_e64 v13, v11, 0, s[10:11]
	v_cndmask_b32_e64 v16, 0, v15, s[6:7]
	s_or_b64 s[8:9], vcc, s[8:9]
	v_bfi_b32 v13, s45, v13, v16
	v_cndmask_b32_e64 v12, v12, v13, s[8:9]
	v_cmp_o_f32_e32 vcc, v15, v14
	v_cndmask_b32_e32 v12, v7, v12, vcc
	v_add_f32_e32 v6, v6, v12
	v_mul_f32_e32 v13, 0xa5000000, v6
	v_cmp_nlt_f32_e32 vcc, v13, v12
	v_mul_f32_e32 v13, 0x25000000, v6
	v_cmp_nlt_f32_e64 s[6:7], v12, v13
	s_or_b64 s[8:9], vcc, s[6:7]
	s_and_saveexec_b64 s[6:7], s[8:9]
	s_cbranch_execz .LBB111_46
; %bb.48:                               ;   in Loop: Header=BB111_47 Depth=1
	s_add_i32 s47, s27, 1
	s_cmp_gt_u32 s27, 7
	s_cselect_b64 s[8:9], -1, 0
	v_cmp_nge_f32_e32 vcc, s46, v2
	s_and_b64 s[8:9], s[8:9], vcc
	s_andn2_b64 s[10:11], s[24:25], exec
	s_and_b64 s[8:9], s[8:9], exec
	s_andn2_b64 s[22:23], s[22:23], exec
	s_or_b64 s[24:25], s[10:11], s[8:9]
	s_mov_b32 s27, s47
	s_branch .LBB111_46
.LBB111_49:
	s_or_b64 exec, exec, s[18:19]
	s_xor_b64 s[6:7], s[20:21], -1
                                        ; implicit-def: $vgpr8
	s_and_saveexec_b64 s[8:9], s[6:7]
	s_xor_b64 s[6:7], exec, s[8:9]
	s_cbranch_execz .LBB111_61
; %bb.50:
	v_mul_f32_e32 v7, v2, v12
	v_add_f32_e32 v10, -1.0, v5
	v_div_scale_f32 v8, s[8:9], v10, v10, v7
	v_div_scale_f32 v9, vcc, v7, v10, v7
	s_mov_b64 s[8:9], 0
	s_mov_b32 s43, 0x25000000
	s_mov_b64 s[22:23], 0
                                        ; implicit-def: $sgpr10_sgpr11
                                        ; implicit-def: $sgpr18_sgpr19
                                        ; implicit-def: $sgpr20_sgpr21
	v_rcp_f32_e32 v11, v8
	v_fma_f32 v13, -v8, v11, 1.0
	v_fmac_f32_e32 v11, v13, v11
	v_mul_f32_e32 v13, v9, v11
	v_fma_f32 v14, -v8, v13, v9
	v_fmac_f32_e32 v13, v14, v11
	v_fma_f32 v8, -v8, v13, v9
	v_div_fmas_f32 v11, v8, v11, v13
	v_mov_b32_e32 v9, 1.0
	v_mov_b32_e32 v8, 0
	v_div_fixup_f32 v7, v11, v10, v7
	v_add_f32_e32 v7, v6, v7
	v_fmac_f32_e32 v7, -0.5, v12
	s_branch .LBB111_53
.LBB111_51:                             ;   in Loop: Header=BB111_53 Depth=1
	s_or_b64 exec, exec, s[26:27]
	s_andn2_b64 s[20:21], s[20:21], exec
	s_and_b64 s[26:27], s[40:41], exec
	s_or_b64 s[20:21], s[20:21], s[26:27]
	s_andn2_b64 s[18:19], s[18:19], exec
	s_and_b64 s[26:27], s[28:29], exec
	s_or_b64 s[18:19], s[18:19], s[26:27]
.LBB111_52:                             ;   in Loop: Header=BB111_53 Depth=1
	s_or_b64 exec, exec, s[24:25]
	s_and_b64 s[24:25], exec, s[18:19]
	s_or_b64 s[8:9], s[24:25], s[8:9]
	s_andn2_b64 s[10:11], s[10:11], exec
	s_and_b64 s[24:25], s[20:21], exec
	s_or_b64 s[10:11], s[10:11], s[24:25]
	s_andn2_b64 exec, exec, s[8:9]
	s_cbranch_execz .LBB111_56
.LBB111_53:                             ; =>This Inner Loop Header: Depth=1
	v_div_scale_f32 v10, s[24:25], v2, v2, v12
	v_div_scale_f32 v11, vcc, v12, v2, v12
	s_getpc_b64 s[24:25]
	s_add_u32 s24, s24, _ZZ4zetaIN3c108BFloat16ELb1EET_S2_S2_E1A@rel32@lo+4
	s_addc_u32 s25, s25, _ZZ4zetaIN3c108BFloat16ELb1EET_S2_S2_E1A@rel32@hi+12
	s_add_u32 s24, s24, s22
	s_addc_u32 s25, s25, s23
	s_load_dword s26, s[24:25], 0x0
	s_or_b64 s[20:21], s[20:21], exec
	s_or_b64 s[18:19], s[18:19], exec
	v_rcp_f32_e32 v13, v10
	v_fma_f32 v14, -v10, v13, 1.0
	v_fmac_f32_e32 v13, v14, v13
	v_mul_f32_e32 v14, v11, v13
	v_fma_f32 v15, -v10, v14, v11
	v_fmac_f32_e32 v14, v15, v13
	v_fma_f32 v10, -v10, v14, v11
	v_div_fmas_f32 v11, v10, v13, v14
	v_add_f32_e32 v10, v8, v5
	v_mul_f32_e32 v10, v9, v10
	v_div_fixup_f32 v11, v11, v2, v12
	v_mul_f32_e32 v9, v11, v10
	s_waitcnt lgkmcnt(0)
	v_div_scale_f32 v12, s[24:25], s26, s26, v9
	v_div_scale_f32 v13, vcc, v9, s26, v9
	v_rcp_f32_e32 v14, v12
	v_fma_f32 v15, -v12, v14, 1.0
	v_fmac_f32_e32 v14, v15, v14
	v_mul_f32_e32 v15, v13, v14
	v_fma_f32 v16, -v12, v15, v13
	v_fmac_f32_e32 v15, v16, v14
	v_fma_f32 v12, -v12, v15, v13
	v_div_fmas_f32 v12, v12, v14, v15
	v_div_fixup_f32 v9, v12, s26, v9
	v_add_f32_e32 v7, v7, v9
	v_div_scale_f32 v12, s[24:25], v7, v7, v9
	v_div_scale_f32 v13, vcc, v9, v7, v9
	v_rcp_f32_e32 v14, v12
	v_fma_f32 v15, -v12, v14, 1.0
	v_fmac_f32_e32 v14, v15, v14
	v_mul_f32_e32 v15, v13, v14
	v_fma_f32 v16, -v12, v15, v13
	v_fmac_f32_e32 v15, v16, v14
	v_fma_f32 v12, -v12, v15, v13
	v_div_fmas_f32 v12, v12, v14, v15
	v_div_fixup_f32 v9, v12, v7, v9
	v_cmp_nlt_f32_e64 s[26:27], |v9|, s43
                                        ; implicit-def: $vgpr12
                                        ; implicit-def: $vgpr9
	s_and_saveexec_b64 s[24:25], s[26:27]
	s_cbranch_execz .LBB111_52
; %bb.54:                               ;   in Loop: Header=BB111_53 Depth=1
	v_div_scale_f32 v9, s[26:27], v2, v2, v11
	v_div_scale_f32 v12, vcc, v11, v2, v11
	v_add_f32_e32 v8, 1.0, v8
	s_mov_b64 s[40:41], -1
	v_rcp_f32_e32 v13, v9
	v_fma_f32 v14, -v9, v13, 1.0
	v_fmac_f32_e32 v13, v14, v13
	v_mul_f32_e32 v14, v12, v13
	v_fma_f32 v15, -v9, v14, v12
	v_fmac_f32_e32 v14, v15, v13
	v_fma_f32 v9, -v9, v14, v12
	v_div_fmas_f32 v9, v9, v13, v14
	v_div_fixup_f32 v9, v9, v2, v11
	v_div_scale_f32 v11, s[26:27], v2, v2, v9
	v_div_scale_f32 v12, vcc, v9, v2, v9
	s_getpc_b64 s[26:27]
	s_add_u32 s26, s26, _ZZ4zetaIN3c108BFloat16ELb1EET_S2_S2_E1A@rel32@lo+8
	s_addc_u32 s27, s27, _ZZ4zetaIN3c108BFloat16ELb1EET_S2_S2_E1A@rel32@hi+16
	s_add_u32 s26, s26, s22
	s_addc_u32 s27, s27, s23
	s_load_dword s28, s[26:27], 0x0
	v_rcp_f32_e32 v13, v11
	v_fma_f32 v14, -v11, v13, 1.0
	v_fmac_f32_e32 v13, v14, v13
	v_mul_f32_e32 v14, v12, v13
	v_fma_f32 v15, -v11, v14, v12
	v_fmac_f32_e32 v14, v15, v13
	v_fma_f32 v11, -v11, v14, v12
	v_div_fmas_f32 v12, v11, v13, v14
	v_add_f32_e32 v13, v8, v5
	v_add_f32_e32 v11, 1.0, v8
	v_mul_f32_e32 v8, v13, v10
	v_add_f32_e32 v10, v11, v5
	v_mul_f32_e32 v13, v8, v10
	v_div_fixup_f32 v10, v12, v2, v9
	v_mul_f32_e32 v8, v10, v13
	s_waitcnt lgkmcnt(0)
	v_div_scale_f32 v9, s[26:27], s28, s28, v8
	v_div_scale_f32 v12, vcc, v8, s28, v8
	v_rcp_f32_e32 v14, v9
	v_fma_f32 v15, -v9, v14, 1.0
	v_fmac_f32_e32 v14, v15, v14
	v_mul_f32_e32 v15, v12, v14
	v_fma_f32 v16, -v9, v15, v12
	v_fmac_f32_e32 v15, v16, v14
	v_fma_f32 v9, -v9, v15, v12
	v_div_fmas_f32 v9, v9, v14, v15
	v_div_fixup_f32 v8, v9, s28, v8
	v_add_f32_e32 v7, v7, v8
	v_div_scale_f32 v9, s[26:27], v7, v7, v8
	v_div_scale_f32 v12, vcc, v8, v7, v8
	s_mov_b64 s[28:29], -1
	v_rcp_f32_e32 v14, v9
	v_fma_f32 v15, -v9, v14, 1.0
	v_fmac_f32_e32 v14, v15, v14
	v_mul_f32_e32 v15, v12, v14
	v_fma_f32 v16, -v9, v15, v12
	v_fmac_f32_e32 v15, v16, v14
	v_fma_f32 v9, -v9, v15, v12
	v_div_fmas_f32 v9, v9, v14, v15
                                        ; implicit-def: $vgpr12
	v_div_fixup_f32 v8, v9, v7, v8
	v_cmp_nlt_f32_e64 s[44:45], |v8|, s43
                                        ; implicit-def: $vgpr8
                                        ; implicit-def: $vgpr9
	s_and_saveexec_b64 s[26:27], s[44:45]
	s_cbranch_execz .LBB111_51
; %bb.55:                               ;   in Loop: Header=BB111_53 Depth=1
	v_div_scale_f32 v8, s[28:29], v2, v2, v10
	v_div_scale_f32 v9, vcc, v10, v2, v10
	s_add_u32 s22, s22, 8
	s_addc_u32 s23, s23, 0
	s_cmp_eq_u32 s22, 48
	s_cselect_b64 s[28:29], -1, 0
	s_xor_b64 s[40:41], exec, -1
	s_orn2_b64 s[28:29], s[28:29], exec
	v_rcp_f32_e32 v12, v8
	v_fma_f32 v14, -v8, v12, 1.0
	v_fmac_f32_e32 v12, v14, v12
	v_mul_f32_e32 v14, v9, v12
	v_fma_f32 v15, -v8, v14, v9
	v_fmac_f32_e32 v14, v15, v12
	v_fma_f32 v8, -v8, v14, v9
	v_div_fmas_f32 v12, v8, v12, v14
	v_add_f32_e32 v8, 1.0, v11
	v_add_f32_e32 v9, v8, v5
	v_add_f32_e32 v8, 1.0, v8
	v_mul_f32_e32 v9, v9, v13
	v_div_fixup_f32 v12, v12, v2, v10
	s_branch .LBB111_51
.LBB111_56:
	s_or_b64 exec, exec, s[8:9]
	s_xor_b64 s[8:9], s[10:11], -1
                                        ; implicit-def: $vgpr8
	s_and_saveexec_b64 s[10:11], s[8:9]
	s_xor_b64 s[8:9], exec, s[10:11]
; %bb.57:
	v_bfe_u32 v2, v7, 16, 1
	s_movk_i32 s10, 0x7fff
	v_add3_u32 v2, v7, v2, s10
	v_and_b32_e32 v2, 0xffff0000, v2
	v_mov_b32_e32 v5, 0x7fc00000
	v_cmp_o_f32_e32 vcc, v7, v7
	v_cndmask_b32_e32 v8, v5, v2, vcc
; %bb.58:
	s_andn2_saveexec_b64 s[8:9], s[8:9]
; %bb.59:
	v_bfe_u32 v2, v7, 16, 1
	s_movk_i32 s10, 0x7fff
	v_add3_u32 v2, v7, v2, s10
	v_and_b32_e32 v2, 0xffff0000, v2
	v_mov_b32_e32 v5, 0x7fc00000
	v_cmp_o_f32_e32 vcc, v7, v7
	v_cndmask_b32_e32 v8, v5, v2, vcc
; %bb.60:
	s_or_b64 exec, exec, s[8:9]
.LBB111_61:
	s_andn2_saveexec_b64 s[6:7], s[6:7]
; %bb.62:
	v_bfe_u32 v2, v6, 16, 1
	s_movk_i32 s8, 0x7fff
	v_add3_u32 v2, v6, v2, s8
	v_and_b32_e32 v2, 0xffff0000, v2
	v_mov_b32_e32 v5, 0x7fc00000
	v_cmp_o_f32_e32 vcc, v6, v6
	v_cndmask_b32_e32 v8, v5, v2, vcc
; %bb.63:
	s_or_b64 exec, exec, s[6:7]
.LBB111_64:
	s_or_b64 exec, exec, s[16:17]
.LBB111_65:
	s_or_b64 exec, exec, s[14:15]
.LBB111_66:
	s_or_b64 exec, exec, s[12:13]
	s_mov_b32 s6, 0x4b000000
	v_cmp_lt_f32_e64 s[6:7], |v1|, s6
	v_mov_b32_e32 v2, 0x264
	s_or_b64 vcc, s[4:5], s[6:7]
	v_cndmask_b32_e32 v3, v4, v3, vcc
	v_cmp_class_f32_e32 vcc, v1, v2
	v_cndmask_b32_e32 v2, v3, v4, vcc
	v_cmp_u_f32_e32 vcc, v1, v1
	v_cndmask_b32_e32 v1, v2, v1, vcc
	s_mov_b32 s4, 0x3fb8aa3b
	v_mul_f32_e32 v2, 0x3fb8aa3b, v1
	v_fma_f32 v3, v1, s4, -v2
	v_rndne_f32_e32 v5, v2
	v_fmac_f32_e32 v3, 0x32a5705f, v1
	v_sub_f32_e32 v2, v2, v5
	v_add_f32_e32 v2, v2, v3
	v_exp_f32_e32 v2, v2
	v_cvt_i32_f32_e32 v3, v5
	s_mov_b32 s4, 0xc2ce8ed0
	v_cmp_ngt_f32_e32 vcc, s4, v1
	s_mov_b32 s4, 0x42b17218
	v_ldexp_f32 v2, v2, v3
	v_cndmask_b32_e32 v2, 0, v2, vcc
	v_cmp_nlt_f32_e32 vcc, s4, v1
	v_and_b32_e32 v0, 1, v0
	v_cndmask_b32_e32 v1, v4, v2, vcc
	v_cmp_eq_u32_e32 vcc, 0, v0
	v_cndmask_b32_e64 v0, 1.0, -1.0, vcc
	v_mul_f32_e32 v0, v1, v0
	v_mul_f32_e32 v0, v0, v8
	v_bfe_u32 v1, v0, 16, 1
	v_add3_u32 v1, v0, v1, s42
	v_cmp_o_f32_e32 vcc, v0, v0
	v_mov_b32_e32 v0, 0x7fc0
	v_cndmask_b32_sdwa v0, v0, v1, vcc dst_sel:DWORD dst_unused:UNUSED_PAD src0_sel:DWORD src1_sel:WORD_1
	s_setpc_b64 s[30:31]
.Lfunc_end111:
	.size	_ZN3c104guts5applyIRZZZN2at6native21polygamma_kernel_cudaERNS2_18TensorIteratorBaseElENKUlvE_clEvENKUlvE2_clEvEUlNS_8BFloat16EE_RSt5tupleIJS8_EEEEDaOT_OT0_, .Lfunc_end111-_ZN3c104guts5applyIRZZZN2at6native21polygamma_kernel_cudaERNS2_18TensorIteratorBaseElENKUlvE_clEvENKUlvE2_clEvEUlNS_8BFloat16EE_RSt5tupleIJS8_EEEEDaOT_OT0_
                                        ; -- End function
	.set .L_ZN3c104guts5applyIRZZZN2at6native21polygamma_kernel_cudaERNS2_18TensorIteratorBaseElENKUlvE_clEvENKUlvE2_clEvEUlNS_8BFloat16EE_RSt5tupleIJS8_EEEEDaOT_OT0_.num_vgpr, 22
	.set .L_ZN3c104guts5applyIRZZZN2at6native21polygamma_kernel_cudaERNS2_18TensorIteratorBaseElENKUlvE_clEvENKUlvE2_clEvEUlNS_8BFloat16EE_RSt5tupleIJS8_EEEEDaOT_OT0_.num_agpr, 0
	.set .L_ZN3c104guts5applyIRZZZN2at6native21polygamma_kernel_cudaERNS2_18TensorIteratorBaseElENKUlvE_clEvENKUlvE2_clEvEUlNS_8BFloat16EE_RSt5tupleIJS8_EEEEDaOT_OT0_.numbered_sgpr, 48
	.set .L_ZN3c104guts5applyIRZZZN2at6native21polygamma_kernel_cudaERNS2_18TensorIteratorBaseElENKUlvE_clEvENKUlvE2_clEvEUlNS_8BFloat16EE_RSt5tupleIJS8_EEEEDaOT_OT0_.num_named_barrier, 0
	.set .L_ZN3c104guts5applyIRZZZN2at6native21polygamma_kernel_cudaERNS2_18TensorIteratorBaseElENKUlvE_clEvENKUlvE2_clEvEUlNS_8BFloat16EE_RSt5tupleIJS8_EEEEDaOT_OT0_.private_seg_size, 0
	.set .L_ZN3c104guts5applyIRZZZN2at6native21polygamma_kernel_cudaERNS2_18TensorIteratorBaseElENKUlvE_clEvENKUlvE2_clEvEUlNS_8BFloat16EE_RSt5tupleIJS8_EEEEDaOT_OT0_.uses_vcc, 1
	.set .L_ZN3c104guts5applyIRZZZN2at6native21polygamma_kernel_cudaERNS2_18TensorIteratorBaseElENKUlvE_clEvENKUlvE2_clEvEUlNS_8BFloat16EE_RSt5tupleIJS8_EEEEDaOT_OT0_.uses_flat_scratch, 0
	.set .L_ZN3c104guts5applyIRZZZN2at6native21polygamma_kernel_cudaERNS2_18TensorIteratorBaseElENKUlvE_clEvENKUlvE2_clEvEUlNS_8BFloat16EE_RSt5tupleIJS8_EEEEDaOT_OT0_.has_dyn_sized_stack, 0
	.set .L_ZN3c104guts5applyIRZZZN2at6native21polygamma_kernel_cudaERNS2_18TensorIteratorBaseElENKUlvE_clEvENKUlvE2_clEvEUlNS_8BFloat16EE_RSt5tupleIJS8_EEEEDaOT_OT0_.has_recursion, 0
	.set .L_ZN3c104guts5applyIRZZZN2at6native21polygamma_kernel_cudaERNS2_18TensorIteratorBaseElENKUlvE_clEvENKUlvE2_clEvEUlNS_8BFloat16EE_RSt5tupleIJS8_EEEEDaOT_OT0_.has_indirect_call, 0
	.section	.AMDGPU.csdata,"",@progbits
; Function info:
; codeLenInByte = 6072
; TotalNumSgprs: 52
; NumVgprs: 22
; ScratchSize: 0
; MemoryBound: 0
	.section	.text._ZN2at6native29vectorized_elementwise_kernelILi16EZZZNS0_21polygamma_kernel_cudaERNS_18TensorIteratorBaseElENKUlvE_clEvENKUlvE2_clEvEUlN3c108BFloat16EE_St5arrayIPcLm2EEEEviT0_T1_,"axG",@progbits,_ZN2at6native29vectorized_elementwise_kernelILi16EZZZNS0_21polygamma_kernel_cudaERNS_18TensorIteratorBaseElENKUlvE_clEvENKUlvE2_clEvEUlN3c108BFloat16EE_St5arrayIPcLm2EEEEviT0_T1_,comdat
	.globl	_ZN2at6native29vectorized_elementwise_kernelILi16EZZZNS0_21polygamma_kernel_cudaERNS_18TensorIteratorBaseElENKUlvE_clEvENKUlvE2_clEvEUlN3c108BFloat16EE_St5arrayIPcLm2EEEEviT0_T1_ ; -- Begin function _ZN2at6native29vectorized_elementwise_kernelILi16EZZZNS0_21polygamma_kernel_cudaERNS_18TensorIteratorBaseElENKUlvE_clEvENKUlvE2_clEvEUlN3c108BFloat16EE_St5arrayIPcLm2EEEEviT0_T1_
	.p2align	8
	.type	_ZN2at6native29vectorized_elementwise_kernelILi16EZZZNS0_21polygamma_kernel_cudaERNS_18TensorIteratorBaseElENKUlvE_clEvENKUlvE2_clEvEUlN3c108BFloat16EE_St5arrayIPcLm2EEEEviT0_T1_,@function
_ZN2at6native29vectorized_elementwise_kernelILi16EZZZNS0_21polygamma_kernel_cudaERNS_18TensorIteratorBaseElENKUlvE_clEvENKUlvE2_clEvEUlN3c108BFloat16EE_St5arrayIPcLm2EEEEviT0_T1_: ; @_ZN2at6native29vectorized_elementwise_kernelILi16EZZZNS0_21polygamma_kernel_cudaERNS_18TensorIteratorBaseElENKUlvE_clEvENKUlvE2_clEvEUlN3c108BFloat16EE_St5arrayIPcLm2EEEEviT0_T1_
; %bb.0:
	s_add_u32 s0, s0, s7
	s_load_dword s7, s[4:5], 0x0
	s_load_dwordx4 s[36:39], s[4:5], 0x8
	s_load_dwordx2 s[50:51], s[4:5], 0x18
	s_addc_u32 s1, s1, 0
	s_lshl_b32 s48, s6, 11
	s_waitcnt lgkmcnt(0)
	s_sub_i32 s33, s7, s48
	v_mov_b32_e32 v22, v0
	s_cmpk_gt_i32 s33, 0x7ff
	s_mov_b64 s[4:5], -1
	s_mov_b32 s32, 0
	s_cbranch_scc0 .LBB112_2
; %bb.1:
	s_ashr_i32 s49, s48, 31
	s_lshl_b64 s[34:35], s[48:49], 1
	s_add_u32 s4, s50, s34
	s_addc_u32 s5, s51, s35
	v_lshlrev_b32_e32 v31, 4, v22
	global_load_dwordx4 v[23:26], v31, s[4:5]
	s_getpc_b64 s[52:53]
	s_add_u32 s52, s52, _ZN3c104guts5applyIRZZZN2at6native21polygamma_kernel_cudaERNS2_18TensorIteratorBaseElENKUlvE_clEvENKUlvE2_clEvEUlNS_8BFloat16EE_RSt5tupleIJS8_EEEEDaOT_OT0_@rel32@lo+4
	s_addc_u32 s53, s53, _ZN3c104guts5applyIRZZZN2at6native21polygamma_kernel_cudaERNS2_18TensorIteratorBaseElENKUlvE_clEvENKUlvE2_clEvEUlNS_8BFloat16EE_RSt5tupleIJS8_EEEEDaOT_OT0_@rel32@hi+12
	v_mov_b32_e32 v0, s36
	v_mov_b32_e32 v1, s37
	s_waitcnt vmcnt(0)
	v_mov_b32_e32 v2, v23
	v_lshrrev_b32_e32 v27, 16, v23
	v_lshrrev_b32_e32 v28, 16, v24
	;; [unrolled: 1-line block ×4, first 2 shown]
	s_swappc_b64 s[30:31], s[52:53]
	v_mov_b32_e32 v23, v0
	v_mov_b32_e32 v0, s36
	v_mov_b32_e32 v1, s37
	v_mov_b32_e32 v2, v27
	s_swappc_b64 s[30:31], s[52:53]
	v_mov_b32_e32 v27, v0
	v_mov_b32_e32 v0, s36
	v_mov_b32_e32 v1, s37
	v_mov_b32_e32 v2, v24
	s_swappc_b64 s[30:31], s[52:53]
	v_mov_b32_e32 v24, v0
	v_mov_b32_e32 v0, s36
	v_mov_b32_e32 v1, s37
	v_mov_b32_e32 v2, v28
	s_swappc_b64 s[30:31], s[52:53]
	v_mov_b32_e32 v28, v0
	v_mov_b32_e32 v0, s36
	v_mov_b32_e32 v1, s37
	v_mov_b32_e32 v2, v25
	s_swappc_b64 s[30:31], s[52:53]
	v_mov_b32_e32 v25, v0
	v_mov_b32_e32 v0, s36
	v_mov_b32_e32 v1, s37
	v_mov_b32_e32 v2, v29
	s_swappc_b64 s[30:31], s[52:53]
	v_mov_b32_e32 v29, v0
	v_mov_b32_e32 v0, s36
	v_mov_b32_e32 v1, s37
	v_mov_b32_e32 v2, v26
	s_swappc_b64 s[30:31], s[52:53]
	v_mov_b32_e32 v26, v0
	v_mov_b32_e32 v0, s36
	v_mov_b32_e32 v1, s37
	v_mov_b32_e32 v2, v30
	s_swappc_b64 s[30:31], s[52:53]
	s_add_u32 s4, s38, s34
	s_mov_b32 s6, 0x5040100
	s_addc_u32 s5, s39, s35
	v_perm_b32 v1, v27, v23, s6
	v_perm_b32 v2, v28, v24, s6
	v_perm_b32 v3, v29, v25, s6
	v_perm_b32 v4, v0, v26, s6
	global_store_dwordx4 v31, v[1:4], s[4:5]
	s_mov_b64 s[4:5], 0
.LBB112_2:
	s_andn2_b64 vcc, exec, s[4:5]
	s_cbranch_vccnz .LBB112_41
; %bb.3:
	v_cmp_gt_i32_e64 s[34:35], s33, v22
	v_mov_b32_e32 v23, 0
	v_or_b32_e32 v32, s48, v22
	v_mov_b32_e32 v2, 0
	v_mov_b32_e32 v0, v22
	s_and_saveexec_b64 s[4:5], s[34:35]
	s_cbranch_execz .LBB112_5
; %bb.4:
	v_mov_b32_e32 v33, 0
	v_lshlrev_b64 v[0:1], 1, v[32:33]
	v_mov_b32_e32 v2, s51
	v_add_co_u32_e32 v0, vcc, s50, v0
	v_addc_co_u32_e32 v1, vcc, v2, v1, vcc
	global_load_ushort v2, v[0:1], off
	v_or_b32_e32 v0, 0x100, v22
.LBB112_5:
	s_or_b64 exec, exec, s[4:5]
	v_cmp_gt_i32_e32 vcc, s33, v0
	s_and_saveexec_b64 s[4:5], vcc
	s_cbranch_execz .LBB112_7
; %bb.6:
	v_add_u32_e32 v3, s48, v0
	v_mov_b32_e32 v4, 0
	v_lshlrev_b64 v[3:4], 1, v[3:4]
	v_mov_b32_e32 v1, s51
	v_add_co_u32_e32 v3, vcc, s50, v3
	v_addc_co_u32_e32 v4, vcc, v1, v4, vcc
	global_load_ushort v23, v[3:4], off
	v_add_u32_e32 v0, 0x100, v0
.LBB112_7:
	s_or_b64 exec, exec, s[4:5]
	v_cmp_gt_i32_e32 vcc, s33, v0
	v_mov_b32_e32 v24, 0
	v_mov_b32_e32 v27, 0
	s_and_saveexec_b64 s[4:5], vcc
	s_cbranch_execz .LBB112_9
; %bb.8:
	v_add_u32_e32 v3, s48, v0
	v_mov_b32_e32 v4, 0
	v_lshlrev_b64 v[3:4], 1, v[3:4]
	v_mov_b32_e32 v1, s51
	v_add_co_u32_e32 v3, vcc, s50, v3
	v_addc_co_u32_e32 v4, vcc, v1, v4, vcc
	global_load_ushort v27, v[3:4], off
	v_add_u32_e32 v0, 0x100, v0
.LBB112_9:
	s_or_b64 exec, exec, s[4:5]
	v_cmp_gt_i32_e32 vcc, s33, v0
	s_and_saveexec_b64 s[4:5], vcc
	s_cbranch_execz .LBB112_11
; %bb.10:
	v_add_u32_e32 v3, s48, v0
	v_mov_b32_e32 v4, 0
	v_lshlrev_b64 v[3:4], 1, v[3:4]
	v_mov_b32_e32 v1, s51
	v_add_co_u32_e32 v3, vcc, s50, v3
	v_addc_co_u32_e32 v4, vcc, v1, v4, vcc
	global_load_ushort v24, v[3:4], off
	v_add_u32_e32 v0, 0x100, v0
.LBB112_11:
	s_or_b64 exec, exec, s[4:5]
	v_cmp_gt_i32_e32 vcc, s33, v0
	v_mov_b32_e32 v25, 0
	v_mov_b32_e32 v28, 0
	s_and_saveexec_b64 s[4:5], vcc
	s_cbranch_execz .LBB112_13
; %bb.12:
	v_add_u32_e32 v3, s48, v0
	v_mov_b32_e32 v4, 0
	v_lshlrev_b64 v[3:4], 1, v[3:4]
	v_mov_b32_e32 v1, s51
	v_add_co_u32_e32 v3, vcc, s50, v3
	v_addc_co_u32_e32 v4, vcc, v1, v4, vcc
	global_load_ushort v28, v[3:4], off
	v_add_u32_e32 v0, 0x100, v0
.LBB112_13:
	s_or_b64 exec, exec, s[4:5]
	v_cmp_gt_i32_e32 vcc, s33, v0
	s_and_saveexec_b64 s[4:5], vcc
	s_cbranch_execz .LBB112_15
; %bb.14:
	v_add_u32_e32 v3, s48, v0
	v_mov_b32_e32 v4, 0
	v_lshlrev_b64 v[3:4], 1, v[3:4]
	v_mov_b32_e32 v1, s51
	v_add_co_u32_e32 v3, vcc, s50, v3
	v_addc_co_u32_e32 v4, vcc, v1, v4, vcc
	global_load_ushort v25, v[3:4], off
	v_add_u32_e32 v0, 0x100, v0
.LBB112_15:
	s_or_b64 exec, exec, s[4:5]
	v_cmp_gt_i32_e32 vcc, s33, v0
	v_mov_b32_e32 v26, 0
	v_mov_b32_e32 v31, 0
	s_and_saveexec_b64 s[4:5], vcc
	s_cbranch_execnz .LBB112_42
; %bb.16:
	s_or_b64 exec, exec, s[4:5]
	v_cmp_gt_i32_e32 vcc, s33, v0
	s_and_saveexec_b64 s[4:5], vcc
	s_cbranch_execnz .LBB112_43
.LBB112_17:
	s_or_b64 exec, exec, s[4:5]
                                        ; implicit-def: $vgpr29
	s_and_saveexec_b64 s[50:51], s[34:35]
	s_cbranch_execz .LBB112_19
.LBB112_18:
	s_getpc_b64 s[4:5]
	s_add_u32 s4, s4, _ZN3c104guts5applyIRZZZN2at6native21polygamma_kernel_cudaERNS2_18TensorIteratorBaseElENKUlvE_clEvENKUlvE2_clEvEUlNS_8BFloat16EE_RSt5tupleIJS8_EEEEDaOT_OT0_@rel32@lo+4
	s_addc_u32 s5, s5, _ZN3c104guts5applyIRZZZN2at6native21polygamma_kernel_cudaERNS2_18TensorIteratorBaseElENKUlvE_clEvENKUlvE2_clEvEUlNS_8BFloat16EE_RSt5tupleIJS8_EEEEDaOT_OT0_@rel32@hi+12
	v_mov_b32_e32 v0, s36
	v_mov_b32_e32 v1, s37
	s_swappc_b64 s[30:31], s[4:5]
	v_mov_b32_e32 v29, v0
.LBB112_19:
	s_or_b64 exec, exec, s[50:51]
	v_or_b32_e32 v34, 0x100, v22
	v_cmp_gt_i32_e32 vcc, s33, v34
                                        ; implicit-def: $vgpr30
	s_and_saveexec_b64 s[50:51], vcc
	s_cbranch_execz .LBB112_21
; %bb.20:
	s_getpc_b64 s[4:5]
	s_add_u32 s4, s4, _ZN3c104guts5applyIRZZZN2at6native21polygamma_kernel_cudaERNS2_18TensorIteratorBaseElENKUlvE_clEvENKUlvE2_clEvEUlNS_8BFloat16EE_RSt5tupleIJS8_EEEEDaOT_OT0_@rel32@lo+4
	s_addc_u32 s5, s5, _ZN3c104guts5applyIRZZZN2at6native21polygamma_kernel_cudaERNS2_18TensorIteratorBaseElENKUlvE_clEvENKUlvE2_clEvEUlNS_8BFloat16EE_RSt5tupleIJS8_EEEEDaOT_OT0_@rel32@hi+12
	v_mov_b32_e32 v0, s36
	v_mov_b32_e32 v1, s37
	s_waitcnt vmcnt(0)
	v_mov_b32_e32 v2, v23
	s_swappc_b64 s[30:31], s[4:5]
	v_mov_b32_e32 v30, v0
.LBB112_21:
	s_or_b64 exec, exec, s[50:51]
	v_or_b32_e32 v0, 0x200, v22
	v_cmp_gt_i32_e32 vcc, s33, v0
                                        ; implicit-def: $vgpr23
	s_and_saveexec_b64 s[50:51], vcc
	s_cbranch_execz .LBB112_23
; %bb.22:
	s_getpc_b64 s[4:5]
	s_add_u32 s4, s4, _ZN3c104guts5applyIRZZZN2at6native21polygamma_kernel_cudaERNS2_18TensorIteratorBaseElENKUlvE_clEvENKUlvE2_clEvEUlNS_8BFloat16EE_RSt5tupleIJS8_EEEEDaOT_OT0_@rel32@lo+4
	s_addc_u32 s5, s5, _ZN3c104guts5applyIRZZZN2at6native21polygamma_kernel_cudaERNS2_18TensorIteratorBaseElENKUlvE_clEvENKUlvE2_clEvEUlNS_8BFloat16EE_RSt5tupleIJS8_EEEEDaOT_OT0_@rel32@hi+12
	v_mov_b32_e32 v0, s36
	v_mov_b32_e32 v1, s37
	s_waitcnt vmcnt(0)
	v_mov_b32_e32 v2, v27
	s_swappc_b64 s[30:31], s[4:5]
	v_mov_b32_e32 v23, v0
.LBB112_23:
	s_or_b64 exec, exec, s[50:51]
	v_or_b32_e32 v0, 0x300, v22
	v_cmp_gt_i32_e32 vcc, s33, v0
                                        ; implicit-def: $vgpr27
	s_and_saveexec_b64 s[50:51], vcc
	s_cbranch_execz .LBB112_25
; %bb.24:
	s_getpc_b64 s[4:5]
	s_add_u32 s4, s4, _ZN3c104guts5applyIRZZZN2at6native21polygamma_kernel_cudaERNS2_18TensorIteratorBaseElENKUlvE_clEvENKUlvE2_clEvEUlNS_8BFloat16EE_RSt5tupleIJS8_EEEEDaOT_OT0_@rel32@lo+4
	s_addc_u32 s5, s5, _ZN3c104guts5applyIRZZZN2at6native21polygamma_kernel_cudaERNS2_18TensorIteratorBaseElENKUlvE_clEvENKUlvE2_clEvEUlNS_8BFloat16EE_RSt5tupleIJS8_EEEEDaOT_OT0_@rel32@hi+12
	v_mov_b32_e32 v0, s36
	v_mov_b32_e32 v1, s37
	s_waitcnt vmcnt(0)
	v_mov_b32_e32 v2, v24
	s_swappc_b64 s[30:31], s[4:5]
	v_mov_b32_e32 v27, v0
.LBB112_25:
	s_or_b64 exec, exec, s[50:51]
	v_or_b32_e32 v0, 0x400, v22
	v_cmp_gt_i32_e32 vcc, s33, v0
                                        ; implicit-def: $vgpr24
	s_and_saveexec_b64 s[50:51], vcc
	s_cbranch_execz .LBB112_27
; %bb.26:
	s_getpc_b64 s[4:5]
	s_add_u32 s4, s4, _ZN3c104guts5applyIRZZZN2at6native21polygamma_kernel_cudaERNS2_18TensorIteratorBaseElENKUlvE_clEvENKUlvE2_clEvEUlNS_8BFloat16EE_RSt5tupleIJS8_EEEEDaOT_OT0_@rel32@lo+4
	s_addc_u32 s5, s5, _ZN3c104guts5applyIRZZZN2at6native21polygamma_kernel_cudaERNS2_18TensorIteratorBaseElENKUlvE_clEvENKUlvE2_clEvEUlNS_8BFloat16EE_RSt5tupleIJS8_EEEEDaOT_OT0_@rel32@hi+12
	v_mov_b32_e32 v0, s36
	v_mov_b32_e32 v1, s37
	s_waitcnt vmcnt(0)
	v_mov_b32_e32 v2, v28
	s_swappc_b64 s[30:31], s[4:5]
	v_mov_b32_e32 v24, v0
.LBB112_27:
	s_or_b64 exec, exec, s[50:51]
	v_or_b32_e32 v0, 0x500, v22
	v_cmp_gt_i32_e32 vcc, s33, v0
                                        ; implicit-def: $vgpr28
	s_and_saveexec_b64 s[50:51], vcc
	s_cbranch_execz .LBB112_29
; %bb.28:
	s_getpc_b64 s[4:5]
	s_add_u32 s4, s4, _ZN3c104guts5applyIRZZZN2at6native21polygamma_kernel_cudaERNS2_18TensorIteratorBaseElENKUlvE_clEvENKUlvE2_clEvEUlNS_8BFloat16EE_RSt5tupleIJS8_EEEEDaOT_OT0_@rel32@lo+4
	s_addc_u32 s5, s5, _ZN3c104guts5applyIRZZZN2at6native21polygamma_kernel_cudaERNS2_18TensorIteratorBaseElENKUlvE_clEvENKUlvE2_clEvEUlNS_8BFloat16EE_RSt5tupleIJS8_EEEEDaOT_OT0_@rel32@hi+12
	v_mov_b32_e32 v0, s36
	v_mov_b32_e32 v1, s37
	s_waitcnt vmcnt(0)
	v_mov_b32_e32 v2, v25
	s_swappc_b64 s[30:31], s[4:5]
	v_mov_b32_e32 v28, v0
.LBB112_29:
	s_or_b64 exec, exec, s[50:51]
	v_or_b32_e32 v0, 0x600, v22
	v_cmp_gt_i32_e32 vcc, s33, v0
                                        ; implicit-def: $vgpr25
	s_and_saveexec_b64 s[50:51], vcc
	s_cbranch_execz .LBB112_31
; %bb.30:
	s_getpc_b64 s[4:5]
	s_add_u32 s4, s4, _ZN3c104guts5applyIRZZZN2at6native21polygamma_kernel_cudaERNS2_18TensorIteratorBaseElENKUlvE_clEvENKUlvE2_clEvEUlNS_8BFloat16EE_RSt5tupleIJS8_EEEEDaOT_OT0_@rel32@lo+4
	s_addc_u32 s5, s5, _ZN3c104guts5applyIRZZZN2at6native21polygamma_kernel_cudaERNS2_18TensorIteratorBaseElENKUlvE_clEvENKUlvE2_clEvEUlNS_8BFloat16EE_RSt5tupleIJS8_EEEEDaOT_OT0_@rel32@hi+12
	v_mov_b32_e32 v0, s36
	v_mov_b32_e32 v1, s37
	s_waitcnt vmcnt(0)
	v_mov_b32_e32 v2, v31
	s_swappc_b64 s[30:31], s[4:5]
	v_mov_b32_e32 v25, v0
.LBB112_31:
	s_or_b64 exec, exec, s[50:51]
	v_or_b32_e32 v0, 0x700, v22
	v_cmp_gt_i32_e32 vcc, s33, v0
                                        ; implicit-def: $vgpr0
	s_and_saveexec_b64 s[50:51], vcc
	s_cbranch_execnz .LBB112_44
; %bb.32:
	s_or_b64 exec, exec, s[50:51]
	s_and_saveexec_b64 s[4:5], s[34:35]
	s_xor_b64 s[4:5], exec, s[4:5]
	s_cbranch_execnz .LBB112_45
.LBB112_33:
	s_or_b64 exec, exec, s[4:5]
	v_cmp_gt_i32_e32 vcc, s33, v22
	s_and_saveexec_b64 s[4:5], vcc
	s_cbranch_execnz .LBB112_46
.LBB112_34:
	s_or_b64 exec, exec, s[4:5]
	v_cmp_gt_i32_e32 vcc, s33, v22
	s_and_saveexec_b64 s[4:5], vcc
	s_cbranch_execnz .LBB112_47
.LBB112_35:
	s_or_b64 exec, exec, s[4:5]
	v_cmp_gt_i32_e32 vcc, s33, v22
	s_and_saveexec_b64 s[4:5], vcc
	s_cbranch_execnz .LBB112_48
.LBB112_36:
	s_or_b64 exec, exec, s[4:5]
	v_cmp_gt_i32_e32 vcc, s33, v22
	s_and_saveexec_b64 s[4:5], vcc
	s_cbranch_execnz .LBB112_49
.LBB112_37:
	s_or_b64 exec, exec, s[4:5]
	v_cmp_gt_i32_e32 vcc, s33, v22
	s_and_saveexec_b64 s[4:5], vcc
	s_cbranch_execnz .LBB112_50
.LBB112_38:
	s_or_b64 exec, exec, s[4:5]
	v_cmp_gt_i32_e32 vcc, s33, v22
	s_and_saveexec_b64 s[4:5], vcc
	s_cbranch_execnz .LBB112_51
.LBB112_39:
	s_or_b64 exec, exec, s[4:5]
	v_cmp_gt_i32_e32 vcc, s33, v22
	s_and_saveexec_b64 s[4:5], vcc
	s_cbranch_execz .LBB112_41
.LBB112_40:
	v_add_u32_e32 v1, s48, v22
	s_waitcnt vmcnt(0)
	v_mov_b32_e32 v2, 0
	v_lshlrev_b64 v[1:2], 1, v[1:2]
	v_mov_b32_e32 v3, s39
	v_add_co_u32_e32 v1, vcc, s38, v1
	v_addc_co_u32_e32 v2, vcc, v3, v2, vcc
	global_store_short v[1:2], v0, off
.LBB112_41:
	s_endpgm
.LBB112_42:
	v_add_u32_e32 v3, s48, v0
	v_mov_b32_e32 v4, 0
	v_lshlrev_b64 v[3:4], 1, v[3:4]
	v_mov_b32_e32 v1, s51
	v_add_co_u32_e32 v3, vcc, s50, v3
	v_addc_co_u32_e32 v4, vcc, v1, v4, vcc
	global_load_ushort v31, v[3:4], off
	v_add_u32_e32 v0, 0x100, v0
	s_or_b64 exec, exec, s[4:5]
	v_cmp_gt_i32_e32 vcc, s33, v0
	s_and_saveexec_b64 s[4:5], vcc
	s_cbranch_execz .LBB112_17
.LBB112_43:
	v_add_u32_e32 v0, s48, v0
	v_mov_b32_e32 v1, 0
	v_lshlrev_b64 v[0:1], 1, v[0:1]
	v_mov_b32_e32 v3, s51
	v_add_co_u32_e32 v0, vcc, s50, v0
	v_addc_co_u32_e32 v1, vcc, v3, v1, vcc
	global_load_ushort v26, v[0:1], off
	s_or_b64 exec, exec, s[4:5]
                                        ; implicit-def: $vgpr29
	s_and_saveexec_b64 s[50:51], s[34:35]
	s_cbranch_execnz .LBB112_18
	s_branch .LBB112_19
.LBB112_44:
	s_getpc_b64 s[4:5]
	s_add_u32 s4, s4, _ZN3c104guts5applyIRZZZN2at6native21polygamma_kernel_cudaERNS2_18TensorIteratorBaseElENKUlvE_clEvENKUlvE2_clEvEUlNS_8BFloat16EE_RSt5tupleIJS8_EEEEDaOT_OT0_@rel32@lo+4
	s_addc_u32 s5, s5, _ZN3c104guts5applyIRZZZN2at6native21polygamma_kernel_cudaERNS2_18TensorIteratorBaseElENKUlvE_clEvENKUlvE2_clEvEUlNS_8BFloat16EE_RSt5tupleIJS8_EEEEDaOT_OT0_@rel32@hi+12
	v_mov_b32_e32 v0, s36
	v_mov_b32_e32 v1, s37
	s_waitcnt vmcnt(0)
	v_mov_b32_e32 v2, v26
	s_swappc_b64 s[30:31], s[4:5]
	s_or_b64 exec, exec, s[50:51]
	s_and_saveexec_b64 s[4:5], s[34:35]
	s_xor_b64 s[4:5], exec, s[4:5]
	s_cbranch_execz .LBB112_33
.LBB112_45:
	v_mov_b32_e32 v33, 0
	s_waitcnt vmcnt(0)
	v_lshlrev_b64 v[1:2], 1, v[32:33]
	v_mov_b32_e32 v3, s39
	v_add_co_u32_e32 v1, vcc, s38, v1
	v_addc_co_u32_e32 v2, vcc, v3, v2, vcc
	v_mov_b32_e32 v22, v34
	global_store_short v[1:2], v29, off
	s_or_b64 exec, exec, s[4:5]
	v_cmp_gt_i32_e32 vcc, s33, v22
	s_and_saveexec_b64 s[4:5], vcc
	s_cbranch_execz .LBB112_34
.LBB112_46:
	v_add_u32_e32 v1, s48, v22
	s_waitcnt vmcnt(0)
	v_mov_b32_e32 v2, 0
	v_lshlrev_b64 v[1:2], 1, v[1:2]
	v_mov_b32_e32 v3, s39
	v_add_co_u32_e32 v1, vcc, s38, v1
	v_addc_co_u32_e32 v2, vcc, v3, v2, vcc
	v_add_u32_e32 v22, 0x100, v22
	global_store_short v[1:2], v30, off
	s_or_b64 exec, exec, s[4:5]
	v_cmp_gt_i32_e32 vcc, s33, v22
	s_and_saveexec_b64 s[4:5], vcc
	s_cbranch_execz .LBB112_35
.LBB112_47:
	v_add_u32_e32 v1, s48, v22
	s_waitcnt vmcnt(0)
	v_mov_b32_e32 v2, 0
	v_lshlrev_b64 v[1:2], 1, v[1:2]
	v_mov_b32_e32 v3, s39
	v_add_co_u32_e32 v1, vcc, s38, v1
	v_addc_co_u32_e32 v2, vcc, v3, v2, vcc
	v_add_u32_e32 v22, 0x100, v22
	global_store_short v[1:2], v23, off
	s_or_b64 exec, exec, s[4:5]
	v_cmp_gt_i32_e32 vcc, s33, v22
	s_and_saveexec_b64 s[4:5], vcc
	s_cbranch_execz .LBB112_36
.LBB112_48:
	v_add_u32_e32 v1, s48, v22
	s_waitcnt vmcnt(0)
	v_mov_b32_e32 v2, 0
	v_lshlrev_b64 v[1:2], 1, v[1:2]
	v_mov_b32_e32 v3, s39
	v_add_co_u32_e32 v1, vcc, s38, v1
	v_addc_co_u32_e32 v2, vcc, v3, v2, vcc
	v_add_u32_e32 v22, 0x100, v22
	global_store_short v[1:2], v27, off
	s_or_b64 exec, exec, s[4:5]
	v_cmp_gt_i32_e32 vcc, s33, v22
	s_and_saveexec_b64 s[4:5], vcc
	s_cbranch_execz .LBB112_37
.LBB112_49:
	v_add_u32_e32 v1, s48, v22
	s_waitcnt vmcnt(0)
	v_mov_b32_e32 v2, 0
	v_lshlrev_b64 v[1:2], 1, v[1:2]
	v_mov_b32_e32 v3, s39
	v_add_co_u32_e32 v1, vcc, s38, v1
	v_addc_co_u32_e32 v2, vcc, v3, v2, vcc
	v_add_u32_e32 v22, 0x100, v22
	global_store_short v[1:2], v24, off
	s_or_b64 exec, exec, s[4:5]
	v_cmp_gt_i32_e32 vcc, s33, v22
	s_and_saveexec_b64 s[4:5], vcc
	s_cbranch_execz .LBB112_38
.LBB112_50:
	v_add_u32_e32 v1, s48, v22
	s_waitcnt vmcnt(0)
	v_mov_b32_e32 v2, 0
	v_lshlrev_b64 v[1:2], 1, v[1:2]
	v_mov_b32_e32 v3, s39
	v_add_co_u32_e32 v1, vcc, s38, v1
	v_addc_co_u32_e32 v2, vcc, v3, v2, vcc
	v_add_u32_e32 v22, 0x100, v22
	global_store_short v[1:2], v28, off
	s_or_b64 exec, exec, s[4:5]
	v_cmp_gt_i32_e32 vcc, s33, v22
	s_and_saveexec_b64 s[4:5], vcc
	s_cbranch_execz .LBB112_39
.LBB112_51:
	v_add_u32_e32 v1, s48, v22
	s_waitcnt vmcnt(0)
	v_mov_b32_e32 v2, 0
	v_lshlrev_b64 v[1:2], 1, v[1:2]
	v_mov_b32_e32 v3, s39
	v_add_co_u32_e32 v1, vcc, s38, v1
	v_addc_co_u32_e32 v2, vcc, v3, v2, vcc
	v_add_u32_e32 v22, 0x100, v22
	global_store_short v[1:2], v25, off
	s_or_b64 exec, exec, s[4:5]
	v_cmp_gt_i32_e32 vcc, s33, v22
	s_and_saveexec_b64 s[4:5], vcc
	s_cbranch_execnz .LBB112_40
	s_branch .LBB112_41
	.section	.rodata,"a",@progbits
	.p2align	6, 0x0
	.amdhsa_kernel _ZN2at6native29vectorized_elementwise_kernelILi16EZZZNS0_21polygamma_kernel_cudaERNS_18TensorIteratorBaseElENKUlvE_clEvENKUlvE2_clEvEUlN3c108BFloat16EE_St5arrayIPcLm2EEEEviT0_T1_
		.amdhsa_group_segment_fixed_size 0
		.amdhsa_private_segment_fixed_size 0
		.amdhsa_kernarg_size 32
		.amdhsa_user_sgpr_count 6
		.amdhsa_user_sgpr_private_segment_buffer 1
		.amdhsa_user_sgpr_dispatch_ptr 0
		.amdhsa_user_sgpr_queue_ptr 0
		.amdhsa_user_sgpr_kernarg_segment_ptr 1
		.amdhsa_user_sgpr_dispatch_id 0
		.amdhsa_user_sgpr_flat_scratch_init 0
		.amdhsa_user_sgpr_private_segment_size 0
		.amdhsa_uses_dynamic_stack 0
		.amdhsa_system_sgpr_private_segment_wavefront_offset 0
		.amdhsa_system_sgpr_workgroup_id_x 1
		.amdhsa_system_sgpr_workgroup_id_y 0
		.amdhsa_system_sgpr_workgroup_id_z 0
		.amdhsa_system_sgpr_workgroup_info 0
		.amdhsa_system_vgpr_workitem_id 0
		.amdhsa_next_free_vgpr 35
		.amdhsa_next_free_sgpr 54
		.amdhsa_reserve_vcc 1
		.amdhsa_reserve_flat_scratch 0
		.amdhsa_float_round_mode_32 0
		.amdhsa_float_round_mode_16_64 0
		.amdhsa_float_denorm_mode_32 3
		.amdhsa_float_denorm_mode_16_64 3
		.amdhsa_dx10_clamp 1
		.amdhsa_ieee_mode 1
		.amdhsa_fp16_overflow 0
		.amdhsa_exception_fp_ieee_invalid_op 0
		.amdhsa_exception_fp_denorm_src 0
		.amdhsa_exception_fp_ieee_div_zero 0
		.amdhsa_exception_fp_ieee_overflow 0
		.amdhsa_exception_fp_ieee_underflow 0
		.amdhsa_exception_fp_ieee_inexact 0
		.amdhsa_exception_int_div_zero 0
	.end_amdhsa_kernel
	.section	.text._ZN2at6native29vectorized_elementwise_kernelILi16EZZZNS0_21polygamma_kernel_cudaERNS_18TensorIteratorBaseElENKUlvE_clEvENKUlvE2_clEvEUlN3c108BFloat16EE_St5arrayIPcLm2EEEEviT0_T1_,"axG",@progbits,_ZN2at6native29vectorized_elementwise_kernelILi16EZZZNS0_21polygamma_kernel_cudaERNS_18TensorIteratorBaseElENKUlvE_clEvENKUlvE2_clEvEUlN3c108BFloat16EE_St5arrayIPcLm2EEEEviT0_T1_,comdat
.Lfunc_end112:
	.size	_ZN2at6native29vectorized_elementwise_kernelILi16EZZZNS0_21polygamma_kernel_cudaERNS_18TensorIteratorBaseElENKUlvE_clEvENKUlvE2_clEvEUlN3c108BFloat16EE_St5arrayIPcLm2EEEEviT0_T1_, .Lfunc_end112-_ZN2at6native29vectorized_elementwise_kernelILi16EZZZNS0_21polygamma_kernel_cudaERNS_18TensorIteratorBaseElENKUlvE_clEvENKUlvE2_clEvEUlN3c108BFloat16EE_St5arrayIPcLm2EEEEviT0_T1_
                                        ; -- End function
	.set _ZN2at6native29vectorized_elementwise_kernelILi16EZZZNS0_21polygamma_kernel_cudaERNS_18TensorIteratorBaseElENKUlvE_clEvENKUlvE2_clEvEUlN3c108BFloat16EE_St5arrayIPcLm2EEEEviT0_T1_.num_vgpr, max(35, .L_ZN3c104guts5applyIRZZZN2at6native21polygamma_kernel_cudaERNS2_18TensorIteratorBaseElENKUlvE_clEvENKUlvE2_clEvEUlNS_8BFloat16EE_RSt5tupleIJS8_EEEEDaOT_OT0_.num_vgpr)
	.set _ZN2at6native29vectorized_elementwise_kernelILi16EZZZNS0_21polygamma_kernel_cudaERNS_18TensorIteratorBaseElENKUlvE_clEvENKUlvE2_clEvEUlN3c108BFloat16EE_St5arrayIPcLm2EEEEviT0_T1_.num_agpr, max(0, .L_ZN3c104guts5applyIRZZZN2at6native21polygamma_kernel_cudaERNS2_18TensorIteratorBaseElENKUlvE_clEvENKUlvE2_clEvEUlNS_8BFloat16EE_RSt5tupleIJS8_EEEEDaOT_OT0_.num_agpr)
	.set _ZN2at6native29vectorized_elementwise_kernelILi16EZZZNS0_21polygamma_kernel_cudaERNS_18TensorIteratorBaseElENKUlvE_clEvENKUlvE2_clEvEUlN3c108BFloat16EE_St5arrayIPcLm2EEEEviT0_T1_.numbered_sgpr, max(54, .L_ZN3c104guts5applyIRZZZN2at6native21polygamma_kernel_cudaERNS2_18TensorIteratorBaseElENKUlvE_clEvENKUlvE2_clEvEUlNS_8BFloat16EE_RSt5tupleIJS8_EEEEDaOT_OT0_.numbered_sgpr)
	.set _ZN2at6native29vectorized_elementwise_kernelILi16EZZZNS0_21polygamma_kernel_cudaERNS_18TensorIteratorBaseElENKUlvE_clEvENKUlvE2_clEvEUlN3c108BFloat16EE_St5arrayIPcLm2EEEEviT0_T1_.num_named_barrier, max(0, .L_ZN3c104guts5applyIRZZZN2at6native21polygamma_kernel_cudaERNS2_18TensorIteratorBaseElENKUlvE_clEvENKUlvE2_clEvEUlNS_8BFloat16EE_RSt5tupleIJS8_EEEEDaOT_OT0_.num_named_barrier)
	.set _ZN2at6native29vectorized_elementwise_kernelILi16EZZZNS0_21polygamma_kernel_cudaERNS_18TensorIteratorBaseElENKUlvE_clEvENKUlvE2_clEvEUlN3c108BFloat16EE_St5arrayIPcLm2EEEEviT0_T1_.private_seg_size, 0+max(.L_ZN3c104guts5applyIRZZZN2at6native21polygamma_kernel_cudaERNS2_18TensorIteratorBaseElENKUlvE_clEvENKUlvE2_clEvEUlNS_8BFloat16EE_RSt5tupleIJS8_EEEEDaOT_OT0_.private_seg_size)
	.set _ZN2at6native29vectorized_elementwise_kernelILi16EZZZNS0_21polygamma_kernel_cudaERNS_18TensorIteratorBaseElENKUlvE_clEvENKUlvE2_clEvEUlN3c108BFloat16EE_St5arrayIPcLm2EEEEviT0_T1_.uses_vcc, or(1, .L_ZN3c104guts5applyIRZZZN2at6native21polygamma_kernel_cudaERNS2_18TensorIteratorBaseElENKUlvE_clEvENKUlvE2_clEvEUlNS_8BFloat16EE_RSt5tupleIJS8_EEEEDaOT_OT0_.uses_vcc)
	.set _ZN2at6native29vectorized_elementwise_kernelILi16EZZZNS0_21polygamma_kernel_cudaERNS_18TensorIteratorBaseElENKUlvE_clEvENKUlvE2_clEvEUlN3c108BFloat16EE_St5arrayIPcLm2EEEEviT0_T1_.uses_flat_scratch, or(0, .L_ZN3c104guts5applyIRZZZN2at6native21polygamma_kernel_cudaERNS2_18TensorIteratorBaseElENKUlvE_clEvENKUlvE2_clEvEUlNS_8BFloat16EE_RSt5tupleIJS8_EEEEDaOT_OT0_.uses_flat_scratch)
	.set _ZN2at6native29vectorized_elementwise_kernelILi16EZZZNS0_21polygamma_kernel_cudaERNS_18TensorIteratorBaseElENKUlvE_clEvENKUlvE2_clEvEUlN3c108BFloat16EE_St5arrayIPcLm2EEEEviT0_T1_.has_dyn_sized_stack, or(0, .L_ZN3c104guts5applyIRZZZN2at6native21polygamma_kernel_cudaERNS2_18TensorIteratorBaseElENKUlvE_clEvENKUlvE2_clEvEUlNS_8BFloat16EE_RSt5tupleIJS8_EEEEDaOT_OT0_.has_dyn_sized_stack)
	.set _ZN2at6native29vectorized_elementwise_kernelILi16EZZZNS0_21polygamma_kernel_cudaERNS_18TensorIteratorBaseElENKUlvE_clEvENKUlvE2_clEvEUlN3c108BFloat16EE_St5arrayIPcLm2EEEEviT0_T1_.has_recursion, or(0, .L_ZN3c104guts5applyIRZZZN2at6native21polygamma_kernel_cudaERNS2_18TensorIteratorBaseElENKUlvE_clEvENKUlvE2_clEvEUlNS_8BFloat16EE_RSt5tupleIJS8_EEEEDaOT_OT0_.has_recursion)
	.set _ZN2at6native29vectorized_elementwise_kernelILi16EZZZNS0_21polygamma_kernel_cudaERNS_18TensorIteratorBaseElENKUlvE_clEvENKUlvE2_clEvEUlN3c108BFloat16EE_St5arrayIPcLm2EEEEviT0_T1_.has_indirect_call, or(0, .L_ZN3c104guts5applyIRZZZN2at6native21polygamma_kernel_cudaERNS2_18TensorIteratorBaseElENKUlvE_clEvENKUlvE2_clEvEUlNS_8BFloat16EE_RSt5tupleIJS8_EEEEDaOT_OT0_.has_indirect_call)
	.section	.AMDGPU.csdata,"",@progbits
; Kernel info:
; codeLenInByte = 2048
; TotalNumSgprs: 58
; NumVgprs: 35
; ScratchSize: 0
; MemoryBound: 0
; FloatMode: 240
; IeeeMode: 1
; LDSByteSize: 0 bytes/workgroup (compile time only)
; SGPRBlocks: 7
; VGPRBlocks: 8
; NumSGPRsForWavesPerEU: 58
; NumVGPRsForWavesPerEU: 35
; Occupancy: 7
; WaveLimiterHint : 0
; COMPUTE_PGM_RSRC2:SCRATCH_EN: 0
; COMPUTE_PGM_RSRC2:USER_SGPR: 6
; COMPUTE_PGM_RSRC2:TRAP_HANDLER: 0
; COMPUTE_PGM_RSRC2:TGID_X_EN: 1
; COMPUTE_PGM_RSRC2:TGID_Y_EN: 0
; COMPUTE_PGM_RSRC2:TGID_Z_EN: 0
; COMPUTE_PGM_RSRC2:TIDIG_COMP_CNT: 0
	.section	.text._ZN2at6native29vectorized_elementwise_kernelILi8EZZZNS0_21polygamma_kernel_cudaERNS_18TensorIteratorBaseElENKUlvE_clEvENKUlvE2_clEvEUlN3c108BFloat16EE_St5arrayIPcLm2EEEEviT0_T1_,"axG",@progbits,_ZN2at6native29vectorized_elementwise_kernelILi8EZZZNS0_21polygamma_kernel_cudaERNS_18TensorIteratorBaseElENKUlvE_clEvENKUlvE2_clEvEUlN3c108BFloat16EE_St5arrayIPcLm2EEEEviT0_T1_,comdat
	.globl	_ZN2at6native29vectorized_elementwise_kernelILi8EZZZNS0_21polygamma_kernel_cudaERNS_18TensorIteratorBaseElENKUlvE_clEvENKUlvE2_clEvEUlN3c108BFloat16EE_St5arrayIPcLm2EEEEviT0_T1_ ; -- Begin function _ZN2at6native29vectorized_elementwise_kernelILi8EZZZNS0_21polygamma_kernel_cudaERNS_18TensorIteratorBaseElENKUlvE_clEvENKUlvE2_clEvEUlN3c108BFloat16EE_St5arrayIPcLm2EEEEviT0_T1_
	.p2align	8
	.type	_ZN2at6native29vectorized_elementwise_kernelILi8EZZZNS0_21polygamma_kernel_cudaERNS_18TensorIteratorBaseElENKUlvE_clEvENKUlvE2_clEvEUlN3c108BFloat16EE_St5arrayIPcLm2EEEEviT0_T1_,@function
_ZN2at6native29vectorized_elementwise_kernelILi8EZZZNS0_21polygamma_kernel_cudaERNS_18TensorIteratorBaseElENKUlvE_clEvENKUlvE2_clEvEUlN3c108BFloat16EE_St5arrayIPcLm2EEEEviT0_T1_: ; @_ZN2at6native29vectorized_elementwise_kernelILi8EZZZNS0_21polygamma_kernel_cudaERNS_18TensorIteratorBaseElENKUlvE_clEvENKUlvE2_clEvEUlN3c108BFloat16EE_St5arrayIPcLm2EEEEviT0_T1_
; %bb.0:
	s_add_u32 s0, s0, s7
	s_load_dword s7, s[4:5], 0x0
	s_load_dwordx4 s[36:39], s[4:5], 0x8
	s_load_dwordx2 s[50:51], s[4:5], 0x18
	s_addc_u32 s1, s1, 0
	s_lshl_b32 s48, s6, 11
	s_waitcnt lgkmcnt(0)
	s_sub_i32 s33, s7, s48
	v_mov_b32_e32 v22, v0
	s_cmpk_gt_i32 s33, 0x7ff
	s_mov_b64 s[4:5], -1
	s_mov_b32 s32, 0
	s_cbranch_scc0 .LBB113_2
; %bb.1:
	s_ashr_i32 s49, s48, 31
	s_lshl_b64 s[34:35], s[48:49], 1
	s_add_u32 s4, s50, s34
	s_addc_u32 s5, s51, s35
	v_lshlrev_b32_e32 v31, 4, v22
	global_load_dwordx4 v[23:26], v31, s[4:5]
	s_getpc_b64 s[52:53]
	s_add_u32 s52, s52, _ZN3c104guts5applyIRZZZN2at6native21polygamma_kernel_cudaERNS2_18TensorIteratorBaseElENKUlvE_clEvENKUlvE2_clEvEUlNS_8BFloat16EE_RSt5tupleIJS8_EEEEDaOT_OT0_@rel32@lo+4
	s_addc_u32 s53, s53, _ZN3c104guts5applyIRZZZN2at6native21polygamma_kernel_cudaERNS2_18TensorIteratorBaseElENKUlvE_clEvENKUlvE2_clEvEUlNS_8BFloat16EE_RSt5tupleIJS8_EEEEDaOT_OT0_@rel32@hi+12
	v_mov_b32_e32 v0, s36
	v_mov_b32_e32 v1, s37
	s_waitcnt vmcnt(0)
	v_mov_b32_e32 v2, v23
	v_lshrrev_b32_e32 v27, 16, v23
	v_lshrrev_b32_e32 v28, 16, v24
	v_lshrrev_b32_e32 v29, 16, v25
	v_lshrrev_b32_e32 v30, 16, v26
	s_swappc_b64 s[30:31], s[52:53]
	v_mov_b32_e32 v23, v0
	v_mov_b32_e32 v0, s36
	v_mov_b32_e32 v1, s37
	v_mov_b32_e32 v2, v27
	s_swappc_b64 s[30:31], s[52:53]
	v_mov_b32_e32 v27, v0
	v_mov_b32_e32 v0, s36
	v_mov_b32_e32 v1, s37
	v_mov_b32_e32 v2, v24
	;; [unrolled: 5-line block ×7, first 2 shown]
	s_swappc_b64 s[30:31], s[52:53]
	s_add_u32 s4, s38, s34
	s_mov_b32 s6, 0x5040100
	s_addc_u32 s5, s39, s35
	v_perm_b32 v1, v27, v23, s6
	v_perm_b32 v2, v28, v24, s6
	;; [unrolled: 1-line block ×4, first 2 shown]
	global_store_dwordx4 v31, v[1:4], s[4:5]
	s_mov_b64 s[4:5], 0
.LBB113_2:
	s_andn2_b64 vcc, exec, s[4:5]
	s_cbranch_vccnz .LBB113_41
; %bb.3:
	v_cmp_gt_i32_e64 s[34:35], s33, v22
	v_mov_b32_e32 v23, 0
	v_or_b32_e32 v32, s48, v22
	v_mov_b32_e32 v2, 0
	v_mov_b32_e32 v0, v22
	s_and_saveexec_b64 s[4:5], s[34:35]
	s_cbranch_execz .LBB113_5
; %bb.4:
	v_mov_b32_e32 v33, 0
	v_lshlrev_b64 v[0:1], 1, v[32:33]
	v_mov_b32_e32 v2, s51
	v_add_co_u32_e32 v0, vcc, s50, v0
	v_addc_co_u32_e32 v1, vcc, v2, v1, vcc
	global_load_ushort v2, v[0:1], off
	v_or_b32_e32 v0, 0x100, v22
.LBB113_5:
	s_or_b64 exec, exec, s[4:5]
	v_cmp_gt_i32_e32 vcc, s33, v0
	s_and_saveexec_b64 s[4:5], vcc
	s_cbranch_execz .LBB113_7
; %bb.6:
	v_add_u32_e32 v3, s48, v0
	v_mov_b32_e32 v4, 0
	v_lshlrev_b64 v[3:4], 1, v[3:4]
	v_mov_b32_e32 v1, s51
	v_add_co_u32_e32 v3, vcc, s50, v3
	v_addc_co_u32_e32 v4, vcc, v1, v4, vcc
	global_load_ushort v23, v[3:4], off
	v_add_u32_e32 v0, 0x100, v0
.LBB113_7:
	s_or_b64 exec, exec, s[4:5]
	v_cmp_gt_i32_e32 vcc, s33, v0
	v_mov_b32_e32 v24, 0
	v_mov_b32_e32 v27, 0
	s_and_saveexec_b64 s[4:5], vcc
	s_cbranch_execz .LBB113_9
; %bb.8:
	v_add_u32_e32 v3, s48, v0
	v_mov_b32_e32 v4, 0
	v_lshlrev_b64 v[3:4], 1, v[3:4]
	v_mov_b32_e32 v1, s51
	v_add_co_u32_e32 v3, vcc, s50, v3
	v_addc_co_u32_e32 v4, vcc, v1, v4, vcc
	global_load_ushort v27, v[3:4], off
	v_add_u32_e32 v0, 0x100, v0
.LBB113_9:
	s_or_b64 exec, exec, s[4:5]
	v_cmp_gt_i32_e32 vcc, s33, v0
	s_and_saveexec_b64 s[4:5], vcc
	s_cbranch_execz .LBB113_11
; %bb.10:
	v_add_u32_e32 v3, s48, v0
	v_mov_b32_e32 v4, 0
	v_lshlrev_b64 v[3:4], 1, v[3:4]
	v_mov_b32_e32 v1, s51
	v_add_co_u32_e32 v3, vcc, s50, v3
	v_addc_co_u32_e32 v4, vcc, v1, v4, vcc
	global_load_ushort v24, v[3:4], off
	v_add_u32_e32 v0, 0x100, v0
.LBB113_11:
	s_or_b64 exec, exec, s[4:5]
	v_cmp_gt_i32_e32 vcc, s33, v0
	v_mov_b32_e32 v25, 0
	v_mov_b32_e32 v28, 0
	s_and_saveexec_b64 s[4:5], vcc
	s_cbranch_execz .LBB113_13
; %bb.12:
	v_add_u32_e32 v3, s48, v0
	v_mov_b32_e32 v4, 0
	v_lshlrev_b64 v[3:4], 1, v[3:4]
	v_mov_b32_e32 v1, s51
	v_add_co_u32_e32 v3, vcc, s50, v3
	v_addc_co_u32_e32 v4, vcc, v1, v4, vcc
	global_load_ushort v28, v[3:4], off
	v_add_u32_e32 v0, 0x100, v0
.LBB113_13:
	s_or_b64 exec, exec, s[4:5]
	v_cmp_gt_i32_e32 vcc, s33, v0
	s_and_saveexec_b64 s[4:5], vcc
	s_cbranch_execz .LBB113_15
; %bb.14:
	v_add_u32_e32 v3, s48, v0
	v_mov_b32_e32 v4, 0
	v_lshlrev_b64 v[3:4], 1, v[3:4]
	v_mov_b32_e32 v1, s51
	v_add_co_u32_e32 v3, vcc, s50, v3
	v_addc_co_u32_e32 v4, vcc, v1, v4, vcc
	global_load_ushort v25, v[3:4], off
	v_add_u32_e32 v0, 0x100, v0
.LBB113_15:
	s_or_b64 exec, exec, s[4:5]
	v_cmp_gt_i32_e32 vcc, s33, v0
	v_mov_b32_e32 v26, 0
	v_mov_b32_e32 v31, 0
	s_and_saveexec_b64 s[4:5], vcc
	s_cbranch_execnz .LBB113_42
; %bb.16:
	s_or_b64 exec, exec, s[4:5]
	v_cmp_gt_i32_e32 vcc, s33, v0
	s_and_saveexec_b64 s[4:5], vcc
	s_cbranch_execnz .LBB113_43
.LBB113_17:
	s_or_b64 exec, exec, s[4:5]
                                        ; implicit-def: $vgpr29
	s_and_saveexec_b64 s[50:51], s[34:35]
	s_cbranch_execz .LBB113_19
.LBB113_18:
	s_getpc_b64 s[4:5]
	s_add_u32 s4, s4, _ZN3c104guts5applyIRZZZN2at6native21polygamma_kernel_cudaERNS2_18TensorIteratorBaseElENKUlvE_clEvENKUlvE2_clEvEUlNS_8BFloat16EE_RSt5tupleIJS8_EEEEDaOT_OT0_@rel32@lo+4
	s_addc_u32 s5, s5, _ZN3c104guts5applyIRZZZN2at6native21polygamma_kernel_cudaERNS2_18TensorIteratorBaseElENKUlvE_clEvENKUlvE2_clEvEUlNS_8BFloat16EE_RSt5tupleIJS8_EEEEDaOT_OT0_@rel32@hi+12
	v_mov_b32_e32 v0, s36
	v_mov_b32_e32 v1, s37
	s_swappc_b64 s[30:31], s[4:5]
	v_mov_b32_e32 v29, v0
.LBB113_19:
	s_or_b64 exec, exec, s[50:51]
	v_or_b32_e32 v34, 0x100, v22
	v_cmp_gt_i32_e32 vcc, s33, v34
                                        ; implicit-def: $vgpr30
	s_and_saveexec_b64 s[50:51], vcc
	s_cbranch_execz .LBB113_21
; %bb.20:
	s_getpc_b64 s[4:5]
	s_add_u32 s4, s4, _ZN3c104guts5applyIRZZZN2at6native21polygamma_kernel_cudaERNS2_18TensorIteratorBaseElENKUlvE_clEvENKUlvE2_clEvEUlNS_8BFloat16EE_RSt5tupleIJS8_EEEEDaOT_OT0_@rel32@lo+4
	s_addc_u32 s5, s5, _ZN3c104guts5applyIRZZZN2at6native21polygamma_kernel_cudaERNS2_18TensorIteratorBaseElENKUlvE_clEvENKUlvE2_clEvEUlNS_8BFloat16EE_RSt5tupleIJS8_EEEEDaOT_OT0_@rel32@hi+12
	v_mov_b32_e32 v0, s36
	v_mov_b32_e32 v1, s37
	s_waitcnt vmcnt(0)
	v_mov_b32_e32 v2, v23
	s_swappc_b64 s[30:31], s[4:5]
	v_mov_b32_e32 v30, v0
.LBB113_21:
	s_or_b64 exec, exec, s[50:51]
	v_or_b32_e32 v0, 0x200, v22
	v_cmp_gt_i32_e32 vcc, s33, v0
                                        ; implicit-def: $vgpr23
	s_and_saveexec_b64 s[50:51], vcc
	s_cbranch_execz .LBB113_23
; %bb.22:
	s_getpc_b64 s[4:5]
	s_add_u32 s4, s4, _ZN3c104guts5applyIRZZZN2at6native21polygamma_kernel_cudaERNS2_18TensorIteratorBaseElENKUlvE_clEvENKUlvE2_clEvEUlNS_8BFloat16EE_RSt5tupleIJS8_EEEEDaOT_OT0_@rel32@lo+4
	s_addc_u32 s5, s5, _ZN3c104guts5applyIRZZZN2at6native21polygamma_kernel_cudaERNS2_18TensorIteratorBaseElENKUlvE_clEvENKUlvE2_clEvEUlNS_8BFloat16EE_RSt5tupleIJS8_EEEEDaOT_OT0_@rel32@hi+12
	v_mov_b32_e32 v0, s36
	v_mov_b32_e32 v1, s37
	s_waitcnt vmcnt(0)
	v_mov_b32_e32 v2, v27
	s_swappc_b64 s[30:31], s[4:5]
	v_mov_b32_e32 v23, v0
.LBB113_23:
	s_or_b64 exec, exec, s[50:51]
	v_or_b32_e32 v0, 0x300, v22
	v_cmp_gt_i32_e32 vcc, s33, v0
                                        ; implicit-def: $vgpr27
	s_and_saveexec_b64 s[50:51], vcc
	s_cbranch_execz .LBB113_25
; %bb.24:
	s_getpc_b64 s[4:5]
	s_add_u32 s4, s4, _ZN3c104guts5applyIRZZZN2at6native21polygamma_kernel_cudaERNS2_18TensorIteratorBaseElENKUlvE_clEvENKUlvE2_clEvEUlNS_8BFloat16EE_RSt5tupleIJS8_EEEEDaOT_OT0_@rel32@lo+4
	s_addc_u32 s5, s5, _ZN3c104guts5applyIRZZZN2at6native21polygamma_kernel_cudaERNS2_18TensorIteratorBaseElENKUlvE_clEvENKUlvE2_clEvEUlNS_8BFloat16EE_RSt5tupleIJS8_EEEEDaOT_OT0_@rel32@hi+12
	v_mov_b32_e32 v0, s36
	v_mov_b32_e32 v1, s37
	s_waitcnt vmcnt(0)
	v_mov_b32_e32 v2, v24
	s_swappc_b64 s[30:31], s[4:5]
	v_mov_b32_e32 v27, v0
.LBB113_25:
	s_or_b64 exec, exec, s[50:51]
	v_or_b32_e32 v0, 0x400, v22
	v_cmp_gt_i32_e32 vcc, s33, v0
                                        ; implicit-def: $vgpr24
	s_and_saveexec_b64 s[50:51], vcc
	s_cbranch_execz .LBB113_27
; %bb.26:
	s_getpc_b64 s[4:5]
	s_add_u32 s4, s4, _ZN3c104guts5applyIRZZZN2at6native21polygamma_kernel_cudaERNS2_18TensorIteratorBaseElENKUlvE_clEvENKUlvE2_clEvEUlNS_8BFloat16EE_RSt5tupleIJS8_EEEEDaOT_OT0_@rel32@lo+4
	s_addc_u32 s5, s5, _ZN3c104guts5applyIRZZZN2at6native21polygamma_kernel_cudaERNS2_18TensorIteratorBaseElENKUlvE_clEvENKUlvE2_clEvEUlNS_8BFloat16EE_RSt5tupleIJS8_EEEEDaOT_OT0_@rel32@hi+12
	v_mov_b32_e32 v0, s36
	v_mov_b32_e32 v1, s37
	s_waitcnt vmcnt(0)
	v_mov_b32_e32 v2, v28
	s_swappc_b64 s[30:31], s[4:5]
	v_mov_b32_e32 v24, v0
.LBB113_27:
	s_or_b64 exec, exec, s[50:51]
	v_or_b32_e32 v0, 0x500, v22
	v_cmp_gt_i32_e32 vcc, s33, v0
                                        ; implicit-def: $vgpr28
	s_and_saveexec_b64 s[50:51], vcc
	s_cbranch_execz .LBB113_29
; %bb.28:
	s_getpc_b64 s[4:5]
	s_add_u32 s4, s4, _ZN3c104guts5applyIRZZZN2at6native21polygamma_kernel_cudaERNS2_18TensorIteratorBaseElENKUlvE_clEvENKUlvE2_clEvEUlNS_8BFloat16EE_RSt5tupleIJS8_EEEEDaOT_OT0_@rel32@lo+4
	s_addc_u32 s5, s5, _ZN3c104guts5applyIRZZZN2at6native21polygamma_kernel_cudaERNS2_18TensorIteratorBaseElENKUlvE_clEvENKUlvE2_clEvEUlNS_8BFloat16EE_RSt5tupleIJS8_EEEEDaOT_OT0_@rel32@hi+12
	v_mov_b32_e32 v0, s36
	v_mov_b32_e32 v1, s37
	s_waitcnt vmcnt(0)
	v_mov_b32_e32 v2, v25
	s_swappc_b64 s[30:31], s[4:5]
	v_mov_b32_e32 v28, v0
.LBB113_29:
	s_or_b64 exec, exec, s[50:51]
	v_or_b32_e32 v0, 0x600, v22
	v_cmp_gt_i32_e32 vcc, s33, v0
                                        ; implicit-def: $vgpr25
	s_and_saveexec_b64 s[50:51], vcc
	s_cbranch_execz .LBB113_31
; %bb.30:
	s_getpc_b64 s[4:5]
	s_add_u32 s4, s4, _ZN3c104guts5applyIRZZZN2at6native21polygamma_kernel_cudaERNS2_18TensorIteratorBaseElENKUlvE_clEvENKUlvE2_clEvEUlNS_8BFloat16EE_RSt5tupleIJS8_EEEEDaOT_OT0_@rel32@lo+4
	s_addc_u32 s5, s5, _ZN3c104guts5applyIRZZZN2at6native21polygamma_kernel_cudaERNS2_18TensorIteratorBaseElENKUlvE_clEvENKUlvE2_clEvEUlNS_8BFloat16EE_RSt5tupleIJS8_EEEEDaOT_OT0_@rel32@hi+12
	v_mov_b32_e32 v0, s36
	v_mov_b32_e32 v1, s37
	s_waitcnt vmcnt(0)
	v_mov_b32_e32 v2, v31
	s_swappc_b64 s[30:31], s[4:5]
	v_mov_b32_e32 v25, v0
.LBB113_31:
	s_or_b64 exec, exec, s[50:51]
	v_or_b32_e32 v0, 0x700, v22
	v_cmp_gt_i32_e32 vcc, s33, v0
                                        ; implicit-def: $vgpr0
	s_and_saveexec_b64 s[50:51], vcc
	s_cbranch_execnz .LBB113_44
; %bb.32:
	s_or_b64 exec, exec, s[50:51]
	s_and_saveexec_b64 s[4:5], s[34:35]
	s_xor_b64 s[4:5], exec, s[4:5]
	s_cbranch_execnz .LBB113_45
.LBB113_33:
	s_or_b64 exec, exec, s[4:5]
	v_cmp_gt_i32_e32 vcc, s33, v22
	s_and_saveexec_b64 s[4:5], vcc
	s_cbranch_execnz .LBB113_46
.LBB113_34:
	s_or_b64 exec, exec, s[4:5]
	v_cmp_gt_i32_e32 vcc, s33, v22
	s_and_saveexec_b64 s[4:5], vcc
	s_cbranch_execnz .LBB113_47
.LBB113_35:
	s_or_b64 exec, exec, s[4:5]
	v_cmp_gt_i32_e32 vcc, s33, v22
	s_and_saveexec_b64 s[4:5], vcc
	s_cbranch_execnz .LBB113_48
.LBB113_36:
	s_or_b64 exec, exec, s[4:5]
	v_cmp_gt_i32_e32 vcc, s33, v22
	s_and_saveexec_b64 s[4:5], vcc
	s_cbranch_execnz .LBB113_49
.LBB113_37:
	s_or_b64 exec, exec, s[4:5]
	v_cmp_gt_i32_e32 vcc, s33, v22
	s_and_saveexec_b64 s[4:5], vcc
	s_cbranch_execnz .LBB113_50
.LBB113_38:
	s_or_b64 exec, exec, s[4:5]
	v_cmp_gt_i32_e32 vcc, s33, v22
	s_and_saveexec_b64 s[4:5], vcc
	s_cbranch_execnz .LBB113_51
.LBB113_39:
	s_or_b64 exec, exec, s[4:5]
	v_cmp_gt_i32_e32 vcc, s33, v22
	s_and_saveexec_b64 s[4:5], vcc
	s_cbranch_execz .LBB113_41
.LBB113_40:
	v_add_u32_e32 v1, s48, v22
	s_waitcnt vmcnt(0)
	v_mov_b32_e32 v2, 0
	v_lshlrev_b64 v[1:2], 1, v[1:2]
	v_mov_b32_e32 v3, s39
	v_add_co_u32_e32 v1, vcc, s38, v1
	v_addc_co_u32_e32 v2, vcc, v3, v2, vcc
	global_store_short v[1:2], v0, off
.LBB113_41:
	s_endpgm
.LBB113_42:
	v_add_u32_e32 v3, s48, v0
	v_mov_b32_e32 v4, 0
	v_lshlrev_b64 v[3:4], 1, v[3:4]
	v_mov_b32_e32 v1, s51
	v_add_co_u32_e32 v3, vcc, s50, v3
	v_addc_co_u32_e32 v4, vcc, v1, v4, vcc
	global_load_ushort v31, v[3:4], off
	v_add_u32_e32 v0, 0x100, v0
	s_or_b64 exec, exec, s[4:5]
	v_cmp_gt_i32_e32 vcc, s33, v0
	s_and_saveexec_b64 s[4:5], vcc
	s_cbranch_execz .LBB113_17
.LBB113_43:
	v_add_u32_e32 v0, s48, v0
	v_mov_b32_e32 v1, 0
	v_lshlrev_b64 v[0:1], 1, v[0:1]
	v_mov_b32_e32 v3, s51
	v_add_co_u32_e32 v0, vcc, s50, v0
	v_addc_co_u32_e32 v1, vcc, v3, v1, vcc
	global_load_ushort v26, v[0:1], off
	s_or_b64 exec, exec, s[4:5]
                                        ; implicit-def: $vgpr29
	s_and_saveexec_b64 s[50:51], s[34:35]
	s_cbranch_execnz .LBB113_18
	s_branch .LBB113_19
.LBB113_44:
	s_getpc_b64 s[4:5]
	s_add_u32 s4, s4, _ZN3c104guts5applyIRZZZN2at6native21polygamma_kernel_cudaERNS2_18TensorIteratorBaseElENKUlvE_clEvENKUlvE2_clEvEUlNS_8BFloat16EE_RSt5tupleIJS8_EEEEDaOT_OT0_@rel32@lo+4
	s_addc_u32 s5, s5, _ZN3c104guts5applyIRZZZN2at6native21polygamma_kernel_cudaERNS2_18TensorIteratorBaseElENKUlvE_clEvENKUlvE2_clEvEUlNS_8BFloat16EE_RSt5tupleIJS8_EEEEDaOT_OT0_@rel32@hi+12
	v_mov_b32_e32 v0, s36
	v_mov_b32_e32 v1, s37
	s_waitcnt vmcnt(0)
	v_mov_b32_e32 v2, v26
	s_swappc_b64 s[30:31], s[4:5]
	s_or_b64 exec, exec, s[50:51]
	s_and_saveexec_b64 s[4:5], s[34:35]
	s_xor_b64 s[4:5], exec, s[4:5]
	s_cbranch_execz .LBB113_33
.LBB113_45:
	v_mov_b32_e32 v33, 0
	s_waitcnt vmcnt(0)
	v_lshlrev_b64 v[1:2], 1, v[32:33]
	v_mov_b32_e32 v3, s39
	v_add_co_u32_e32 v1, vcc, s38, v1
	v_addc_co_u32_e32 v2, vcc, v3, v2, vcc
	v_mov_b32_e32 v22, v34
	global_store_short v[1:2], v29, off
	s_or_b64 exec, exec, s[4:5]
	v_cmp_gt_i32_e32 vcc, s33, v22
	s_and_saveexec_b64 s[4:5], vcc
	s_cbranch_execz .LBB113_34
.LBB113_46:
	v_add_u32_e32 v1, s48, v22
	s_waitcnt vmcnt(0)
	v_mov_b32_e32 v2, 0
	v_lshlrev_b64 v[1:2], 1, v[1:2]
	v_mov_b32_e32 v3, s39
	v_add_co_u32_e32 v1, vcc, s38, v1
	v_addc_co_u32_e32 v2, vcc, v3, v2, vcc
	v_add_u32_e32 v22, 0x100, v22
	global_store_short v[1:2], v30, off
	s_or_b64 exec, exec, s[4:5]
	v_cmp_gt_i32_e32 vcc, s33, v22
	s_and_saveexec_b64 s[4:5], vcc
	s_cbranch_execz .LBB113_35
.LBB113_47:
	v_add_u32_e32 v1, s48, v22
	s_waitcnt vmcnt(0)
	v_mov_b32_e32 v2, 0
	v_lshlrev_b64 v[1:2], 1, v[1:2]
	v_mov_b32_e32 v3, s39
	v_add_co_u32_e32 v1, vcc, s38, v1
	v_addc_co_u32_e32 v2, vcc, v3, v2, vcc
	v_add_u32_e32 v22, 0x100, v22
	global_store_short v[1:2], v23, off
	s_or_b64 exec, exec, s[4:5]
	v_cmp_gt_i32_e32 vcc, s33, v22
	s_and_saveexec_b64 s[4:5], vcc
	s_cbranch_execz .LBB113_36
.LBB113_48:
	v_add_u32_e32 v1, s48, v22
	s_waitcnt vmcnt(0)
	v_mov_b32_e32 v2, 0
	v_lshlrev_b64 v[1:2], 1, v[1:2]
	v_mov_b32_e32 v3, s39
	v_add_co_u32_e32 v1, vcc, s38, v1
	v_addc_co_u32_e32 v2, vcc, v3, v2, vcc
	v_add_u32_e32 v22, 0x100, v22
	global_store_short v[1:2], v27, off
	s_or_b64 exec, exec, s[4:5]
	v_cmp_gt_i32_e32 vcc, s33, v22
	s_and_saveexec_b64 s[4:5], vcc
	s_cbranch_execz .LBB113_37
.LBB113_49:
	v_add_u32_e32 v1, s48, v22
	s_waitcnt vmcnt(0)
	v_mov_b32_e32 v2, 0
	v_lshlrev_b64 v[1:2], 1, v[1:2]
	v_mov_b32_e32 v3, s39
	v_add_co_u32_e32 v1, vcc, s38, v1
	v_addc_co_u32_e32 v2, vcc, v3, v2, vcc
	v_add_u32_e32 v22, 0x100, v22
	global_store_short v[1:2], v24, off
	s_or_b64 exec, exec, s[4:5]
	v_cmp_gt_i32_e32 vcc, s33, v22
	s_and_saveexec_b64 s[4:5], vcc
	s_cbranch_execz .LBB113_38
.LBB113_50:
	v_add_u32_e32 v1, s48, v22
	s_waitcnt vmcnt(0)
	v_mov_b32_e32 v2, 0
	v_lshlrev_b64 v[1:2], 1, v[1:2]
	v_mov_b32_e32 v3, s39
	v_add_co_u32_e32 v1, vcc, s38, v1
	v_addc_co_u32_e32 v2, vcc, v3, v2, vcc
	v_add_u32_e32 v22, 0x100, v22
	global_store_short v[1:2], v28, off
	s_or_b64 exec, exec, s[4:5]
	v_cmp_gt_i32_e32 vcc, s33, v22
	s_and_saveexec_b64 s[4:5], vcc
	s_cbranch_execz .LBB113_39
.LBB113_51:
	v_add_u32_e32 v1, s48, v22
	s_waitcnt vmcnt(0)
	v_mov_b32_e32 v2, 0
	v_lshlrev_b64 v[1:2], 1, v[1:2]
	v_mov_b32_e32 v3, s39
	v_add_co_u32_e32 v1, vcc, s38, v1
	v_addc_co_u32_e32 v2, vcc, v3, v2, vcc
	v_add_u32_e32 v22, 0x100, v22
	global_store_short v[1:2], v25, off
	s_or_b64 exec, exec, s[4:5]
	v_cmp_gt_i32_e32 vcc, s33, v22
	s_and_saveexec_b64 s[4:5], vcc
	s_cbranch_execnz .LBB113_40
	s_branch .LBB113_41
	.section	.rodata,"a",@progbits
	.p2align	6, 0x0
	.amdhsa_kernel _ZN2at6native29vectorized_elementwise_kernelILi8EZZZNS0_21polygamma_kernel_cudaERNS_18TensorIteratorBaseElENKUlvE_clEvENKUlvE2_clEvEUlN3c108BFloat16EE_St5arrayIPcLm2EEEEviT0_T1_
		.amdhsa_group_segment_fixed_size 0
		.amdhsa_private_segment_fixed_size 0
		.amdhsa_kernarg_size 32
		.amdhsa_user_sgpr_count 6
		.amdhsa_user_sgpr_private_segment_buffer 1
		.amdhsa_user_sgpr_dispatch_ptr 0
		.amdhsa_user_sgpr_queue_ptr 0
		.amdhsa_user_sgpr_kernarg_segment_ptr 1
		.amdhsa_user_sgpr_dispatch_id 0
		.amdhsa_user_sgpr_flat_scratch_init 0
		.amdhsa_user_sgpr_private_segment_size 0
		.amdhsa_uses_dynamic_stack 0
		.amdhsa_system_sgpr_private_segment_wavefront_offset 0
		.amdhsa_system_sgpr_workgroup_id_x 1
		.amdhsa_system_sgpr_workgroup_id_y 0
		.amdhsa_system_sgpr_workgroup_id_z 0
		.amdhsa_system_sgpr_workgroup_info 0
		.amdhsa_system_vgpr_workitem_id 0
		.amdhsa_next_free_vgpr 35
		.amdhsa_next_free_sgpr 54
		.amdhsa_reserve_vcc 1
		.amdhsa_reserve_flat_scratch 0
		.amdhsa_float_round_mode_32 0
		.amdhsa_float_round_mode_16_64 0
		.amdhsa_float_denorm_mode_32 3
		.amdhsa_float_denorm_mode_16_64 3
		.amdhsa_dx10_clamp 1
		.amdhsa_ieee_mode 1
		.amdhsa_fp16_overflow 0
		.amdhsa_exception_fp_ieee_invalid_op 0
		.amdhsa_exception_fp_denorm_src 0
		.amdhsa_exception_fp_ieee_div_zero 0
		.amdhsa_exception_fp_ieee_overflow 0
		.amdhsa_exception_fp_ieee_underflow 0
		.amdhsa_exception_fp_ieee_inexact 0
		.amdhsa_exception_int_div_zero 0
	.end_amdhsa_kernel
	.section	.text._ZN2at6native29vectorized_elementwise_kernelILi8EZZZNS0_21polygamma_kernel_cudaERNS_18TensorIteratorBaseElENKUlvE_clEvENKUlvE2_clEvEUlN3c108BFloat16EE_St5arrayIPcLm2EEEEviT0_T1_,"axG",@progbits,_ZN2at6native29vectorized_elementwise_kernelILi8EZZZNS0_21polygamma_kernel_cudaERNS_18TensorIteratorBaseElENKUlvE_clEvENKUlvE2_clEvEUlN3c108BFloat16EE_St5arrayIPcLm2EEEEviT0_T1_,comdat
.Lfunc_end113:
	.size	_ZN2at6native29vectorized_elementwise_kernelILi8EZZZNS0_21polygamma_kernel_cudaERNS_18TensorIteratorBaseElENKUlvE_clEvENKUlvE2_clEvEUlN3c108BFloat16EE_St5arrayIPcLm2EEEEviT0_T1_, .Lfunc_end113-_ZN2at6native29vectorized_elementwise_kernelILi8EZZZNS0_21polygamma_kernel_cudaERNS_18TensorIteratorBaseElENKUlvE_clEvENKUlvE2_clEvEUlN3c108BFloat16EE_St5arrayIPcLm2EEEEviT0_T1_
                                        ; -- End function
	.set _ZN2at6native29vectorized_elementwise_kernelILi8EZZZNS0_21polygamma_kernel_cudaERNS_18TensorIteratorBaseElENKUlvE_clEvENKUlvE2_clEvEUlN3c108BFloat16EE_St5arrayIPcLm2EEEEviT0_T1_.num_vgpr, max(35, .L_ZN3c104guts5applyIRZZZN2at6native21polygamma_kernel_cudaERNS2_18TensorIteratorBaseElENKUlvE_clEvENKUlvE2_clEvEUlNS_8BFloat16EE_RSt5tupleIJS8_EEEEDaOT_OT0_.num_vgpr)
	.set _ZN2at6native29vectorized_elementwise_kernelILi8EZZZNS0_21polygamma_kernel_cudaERNS_18TensorIteratorBaseElENKUlvE_clEvENKUlvE2_clEvEUlN3c108BFloat16EE_St5arrayIPcLm2EEEEviT0_T1_.num_agpr, max(0, .L_ZN3c104guts5applyIRZZZN2at6native21polygamma_kernel_cudaERNS2_18TensorIteratorBaseElENKUlvE_clEvENKUlvE2_clEvEUlNS_8BFloat16EE_RSt5tupleIJS8_EEEEDaOT_OT0_.num_agpr)
	.set _ZN2at6native29vectorized_elementwise_kernelILi8EZZZNS0_21polygamma_kernel_cudaERNS_18TensorIteratorBaseElENKUlvE_clEvENKUlvE2_clEvEUlN3c108BFloat16EE_St5arrayIPcLm2EEEEviT0_T1_.numbered_sgpr, max(54, .L_ZN3c104guts5applyIRZZZN2at6native21polygamma_kernel_cudaERNS2_18TensorIteratorBaseElENKUlvE_clEvENKUlvE2_clEvEUlNS_8BFloat16EE_RSt5tupleIJS8_EEEEDaOT_OT0_.numbered_sgpr)
	.set _ZN2at6native29vectorized_elementwise_kernelILi8EZZZNS0_21polygamma_kernel_cudaERNS_18TensorIteratorBaseElENKUlvE_clEvENKUlvE2_clEvEUlN3c108BFloat16EE_St5arrayIPcLm2EEEEviT0_T1_.num_named_barrier, max(0, .L_ZN3c104guts5applyIRZZZN2at6native21polygamma_kernel_cudaERNS2_18TensorIteratorBaseElENKUlvE_clEvENKUlvE2_clEvEUlNS_8BFloat16EE_RSt5tupleIJS8_EEEEDaOT_OT0_.num_named_barrier)
	.set _ZN2at6native29vectorized_elementwise_kernelILi8EZZZNS0_21polygamma_kernel_cudaERNS_18TensorIteratorBaseElENKUlvE_clEvENKUlvE2_clEvEUlN3c108BFloat16EE_St5arrayIPcLm2EEEEviT0_T1_.private_seg_size, 0+max(.L_ZN3c104guts5applyIRZZZN2at6native21polygamma_kernel_cudaERNS2_18TensorIteratorBaseElENKUlvE_clEvENKUlvE2_clEvEUlNS_8BFloat16EE_RSt5tupleIJS8_EEEEDaOT_OT0_.private_seg_size)
	.set _ZN2at6native29vectorized_elementwise_kernelILi8EZZZNS0_21polygamma_kernel_cudaERNS_18TensorIteratorBaseElENKUlvE_clEvENKUlvE2_clEvEUlN3c108BFloat16EE_St5arrayIPcLm2EEEEviT0_T1_.uses_vcc, or(1, .L_ZN3c104guts5applyIRZZZN2at6native21polygamma_kernel_cudaERNS2_18TensorIteratorBaseElENKUlvE_clEvENKUlvE2_clEvEUlNS_8BFloat16EE_RSt5tupleIJS8_EEEEDaOT_OT0_.uses_vcc)
	.set _ZN2at6native29vectorized_elementwise_kernelILi8EZZZNS0_21polygamma_kernel_cudaERNS_18TensorIteratorBaseElENKUlvE_clEvENKUlvE2_clEvEUlN3c108BFloat16EE_St5arrayIPcLm2EEEEviT0_T1_.uses_flat_scratch, or(0, .L_ZN3c104guts5applyIRZZZN2at6native21polygamma_kernel_cudaERNS2_18TensorIteratorBaseElENKUlvE_clEvENKUlvE2_clEvEUlNS_8BFloat16EE_RSt5tupleIJS8_EEEEDaOT_OT0_.uses_flat_scratch)
	.set _ZN2at6native29vectorized_elementwise_kernelILi8EZZZNS0_21polygamma_kernel_cudaERNS_18TensorIteratorBaseElENKUlvE_clEvENKUlvE2_clEvEUlN3c108BFloat16EE_St5arrayIPcLm2EEEEviT0_T1_.has_dyn_sized_stack, or(0, .L_ZN3c104guts5applyIRZZZN2at6native21polygamma_kernel_cudaERNS2_18TensorIteratorBaseElENKUlvE_clEvENKUlvE2_clEvEUlNS_8BFloat16EE_RSt5tupleIJS8_EEEEDaOT_OT0_.has_dyn_sized_stack)
	.set _ZN2at6native29vectorized_elementwise_kernelILi8EZZZNS0_21polygamma_kernel_cudaERNS_18TensorIteratorBaseElENKUlvE_clEvENKUlvE2_clEvEUlN3c108BFloat16EE_St5arrayIPcLm2EEEEviT0_T1_.has_recursion, or(0, .L_ZN3c104guts5applyIRZZZN2at6native21polygamma_kernel_cudaERNS2_18TensorIteratorBaseElENKUlvE_clEvENKUlvE2_clEvEUlNS_8BFloat16EE_RSt5tupleIJS8_EEEEDaOT_OT0_.has_recursion)
	.set _ZN2at6native29vectorized_elementwise_kernelILi8EZZZNS0_21polygamma_kernel_cudaERNS_18TensorIteratorBaseElENKUlvE_clEvENKUlvE2_clEvEUlN3c108BFloat16EE_St5arrayIPcLm2EEEEviT0_T1_.has_indirect_call, or(0, .L_ZN3c104guts5applyIRZZZN2at6native21polygamma_kernel_cudaERNS2_18TensorIteratorBaseElENKUlvE_clEvENKUlvE2_clEvEUlNS_8BFloat16EE_RSt5tupleIJS8_EEEEDaOT_OT0_.has_indirect_call)
	.section	.AMDGPU.csdata,"",@progbits
; Kernel info:
; codeLenInByte = 2048
; TotalNumSgprs: 58
; NumVgprs: 35
; ScratchSize: 0
; MemoryBound: 0
; FloatMode: 240
; IeeeMode: 1
; LDSByteSize: 0 bytes/workgroup (compile time only)
; SGPRBlocks: 7
; VGPRBlocks: 8
; NumSGPRsForWavesPerEU: 58
; NumVGPRsForWavesPerEU: 35
; Occupancy: 7
; WaveLimiterHint : 0
; COMPUTE_PGM_RSRC2:SCRATCH_EN: 0
; COMPUTE_PGM_RSRC2:USER_SGPR: 6
; COMPUTE_PGM_RSRC2:TRAP_HANDLER: 0
; COMPUTE_PGM_RSRC2:TGID_X_EN: 1
; COMPUTE_PGM_RSRC2:TGID_Y_EN: 0
; COMPUTE_PGM_RSRC2:TGID_Z_EN: 0
; COMPUTE_PGM_RSRC2:TIDIG_COMP_CNT: 0
	.section	.text._ZN2at6native29vectorized_elementwise_kernelILi4EZZZNS0_21polygamma_kernel_cudaERNS_18TensorIteratorBaseElENKUlvE_clEvENKUlvE2_clEvEUlN3c108BFloat16EE_St5arrayIPcLm2EEEEviT0_T1_,"axG",@progbits,_ZN2at6native29vectorized_elementwise_kernelILi4EZZZNS0_21polygamma_kernel_cudaERNS_18TensorIteratorBaseElENKUlvE_clEvENKUlvE2_clEvEUlN3c108BFloat16EE_St5arrayIPcLm2EEEEviT0_T1_,comdat
	.globl	_ZN2at6native29vectorized_elementwise_kernelILi4EZZZNS0_21polygamma_kernel_cudaERNS_18TensorIteratorBaseElENKUlvE_clEvENKUlvE2_clEvEUlN3c108BFloat16EE_St5arrayIPcLm2EEEEviT0_T1_ ; -- Begin function _ZN2at6native29vectorized_elementwise_kernelILi4EZZZNS0_21polygamma_kernel_cudaERNS_18TensorIteratorBaseElENKUlvE_clEvENKUlvE2_clEvEUlN3c108BFloat16EE_St5arrayIPcLm2EEEEviT0_T1_
	.p2align	8
	.type	_ZN2at6native29vectorized_elementwise_kernelILi4EZZZNS0_21polygamma_kernel_cudaERNS_18TensorIteratorBaseElENKUlvE_clEvENKUlvE2_clEvEUlN3c108BFloat16EE_St5arrayIPcLm2EEEEviT0_T1_,@function
_ZN2at6native29vectorized_elementwise_kernelILi4EZZZNS0_21polygamma_kernel_cudaERNS_18TensorIteratorBaseElENKUlvE_clEvENKUlvE2_clEvEUlN3c108BFloat16EE_St5arrayIPcLm2EEEEviT0_T1_: ; @_ZN2at6native29vectorized_elementwise_kernelILi4EZZZNS0_21polygamma_kernel_cudaERNS_18TensorIteratorBaseElENKUlvE_clEvENKUlvE2_clEvEUlN3c108BFloat16EE_St5arrayIPcLm2EEEEviT0_T1_
; %bb.0:
	s_add_u32 s0, s0, s7
	s_load_dword s7, s[4:5], 0x0
	s_load_dwordx4 s[36:39], s[4:5], 0x8
	s_load_dwordx2 s[50:51], s[4:5], 0x18
	s_addc_u32 s1, s1, 0
	s_lshl_b32 s48, s6, 11
	s_waitcnt lgkmcnt(0)
	s_sub_i32 s33, s7, s48
	v_mov_b32_e32 v22, v0
	s_cmpk_gt_i32 s33, 0x7ff
	s_mov_b64 s[4:5], -1
	s_mov_b32 s32, 0
	s_cbranch_scc0 .LBB114_2
; %bb.1:
	s_ashr_i32 s49, s48, 31
	s_lshl_b64 s[34:35], s[48:49], 1
	s_add_u32 s4, s50, s34
	s_addc_u32 s5, s51, s35
	v_lshlrev_b32_e32 v27, 3, v22
	global_load_dwordx2 v[23:24], v27, s[4:5]
	global_load_dwordx2 v[25:26], v27, s[4:5] offset:2048
	s_getpc_b64 s[52:53]
	s_add_u32 s52, s52, _ZN3c104guts5applyIRZZZN2at6native21polygamma_kernel_cudaERNS2_18TensorIteratorBaseElENKUlvE_clEvENKUlvE2_clEvEUlNS_8BFloat16EE_RSt5tupleIJS8_EEEEDaOT_OT0_@rel32@lo+4
	s_addc_u32 s53, s53, _ZN3c104guts5applyIRZZZN2at6native21polygamma_kernel_cudaERNS2_18TensorIteratorBaseElENKUlvE_clEvENKUlvE2_clEvEUlNS_8BFloat16EE_RSt5tupleIJS8_EEEEDaOT_OT0_@rel32@hi+12
	v_mov_b32_e32 v0, s36
	v_mov_b32_e32 v1, s37
	s_waitcnt vmcnt(1)
	v_mov_b32_e32 v2, v23
	s_swappc_b64 s[30:31], s[52:53]
	v_and_b32_e32 v28, 0xffff, v0
	v_lshrrev_b32_e32 v2, 16, v23
	v_mov_b32_e32 v0, s36
	v_mov_b32_e32 v1, s37
	s_swappc_b64 s[30:31], s[52:53]
	v_lshlrev_b32_e32 v0, 16, v0
	v_or_b32_e32 v23, v0, v28
	v_mov_b32_e32 v0, s36
	v_mov_b32_e32 v1, s37
	;; [unrolled: 1-line block ×3, first 2 shown]
	s_swappc_b64 s[30:31], s[52:53]
	v_and_b32_e32 v28, 0xffff, v0
	v_lshrrev_b32_e32 v2, 16, v24
	v_mov_b32_e32 v0, s36
	v_mov_b32_e32 v1, s37
	s_swappc_b64 s[30:31], s[52:53]
	v_lshlrev_b32_e32 v0, 16, v0
	v_or3_b32 v24, 0, v28, v0
	v_mov_b32_e32 v0, s36
	v_mov_b32_e32 v1, s37
	;; [unrolled: 1-line block ×3, first 2 shown]
	v_or3_b32 v23, v23, 0, 0
	s_swappc_b64 s[30:31], s[52:53]
	v_and_b32_e32 v28, 0xffff, v0
	v_lshrrev_b32_e32 v2, 16, v25
	v_mov_b32_e32 v0, s36
	v_mov_b32_e32 v1, s37
	s_swappc_b64 s[30:31], s[52:53]
	v_lshlrev_b32_e32 v0, 16, v0
	v_or_b32_e32 v25, v0, v28
	v_mov_b32_e32 v0, s36
	v_mov_b32_e32 v1, s37
	;; [unrolled: 1-line block ×3, first 2 shown]
	s_swappc_b64 s[30:31], s[52:53]
	v_and_b32_e32 v28, 0xffff, v0
	v_lshrrev_b32_e32 v2, 16, v26
	v_mov_b32_e32 v0, s36
	v_mov_b32_e32 v1, s37
	s_swappc_b64 s[30:31], s[52:53]
	s_add_u32 s4, s38, s34
	v_lshlrev_b32_e32 v0, 16, v0
	s_addc_u32 s5, s39, s35
	v_or3_b32 v1, 0, v28, v0
	v_or3_b32 v0, v25, 0, 0
	global_store_dwordx2 v27, v[23:24], s[4:5]
	global_store_dwordx2 v27, v[0:1], s[4:5] offset:2048
	s_mov_b64 s[4:5], 0
.LBB114_2:
	s_andn2_b64 vcc, exec, s[4:5]
	s_cbranch_vccnz .LBB114_41
; %bb.3:
	v_cmp_gt_i32_e64 s[34:35], s33, v22
	v_mov_b32_e32 v23, 0
	v_or_b32_e32 v32, s48, v22
	v_mov_b32_e32 v2, 0
	v_mov_b32_e32 v0, v22
	s_and_saveexec_b64 s[4:5], s[34:35]
	s_cbranch_execz .LBB114_5
; %bb.4:
	v_mov_b32_e32 v33, 0
	v_lshlrev_b64 v[0:1], 1, v[32:33]
	v_mov_b32_e32 v2, s51
	v_add_co_u32_e32 v0, vcc, s50, v0
	v_addc_co_u32_e32 v1, vcc, v2, v1, vcc
	global_load_ushort v2, v[0:1], off
	v_or_b32_e32 v0, 0x100, v22
.LBB114_5:
	s_or_b64 exec, exec, s[4:5]
	v_cmp_gt_i32_e32 vcc, s33, v0
	s_and_saveexec_b64 s[4:5], vcc
	s_cbranch_execz .LBB114_7
; %bb.6:
	v_add_u32_e32 v3, s48, v0
	v_mov_b32_e32 v4, 0
	v_lshlrev_b64 v[3:4], 1, v[3:4]
	v_mov_b32_e32 v1, s51
	v_add_co_u32_e32 v3, vcc, s50, v3
	v_addc_co_u32_e32 v4, vcc, v1, v4, vcc
	global_load_ushort v23, v[3:4], off
	v_add_u32_e32 v0, 0x100, v0
.LBB114_7:
	s_or_b64 exec, exec, s[4:5]
	v_cmp_gt_i32_e32 vcc, s33, v0
	v_mov_b32_e32 v24, 0
	v_mov_b32_e32 v27, 0
	s_and_saveexec_b64 s[4:5], vcc
	s_cbranch_execz .LBB114_9
; %bb.8:
	v_add_u32_e32 v3, s48, v0
	v_mov_b32_e32 v4, 0
	v_lshlrev_b64 v[3:4], 1, v[3:4]
	v_mov_b32_e32 v1, s51
	v_add_co_u32_e32 v3, vcc, s50, v3
	v_addc_co_u32_e32 v4, vcc, v1, v4, vcc
	global_load_ushort v27, v[3:4], off
	v_add_u32_e32 v0, 0x100, v0
.LBB114_9:
	s_or_b64 exec, exec, s[4:5]
	v_cmp_gt_i32_e32 vcc, s33, v0
	s_and_saveexec_b64 s[4:5], vcc
	s_cbranch_execz .LBB114_11
; %bb.10:
	v_add_u32_e32 v3, s48, v0
	v_mov_b32_e32 v4, 0
	v_lshlrev_b64 v[3:4], 1, v[3:4]
	v_mov_b32_e32 v1, s51
	v_add_co_u32_e32 v3, vcc, s50, v3
	v_addc_co_u32_e32 v4, vcc, v1, v4, vcc
	global_load_ushort v24, v[3:4], off
	v_add_u32_e32 v0, 0x100, v0
.LBB114_11:
	s_or_b64 exec, exec, s[4:5]
	v_cmp_gt_i32_e32 vcc, s33, v0
	v_mov_b32_e32 v25, 0
	v_mov_b32_e32 v28, 0
	s_and_saveexec_b64 s[4:5], vcc
	s_cbranch_execz .LBB114_13
; %bb.12:
	v_add_u32_e32 v3, s48, v0
	v_mov_b32_e32 v4, 0
	v_lshlrev_b64 v[3:4], 1, v[3:4]
	v_mov_b32_e32 v1, s51
	v_add_co_u32_e32 v3, vcc, s50, v3
	v_addc_co_u32_e32 v4, vcc, v1, v4, vcc
	global_load_ushort v28, v[3:4], off
	v_add_u32_e32 v0, 0x100, v0
.LBB114_13:
	s_or_b64 exec, exec, s[4:5]
	v_cmp_gt_i32_e32 vcc, s33, v0
	s_and_saveexec_b64 s[4:5], vcc
	s_cbranch_execz .LBB114_15
; %bb.14:
	v_add_u32_e32 v3, s48, v0
	v_mov_b32_e32 v4, 0
	v_lshlrev_b64 v[3:4], 1, v[3:4]
	v_mov_b32_e32 v1, s51
	v_add_co_u32_e32 v3, vcc, s50, v3
	v_addc_co_u32_e32 v4, vcc, v1, v4, vcc
	global_load_ushort v25, v[3:4], off
	v_add_u32_e32 v0, 0x100, v0
.LBB114_15:
	s_or_b64 exec, exec, s[4:5]
	v_cmp_gt_i32_e32 vcc, s33, v0
	v_mov_b32_e32 v26, 0
	v_mov_b32_e32 v31, 0
	s_and_saveexec_b64 s[4:5], vcc
	s_cbranch_execnz .LBB114_42
; %bb.16:
	s_or_b64 exec, exec, s[4:5]
	v_cmp_gt_i32_e32 vcc, s33, v0
	s_and_saveexec_b64 s[4:5], vcc
	s_cbranch_execnz .LBB114_43
.LBB114_17:
	s_or_b64 exec, exec, s[4:5]
                                        ; implicit-def: $vgpr29
	s_and_saveexec_b64 s[50:51], s[34:35]
	s_cbranch_execz .LBB114_19
.LBB114_18:
	s_getpc_b64 s[4:5]
	s_add_u32 s4, s4, _ZN3c104guts5applyIRZZZN2at6native21polygamma_kernel_cudaERNS2_18TensorIteratorBaseElENKUlvE_clEvENKUlvE2_clEvEUlNS_8BFloat16EE_RSt5tupleIJS8_EEEEDaOT_OT0_@rel32@lo+4
	s_addc_u32 s5, s5, _ZN3c104guts5applyIRZZZN2at6native21polygamma_kernel_cudaERNS2_18TensorIteratorBaseElENKUlvE_clEvENKUlvE2_clEvEUlNS_8BFloat16EE_RSt5tupleIJS8_EEEEDaOT_OT0_@rel32@hi+12
	v_mov_b32_e32 v0, s36
	v_mov_b32_e32 v1, s37
	s_swappc_b64 s[30:31], s[4:5]
	v_mov_b32_e32 v29, v0
.LBB114_19:
	s_or_b64 exec, exec, s[50:51]
	v_or_b32_e32 v34, 0x100, v22
	v_cmp_gt_i32_e32 vcc, s33, v34
                                        ; implicit-def: $vgpr30
	s_and_saveexec_b64 s[50:51], vcc
	s_cbranch_execz .LBB114_21
; %bb.20:
	s_getpc_b64 s[4:5]
	s_add_u32 s4, s4, _ZN3c104guts5applyIRZZZN2at6native21polygamma_kernel_cudaERNS2_18TensorIteratorBaseElENKUlvE_clEvENKUlvE2_clEvEUlNS_8BFloat16EE_RSt5tupleIJS8_EEEEDaOT_OT0_@rel32@lo+4
	s_addc_u32 s5, s5, _ZN3c104guts5applyIRZZZN2at6native21polygamma_kernel_cudaERNS2_18TensorIteratorBaseElENKUlvE_clEvENKUlvE2_clEvEUlNS_8BFloat16EE_RSt5tupleIJS8_EEEEDaOT_OT0_@rel32@hi+12
	v_mov_b32_e32 v0, s36
	v_mov_b32_e32 v1, s37
	s_waitcnt vmcnt(0)
	v_mov_b32_e32 v2, v23
	s_swappc_b64 s[30:31], s[4:5]
	v_mov_b32_e32 v30, v0
.LBB114_21:
	s_or_b64 exec, exec, s[50:51]
	v_or_b32_e32 v0, 0x200, v22
	v_cmp_gt_i32_e32 vcc, s33, v0
                                        ; implicit-def: $vgpr23
	s_and_saveexec_b64 s[50:51], vcc
	s_cbranch_execz .LBB114_23
; %bb.22:
	s_getpc_b64 s[4:5]
	s_add_u32 s4, s4, _ZN3c104guts5applyIRZZZN2at6native21polygamma_kernel_cudaERNS2_18TensorIteratorBaseElENKUlvE_clEvENKUlvE2_clEvEUlNS_8BFloat16EE_RSt5tupleIJS8_EEEEDaOT_OT0_@rel32@lo+4
	s_addc_u32 s5, s5, _ZN3c104guts5applyIRZZZN2at6native21polygamma_kernel_cudaERNS2_18TensorIteratorBaseElENKUlvE_clEvENKUlvE2_clEvEUlNS_8BFloat16EE_RSt5tupleIJS8_EEEEDaOT_OT0_@rel32@hi+12
	v_mov_b32_e32 v0, s36
	v_mov_b32_e32 v1, s37
	s_waitcnt vmcnt(0)
	v_mov_b32_e32 v2, v27
	s_swappc_b64 s[30:31], s[4:5]
	v_mov_b32_e32 v23, v0
.LBB114_23:
	s_or_b64 exec, exec, s[50:51]
	v_or_b32_e32 v0, 0x300, v22
	v_cmp_gt_i32_e32 vcc, s33, v0
                                        ; implicit-def: $vgpr27
	s_and_saveexec_b64 s[50:51], vcc
	s_cbranch_execz .LBB114_25
; %bb.24:
	s_getpc_b64 s[4:5]
	s_add_u32 s4, s4, _ZN3c104guts5applyIRZZZN2at6native21polygamma_kernel_cudaERNS2_18TensorIteratorBaseElENKUlvE_clEvENKUlvE2_clEvEUlNS_8BFloat16EE_RSt5tupleIJS8_EEEEDaOT_OT0_@rel32@lo+4
	s_addc_u32 s5, s5, _ZN3c104guts5applyIRZZZN2at6native21polygamma_kernel_cudaERNS2_18TensorIteratorBaseElENKUlvE_clEvENKUlvE2_clEvEUlNS_8BFloat16EE_RSt5tupleIJS8_EEEEDaOT_OT0_@rel32@hi+12
	v_mov_b32_e32 v0, s36
	v_mov_b32_e32 v1, s37
	s_waitcnt vmcnt(0)
	v_mov_b32_e32 v2, v24
	s_swappc_b64 s[30:31], s[4:5]
	v_mov_b32_e32 v27, v0
.LBB114_25:
	s_or_b64 exec, exec, s[50:51]
	v_or_b32_e32 v0, 0x400, v22
	v_cmp_gt_i32_e32 vcc, s33, v0
                                        ; implicit-def: $vgpr24
	s_and_saveexec_b64 s[50:51], vcc
	s_cbranch_execz .LBB114_27
; %bb.26:
	s_getpc_b64 s[4:5]
	s_add_u32 s4, s4, _ZN3c104guts5applyIRZZZN2at6native21polygamma_kernel_cudaERNS2_18TensorIteratorBaseElENKUlvE_clEvENKUlvE2_clEvEUlNS_8BFloat16EE_RSt5tupleIJS8_EEEEDaOT_OT0_@rel32@lo+4
	s_addc_u32 s5, s5, _ZN3c104guts5applyIRZZZN2at6native21polygamma_kernel_cudaERNS2_18TensorIteratorBaseElENKUlvE_clEvENKUlvE2_clEvEUlNS_8BFloat16EE_RSt5tupleIJS8_EEEEDaOT_OT0_@rel32@hi+12
	v_mov_b32_e32 v0, s36
	v_mov_b32_e32 v1, s37
	s_waitcnt vmcnt(0)
	v_mov_b32_e32 v2, v28
	s_swappc_b64 s[30:31], s[4:5]
	v_mov_b32_e32 v24, v0
.LBB114_27:
	s_or_b64 exec, exec, s[50:51]
	v_or_b32_e32 v0, 0x500, v22
	v_cmp_gt_i32_e32 vcc, s33, v0
                                        ; implicit-def: $vgpr28
	s_and_saveexec_b64 s[50:51], vcc
	s_cbranch_execz .LBB114_29
; %bb.28:
	s_getpc_b64 s[4:5]
	s_add_u32 s4, s4, _ZN3c104guts5applyIRZZZN2at6native21polygamma_kernel_cudaERNS2_18TensorIteratorBaseElENKUlvE_clEvENKUlvE2_clEvEUlNS_8BFloat16EE_RSt5tupleIJS8_EEEEDaOT_OT0_@rel32@lo+4
	s_addc_u32 s5, s5, _ZN3c104guts5applyIRZZZN2at6native21polygamma_kernel_cudaERNS2_18TensorIteratorBaseElENKUlvE_clEvENKUlvE2_clEvEUlNS_8BFloat16EE_RSt5tupleIJS8_EEEEDaOT_OT0_@rel32@hi+12
	v_mov_b32_e32 v0, s36
	v_mov_b32_e32 v1, s37
	s_waitcnt vmcnt(0)
	v_mov_b32_e32 v2, v25
	s_swappc_b64 s[30:31], s[4:5]
	v_mov_b32_e32 v28, v0
.LBB114_29:
	s_or_b64 exec, exec, s[50:51]
	v_or_b32_e32 v0, 0x600, v22
	v_cmp_gt_i32_e32 vcc, s33, v0
                                        ; implicit-def: $vgpr25
	s_and_saveexec_b64 s[50:51], vcc
	s_cbranch_execz .LBB114_31
; %bb.30:
	s_getpc_b64 s[4:5]
	s_add_u32 s4, s4, _ZN3c104guts5applyIRZZZN2at6native21polygamma_kernel_cudaERNS2_18TensorIteratorBaseElENKUlvE_clEvENKUlvE2_clEvEUlNS_8BFloat16EE_RSt5tupleIJS8_EEEEDaOT_OT0_@rel32@lo+4
	s_addc_u32 s5, s5, _ZN3c104guts5applyIRZZZN2at6native21polygamma_kernel_cudaERNS2_18TensorIteratorBaseElENKUlvE_clEvENKUlvE2_clEvEUlNS_8BFloat16EE_RSt5tupleIJS8_EEEEDaOT_OT0_@rel32@hi+12
	v_mov_b32_e32 v0, s36
	v_mov_b32_e32 v1, s37
	s_waitcnt vmcnt(0)
	v_mov_b32_e32 v2, v31
	s_swappc_b64 s[30:31], s[4:5]
	v_mov_b32_e32 v25, v0
.LBB114_31:
	s_or_b64 exec, exec, s[50:51]
	v_or_b32_e32 v0, 0x700, v22
	v_cmp_gt_i32_e32 vcc, s33, v0
                                        ; implicit-def: $vgpr0
	s_and_saveexec_b64 s[50:51], vcc
	s_cbranch_execnz .LBB114_44
; %bb.32:
	s_or_b64 exec, exec, s[50:51]
	s_and_saveexec_b64 s[4:5], s[34:35]
	s_xor_b64 s[4:5], exec, s[4:5]
	s_cbranch_execnz .LBB114_45
.LBB114_33:
	s_or_b64 exec, exec, s[4:5]
	v_cmp_gt_i32_e32 vcc, s33, v22
	s_and_saveexec_b64 s[4:5], vcc
	s_cbranch_execnz .LBB114_46
.LBB114_34:
	s_or_b64 exec, exec, s[4:5]
	v_cmp_gt_i32_e32 vcc, s33, v22
	s_and_saveexec_b64 s[4:5], vcc
	s_cbranch_execnz .LBB114_47
.LBB114_35:
	s_or_b64 exec, exec, s[4:5]
	v_cmp_gt_i32_e32 vcc, s33, v22
	s_and_saveexec_b64 s[4:5], vcc
	s_cbranch_execnz .LBB114_48
.LBB114_36:
	s_or_b64 exec, exec, s[4:5]
	v_cmp_gt_i32_e32 vcc, s33, v22
	s_and_saveexec_b64 s[4:5], vcc
	s_cbranch_execnz .LBB114_49
.LBB114_37:
	s_or_b64 exec, exec, s[4:5]
	v_cmp_gt_i32_e32 vcc, s33, v22
	s_and_saveexec_b64 s[4:5], vcc
	s_cbranch_execnz .LBB114_50
.LBB114_38:
	s_or_b64 exec, exec, s[4:5]
	v_cmp_gt_i32_e32 vcc, s33, v22
	s_and_saveexec_b64 s[4:5], vcc
	s_cbranch_execnz .LBB114_51
.LBB114_39:
	s_or_b64 exec, exec, s[4:5]
	v_cmp_gt_i32_e32 vcc, s33, v22
	s_and_saveexec_b64 s[4:5], vcc
	s_cbranch_execz .LBB114_41
.LBB114_40:
	v_add_u32_e32 v1, s48, v22
	s_waitcnt vmcnt(0)
	v_mov_b32_e32 v2, 0
	v_lshlrev_b64 v[1:2], 1, v[1:2]
	v_mov_b32_e32 v3, s39
	v_add_co_u32_e32 v1, vcc, s38, v1
	v_addc_co_u32_e32 v2, vcc, v3, v2, vcc
	global_store_short v[1:2], v0, off
.LBB114_41:
	s_endpgm
.LBB114_42:
	v_add_u32_e32 v3, s48, v0
	v_mov_b32_e32 v4, 0
	v_lshlrev_b64 v[3:4], 1, v[3:4]
	v_mov_b32_e32 v1, s51
	v_add_co_u32_e32 v3, vcc, s50, v3
	v_addc_co_u32_e32 v4, vcc, v1, v4, vcc
	global_load_ushort v31, v[3:4], off
	v_add_u32_e32 v0, 0x100, v0
	s_or_b64 exec, exec, s[4:5]
	v_cmp_gt_i32_e32 vcc, s33, v0
	s_and_saveexec_b64 s[4:5], vcc
	s_cbranch_execz .LBB114_17
.LBB114_43:
	v_add_u32_e32 v0, s48, v0
	v_mov_b32_e32 v1, 0
	v_lshlrev_b64 v[0:1], 1, v[0:1]
	v_mov_b32_e32 v3, s51
	v_add_co_u32_e32 v0, vcc, s50, v0
	v_addc_co_u32_e32 v1, vcc, v3, v1, vcc
	global_load_ushort v26, v[0:1], off
	s_or_b64 exec, exec, s[4:5]
                                        ; implicit-def: $vgpr29
	s_and_saveexec_b64 s[50:51], s[34:35]
	s_cbranch_execnz .LBB114_18
	s_branch .LBB114_19
.LBB114_44:
	s_getpc_b64 s[4:5]
	s_add_u32 s4, s4, _ZN3c104guts5applyIRZZZN2at6native21polygamma_kernel_cudaERNS2_18TensorIteratorBaseElENKUlvE_clEvENKUlvE2_clEvEUlNS_8BFloat16EE_RSt5tupleIJS8_EEEEDaOT_OT0_@rel32@lo+4
	s_addc_u32 s5, s5, _ZN3c104guts5applyIRZZZN2at6native21polygamma_kernel_cudaERNS2_18TensorIteratorBaseElENKUlvE_clEvENKUlvE2_clEvEUlNS_8BFloat16EE_RSt5tupleIJS8_EEEEDaOT_OT0_@rel32@hi+12
	v_mov_b32_e32 v0, s36
	v_mov_b32_e32 v1, s37
	s_waitcnt vmcnt(0)
	v_mov_b32_e32 v2, v26
	s_swappc_b64 s[30:31], s[4:5]
	s_or_b64 exec, exec, s[50:51]
	s_and_saveexec_b64 s[4:5], s[34:35]
	s_xor_b64 s[4:5], exec, s[4:5]
	s_cbranch_execz .LBB114_33
.LBB114_45:
	v_mov_b32_e32 v33, 0
	s_waitcnt vmcnt(0)
	v_lshlrev_b64 v[1:2], 1, v[32:33]
	v_mov_b32_e32 v3, s39
	v_add_co_u32_e32 v1, vcc, s38, v1
	v_addc_co_u32_e32 v2, vcc, v3, v2, vcc
	v_mov_b32_e32 v22, v34
	global_store_short v[1:2], v29, off
	s_or_b64 exec, exec, s[4:5]
	v_cmp_gt_i32_e32 vcc, s33, v22
	s_and_saveexec_b64 s[4:5], vcc
	s_cbranch_execz .LBB114_34
.LBB114_46:
	v_add_u32_e32 v1, s48, v22
	s_waitcnt vmcnt(0)
	v_mov_b32_e32 v2, 0
	v_lshlrev_b64 v[1:2], 1, v[1:2]
	v_mov_b32_e32 v3, s39
	v_add_co_u32_e32 v1, vcc, s38, v1
	v_addc_co_u32_e32 v2, vcc, v3, v2, vcc
	v_add_u32_e32 v22, 0x100, v22
	global_store_short v[1:2], v30, off
	s_or_b64 exec, exec, s[4:5]
	v_cmp_gt_i32_e32 vcc, s33, v22
	s_and_saveexec_b64 s[4:5], vcc
	s_cbranch_execz .LBB114_35
.LBB114_47:
	v_add_u32_e32 v1, s48, v22
	s_waitcnt vmcnt(0)
	v_mov_b32_e32 v2, 0
	v_lshlrev_b64 v[1:2], 1, v[1:2]
	v_mov_b32_e32 v3, s39
	v_add_co_u32_e32 v1, vcc, s38, v1
	v_addc_co_u32_e32 v2, vcc, v3, v2, vcc
	v_add_u32_e32 v22, 0x100, v22
	global_store_short v[1:2], v23, off
	s_or_b64 exec, exec, s[4:5]
	v_cmp_gt_i32_e32 vcc, s33, v22
	s_and_saveexec_b64 s[4:5], vcc
	s_cbranch_execz .LBB114_36
.LBB114_48:
	v_add_u32_e32 v1, s48, v22
	s_waitcnt vmcnt(0)
	v_mov_b32_e32 v2, 0
	v_lshlrev_b64 v[1:2], 1, v[1:2]
	v_mov_b32_e32 v3, s39
	v_add_co_u32_e32 v1, vcc, s38, v1
	v_addc_co_u32_e32 v2, vcc, v3, v2, vcc
	v_add_u32_e32 v22, 0x100, v22
	global_store_short v[1:2], v27, off
	s_or_b64 exec, exec, s[4:5]
	v_cmp_gt_i32_e32 vcc, s33, v22
	s_and_saveexec_b64 s[4:5], vcc
	s_cbranch_execz .LBB114_37
.LBB114_49:
	v_add_u32_e32 v1, s48, v22
	s_waitcnt vmcnt(0)
	v_mov_b32_e32 v2, 0
	v_lshlrev_b64 v[1:2], 1, v[1:2]
	v_mov_b32_e32 v3, s39
	v_add_co_u32_e32 v1, vcc, s38, v1
	v_addc_co_u32_e32 v2, vcc, v3, v2, vcc
	v_add_u32_e32 v22, 0x100, v22
	global_store_short v[1:2], v24, off
	s_or_b64 exec, exec, s[4:5]
	v_cmp_gt_i32_e32 vcc, s33, v22
	s_and_saveexec_b64 s[4:5], vcc
	s_cbranch_execz .LBB114_38
.LBB114_50:
	v_add_u32_e32 v1, s48, v22
	s_waitcnt vmcnt(0)
	v_mov_b32_e32 v2, 0
	v_lshlrev_b64 v[1:2], 1, v[1:2]
	v_mov_b32_e32 v3, s39
	v_add_co_u32_e32 v1, vcc, s38, v1
	v_addc_co_u32_e32 v2, vcc, v3, v2, vcc
	v_add_u32_e32 v22, 0x100, v22
	global_store_short v[1:2], v28, off
	s_or_b64 exec, exec, s[4:5]
	v_cmp_gt_i32_e32 vcc, s33, v22
	s_and_saveexec_b64 s[4:5], vcc
	s_cbranch_execz .LBB114_39
.LBB114_51:
	v_add_u32_e32 v1, s48, v22
	s_waitcnt vmcnt(0)
	v_mov_b32_e32 v2, 0
	v_lshlrev_b64 v[1:2], 1, v[1:2]
	v_mov_b32_e32 v3, s39
	v_add_co_u32_e32 v1, vcc, s38, v1
	v_addc_co_u32_e32 v2, vcc, v3, v2, vcc
	v_add_u32_e32 v22, 0x100, v22
	global_store_short v[1:2], v25, off
	s_or_b64 exec, exec, s[4:5]
	v_cmp_gt_i32_e32 vcc, s33, v22
	s_and_saveexec_b64 s[4:5], vcc
	s_cbranch_execnz .LBB114_40
	s_branch .LBB114_41
	.section	.rodata,"a",@progbits
	.p2align	6, 0x0
	.amdhsa_kernel _ZN2at6native29vectorized_elementwise_kernelILi4EZZZNS0_21polygamma_kernel_cudaERNS_18TensorIteratorBaseElENKUlvE_clEvENKUlvE2_clEvEUlN3c108BFloat16EE_St5arrayIPcLm2EEEEviT0_T1_
		.amdhsa_group_segment_fixed_size 0
		.amdhsa_private_segment_fixed_size 0
		.amdhsa_kernarg_size 32
		.amdhsa_user_sgpr_count 6
		.amdhsa_user_sgpr_private_segment_buffer 1
		.amdhsa_user_sgpr_dispatch_ptr 0
		.amdhsa_user_sgpr_queue_ptr 0
		.amdhsa_user_sgpr_kernarg_segment_ptr 1
		.amdhsa_user_sgpr_dispatch_id 0
		.amdhsa_user_sgpr_flat_scratch_init 0
		.amdhsa_user_sgpr_private_segment_size 0
		.amdhsa_uses_dynamic_stack 0
		.amdhsa_system_sgpr_private_segment_wavefront_offset 0
		.amdhsa_system_sgpr_workgroup_id_x 1
		.amdhsa_system_sgpr_workgroup_id_y 0
		.amdhsa_system_sgpr_workgroup_id_z 0
		.amdhsa_system_sgpr_workgroup_info 0
		.amdhsa_system_vgpr_workitem_id 0
		.amdhsa_next_free_vgpr 35
		.amdhsa_next_free_sgpr 54
		.amdhsa_reserve_vcc 1
		.amdhsa_reserve_flat_scratch 0
		.amdhsa_float_round_mode_32 0
		.amdhsa_float_round_mode_16_64 0
		.amdhsa_float_denorm_mode_32 3
		.amdhsa_float_denorm_mode_16_64 3
		.amdhsa_dx10_clamp 1
		.amdhsa_ieee_mode 1
		.amdhsa_fp16_overflow 0
		.amdhsa_exception_fp_ieee_invalid_op 0
		.amdhsa_exception_fp_denorm_src 0
		.amdhsa_exception_fp_ieee_div_zero 0
		.amdhsa_exception_fp_ieee_overflow 0
		.amdhsa_exception_fp_ieee_underflow 0
		.amdhsa_exception_fp_ieee_inexact 0
		.amdhsa_exception_int_div_zero 0
	.end_amdhsa_kernel
	.section	.text._ZN2at6native29vectorized_elementwise_kernelILi4EZZZNS0_21polygamma_kernel_cudaERNS_18TensorIteratorBaseElENKUlvE_clEvENKUlvE2_clEvEUlN3c108BFloat16EE_St5arrayIPcLm2EEEEviT0_T1_,"axG",@progbits,_ZN2at6native29vectorized_elementwise_kernelILi4EZZZNS0_21polygamma_kernel_cudaERNS_18TensorIteratorBaseElENKUlvE_clEvENKUlvE2_clEvEUlN3c108BFloat16EE_St5arrayIPcLm2EEEEviT0_T1_,comdat
.Lfunc_end114:
	.size	_ZN2at6native29vectorized_elementwise_kernelILi4EZZZNS0_21polygamma_kernel_cudaERNS_18TensorIteratorBaseElENKUlvE_clEvENKUlvE2_clEvEUlN3c108BFloat16EE_St5arrayIPcLm2EEEEviT0_T1_, .Lfunc_end114-_ZN2at6native29vectorized_elementwise_kernelILi4EZZZNS0_21polygamma_kernel_cudaERNS_18TensorIteratorBaseElENKUlvE_clEvENKUlvE2_clEvEUlN3c108BFloat16EE_St5arrayIPcLm2EEEEviT0_T1_
                                        ; -- End function
	.set _ZN2at6native29vectorized_elementwise_kernelILi4EZZZNS0_21polygamma_kernel_cudaERNS_18TensorIteratorBaseElENKUlvE_clEvENKUlvE2_clEvEUlN3c108BFloat16EE_St5arrayIPcLm2EEEEviT0_T1_.num_vgpr, max(35, .L_ZN3c104guts5applyIRZZZN2at6native21polygamma_kernel_cudaERNS2_18TensorIteratorBaseElENKUlvE_clEvENKUlvE2_clEvEUlNS_8BFloat16EE_RSt5tupleIJS8_EEEEDaOT_OT0_.num_vgpr)
	.set _ZN2at6native29vectorized_elementwise_kernelILi4EZZZNS0_21polygamma_kernel_cudaERNS_18TensorIteratorBaseElENKUlvE_clEvENKUlvE2_clEvEUlN3c108BFloat16EE_St5arrayIPcLm2EEEEviT0_T1_.num_agpr, max(0, .L_ZN3c104guts5applyIRZZZN2at6native21polygamma_kernel_cudaERNS2_18TensorIteratorBaseElENKUlvE_clEvENKUlvE2_clEvEUlNS_8BFloat16EE_RSt5tupleIJS8_EEEEDaOT_OT0_.num_agpr)
	.set _ZN2at6native29vectorized_elementwise_kernelILi4EZZZNS0_21polygamma_kernel_cudaERNS_18TensorIteratorBaseElENKUlvE_clEvENKUlvE2_clEvEUlN3c108BFloat16EE_St5arrayIPcLm2EEEEviT0_T1_.numbered_sgpr, max(54, .L_ZN3c104guts5applyIRZZZN2at6native21polygamma_kernel_cudaERNS2_18TensorIteratorBaseElENKUlvE_clEvENKUlvE2_clEvEUlNS_8BFloat16EE_RSt5tupleIJS8_EEEEDaOT_OT0_.numbered_sgpr)
	.set _ZN2at6native29vectorized_elementwise_kernelILi4EZZZNS0_21polygamma_kernel_cudaERNS_18TensorIteratorBaseElENKUlvE_clEvENKUlvE2_clEvEUlN3c108BFloat16EE_St5arrayIPcLm2EEEEviT0_T1_.num_named_barrier, max(0, .L_ZN3c104guts5applyIRZZZN2at6native21polygamma_kernel_cudaERNS2_18TensorIteratorBaseElENKUlvE_clEvENKUlvE2_clEvEUlNS_8BFloat16EE_RSt5tupleIJS8_EEEEDaOT_OT0_.num_named_barrier)
	.set _ZN2at6native29vectorized_elementwise_kernelILi4EZZZNS0_21polygamma_kernel_cudaERNS_18TensorIteratorBaseElENKUlvE_clEvENKUlvE2_clEvEUlN3c108BFloat16EE_St5arrayIPcLm2EEEEviT0_T1_.private_seg_size, 0+max(.L_ZN3c104guts5applyIRZZZN2at6native21polygamma_kernel_cudaERNS2_18TensorIteratorBaseElENKUlvE_clEvENKUlvE2_clEvEUlNS_8BFloat16EE_RSt5tupleIJS8_EEEEDaOT_OT0_.private_seg_size)
	.set _ZN2at6native29vectorized_elementwise_kernelILi4EZZZNS0_21polygamma_kernel_cudaERNS_18TensorIteratorBaseElENKUlvE_clEvENKUlvE2_clEvEUlN3c108BFloat16EE_St5arrayIPcLm2EEEEviT0_T1_.uses_vcc, or(1, .L_ZN3c104guts5applyIRZZZN2at6native21polygamma_kernel_cudaERNS2_18TensorIteratorBaseElENKUlvE_clEvENKUlvE2_clEvEUlNS_8BFloat16EE_RSt5tupleIJS8_EEEEDaOT_OT0_.uses_vcc)
	.set _ZN2at6native29vectorized_elementwise_kernelILi4EZZZNS0_21polygamma_kernel_cudaERNS_18TensorIteratorBaseElENKUlvE_clEvENKUlvE2_clEvEUlN3c108BFloat16EE_St5arrayIPcLm2EEEEviT0_T1_.uses_flat_scratch, or(0, .L_ZN3c104guts5applyIRZZZN2at6native21polygamma_kernel_cudaERNS2_18TensorIteratorBaseElENKUlvE_clEvENKUlvE2_clEvEUlNS_8BFloat16EE_RSt5tupleIJS8_EEEEDaOT_OT0_.uses_flat_scratch)
	.set _ZN2at6native29vectorized_elementwise_kernelILi4EZZZNS0_21polygamma_kernel_cudaERNS_18TensorIteratorBaseElENKUlvE_clEvENKUlvE2_clEvEUlN3c108BFloat16EE_St5arrayIPcLm2EEEEviT0_T1_.has_dyn_sized_stack, or(0, .L_ZN3c104guts5applyIRZZZN2at6native21polygamma_kernel_cudaERNS2_18TensorIteratorBaseElENKUlvE_clEvENKUlvE2_clEvEUlNS_8BFloat16EE_RSt5tupleIJS8_EEEEDaOT_OT0_.has_dyn_sized_stack)
	.set _ZN2at6native29vectorized_elementwise_kernelILi4EZZZNS0_21polygamma_kernel_cudaERNS_18TensorIteratorBaseElENKUlvE_clEvENKUlvE2_clEvEUlN3c108BFloat16EE_St5arrayIPcLm2EEEEviT0_T1_.has_recursion, or(0, .L_ZN3c104guts5applyIRZZZN2at6native21polygamma_kernel_cudaERNS2_18TensorIteratorBaseElENKUlvE_clEvENKUlvE2_clEvEUlNS_8BFloat16EE_RSt5tupleIJS8_EEEEDaOT_OT0_.has_recursion)
	.set _ZN2at6native29vectorized_elementwise_kernelILi4EZZZNS0_21polygamma_kernel_cudaERNS_18TensorIteratorBaseElENKUlvE_clEvENKUlvE2_clEvEUlN3c108BFloat16EE_St5arrayIPcLm2EEEEviT0_T1_.has_indirect_call, or(0, .L_ZN3c104guts5applyIRZZZN2at6native21polygamma_kernel_cudaERNS2_18TensorIteratorBaseElENKUlvE_clEvENKUlvE2_clEvEUlNS_8BFloat16EE_RSt5tupleIJS8_EEEEDaOT_OT0_.has_indirect_call)
	.section	.AMDGPU.csdata,"",@progbits
; Kernel info:
; codeLenInByte = 2068
; TotalNumSgprs: 58
; NumVgprs: 35
; ScratchSize: 0
; MemoryBound: 0
; FloatMode: 240
; IeeeMode: 1
; LDSByteSize: 0 bytes/workgroup (compile time only)
; SGPRBlocks: 7
; VGPRBlocks: 8
; NumSGPRsForWavesPerEU: 58
; NumVGPRsForWavesPerEU: 35
; Occupancy: 7
; WaveLimiterHint : 0
; COMPUTE_PGM_RSRC2:SCRATCH_EN: 0
; COMPUTE_PGM_RSRC2:USER_SGPR: 6
; COMPUTE_PGM_RSRC2:TRAP_HANDLER: 0
; COMPUTE_PGM_RSRC2:TGID_X_EN: 1
; COMPUTE_PGM_RSRC2:TGID_Y_EN: 0
; COMPUTE_PGM_RSRC2:TGID_Z_EN: 0
; COMPUTE_PGM_RSRC2:TIDIG_COMP_CNT: 0
	.section	.text._ZN2at6native29vectorized_elementwise_kernelILi2EZZZNS0_21polygamma_kernel_cudaERNS_18TensorIteratorBaseElENKUlvE_clEvENKUlvE2_clEvEUlN3c108BFloat16EE_St5arrayIPcLm2EEEEviT0_T1_,"axG",@progbits,_ZN2at6native29vectorized_elementwise_kernelILi2EZZZNS0_21polygamma_kernel_cudaERNS_18TensorIteratorBaseElENKUlvE_clEvENKUlvE2_clEvEUlN3c108BFloat16EE_St5arrayIPcLm2EEEEviT0_T1_,comdat
	.globl	_ZN2at6native29vectorized_elementwise_kernelILi2EZZZNS0_21polygamma_kernel_cudaERNS_18TensorIteratorBaseElENKUlvE_clEvENKUlvE2_clEvEUlN3c108BFloat16EE_St5arrayIPcLm2EEEEviT0_T1_ ; -- Begin function _ZN2at6native29vectorized_elementwise_kernelILi2EZZZNS0_21polygamma_kernel_cudaERNS_18TensorIteratorBaseElENKUlvE_clEvENKUlvE2_clEvEUlN3c108BFloat16EE_St5arrayIPcLm2EEEEviT0_T1_
	.p2align	8
	.type	_ZN2at6native29vectorized_elementwise_kernelILi2EZZZNS0_21polygamma_kernel_cudaERNS_18TensorIteratorBaseElENKUlvE_clEvENKUlvE2_clEvEUlN3c108BFloat16EE_St5arrayIPcLm2EEEEviT0_T1_,@function
_ZN2at6native29vectorized_elementwise_kernelILi2EZZZNS0_21polygamma_kernel_cudaERNS_18TensorIteratorBaseElENKUlvE_clEvENKUlvE2_clEvEUlN3c108BFloat16EE_St5arrayIPcLm2EEEEviT0_T1_: ; @_ZN2at6native29vectorized_elementwise_kernelILi2EZZZNS0_21polygamma_kernel_cudaERNS_18TensorIteratorBaseElENKUlvE_clEvENKUlvE2_clEvEUlN3c108BFloat16EE_St5arrayIPcLm2EEEEviT0_T1_
; %bb.0:
	s_add_u32 s0, s0, s7
	s_load_dword s7, s[4:5], 0x0
	s_load_dwordx4 s[36:39], s[4:5], 0x8
	s_load_dwordx2 s[50:51], s[4:5], 0x18
	s_addc_u32 s1, s1, 0
	s_lshl_b32 s48, s6, 11
	s_waitcnt lgkmcnt(0)
	s_sub_i32 s33, s7, s48
	v_mov_b32_e32 v22, v0
	s_cmpk_gt_i32 s33, 0x7ff
	s_mov_b64 s[4:5], -1
	s_mov_b32 s32, 0
	s_cbranch_scc0 .LBB115_2
; %bb.1:
	s_ashr_i32 s49, s48, 31
	s_lshl_b64 s[34:35], s[48:49], 1
	s_add_u32 s4, s50, s34
	s_addc_u32 s5, s51, s35
	v_lshlrev_b32_e32 v28, 2, v22
	global_load_dword v23, v28, s[4:5]
	global_load_dword v24, v28, s[4:5] offset:1024
	global_load_dword v25, v28, s[4:5] offset:2048
	;; [unrolled: 1-line block ×3, first 2 shown]
	s_getpc_b64 s[52:53]
	s_add_u32 s52, s52, _ZN3c104guts5applyIRZZZN2at6native21polygamma_kernel_cudaERNS2_18TensorIteratorBaseElENKUlvE_clEvENKUlvE2_clEvEUlNS_8BFloat16EE_RSt5tupleIJS8_EEEEDaOT_OT0_@rel32@lo+4
	s_addc_u32 s53, s53, _ZN3c104guts5applyIRZZZN2at6native21polygamma_kernel_cudaERNS2_18TensorIteratorBaseElENKUlvE_clEvENKUlvE2_clEvEUlNS_8BFloat16EE_RSt5tupleIJS8_EEEEDaOT_OT0_@rel32@hi+12
	v_mov_b32_e32 v0, s36
	v_mov_b32_e32 v1, s37
	s_waitcnt vmcnt(3)
	v_mov_b32_e32 v2, v23
	s_swappc_b64 s[30:31], s[52:53]
	v_mov_b32_e32 v27, v0
	v_lshrrev_b32_e32 v2, 16, v23
	v_mov_b32_e32 v0, s36
	v_mov_b32_e32 v1, s37
	s_swappc_b64 s[30:31], s[52:53]
	v_lshlrev_b32_e32 v0, 16, v0
	v_or_b32_sdwa v27, v0, v27 dst_sel:DWORD dst_unused:UNUSED_PAD src0_sel:DWORD src1_sel:WORD_0
	v_mov_b32_e32 v0, s36
	v_mov_b32_e32 v1, s37
	v_mov_b32_e32 v2, v24
	s_swappc_b64 s[30:31], s[52:53]
	v_mov_b32_e32 v23, v0
	v_lshrrev_b32_e32 v2, 16, v24
	v_mov_b32_e32 v0, s36
	v_mov_b32_e32 v1, s37
	s_swappc_b64 s[30:31], s[52:53]
	v_lshlrev_b32_e32 v0, 16, v0
	v_or_b32_sdwa v24, v0, v23 dst_sel:DWORD dst_unused:UNUSED_PAD src0_sel:DWORD src1_sel:WORD_0
	v_mov_b32_e32 v0, s36
	v_mov_b32_e32 v1, s37
	;; [unrolled: 11-line block ×3, first 2 shown]
	v_mov_b32_e32 v2, v26
	s_swappc_b64 s[30:31], s[52:53]
	v_mov_b32_e32 v23, v0
	v_lshrrev_b32_e32 v2, 16, v26
	v_mov_b32_e32 v0, s36
	v_mov_b32_e32 v1, s37
	s_swappc_b64 s[30:31], s[52:53]
	s_add_u32 s4, s38, s34
	v_lshlrev_b32_e32 v0, 16, v0
	s_addc_u32 s5, s39, s35
	v_or_b32_sdwa v0, v0, v23 dst_sel:DWORD dst_unused:UNUSED_PAD src0_sel:DWORD src1_sel:WORD_0
	global_store_dword v28, v27, s[4:5]
	global_store_dword v28, v24, s[4:5] offset:1024
	global_store_dword v28, v25, s[4:5] offset:2048
	;; [unrolled: 1-line block ×3, first 2 shown]
	s_mov_b64 s[4:5], 0
.LBB115_2:
	s_andn2_b64 vcc, exec, s[4:5]
	s_cbranch_vccnz .LBB115_41
; %bb.3:
	v_cmp_gt_i32_e64 s[34:35], s33, v22
	v_mov_b32_e32 v23, 0
	v_or_b32_e32 v32, s48, v22
	v_mov_b32_e32 v2, 0
	v_mov_b32_e32 v0, v22
	s_and_saveexec_b64 s[4:5], s[34:35]
	s_cbranch_execz .LBB115_5
; %bb.4:
	v_mov_b32_e32 v33, 0
	v_lshlrev_b64 v[0:1], 1, v[32:33]
	v_mov_b32_e32 v2, s51
	v_add_co_u32_e32 v0, vcc, s50, v0
	v_addc_co_u32_e32 v1, vcc, v2, v1, vcc
	global_load_ushort v2, v[0:1], off
	v_or_b32_e32 v0, 0x100, v22
.LBB115_5:
	s_or_b64 exec, exec, s[4:5]
	v_cmp_gt_i32_e32 vcc, s33, v0
	s_and_saveexec_b64 s[4:5], vcc
	s_cbranch_execz .LBB115_7
; %bb.6:
	v_add_u32_e32 v3, s48, v0
	v_mov_b32_e32 v4, 0
	v_lshlrev_b64 v[3:4], 1, v[3:4]
	v_mov_b32_e32 v1, s51
	v_add_co_u32_e32 v3, vcc, s50, v3
	v_addc_co_u32_e32 v4, vcc, v1, v4, vcc
	global_load_ushort v23, v[3:4], off
	v_add_u32_e32 v0, 0x100, v0
.LBB115_7:
	s_or_b64 exec, exec, s[4:5]
	v_cmp_gt_i32_e32 vcc, s33, v0
	v_mov_b32_e32 v24, 0
	v_mov_b32_e32 v27, 0
	s_and_saveexec_b64 s[4:5], vcc
	s_cbranch_execz .LBB115_9
; %bb.8:
	v_add_u32_e32 v3, s48, v0
	v_mov_b32_e32 v4, 0
	v_lshlrev_b64 v[3:4], 1, v[3:4]
	v_mov_b32_e32 v1, s51
	v_add_co_u32_e32 v3, vcc, s50, v3
	v_addc_co_u32_e32 v4, vcc, v1, v4, vcc
	global_load_ushort v27, v[3:4], off
	v_add_u32_e32 v0, 0x100, v0
.LBB115_9:
	s_or_b64 exec, exec, s[4:5]
	v_cmp_gt_i32_e32 vcc, s33, v0
	s_and_saveexec_b64 s[4:5], vcc
	s_cbranch_execz .LBB115_11
; %bb.10:
	v_add_u32_e32 v3, s48, v0
	v_mov_b32_e32 v4, 0
	v_lshlrev_b64 v[3:4], 1, v[3:4]
	v_mov_b32_e32 v1, s51
	v_add_co_u32_e32 v3, vcc, s50, v3
	v_addc_co_u32_e32 v4, vcc, v1, v4, vcc
	global_load_ushort v24, v[3:4], off
	v_add_u32_e32 v0, 0x100, v0
.LBB115_11:
	s_or_b64 exec, exec, s[4:5]
	v_cmp_gt_i32_e32 vcc, s33, v0
	v_mov_b32_e32 v25, 0
	v_mov_b32_e32 v28, 0
	s_and_saveexec_b64 s[4:5], vcc
	s_cbranch_execz .LBB115_13
; %bb.12:
	v_add_u32_e32 v3, s48, v0
	v_mov_b32_e32 v4, 0
	v_lshlrev_b64 v[3:4], 1, v[3:4]
	v_mov_b32_e32 v1, s51
	v_add_co_u32_e32 v3, vcc, s50, v3
	v_addc_co_u32_e32 v4, vcc, v1, v4, vcc
	global_load_ushort v28, v[3:4], off
	v_add_u32_e32 v0, 0x100, v0
.LBB115_13:
	s_or_b64 exec, exec, s[4:5]
	v_cmp_gt_i32_e32 vcc, s33, v0
	s_and_saveexec_b64 s[4:5], vcc
	s_cbranch_execz .LBB115_15
; %bb.14:
	v_add_u32_e32 v3, s48, v0
	v_mov_b32_e32 v4, 0
	v_lshlrev_b64 v[3:4], 1, v[3:4]
	v_mov_b32_e32 v1, s51
	v_add_co_u32_e32 v3, vcc, s50, v3
	v_addc_co_u32_e32 v4, vcc, v1, v4, vcc
	global_load_ushort v25, v[3:4], off
	v_add_u32_e32 v0, 0x100, v0
.LBB115_15:
	s_or_b64 exec, exec, s[4:5]
	v_cmp_gt_i32_e32 vcc, s33, v0
	v_mov_b32_e32 v26, 0
	v_mov_b32_e32 v31, 0
	s_and_saveexec_b64 s[4:5], vcc
	s_cbranch_execnz .LBB115_42
; %bb.16:
	s_or_b64 exec, exec, s[4:5]
	v_cmp_gt_i32_e32 vcc, s33, v0
	s_and_saveexec_b64 s[4:5], vcc
	s_cbranch_execnz .LBB115_43
.LBB115_17:
	s_or_b64 exec, exec, s[4:5]
                                        ; implicit-def: $vgpr29
	s_and_saveexec_b64 s[50:51], s[34:35]
	s_cbranch_execz .LBB115_19
.LBB115_18:
	s_getpc_b64 s[4:5]
	s_add_u32 s4, s4, _ZN3c104guts5applyIRZZZN2at6native21polygamma_kernel_cudaERNS2_18TensorIteratorBaseElENKUlvE_clEvENKUlvE2_clEvEUlNS_8BFloat16EE_RSt5tupleIJS8_EEEEDaOT_OT0_@rel32@lo+4
	s_addc_u32 s5, s5, _ZN3c104guts5applyIRZZZN2at6native21polygamma_kernel_cudaERNS2_18TensorIteratorBaseElENKUlvE_clEvENKUlvE2_clEvEUlNS_8BFloat16EE_RSt5tupleIJS8_EEEEDaOT_OT0_@rel32@hi+12
	v_mov_b32_e32 v0, s36
	v_mov_b32_e32 v1, s37
	s_swappc_b64 s[30:31], s[4:5]
	v_mov_b32_e32 v29, v0
.LBB115_19:
	s_or_b64 exec, exec, s[50:51]
	v_or_b32_e32 v34, 0x100, v22
	v_cmp_gt_i32_e32 vcc, s33, v34
                                        ; implicit-def: $vgpr30
	s_and_saveexec_b64 s[50:51], vcc
	s_cbranch_execz .LBB115_21
; %bb.20:
	s_getpc_b64 s[4:5]
	s_add_u32 s4, s4, _ZN3c104guts5applyIRZZZN2at6native21polygamma_kernel_cudaERNS2_18TensorIteratorBaseElENKUlvE_clEvENKUlvE2_clEvEUlNS_8BFloat16EE_RSt5tupleIJS8_EEEEDaOT_OT0_@rel32@lo+4
	s_addc_u32 s5, s5, _ZN3c104guts5applyIRZZZN2at6native21polygamma_kernel_cudaERNS2_18TensorIteratorBaseElENKUlvE_clEvENKUlvE2_clEvEUlNS_8BFloat16EE_RSt5tupleIJS8_EEEEDaOT_OT0_@rel32@hi+12
	v_mov_b32_e32 v0, s36
	v_mov_b32_e32 v1, s37
	s_waitcnt vmcnt(0)
	v_mov_b32_e32 v2, v23
	s_swappc_b64 s[30:31], s[4:5]
	v_mov_b32_e32 v30, v0
.LBB115_21:
	s_or_b64 exec, exec, s[50:51]
	v_or_b32_e32 v0, 0x200, v22
	v_cmp_gt_i32_e32 vcc, s33, v0
                                        ; implicit-def: $vgpr23
	s_and_saveexec_b64 s[50:51], vcc
	s_cbranch_execz .LBB115_23
; %bb.22:
	s_getpc_b64 s[4:5]
	s_add_u32 s4, s4, _ZN3c104guts5applyIRZZZN2at6native21polygamma_kernel_cudaERNS2_18TensorIteratorBaseElENKUlvE_clEvENKUlvE2_clEvEUlNS_8BFloat16EE_RSt5tupleIJS8_EEEEDaOT_OT0_@rel32@lo+4
	s_addc_u32 s5, s5, _ZN3c104guts5applyIRZZZN2at6native21polygamma_kernel_cudaERNS2_18TensorIteratorBaseElENKUlvE_clEvENKUlvE2_clEvEUlNS_8BFloat16EE_RSt5tupleIJS8_EEEEDaOT_OT0_@rel32@hi+12
	v_mov_b32_e32 v0, s36
	v_mov_b32_e32 v1, s37
	s_waitcnt vmcnt(0)
	v_mov_b32_e32 v2, v27
	s_swappc_b64 s[30:31], s[4:5]
	v_mov_b32_e32 v23, v0
.LBB115_23:
	s_or_b64 exec, exec, s[50:51]
	v_or_b32_e32 v0, 0x300, v22
	v_cmp_gt_i32_e32 vcc, s33, v0
                                        ; implicit-def: $vgpr27
	s_and_saveexec_b64 s[50:51], vcc
	s_cbranch_execz .LBB115_25
; %bb.24:
	s_getpc_b64 s[4:5]
	s_add_u32 s4, s4, _ZN3c104guts5applyIRZZZN2at6native21polygamma_kernel_cudaERNS2_18TensorIteratorBaseElENKUlvE_clEvENKUlvE2_clEvEUlNS_8BFloat16EE_RSt5tupleIJS8_EEEEDaOT_OT0_@rel32@lo+4
	s_addc_u32 s5, s5, _ZN3c104guts5applyIRZZZN2at6native21polygamma_kernel_cudaERNS2_18TensorIteratorBaseElENKUlvE_clEvENKUlvE2_clEvEUlNS_8BFloat16EE_RSt5tupleIJS8_EEEEDaOT_OT0_@rel32@hi+12
	v_mov_b32_e32 v0, s36
	v_mov_b32_e32 v1, s37
	s_waitcnt vmcnt(0)
	v_mov_b32_e32 v2, v24
	s_swappc_b64 s[30:31], s[4:5]
	v_mov_b32_e32 v27, v0
.LBB115_25:
	s_or_b64 exec, exec, s[50:51]
	v_or_b32_e32 v0, 0x400, v22
	v_cmp_gt_i32_e32 vcc, s33, v0
                                        ; implicit-def: $vgpr24
	s_and_saveexec_b64 s[50:51], vcc
	s_cbranch_execz .LBB115_27
; %bb.26:
	s_getpc_b64 s[4:5]
	s_add_u32 s4, s4, _ZN3c104guts5applyIRZZZN2at6native21polygamma_kernel_cudaERNS2_18TensorIteratorBaseElENKUlvE_clEvENKUlvE2_clEvEUlNS_8BFloat16EE_RSt5tupleIJS8_EEEEDaOT_OT0_@rel32@lo+4
	s_addc_u32 s5, s5, _ZN3c104guts5applyIRZZZN2at6native21polygamma_kernel_cudaERNS2_18TensorIteratorBaseElENKUlvE_clEvENKUlvE2_clEvEUlNS_8BFloat16EE_RSt5tupleIJS8_EEEEDaOT_OT0_@rel32@hi+12
	v_mov_b32_e32 v0, s36
	v_mov_b32_e32 v1, s37
	s_waitcnt vmcnt(0)
	v_mov_b32_e32 v2, v28
	s_swappc_b64 s[30:31], s[4:5]
	v_mov_b32_e32 v24, v0
.LBB115_27:
	s_or_b64 exec, exec, s[50:51]
	v_or_b32_e32 v0, 0x500, v22
	v_cmp_gt_i32_e32 vcc, s33, v0
                                        ; implicit-def: $vgpr28
	s_and_saveexec_b64 s[50:51], vcc
	s_cbranch_execz .LBB115_29
; %bb.28:
	s_getpc_b64 s[4:5]
	s_add_u32 s4, s4, _ZN3c104guts5applyIRZZZN2at6native21polygamma_kernel_cudaERNS2_18TensorIteratorBaseElENKUlvE_clEvENKUlvE2_clEvEUlNS_8BFloat16EE_RSt5tupleIJS8_EEEEDaOT_OT0_@rel32@lo+4
	s_addc_u32 s5, s5, _ZN3c104guts5applyIRZZZN2at6native21polygamma_kernel_cudaERNS2_18TensorIteratorBaseElENKUlvE_clEvENKUlvE2_clEvEUlNS_8BFloat16EE_RSt5tupleIJS8_EEEEDaOT_OT0_@rel32@hi+12
	v_mov_b32_e32 v0, s36
	v_mov_b32_e32 v1, s37
	s_waitcnt vmcnt(0)
	v_mov_b32_e32 v2, v25
	s_swappc_b64 s[30:31], s[4:5]
	v_mov_b32_e32 v28, v0
.LBB115_29:
	s_or_b64 exec, exec, s[50:51]
	v_or_b32_e32 v0, 0x600, v22
	v_cmp_gt_i32_e32 vcc, s33, v0
                                        ; implicit-def: $vgpr25
	s_and_saveexec_b64 s[50:51], vcc
	s_cbranch_execz .LBB115_31
; %bb.30:
	s_getpc_b64 s[4:5]
	s_add_u32 s4, s4, _ZN3c104guts5applyIRZZZN2at6native21polygamma_kernel_cudaERNS2_18TensorIteratorBaseElENKUlvE_clEvENKUlvE2_clEvEUlNS_8BFloat16EE_RSt5tupleIJS8_EEEEDaOT_OT0_@rel32@lo+4
	s_addc_u32 s5, s5, _ZN3c104guts5applyIRZZZN2at6native21polygamma_kernel_cudaERNS2_18TensorIteratorBaseElENKUlvE_clEvENKUlvE2_clEvEUlNS_8BFloat16EE_RSt5tupleIJS8_EEEEDaOT_OT0_@rel32@hi+12
	v_mov_b32_e32 v0, s36
	v_mov_b32_e32 v1, s37
	s_waitcnt vmcnt(0)
	v_mov_b32_e32 v2, v31
	s_swappc_b64 s[30:31], s[4:5]
	v_mov_b32_e32 v25, v0
.LBB115_31:
	s_or_b64 exec, exec, s[50:51]
	v_or_b32_e32 v0, 0x700, v22
	v_cmp_gt_i32_e32 vcc, s33, v0
                                        ; implicit-def: $vgpr0
	s_and_saveexec_b64 s[50:51], vcc
	s_cbranch_execnz .LBB115_44
; %bb.32:
	s_or_b64 exec, exec, s[50:51]
	s_and_saveexec_b64 s[4:5], s[34:35]
	s_xor_b64 s[4:5], exec, s[4:5]
	s_cbranch_execnz .LBB115_45
.LBB115_33:
	s_or_b64 exec, exec, s[4:5]
	v_cmp_gt_i32_e32 vcc, s33, v22
	s_and_saveexec_b64 s[4:5], vcc
	s_cbranch_execnz .LBB115_46
.LBB115_34:
	s_or_b64 exec, exec, s[4:5]
	v_cmp_gt_i32_e32 vcc, s33, v22
	s_and_saveexec_b64 s[4:5], vcc
	s_cbranch_execnz .LBB115_47
.LBB115_35:
	s_or_b64 exec, exec, s[4:5]
	v_cmp_gt_i32_e32 vcc, s33, v22
	s_and_saveexec_b64 s[4:5], vcc
	s_cbranch_execnz .LBB115_48
.LBB115_36:
	s_or_b64 exec, exec, s[4:5]
	v_cmp_gt_i32_e32 vcc, s33, v22
	s_and_saveexec_b64 s[4:5], vcc
	s_cbranch_execnz .LBB115_49
.LBB115_37:
	s_or_b64 exec, exec, s[4:5]
	v_cmp_gt_i32_e32 vcc, s33, v22
	s_and_saveexec_b64 s[4:5], vcc
	s_cbranch_execnz .LBB115_50
.LBB115_38:
	s_or_b64 exec, exec, s[4:5]
	v_cmp_gt_i32_e32 vcc, s33, v22
	s_and_saveexec_b64 s[4:5], vcc
	s_cbranch_execnz .LBB115_51
.LBB115_39:
	s_or_b64 exec, exec, s[4:5]
	v_cmp_gt_i32_e32 vcc, s33, v22
	s_and_saveexec_b64 s[4:5], vcc
	s_cbranch_execz .LBB115_41
.LBB115_40:
	v_add_u32_e32 v1, s48, v22
	s_waitcnt vmcnt(0)
	v_mov_b32_e32 v2, 0
	v_lshlrev_b64 v[1:2], 1, v[1:2]
	v_mov_b32_e32 v3, s39
	v_add_co_u32_e32 v1, vcc, s38, v1
	v_addc_co_u32_e32 v2, vcc, v3, v2, vcc
	global_store_short v[1:2], v0, off
.LBB115_41:
	s_endpgm
.LBB115_42:
	v_add_u32_e32 v3, s48, v0
	v_mov_b32_e32 v4, 0
	v_lshlrev_b64 v[3:4], 1, v[3:4]
	v_mov_b32_e32 v1, s51
	v_add_co_u32_e32 v3, vcc, s50, v3
	v_addc_co_u32_e32 v4, vcc, v1, v4, vcc
	global_load_ushort v31, v[3:4], off
	v_add_u32_e32 v0, 0x100, v0
	s_or_b64 exec, exec, s[4:5]
	v_cmp_gt_i32_e32 vcc, s33, v0
	s_and_saveexec_b64 s[4:5], vcc
	s_cbranch_execz .LBB115_17
.LBB115_43:
	v_add_u32_e32 v0, s48, v0
	v_mov_b32_e32 v1, 0
	v_lshlrev_b64 v[0:1], 1, v[0:1]
	v_mov_b32_e32 v3, s51
	v_add_co_u32_e32 v0, vcc, s50, v0
	v_addc_co_u32_e32 v1, vcc, v3, v1, vcc
	global_load_ushort v26, v[0:1], off
	s_or_b64 exec, exec, s[4:5]
                                        ; implicit-def: $vgpr29
	s_and_saveexec_b64 s[50:51], s[34:35]
	s_cbranch_execnz .LBB115_18
	s_branch .LBB115_19
.LBB115_44:
	s_getpc_b64 s[4:5]
	s_add_u32 s4, s4, _ZN3c104guts5applyIRZZZN2at6native21polygamma_kernel_cudaERNS2_18TensorIteratorBaseElENKUlvE_clEvENKUlvE2_clEvEUlNS_8BFloat16EE_RSt5tupleIJS8_EEEEDaOT_OT0_@rel32@lo+4
	s_addc_u32 s5, s5, _ZN3c104guts5applyIRZZZN2at6native21polygamma_kernel_cudaERNS2_18TensorIteratorBaseElENKUlvE_clEvENKUlvE2_clEvEUlNS_8BFloat16EE_RSt5tupleIJS8_EEEEDaOT_OT0_@rel32@hi+12
	v_mov_b32_e32 v0, s36
	v_mov_b32_e32 v1, s37
	s_waitcnt vmcnt(0)
	v_mov_b32_e32 v2, v26
	s_swappc_b64 s[30:31], s[4:5]
	s_or_b64 exec, exec, s[50:51]
	s_and_saveexec_b64 s[4:5], s[34:35]
	s_xor_b64 s[4:5], exec, s[4:5]
	s_cbranch_execz .LBB115_33
.LBB115_45:
	v_mov_b32_e32 v33, 0
	s_waitcnt vmcnt(0)
	v_lshlrev_b64 v[1:2], 1, v[32:33]
	v_mov_b32_e32 v3, s39
	v_add_co_u32_e32 v1, vcc, s38, v1
	v_addc_co_u32_e32 v2, vcc, v3, v2, vcc
	v_mov_b32_e32 v22, v34
	global_store_short v[1:2], v29, off
	s_or_b64 exec, exec, s[4:5]
	v_cmp_gt_i32_e32 vcc, s33, v22
	s_and_saveexec_b64 s[4:5], vcc
	s_cbranch_execz .LBB115_34
.LBB115_46:
	v_add_u32_e32 v1, s48, v22
	s_waitcnt vmcnt(0)
	v_mov_b32_e32 v2, 0
	v_lshlrev_b64 v[1:2], 1, v[1:2]
	v_mov_b32_e32 v3, s39
	v_add_co_u32_e32 v1, vcc, s38, v1
	v_addc_co_u32_e32 v2, vcc, v3, v2, vcc
	v_add_u32_e32 v22, 0x100, v22
	global_store_short v[1:2], v30, off
	s_or_b64 exec, exec, s[4:5]
	v_cmp_gt_i32_e32 vcc, s33, v22
	s_and_saveexec_b64 s[4:5], vcc
	s_cbranch_execz .LBB115_35
.LBB115_47:
	v_add_u32_e32 v1, s48, v22
	s_waitcnt vmcnt(0)
	v_mov_b32_e32 v2, 0
	v_lshlrev_b64 v[1:2], 1, v[1:2]
	v_mov_b32_e32 v3, s39
	v_add_co_u32_e32 v1, vcc, s38, v1
	v_addc_co_u32_e32 v2, vcc, v3, v2, vcc
	v_add_u32_e32 v22, 0x100, v22
	global_store_short v[1:2], v23, off
	s_or_b64 exec, exec, s[4:5]
	v_cmp_gt_i32_e32 vcc, s33, v22
	s_and_saveexec_b64 s[4:5], vcc
	s_cbranch_execz .LBB115_36
.LBB115_48:
	v_add_u32_e32 v1, s48, v22
	s_waitcnt vmcnt(0)
	v_mov_b32_e32 v2, 0
	v_lshlrev_b64 v[1:2], 1, v[1:2]
	v_mov_b32_e32 v3, s39
	v_add_co_u32_e32 v1, vcc, s38, v1
	v_addc_co_u32_e32 v2, vcc, v3, v2, vcc
	v_add_u32_e32 v22, 0x100, v22
	global_store_short v[1:2], v27, off
	s_or_b64 exec, exec, s[4:5]
	v_cmp_gt_i32_e32 vcc, s33, v22
	s_and_saveexec_b64 s[4:5], vcc
	s_cbranch_execz .LBB115_37
.LBB115_49:
	v_add_u32_e32 v1, s48, v22
	s_waitcnt vmcnt(0)
	v_mov_b32_e32 v2, 0
	v_lshlrev_b64 v[1:2], 1, v[1:2]
	v_mov_b32_e32 v3, s39
	v_add_co_u32_e32 v1, vcc, s38, v1
	v_addc_co_u32_e32 v2, vcc, v3, v2, vcc
	v_add_u32_e32 v22, 0x100, v22
	global_store_short v[1:2], v24, off
	s_or_b64 exec, exec, s[4:5]
	v_cmp_gt_i32_e32 vcc, s33, v22
	s_and_saveexec_b64 s[4:5], vcc
	s_cbranch_execz .LBB115_38
.LBB115_50:
	v_add_u32_e32 v1, s48, v22
	s_waitcnt vmcnt(0)
	v_mov_b32_e32 v2, 0
	v_lshlrev_b64 v[1:2], 1, v[1:2]
	v_mov_b32_e32 v3, s39
	v_add_co_u32_e32 v1, vcc, s38, v1
	v_addc_co_u32_e32 v2, vcc, v3, v2, vcc
	v_add_u32_e32 v22, 0x100, v22
	global_store_short v[1:2], v28, off
	s_or_b64 exec, exec, s[4:5]
	v_cmp_gt_i32_e32 vcc, s33, v22
	s_and_saveexec_b64 s[4:5], vcc
	s_cbranch_execz .LBB115_39
.LBB115_51:
	v_add_u32_e32 v1, s48, v22
	s_waitcnt vmcnt(0)
	v_mov_b32_e32 v2, 0
	v_lshlrev_b64 v[1:2], 1, v[1:2]
	v_mov_b32_e32 v3, s39
	v_add_co_u32_e32 v1, vcc, s38, v1
	v_addc_co_u32_e32 v2, vcc, v3, v2, vcc
	v_add_u32_e32 v22, 0x100, v22
	global_store_short v[1:2], v25, off
	s_or_b64 exec, exec, s[4:5]
	v_cmp_gt_i32_e32 vcc, s33, v22
	s_and_saveexec_b64 s[4:5], vcc
	s_cbranch_execnz .LBB115_40
	s_branch .LBB115_41
	.section	.rodata,"a",@progbits
	.p2align	6, 0x0
	.amdhsa_kernel _ZN2at6native29vectorized_elementwise_kernelILi2EZZZNS0_21polygamma_kernel_cudaERNS_18TensorIteratorBaseElENKUlvE_clEvENKUlvE2_clEvEUlN3c108BFloat16EE_St5arrayIPcLm2EEEEviT0_T1_
		.amdhsa_group_segment_fixed_size 0
		.amdhsa_private_segment_fixed_size 0
		.amdhsa_kernarg_size 32
		.amdhsa_user_sgpr_count 6
		.amdhsa_user_sgpr_private_segment_buffer 1
		.amdhsa_user_sgpr_dispatch_ptr 0
		.amdhsa_user_sgpr_queue_ptr 0
		.amdhsa_user_sgpr_kernarg_segment_ptr 1
		.amdhsa_user_sgpr_dispatch_id 0
		.amdhsa_user_sgpr_flat_scratch_init 0
		.amdhsa_user_sgpr_private_segment_size 0
		.amdhsa_uses_dynamic_stack 0
		.amdhsa_system_sgpr_private_segment_wavefront_offset 0
		.amdhsa_system_sgpr_workgroup_id_x 1
		.amdhsa_system_sgpr_workgroup_id_y 0
		.amdhsa_system_sgpr_workgroup_id_z 0
		.amdhsa_system_sgpr_workgroup_info 0
		.amdhsa_system_vgpr_workitem_id 0
		.amdhsa_next_free_vgpr 35
		.amdhsa_next_free_sgpr 54
		.amdhsa_reserve_vcc 1
		.amdhsa_reserve_flat_scratch 0
		.amdhsa_float_round_mode_32 0
		.amdhsa_float_round_mode_16_64 0
		.amdhsa_float_denorm_mode_32 3
		.amdhsa_float_denorm_mode_16_64 3
		.amdhsa_dx10_clamp 1
		.amdhsa_ieee_mode 1
		.amdhsa_fp16_overflow 0
		.amdhsa_exception_fp_ieee_invalid_op 0
		.amdhsa_exception_fp_denorm_src 0
		.amdhsa_exception_fp_ieee_div_zero 0
		.amdhsa_exception_fp_ieee_overflow 0
		.amdhsa_exception_fp_ieee_underflow 0
		.amdhsa_exception_fp_ieee_inexact 0
		.amdhsa_exception_int_div_zero 0
	.end_amdhsa_kernel
	.section	.text._ZN2at6native29vectorized_elementwise_kernelILi2EZZZNS0_21polygamma_kernel_cudaERNS_18TensorIteratorBaseElENKUlvE_clEvENKUlvE2_clEvEUlN3c108BFloat16EE_St5arrayIPcLm2EEEEviT0_T1_,"axG",@progbits,_ZN2at6native29vectorized_elementwise_kernelILi2EZZZNS0_21polygamma_kernel_cudaERNS_18TensorIteratorBaseElENKUlvE_clEvENKUlvE2_clEvEUlN3c108BFloat16EE_St5arrayIPcLm2EEEEviT0_T1_,comdat
.Lfunc_end115:
	.size	_ZN2at6native29vectorized_elementwise_kernelILi2EZZZNS0_21polygamma_kernel_cudaERNS_18TensorIteratorBaseElENKUlvE_clEvENKUlvE2_clEvEUlN3c108BFloat16EE_St5arrayIPcLm2EEEEviT0_T1_, .Lfunc_end115-_ZN2at6native29vectorized_elementwise_kernelILi2EZZZNS0_21polygamma_kernel_cudaERNS_18TensorIteratorBaseElENKUlvE_clEvENKUlvE2_clEvEUlN3c108BFloat16EE_St5arrayIPcLm2EEEEviT0_T1_
                                        ; -- End function
	.set _ZN2at6native29vectorized_elementwise_kernelILi2EZZZNS0_21polygamma_kernel_cudaERNS_18TensorIteratorBaseElENKUlvE_clEvENKUlvE2_clEvEUlN3c108BFloat16EE_St5arrayIPcLm2EEEEviT0_T1_.num_vgpr, max(35, .L_ZN3c104guts5applyIRZZZN2at6native21polygamma_kernel_cudaERNS2_18TensorIteratorBaseElENKUlvE_clEvENKUlvE2_clEvEUlNS_8BFloat16EE_RSt5tupleIJS8_EEEEDaOT_OT0_.num_vgpr)
	.set _ZN2at6native29vectorized_elementwise_kernelILi2EZZZNS0_21polygamma_kernel_cudaERNS_18TensorIteratorBaseElENKUlvE_clEvENKUlvE2_clEvEUlN3c108BFloat16EE_St5arrayIPcLm2EEEEviT0_T1_.num_agpr, max(0, .L_ZN3c104guts5applyIRZZZN2at6native21polygamma_kernel_cudaERNS2_18TensorIteratorBaseElENKUlvE_clEvENKUlvE2_clEvEUlNS_8BFloat16EE_RSt5tupleIJS8_EEEEDaOT_OT0_.num_agpr)
	.set _ZN2at6native29vectorized_elementwise_kernelILi2EZZZNS0_21polygamma_kernel_cudaERNS_18TensorIteratorBaseElENKUlvE_clEvENKUlvE2_clEvEUlN3c108BFloat16EE_St5arrayIPcLm2EEEEviT0_T1_.numbered_sgpr, max(54, .L_ZN3c104guts5applyIRZZZN2at6native21polygamma_kernel_cudaERNS2_18TensorIteratorBaseElENKUlvE_clEvENKUlvE2_clEvEUlNS_8BFloat16EE_RSt5tupleIJS8_EEEEDaOT_OT0_.numbered_sgpr)
	.set _ZN2at6native29vectorized_elementwise_kernelILi2EZZZNS0_21polygamma_kernel_cudaERNS_18TensorIteratorBaseElENKUlvE_clEvENKUlvE2_clEvEUlN3c108BFloat16EE_St5arrayIPcLm2EEEEviT0_T1_.num_named_barrier, max(0, .L_ZN3c104guts5applyIRZZZN2at6native21polygamma_kernel_cudaERNS2_18TensorIteratorBaseElENKUlvE_clEvENKUlvE2_clEvEUlNS_8BFloat16EE_RSt5tupleIJS8_EEEEDaOT_OT0_.num_named_barrier)
	.set _ZN2at6native29vectorized_elementwise_kernelILi2EZZZNS0_21polygamma_kernel_cudaERNS_18TensorIteratorBaseElENKUlvE_clEvENKUlvE2_clEvEUlN3c108BFloat16EE_St5arrayIPcLm2EEEEviT0_T1_.private_seg_size, 0+max(.L_ZN3c104guts5applyIRZZZN2at6native21polygamma_kernel_cudaERNS2_18TensorIteratorBaseElENKUlvE_clEvENKUlvE2_clEvEUlNS_8BFloat16EE_RSt5tupleIJS8_EEEEDaOT_OT0_.private_seg_size)
	.set _ZN2at6native29vectorized_elementwise_kernelILi2EZZZNS0_21polygamma_kernel_cudaERNS_18TensorIteratorBaseElENKUlvE_clEvENKUlvE2_clEvEUlN3c108BFloat16EE_St5arrayIPcLm2EEEEviT0_T1_.uses_vcc, or(1, .L_ZN3c104guts5applyIRZZZN2at6native21polygamma_kernel_cudaERNS2_18TensorIteratorBaseElENKUlvE_clEvENKUlvE2_clEvEUlNS_8BFloat16EE_RSt5tupleIJS8_EEEEDaOT_OT0_.uses_vcc)
	.set _ZN2at6native29vectorized_elementwise_kernelILi2EZZZNS0_21polygamma_kernel_cudaERNS_18TensorIteratorBaseElENKUlvE_clEvENKUlvE2_clEvEUlN3c108BFloat16EE_St5arrayIPcLm2EEEEviT0_T1_.uses_flat_scratch, or(0, .L_ZN3c104guts5applyIRZZZN2at6native21polygamma_kernel_cudaERNS2_18TensorIteratorBaseElENKUlvE_clEvENKUlvE2_clEvEUlNS_8BFloat16EE_RSt5tupleIJS8_EEEEDaOT_OT0_.uses_flat_scratch)
	.set _ZN2at6native29vectorized_elementwise_kernelILi2EZZZNS0_21polygamma_kernel_cudaERNS_18TensorIteratorBaseElENKUlvE_clEvENKUlvE2_clEvEUlN3c108BFloat16EE_St5arrayIPcLm2EEEEviT0_T1_.has_dyn_sized_stack, or(0, .L_ZN3c104guts5applyIRZZZN2at6native21polygamma_kernel_cudaERNS2_18TensorIteratorBaseElENKUlvE_clEvENKUlvE2_clEvEUlNS_8BFloat16EE_RSt5tupleIJS8_EEEEDaOT_OT0_.has_dyn_sized_stack)
	.set _ZN2at6native29vectorized_elementwise_kernelILi2EZZZNS0_21polygamma_kernel_cudaERNS_18TensorIteratorBaseElENKUlvE_clEvENKUlvE2_clEvEUlN3c108BFloat16EE_St5arrayIPcLm2EEEEviT0_T1_.has_recursion, or(0, .L_ZN3c104guts5applyIRZZZN2at6native21polygamma_kernel_cudaERNS2_18TensorIteratorBaseElENKUlvE_clEvENKUlvE2_clEvEUlNS_8BFloat16EE_RSt5tupleIJS8_EEEEDaOT_OT0_.has_recursion)
	.set _ZN2at6native29vectorized_elementwise_kernelILi2EZZZNS0_21polygamma_kernel_cudaERNS_18TensorIteratorBaseElENKUlvE_clEvENKUlvE2_clEvEUlN3c108BFloat16EE_St5arrayIPcLm2EEEEviT0_T1_.has_indirect_call, or(0, .L_ZN3c104guts5applyIRZZZN2at6native21polygamma_kernel_cudaERNS2_18TensorIteratorBaseElENKUlvE_clEvENKUlvE2_clEvEUlNS_8BFloat16EE_RSt5tupleIJS8_EEEEDaOT_OT0_.has_indirect_call)
	.section	.AMDGPU.csdata,"",@progbits
; Kernel info:
; codeLenInByte = 2076
; TotalNumSgprs: 58
; NumVgprs: 35
; ScratchSize: 0
; MemoryBound: 0
; FloatMode: 240
; IeeeMode: 1
; LDSByteSize: 0 bytes/workgroup (compile time only)
; SGPRBlocks: 7
; VGPRBlocks: 8
; NumSGPRsForWavesPerEU: 58
; NumVGPRsForWavesPerEU: 35
; Occupancy: 7
; WaveLimiterHint : 0
; COMPUTE_PGM_RSRC2:SCRATCH_EN: 0
; COMPUTE_PGM_RSRC2:USER_SGPR: 6
; COMPUTE_PGM_RSRC2:TRAP_HANDLER: 0
; COMPUTE_PGM_RSRC2:TGID_X_EN: 1
; COMPUTE_PGM_RSRC2:TGID_Y_EN: 0
; COMPUTE_PGM_RSRC2:TGID_Z_EN: 0
; COMPUTE_PGM_RSRC2:TIDIG_COMP_CNT: 0
	.section	.text._ZN2at6native27unrolled_elementwise_kernelIZZZNS0_21polygamma_kernel_cudaERNS_18TensorIteratorBaseElENKUlvE_clEvENKUlvE2_clEvEUlN3c108BFloat16EE_St5arrayIPcLm2EELi4E23TrivialOffsetCalculatorILi1EjESD_NS0_6memory15LoadWithoutCastENSE_16StoreWithoutCastEEEviT_T0_T2_T3_T4_T5_,"axG",@progbits,_ZN2at6native27unrolled_elementwise_kernelIZZZNS0_21polygamma_kernel_cudaERNS_18TensorIteratorBaseElENKUlvE_clEvENKUlvE2_clEvEUlN3c108BFloat16EE_St5arrayIPcLm2EELi4E23TrivialOffsetCalculatorILi1EjESD_NS0_6memory15LoadWithoutCastENSE_16StoreWithoutCastEEEviT_T0_T2_T3_T4_T5_,comdat
	.globl	_ZN2at6native27unrolled_elementwise_kernelIZZZNS0_21polygamma_kernel_cudaERNS_18TensorIteratorBaseElENKUlvE_clEvENKUlvE2_clEvEUlN3c108BFloat16EE_St5arrayIPcLm2EELi4E23TrivialOffsetCalculatorILi1EjESD_NS0_6memory15LoadWithoutCastENSE_16StoreWithoutCastEEEviT_T0_T2_T3_T4_T5_ ; -- Begin function _ZN2at6native27unrolled_elementwise_kernelIZZZNS0_21polygamma_kernel_cudaERNS_18TensorIteratorBaseElENKUlvE_clEvENKUlvE2_clEvEUlN3c108BFloat16EE_St5arrayIPcLm2EELi4E23TrivialOffsetCalculatorILi1EjESD_NS0_6memory15LoadWithoutCastENSE_16StoreWithoutCastEEEviT_T0_T2_T3_T4_T5_
	.p2align	8
	.type	_ZN2at6native27unrolled_elementwise_kernelIZZZNS0_21polygamma_kernel_cudaERNS_18TensorIteratorBaseElENKUlvE_clEvENKUlvE2_clEvEUlN3c108BFloat16EE_St5arrayIPcLm2EELi4E23TrivialOffsetCalculatorILi1EjESD_NS0_6memory15LoadWithoutCastENSE_16StoreWithoutCastEEEviT_T0_T2_T3_T4_T5_,@function
_ZN2at6native27unrolled_elementwise_kernelIZZZNS0_21polygamma_kernel_cudaERNS_18TensorIteratorBaseElENKUlvE_clEvENKUlvE2_clEvEUlN3c108BFloat16EE_St5arrayIPcLm2EELi4E23TrivialOffsetCalculatorILi1EjESD_NS0_6memory15LoadWithoutCastENSE_16StoreWithoutCastEEEviT_T0_T2_T3_T4_T5_: ; @_ZN2at6native27unrolled_elementwise_kernelIZZZNS0_21polygamma_kernel_cudaERNS_18TensorIteratorBaseElENKUlvE_clEvENKUlvE2_clEvEUlN3c108BFloat16EE_St5arrayIPcLm2EELi4E23TrivialOffsetCalculatorILi1EjESD_NS0_6memory15LoadWithoutCastENSE_16StoreWithoutCastEEEviT_T0_T2_T3_T4_T5_
; %bb.0:
	s_add_u32 s0, s0, s7
	s_load_dword s7, s[4:5], 0x0
	s_load_dwordx2 s[8:9], s[4:5], 0x18
	s_addc_u32 s1, s1, 0
	s_lshl_b32 s33, s6, 10
	v_mov_b32_e32 v22, v0
	s_waitcnt lgkmcnt(0)
	s_sub_i32 s50, s7, s33
	v_cmp_gt_i32_e64 s[34:35], s50, v22
	v_mov_b32_e32 v23, 0
	v_or_b32_e32 v28, s33, v22
	v_mov_b32_e32 v2, 0
	s_mov_b32 s32, 0
	s_and_saveexec_b64 s[6:7], s[34:35]
	s_cbranch_execz .LBB116_2
; %bb.1:
	v_mov_b32_e32 v29, 0
	v_lshlrev_b64 v[0:1], 1, v[28:29]
	v_mov_b32_e32 v2, s9
	v_add_co_u32_e32 v0, vcc, s8, v0
	v_addc_co_u32_e32 v1, vcc, v2, v1, vcc
	global_load_ushort v2, v[0:1], off
	v_or_b32_e32 v0, 0x100, v22
.LBB116_2:
	s_or_b64 exec, exec, s[6:7]
	s_load_dwordx4 s[36:39], s[4:5], 0x8
	v_cmp_gt_i32_e32 vcc, s50, v0
	s_and_saveexec_b64 s[4:5], vcc
	s_cbranch_execz .LBB116_4
; %bb.3:
	v_add_u32_e32 v3, s33, v0
	v_mov_b32_e32 v4, 0
	v_lshlrev_b64 v[3:4], 1, v[3:4]
	v_mov_b32_e32 v1, s9
	v_add_co_u32_e32 v3, vcc, s8, v3
	v_addc_co_u32_e32 v4, vcc, v1, v4, vcc
	global_load_ushort v23, v[3:4], off
	v_add_u32_e32 v0, 0x100, v0
.LBB116_4:
	s_or_b64 exec, exec, s[4:5]
	v_cmp_gt_i32_e32 vcc, s50, v0
	v_mov_b32_e32 v24, 0
	v_mov_b32_e32 v27, 0
	s_and_saveexec_b64 s[4:5], vcc
	s_cbranch_execnz .LBB116_18
; %bb.5:
	s_or_b64 exec, exec, s[4:5]
	v_cmp_gt_i32_e32 vcc, s50, v0
	s_and_saveexec_b64 s[4:5], vcc
	s_cbranch_execnz .LBB116_19
.LBB116_6:
	s_or_b64 exec, exec, s[4:5]
                                        ; implicit-def: $vgpr25
	s_and_saveexec_b64 s[48:49], s[34:35]
	s_cbranch_execz .LBB116_8
.LBB116_7:
	s_getpc_b64 s[4:5]
	s_add_u32 s4, s4, _ZN3c104guts5applyIRZZZN2at6native21polygamma_kernel_cudaERNS2_18TensorIteratorBaseElENKUlvE_clEvENKUlvE2_clEvEUlNS_8BFloat16EE_RSt5tupleIJS8_EEEEDaOT_OT0_@rel32@lo+4
	s_addc_u32 s5, s5, _ZN3c104guts5applyIRZZZN2at6native21polygamma_kernel_cudaERNS2_18TensorIteratorBaseElENKUlvE_clEvENKUlvE2_clEvEUlNS_8BFloat16EE_RSt5tupleIJS8_EEEEDaOT_OT0_@rel32@hi+12
	s_waitcnt lgkmcnt(0)
	v_mov_b32_e32 v0, s36
	v_mov_b32_e32 v1, s37
	s_swappc_b64 s[30:31], s[4:5]
	v_mov_b32_e32 v25, v0
.LBB116_8:
	s_or_b64 exec, exec, s[48:49]
	v_or_b32_e32 v30, 0x100, v22
	v_cmp_gt_i32_e32 vcc, s50, v30
                                        ; implicit-def: $vgpr26
	s_and_saveexec_b64 s[48:49], vcc
	s_cbranch_execz .LBB116_10
; %bb.9:
	s_getpc_b64 s[4:5]
	s_add_u32 s4, s4, _ZN3c104guts5applyIRZZZN2at6native21polygamma_kernel_cudaERNS2_18TensorIteratorBaseElENKUlvE_clEvENKUlvE2_clEvEUlNS_8BFloat16EE_RSt5tupleIJS8_EEEEDaOT_OT0_@rel32@lo+4
	s_addc_u32 s5, s5, _ZN3c104guts5applyIRZZZN2at6native21polygamma_kernel_cudaERNS2_18TensorIteratorBaseElENKUlvE_clEvENKUlvE2_clEvEUlNS_8BFloat16EE_RSt5tupleIJS8_EEEEDaOT_OT0_@rel32@hi+12
	s_waitcnt lgkmcnt(0)
	v_mov_b32_e32 v0, s36
	v_mov_b32_e32 v1, s37
	s_waitcnt vmcnt(0)
	v_mov_b32_e32 v2, v23
	s_swappc_b64 s[30:31], s[4:5]
	v_mov_b32_e32 v26, v0
.LBB116_10:
	s_or_b64 exec, exec, s[48:49]
	v_or_b32_e32 v0, 0x200, v22
	v_cmp_gt_i32_e32 vcc, s50, v0
                                        ; implicit-def: $vgpr23
	s_and_saveexec_b64 s[48:49], vcc
	s_cbranch_execz .LBB116_12
; %bb.11:
	s_getpc_b64 s[4:5]
	s_add_u32 s4, s4, _ZN3c104guts5applyIRZZZN2at6native21polygamma_kernel_cudaERNS2_18TensorIteratorBaseElENKUlvE_clEvENKUlvE2_clEvEUlNS_8BFloat16EE_RSt5tupleIJS8_EEEEDaOT_OT0_@rel32@lo+4
	s_addc_u32 s5, s5, _ZN3c104guts5applyIRZZZN2at6native21polygamma_kernel_cudaERNS2_18TensorIteratorBaseElENKUlvE_clEvENKUlvE2_clEvEUlNS_8BFloat16EE_RSt5tupleIJS8_EEEEDaOT_OT0_@rel32@hi+12
	s_waitcnt lgkmcnt(0)
	v_mov_b32_e32 v0, s36
	v_mov_b32_e32 v1, s37
	s_waitcnt vmcnt(0)
	v_mov_b32_e32 v2, v27
	s_swappc_b64 s[30:31], s[4:5]
	v_mov_b32_e32 v23, v0
.LBB116_12:
	s_or_b64 exec, exec, s[48:49]
	v_or_b32_e32 v0, 0x300, v22
	v_cmp_gt_i32_e32 vcc, s50, v0
                                        ; implicit-def: $vgpr0
	s_and_saveexec_b64 s[48:49], vcc
	s_cbranch_execnz .LBB116_20
; %bb.13:
	s_or_b64 exec, exec, s[48:49]
	s_and_saveexec_b64 s[4:5], s[34:35]
	s_xor_b64 s[4:5], exec, s[4:5]
	s_cbranch_execnz .LBB116_21
.LBB116_14:
	s_or_b64 exec, exec, s[4:5]
	v_cmp_gt_i32_e32 vcc, s50, v22
	s_and_saveexec_b64 s[4:5], vcc
	s_cbranch_execnz .LBB116_22
.LBB116_15:
	s_or_b64 exec, exec, s[4:5]
	v_cmp_gt_i32_e32 vcc, s50, v22
	s_and_saveexec_b64 s[4:5], vcc
	s_cbranch_execnz .LBB116_23
.LBB116_16:
	s_or_b64 exec, exec, s[4:5]
	v_cmp_gt_i32_e32 vcc, s50, v22
	s_and_saveexec_b64 s[4:5], vcc
	s_cbranch_execnz .LBB116_24
.LBB116_17:
	s_endpgm
.LBB116_18:
	v_add_u32_e32 v3, s33, v0
	v_mov_b32_e32 v4, 0
	v_lshlrev_b64 v[3:4], 1, v[3:4]
	v_mov_b32_e32 v1, s9
	v_add_co_u32_e32 v3, vcc, s8, v3
	v_addc_co_u32_e32 v4, vcc, v1, v4, vcc
	global_load_ushort v27, v[3:4], off
	v_add_u32_e32 v0, 0x100, v0
	s_or_b64 exec, exec, s[4:5]
	v_cmp_gt_i32_e32 vcc, s50, v0
	s_and_saveexec_b64 s[4:5], vcc
	s_cbranch_execz .LBB116_6
.LBB116_19:
	v_add_u32_e32 v0, s33, v0
	v_mov_b32_e32 v1, 0
	v_lshlrev_b64 v[0:1], 1, v[0:1]
	v_mov_b32_e32 v3, s9
	v_add_co_u32_e32 v0, vcc, s8, v0
	v_addc_co_u32_e32 v1, vcc, v3, v1, vcc
	global_load_ushort v24, v[0:1], off
	s_or_b64 exec, exec, s[4:5]
                                        ; implicit-def: $vgpr25
	s_and_saveexec_b64 s[48:49], s[34:35]
	s_cbranch_execnz .LBB116_7
	s_branch .LBB116_8
.LBB116_20:
	s_getpc_b64 s[4:5]
	s_add_u32 s4, s4, _ZN3c104guts5applyIRZZZN2at6native21polygamma_kernel_cudaERNS2_18TensorIteratorBaseElENKUlvE_clEvENKUlvE2_clEvEUlNS_8BFloat16EE_RSt5tupleIJS8_EEEEDaOT_OT0_@rel32@lo+4
	s_addc_u32 s5, s5, _ZN3c104guts5applyIRZZZN2at6native21polygamma_kernel_cudaERNS2_18TensorIteratorBaseElENKUlvE_clEvENKUlvE2_clEvEUlNS_8BFloat16EE_RSt5tupleIJS8_EEEEDaOT_OT0_@rel32@hi+12
	s_waitcnt lgkmcnt(0)
	v_mov_b32_e32 v0, s36
	v_mov_b32_e32 v1, s37
	s_waitcnt vmcnt(0)
	v_mov_b32_e32 v2, v24
	s_swappc_b64 s[30:31], s[4:5]
	s_or_b64 exec, exec, s[48:49]
	s_and_saveexec_b64 s[4:5], s[34:35]
	s_xor_b64 s[4:5], exec, s[4:5]
	s_cbranch_execz .LBB116_14
.LBB116_21:
	v_mov_b32_e32 v29, 0
	s_waitcnt vmcnt(0)
	v_lshlrev_b64 v[1:2], 1, v[28:29]
	s_waitcnt lgkmcnt(0)
	v_mov_b32_e32 v3, s39
	v_add_co_u32_e32 v1, vcc, s38, v1
	v_addc_co_u32_e32 v2, vcc, v3, v2, vcc
	v_mov_b32_e32 v22, v30
	global_store_short v[1:2], v25, off
	s_or_b64 exec, exec, s[4:5]
	v_cmp_gt_i32_e32 vcc, s50, v22
	s_and_saveexec_b64 s[4:5], vcc
	s_cbranch_execz .LBB116_15
.LBB116_22:
	v_add_u32_e32 v1, s33, v22
	s_waitcnt vmcnt(0)
	v_mov_b32_e32 v2, 0
	v_lshlrev_b64 v[1:2], 1, v[1:2]
	v_add_u32_e32 v3, 0x100, v22
	s_waitcnt lgkmcnt(0)
	v_mov_b32_e32 v4, s39
	v_add_co_u32_e32 v1, vcc, s38, v1
	v_addc_co_u32_e32 v2, vcc, v4, v2, vcc
	v_mov_b32_e32 v22, v3
	global_store_short v[1:2], v26, off
	s_or_b64 exec, exec, s[4:5]
	v_cmp_gt_i32_e32 vcc, s50, v22
	s_and_saveexec_b64 s[4:5], vcc
	s_cbranch_execz .LBB116_16
.LBB116_23:
	v_add_u32_e32 v1, s33, v22
	s_waitcnt vmcnt(0)
	v_mov_b32_e32 v2, 0
	v_lshlrev_b64 v[1:2], 1, v[1:2]
	v_add_u32_e32 v3, 0x100, v22
	s_waitcnt lgkmcnt(0)
	v_mov_b32_e32 v4, s39
	v_add_co_u32_e32 v1, vcc, s38, v1
	v_addc_co_u32_e32 v2, vcc, v4, v2, vcc
	v_mov_b32_e32 v22, v3
	global_store_short v[1:2], v23, off
	s_or_b64 exec, exec, s[4:5]
	v_cmp_gt_i32_e32 vcc, s50, v22
	s_and_saveexec_b64 s[4:5], vcc
	s_cbranch_execz .LBB116_17
.LBB116_24:
	v_add_u32_e32 v1, s33, v22
	s_waitcnt vmcnt(0)
	v_mov_b32_e32 v2, 0
	v_lshlrev_b64 v[1:2], 1, v[1:2]
	s_waitcnt lgkmcnt(0)
	v_mov_b32_e32 v3, s39
	v_add_co_u32_e32 v1, vcc, s38, v1
	v_addc_co_u32_e32 v2, vcc, v3, v2, vcc
	global_store_short v[1:2], v0, off
	s_endpgm
	.section	.rodata,"a",@progbits
	.p2align	6, 0x0
	.amdhsa_kernel _ZN2at6native27unrolled_elementwise_kernelIZZZNS0_21polygamma_kernel_cudaERNS_18TensorIteratorBaseElENKUlvE_clEvENKUlvE2_clEvEUlN3c108BFloat16EE_St5arrayIPcLm2EELi4E23TrivialOffsetCalculatorILi1EjESD_NS0_6memory15LoadWithoutCastENSE_16StoreWithoutCastEEEviT_T0_T2_T3_T4_T5_
		.amdhsa_group_segment_fixed_size 0
		.amdhsa_private_segment_fixed_size 0
		.amdhsa_kernarg_size 36
		.amdhsa_user_sgpr_count 6
		.amdhsa_user_sgpr_private_segment_buffer 1
		.amdhsa_user_sgpr_dispatch_ptr 0
		.amdhsa_user_sgpr_queue_ptr 0
		.amdhsa_user_sgpr_kernarg_segment_ptr 1
		.amdhsa_user_sgpr_dispatch_id 0
		.amdhsa_user_sgpr_flat_scratch_init 0
		.amdhsa_user_sgpr_private_segment_size 0
		.amdhsa_uses_dynamic_stack 0
		.amdhsa_system_sgpr_private_segment_wavefront_offset 0
		.amdhsa_system_sgpr_workgroup_id_x 1
		.amdhsa_system_sgpr_workgroup_id_y 0
		.amdhsa_system_sgpr_workgroup_id_z 0
		.amdhsa_system_sgpr_workgroup_info 0
		.amdhsa_system_vgpr_workitem_id 0
		.amdhsa_next_free_vgpr 31
		.amdhsa_next_free_sgpr 51
		.amdhsa_reserve_vcc 1
		.amdhsa_reserve_flat_scratch 0
		.amdhsa_float_round_mode_32 0
		.amdhsa_float_round_mode_16_64 0
		.amdhsa_float_denorm_mode_32 3
		.amdhsa_float_denorm_mode_16_64 3
		.amdhsa_dx10_clamp 1
		.amdhsa_ieee_mode 1
		.amdhsa_fp16_overflow 0
		.amdhsa_exception_fp_ieee_invalid_op 0
		.amdhsa_exception_fp_denorm_src 0
		.amdhsa_exception_fp_ieee_div_zero 0
		.amdhsa_exception_fp_ieee_overflow 0
		.amdhsa_exception_fp_ieee_underflow 0
		.amdhsa_exception_fp_ieee_inexact 0
		.amdhsa_exception_int_div_zero 0
	.end_amdhsa_kernel
	.section	.text._ZN2at6native27unrolled_elementwise_kernelIZZZNS0_21polygamma_kernel_cudaERNS_18TensorIteratorBaseElENKUlvE_clEvENKUlvE2_clEvEUlN3c108BFloat16EE_St5arrayIPcLm2EELi4E23TrivialOffsetCalculatorILi1EjESD_NS0_6memory15LoadWithoutCastENSE_16StoreWithoutCastEEEviT_T0_T2_T3_T4_T5_,"axG",@progbits,_ZN2at6native27unrolled_elementwise_kernelIZZZNS0_21polygamma_kernel_cudaERNS_18TensorIteratorBaseElENKUlvE_clEvENKUlvE2_clEvEUlN3c108BFloat16EE_St5arrayIPcLm2EELi4E23TrivialOffsetCalculatorILi1EjESD_NS0_6memory15LoadWithoutCastENSE_16StoreWithoutCastEEEviT_T0_T2_T3_T4_T5_,comdat
.Lfunc_end116:
	.size	_ZN2at6native27unrolled_elementwise_kernelIZZZNS0_21polygamma_kernel_cudaERNS_18TensorIteratorBaseElENKUlvE_clEvENKUlvE2_clEvEUlN3c108BFloat16EE_St5arrayIPcLm2EELi4E23TrivialOffsetCalculatorILi1EjESD_NS0_6memory15LoadWithoutCastENSE_16StoreWithoutCastEEEviT_T0_T2_T3_T4_T5_, .Lfunc_end116-_ZN2at6native27unrolled_elementwise_kernelIZZZNS0_21polygamma_kernel_cudaERNS_18TensorIteratorBaseElENKUlvE_clEvENKUlvE2_clEvEUlN3c108BFloat16EE_St5arrayIPcLm2EELi4E23TrivialOffsetCalculatorILi1EjESD_NS0_6memory15LoadWithoutCastENSE_16StoreWithoutCastEEEviT_T0_T2_T3_T4_T5_
                                        ; -- End function
	.set _ZN2at6native27unrolled_elementwise_kernelIZZZNS0_21polygamma_kernel_cudaERNS_18TensorIteratorBaseElENKUlvE_clEvENKUlvE2_clEvEUlN3c108BFloat16EE_St5arrayIPcLm2EELi4E23TrivialOffsetCalculatorILi1EjESD_NS0_6memory15LoadWithoutCastENSE_16StoreWithoutCastEEEviT_T0_T2_T3_T4_T5_.num_vgpr, max(31, .L_ZN3c104guts5applyIRZZZN2at6native21polygamma_kernel_cudaERNS2_18TensorIteratorBaseElENKUlvE_clEvENKUlvE2_clEvEUlNS_8BFloat16EE_RSt5tupleIJS8_EEEEDaOT_OT0_.num_vgpr)
	.set _ZN2at6native27unrolled_elementwise_kernelIZZZNS0_21polygamma_kernel_cudaERNS_18TensorIteratorBaseElENKUlvE_clEvENKUlvE2_clEvEUlN3c108BFloat16EE_St5arrayIPcLm2EELi4E23TrivialOffsetCalculatorILi1EjESD_NS0_6memory15LoadWithoutCastENSE_16StoreWithoutCastEEEviT_T0_T2_T3_T4_T5_.num_agpr, max(0, .L_ZN3c104guts5applyIRZZZN2at6native21polygamma_kernel_cudaERNS2_18TensorIteratorBaseElENKUlvE_clEvENKUlvE2_clEvEUlNS_8BFloat16EE_RSt5tupleIJS8_EEEEDaOT_OT0_.num_agpr)
	.set _ZN2at6native27unrolled_elementwise_kernelIZZZNS0_21polygamma_kernel_cudaERNS_18TensorIteratorBaseElENKUlvE_clEvENKUlvE2_clEvEUlN3c108BFloat16EE_St5arrayIPcLm2EELi4E23TrivialOffsetCalculatorILi1EjESD_NS0_6memory15LoadWithoutCastENSE_16StoreWithoutCastEEEviT_T0_T2_T3_T4_T5_.numbered_sgpr, max(51, .L_ZN3c104guts5applyIRZZZN2at6native21polygamma_kernel_cudaERNS2_18TensorIteratorBaseElENKUlvE_clEvENKUlvE2_clEvEUlNS_8BFloat16EE_RSt5tupleIJS8_EEEEDaOT_OT0_.numbered_sgpr)
	.set _ZN2at6native27unrolled_elementwise_kernelIZZZNS0_21polygamma_kernel_cudaERNS_18TensorIteratorBaseElENKUlvE_clEvENKUlvE2_clEvEUlN3c108BFloat16EE_St5arrayIPcLm2EELi4E23TrivialOffsetCalculatorILi1EjESD_NS0_6memory15LoadWithoutCastENSE_16StoreWithoutCastEEEviT_T0_T2_T3_T4_T5_.num_named_barrier, max(0, .L_ZN3c104guts5applyIRZZZN2at6native21polygamma_kernel_cudaERNS2_18TensorIteratorBaseElENKUlvE_clEvENKUlvE2_clEvEUlNS_8BFloat16EE_RSt5tupleIJS8_EEEEDaOT_OT0_.num_named_barrier)
	.set _ZN2at6native27unrolled_elementwise_kernelIZZZNS0_21polygamma_kernel_cudaERNS_18TensorIteratorBaseElENKUlvE_clEvENKUlvE2_clEvEUlN3c108BFloat16EE_St5arrayIPcLm2EELi4E23TrivialOffsetCalculatorILi1EjESD_NS0_6memory15LoadWithoutCastENSE_16StoreWithoutCastEEEviT_T0_T2_T3_T4_T5_.private_seg_size, 0+max(.L_ZN3c104guts5applyIRZZZN2at6native21polygamma_kernel_cudaERNS2_18TensorIteratorBaseElENKUlvE_clEvENKUlvE2_clEvEUlNS_8BFloat16EE_RSt5tupleIJS8_EEEEDaOT_OT0_.private_seg_size)
	.set _ZN2at6native27unrolled_elementwise_kernelIZZZNS0_21polygamma_kernel_cudaERNS_18TensorIteratorBaseElENKUlvE_clEvENKUlvE2_clEvEUlN3c108BFloat16EE_St5arrayIPcLm2EELi4E23TrivialOffsetCalculatorILi1EjESD_NS0_6memory15LoadWithoutCastENSE_16StoreWithoutCastEEEviT_T0_T2_T3_T4_T5_.uses_vcc, or(1, .L_ZN3c104guts5applyIRZZZN2at6native21polygamma_kernel_cudaERNS2_18TensorIteratorBaseElENKUlvE_clEvENKUlvE2_clEvEUlNS_8BFloat16EE_RSt5tupleIJS8_EEEEDaOT_OT0_.uses_vcc)
	.set _ZN2at6native27unrolled_elementwise_kernelIZZZNS0_21polygamma_kernel_cudaERNS_18TensorIteratorBaseElENKUlvE_clEvENKUlvE2_clEvEUlN3c108BFloat16EE_St5arrayIPcLm2EELi4E23TrivialOffsetCalculatorILi1EjESD_NS0_6memory15LoadWithoutCastENSE_16StoreWithoutCastEEEviT_T0_T2_T3_T4_T5_.uses_flat_scratch, or(0, .L_ZN3c104guts5applyIRZZZN2at6native21polygamma_kernel_cudaERNS2_18TensorIteratorBaseElENKUlvE_clEvENKUlvE2_clEvEUlNS_8BFloat16EE_RSt5tupleIJS8_EEEEDaOT_OT0_.uses_flat_scratch)
	.set _ZN2at6native27unrolled_elementwise_kernelIZZZNS0_21polygamma_kernel_cudaERNS_18TensorIteratorBaseElENKUlvE_clEvENKUlvE2_clEvEUlN3c108BFloat16EE_St5arrayIPcLm2EELi4E23TrivialOffsetCalculatorILi1EjESD_NS0_6memory15LoadWithoutCastENSE_16StoreWithoutCastEEEviT_T0_T2_T3_T4_T5_.has_dyn_sized_stack, or(0, .L_ZN3c104guts5applyIRZZZN2at6native21polygamma_kernel_cudaERNS2_18TensorIteratorBaseElENKUlvE_clEvENKUlvE2_clEvEUlNS_8BFloat16EE_RSt5tupleIJS8_EEEEDaOT_OT0_.has_dyn_sized_stack)
	.set _ZN2at6native27unrolled_elementwise_kernelIZZZNS0_21polygamma_kernel_cudaERNS_18TensorIteratorBaseElENKUlvE_clEvENKUlvE2_clEvEUlN3c108BFloat16EE_St5arrayIPcLm2EELi4E23TrivialOffsetCalculatorILi1EjESD_NS0_6memory15LoadWithoutCastENSE_16StoreWithoutCastEEEviT_T0_T2_T3_T4_T5_.has_recursion, or(0, .L_ZN3c104guts5applyIRZZZN2at6native21polygamma_kernel_cudaERNS2_18TensorIteratorBaseElENKUlvE_clEvENKUlvE2_clEvEUlNS_8BFloat16EE_RSt5tupleIJS8_EEEEDaOT_OT0_.has_recursion)
	.set _ZN2at6native27unrolled_elementwise_kernelIZZZNS0_21polygamma_kernel_cudaERNS_18TensorIteratorBaseElENKUlvE_clEvENKUlvE2_clEvEUlN3c108BFloat16EE_St5arrayIPcLm2EELi4E23TrivialOffsetCalculatorILi1EjESD_NS0_6memory15LoadWithoutCastENSE_16StoreWithoutCastEEEviT_T0_T2_T3_T4_T5_.has_indirect_call, or(0, .L_ZN3c104guts5applyIRZZZN2at6native21polygamma_kernel_cudaERNS2_18TensorIteratorBaseElENKUlvE_clEvENKUlvE2_clEvEUlNS_8BFloat16EE_RSt5tupleIJS8_EEEEDaOT_OT0_.has_indirect_call)
	.section	.AMDGPU.csdata,"",@progbits
; Kernel info:
; codeLenInByte = 932
; TotalNumSgprs: 55
; NumVgprs: 31
; ScratchSize: 0
; MemoryBound: 0
; FloatMode: 240
; IeeeMode: 1
; LDSByteSize: 0 bytes/workgroup (compile time only)
; SGPRBlocks: 6
; VGPRBlocks: 7
; NumSGPRsForWavesPerEU: 55
; NumVGPRsForWavesPerEU: 31
; Occupancy: 8
; WaveLimiterHint : 0
; COMPUTE_PGM_RSRC2:SCRATCH_EN: 0
; COMPUTE_PGM_RSRC2:USER_SGPR: 6
; COMPUTE_PGM_RSRC2:TRAP_HANDLER: 0
; COMPUTE_PGM_RSRC2:TGID_X_EN: 1
; COMPUTE_PGM_RSRC2:TGID_Y_EN: 0
; COMPUTE_PGM_RSRC2:TGID_Z_EN: 0
; COMPUTE_PGM_RSRC2:TIDIG_COMP_CNT: 0
	.text
	.p2align	2                               ; -- Begin function _ZN2at6native6invokeIZZZNS0_21polygamma_kernel_cudaERNS_18TensorIteratorBaseElENKUlvE_clEvENKUlvE2_clEvEUlN3c108BFloat16EE_j15function_traitsIS8_EEENT1_11result_typeERKT_PrKPcPKT0_i
	.type	_ZN2at6native6invokeIZZZNS0_21polygamma_kernel_cudaERNS_18TensorIteratorBaseElENKUlvE_clEvENKUlvE2_clEvEUlN3c108BFloat16EE_j15function_traitsIS8_EEENT1_11result_typeERKT_PrKPcPKT0_i,@function
_ZN2at6native6invokeIZZZNS0_21polygamma_kernel_cudaERNS_18TensorIteratorBaseElENKUlvE_clEvENKUlvE2_clEvEUlN3c108BFloat16EE_j15function_traitsIS8_EEENT1_11result_typeERKT_PrKPcPKT0_i: ; @_ZN2at6native6invokeIZZZNS0_21polygamma_kernel_cudaERNS_18TensorIteratorBaseElENKUlvE_clEvENKUlvE2_clEvEUlN3c108BFloat16EE_j15function_traitsIS8_EEENT1_11result_typeERKT_PrKPcPKT0_i
; %bb.0:
	s_waitcnt vmcnt(0) expcnt(0) lgkmcnt(0)
	v_add_co_u32_e32 v1, vcc, v2, v4
	v_addc_co_u32_e32 v2, vcc, 0, v3, vcc
	flat_load_ushort v5, v[1:2]
	v_cvt_f32_i32_e32 v1, v0
	s_movk_i32 s4, 0x7fff
	v_mov_b32_e32 v3, 0x7fc00000
	v_bfe_u32 v2, v1, 16, 1
	v_add3_u32 v1, v1, v2, s4
	v_and_b32_e32 v1, 0xffff0000, v1
	v_add_f32_e32 v1, 1.0, v1
	v_bfe_u32 v2, v1, 16, 1
	v_add3_u32 v2, v1, v2, s4
	v_and_b32_e32 v2, 0xffff0000, v2
	v_cmp_o_f32_e32 vcc, v1, v1
	v_cndmask_b32_e32 v1, v3, v2, vcc
	s_mov_b32 s4, 0x3c800000
	v_and_b32_e32 v3, 0x7fffffff, v1
	v_cmp_nlt_f32_e64 s[4:5], |v1|, s4
                                        ; implicit-def: $vgpr2
	s_and_saveexec_b64 s[6:7], s[4:5]
	s_xor_b64 s[6:7], exec, s[6:7]
	s_cbranch_execz .LBB117_30
; %bb.1:
	v_cmp_nlt_f32_e64 s[4:5], |v1|, 2.0
                                        ; implicit-def: $vgpr2
	s_and_saveexec_b64 s[8:9], s[4:5]
	s_xor_b64 s[8:9], exec, s[8:9]
	s_cbranch_execz .LBB117_11
; %bb.2:
	s_mov_b32 s4, 0x41000000
	v_cmp_nlt_f32_e64 s[4:5], |v1|, s4
                                        ; implicit-def: $vgpr2
	s_and_saveexec_b64 s[10:11], s[4:5]
	s_xor_b64 s[10:11], exec, s[10:11]
	s_cbranch_execz .LBB117_8
; %bb.3:
	s_mov_b32 s4, 0x5c800000
	v_cmp_nlt_f32_e64 s[4:5], |v1|, s4
                                        ; implicit-def: $vgpr2
	s_and_saveexec_b64 s[12:13], s[4:5]
	s_xor_b64 s[12:13], exec, s[12:13]
	s_cbranch_execz .LBB117_5
; %bb.4:
	s_mov_b32 s4, 0x800000
	v_cmp_lt_f32_e64 vcc, |v1|, s4
	v_cndmask_b32_e64 v2, 0, 32, vcc
	v_ldexp_f32 v2, |v1|, v2
	v_log_f32_e32 v2, v2
	s_mov_b32 s4, 0x3f317217
	s_mov_b32 s5, 0x7f800000
	v_mul_f32_e32 v4, 0x3f317217, v2
	v_fma_f32 v6, v2, s4, -v4
	v_fmac_f32_e32 v6, 0x3377d1cf, v2
	v_add_f32_e32 v4, v4, v6
	v_cmp_lt_f32_e64 s[4:5], |v2|, s5
	v_cndmask_b32_e64 v2, v2, v4, s[4:5]
	v_mov_b32_e32 v4, 0x41b17218
	v_cndmask_b32_e32 v4, 0, v4, vcc
	v_sub_f32_e32 v2, v2, v4
	v_fma_f32 v2, |v1|, v2, -|v1|
.LBB117_5:
	s_andn2_saveexec_b64 s[12:13], s[12:13]
	s_cbranch_execz .LBB117_7
; %bb.6:
	v_rcp_f32_e64 v4, |v1|
	v_mov_b32_e32 v2, 0x3a5b3dd2
	v_mov_b32_e32 v6, 0xba1c065c
	;; [unrolled: 1-line block ×3, first 2 shown]
	v_mul_f32_e32 v8, v4, v4
	v_fmac_f32_e32 v2, 0xbad5c4e8, v8
	v_fmac_f32_e32 v6, v8, v2
	s_mov_b32 s4, 0x800000
	v_fmac_f32_e32 v7, v8, v6
	v_mov_b32_e32 v2, 0xbb360b61
	v_cmp_lt_f32_e64 vcc, |v1|, s4
	v_fmac_f32_e32 v2, v8, v7
	v_cndmask_b32_e64 v7, 0, 32, vcc
	v_ldexp_f32 v7, |v1|, v7
	v_log_f32_e32 v7, v7
	v_mov_b32_e32 v6, 0x3daaaaab
	v_fmac_f32_e32 v6, v8, v2
	v_mov_b32_e32 v2, 0x3ed67f1d
	v_fmac_f32_e32 v2, v4, v6
	s_mov_b32 s4, 0x3f317217
	v_mul_f32_e32 v6, 0x3f317217, v7
	v_fma_f32 v8, v7, s4, -v6
	v_fmac_f32_e32 v8, 0x3377d1cf, v7
	s_mov_b32 s4, 0x7f800000
	v_add_f32_e32 v6, v6, v8
	v_cmp_lt_f32_e64 s[4:5], |v7|, s4
	v_cndmask_b32_e64 v6, v7, v6, s[4:5]
	v_mov_b32_e32 v7, 0x41b17218
	v_cndmask_b32_e32 v7, 0, v7, vcc
	v_sub_f32_e32 v6, v6, v7
	v_add_f32_e64 v4, |v1|, -0.5
	v_add_f32_e32 v6, -1.0, v6
	v_fmac_f32_e32 v2, v4, v6
.LBB117_7:
	s_or_b64 exec, exec, s[12:13]
.LBB117_8:
	s_andn2_saveexec_b64 s[10:11], s[10:11]
	s_cbranch_execz .LBB117_10
; %bb.9:
	v_cvt_i32_f32_e32 v2, v3
	v_mov_b32_e32 v4, 0x3af135b4
	v_mov_b32_e32 v6, 0x3cda40e4
	;; [unrolled: 1-line block ×3, first 2 shown]
	v_cvt_f32_i32_e32 v8, v2
	v_mov_b32_e32 v9, 0x3ea6cc7a
	v_mov_b32_e32 v10, 0x3e5c245a
	v_cmp_lt_i32_e32 vcc, 2, v2
	v_sub_f32_e64 v8, |v1|, v8
	v_fmac_f32_e32 v4, 0x3805ff67, v8
	v_fmac_f32_e32 v6, v8, v4
	;; [unrolled: 1-line block ×3, first 2 shown]
	v_mov_b32_e32 v6, 0x3a4beed6
	v_fmac_f32_e32 v9, v8, v7
	v_fmac_f32_e32 v6, 0x36f5d7bd, v8
	v_mov_b32_e32 v7, 0x3c98bf54
	v_fmac_f32_e32 v7, v8, v6
	v_mov_b32_e32 v6, 0x3e300f6e
	v_fmac_f32_e32 v6, v8, v7
	v_mov_b32_e32 v7, 0x3f38d0c5
	v_fmac_f32_e32 v7, v8, v6
	v_mov_b32_e32 v6, 0x3fb22d3b
	v_fmac_f32_e32 v6, v8, v7
	v_add_f32_e32 v7, 2.0, v8
	v_mov_b32_e32 v11, 0xbd9e233f
	v_fmac_f32_e32 v10, v8, v9
	v_add_f32_e32 v9, 0x40400000, v8
	v_cndmask_b32_e32 v7, 1.0, v7, vcc
	v_cmp_lt_i32_e32 vcc, 3, v2
	v_fmac_f32_e32 v11, v8, v10
	v_add_f32_e32 v10, 4.0, v8
	v_cndmask_b32_e32 v9, 1.0, v9, vcc
	v_cmp_lt_i32_e32 vcc, 4, v2
	v_mul_f32_e32 v4, v8, v11
	v_add_f32_e32 v11, 0x40a00000, v8
	v_mul_f32_e32 v7, v7, v9
	v_cndmask_b32_e32 v9, 1.0, v10, vcc
	v_cmp_lt_i32_e32 vcc, 5, v2
	v_add_f32_e32 v12, 0x40c00000, v8
	v_mul_f32_e32 v7, v9, v7
	v_cndmask_b32_e32 v9, 1.0, v11, vcc
	v_cmp_lt_i32_e32 vcc, 6, v2
	v_mul_f32_e32 v7, v9, v7
	v_cndmask_b32_e32 v2, 1.0, v12, vcc
	v_mul_f32_e32 v2, v2, v7
	s_mov_b32 s4, 0x800000
	v_cmp_gt_f32_e32 vcc, s4, v2
	v_cndmask_b32_e64 v7, 0, 32, vcc
	v_fma_f32 v6, v8, v6, 1.0
	v_ldexp_f32 v2, v2, v7
	v_rcp_f32_e32 v6, v6
	v_log_f32_e32 v2, v2
	s_mov_b32 s4, 0x3f317217
	v_mul_f32_e32 v4, v4, v6
	v_mul_f32_e32 v6, 0x3f317217, v2
	v_fma_f32 v7, v2, s4, -v6
	v_fmac_f32_e32 v7, 0x3377d1cf, v2
	s_mov_b32 s4, 0x7f800000
	v_add_f32_e32 v6, v6, v7
	v_cmp_lt_f32_e64 s[4:5], |v2|, s4
	v_cndmask_b32_e64 v2, v2, v6, s[4:5]
	v_mov_b32_e32 v6, 0x41b17218
	v_cndmask_b32_e32 v6, 0, v6, vcc
	v_fmac_f32_e32 v4, 0.5, v8
	v_sub_f32_e32 v2, v2, v6
	v_add_f32_e32 v2, v2, v4
.LBB117_10:
	s_or_b64 exec, exec, s[10:11]
.LBB117_11:
	s_andn2_saveexec_b64 s[8:9], s[8:9]
	s_cbranch_execz .LBB117_29
; %bb.12:
	s_mov_b32 s4, 0x3f666666
	v_cmp_le_f32_e64 s[4:5], |v1|, s4
                                        ; implicit-def: $vgpr2
                                        ; implicit-def: $vgpr6
                                        ; implicit-def: $vgpr4
	s_and_saveexec_b64 s[10:11], s[4:5]
	s_xor_b64 s[10:11], exec, s[10:11]
	s_cbranch_execz .LBB117_14
; %bb.13:
	s_mov_b32 s4, 0x800000
	v_cmp_lt_f32_e64 vcc, |v1|, s4
	v_cndmask_b32_e64 v2, 0, 32, vcc
	v_ldexp_f32 v2, |v1|, v2
	v_log_f32_e32 v2, v2
	s_mov_b32 s4, 0x3f317217
	s_mov_b32 s5, 0x7f800000
	v_mul_f32_e32 v4, 0x3f317217, v2
	v_fma_f32 v6, v2, s4, -v4
	v_fmac_f32_e32 v6, 0x3377d1cf, v2
	v_add_f32_e32 v4, v4, v6
	v_cmp_lt_f32_e64 s[4:5], |v2|, s5
	v_cndmask_b32_e64 v2, v2, v4, s[4:5]
	v_mov_b32_e32 v4, 0x41b17218
	v_cndmask_b32_e32 v4, 0, v4, vcc
	s_mov_b32 s4, 0x3f3b4a23
	s_mov_b32 s5, 0xbeec5b0c
	v_sub_f32_e32 v2, v2, v4
	v_sub_f32_e64 v4, 1.0, |v1|
	v_add_f32_e64 v6, |v1|, s5
	v_cmp_lt_f32_e64 vcc, |v1|, s4
	s_mov_b32 s4, 0x3e6d3309
	v_cndmask_b32_e32 v4, v4, v6, vcc
	v_cndmask_b32_e64 v6, 0, 1, vcc
	v_cmp_lt_f32_e64 s[4:5], |v1|, s4
	v_xor_b32_e32 v2, 0x80000000, v2
	v_cndmask_b32_e64 v4, v4, |v1|, s[4:5]
	v_cndmask_b32_e64 v6, v6, 2, s[4:5]
.LBB117_14:
	s_andn2_saveexec_b64 s[4:5], s[10:11]
	s_cbranch_execz .LBB117_16
; %bb.15:
	s_mov_b32 s10, 0x3fdda512
	s_mov_b32 s11, 0xbfbb16c3
	v_sub_f32_e64 v2, 2.0, |v1|
	v_add_f32_e64 v4, |v1|, s11
	v_cmp_lt_f32_e64 vcc, |v1|, s10
	v_cndmask_b32_e32 v4, v2, v4, vcc
	v_cndmask_b32_e64 v2, v2, 1.0, vcc
	v_cvt_i32_f32_e32 v2, v2
	s_mov_b32 s10, 0x3f9d70a4
	v_add_f32_e64 v6, |v1|, -1.0
	v_cmp_lt_f32_e64 vcc, |v1|, s10
	v_cndmask_b32_e32 v4, v4, v6, vcc
	v_cndmask_b32_e64 v6, v2, 2, vcc
	v_mov_b32_e32 v2, 0
.LBB117_16:
	s_or_b64 exec, exec, s[4:5]
	v_cmp_lt_i32_e32 vcc, 0, v6
	s_and_saveexec_b64 s[4:5], vcc
	s_xor_b64 s[4:5], exec, s[4:5]
	s_cbranch_execz .LBB117_24
; %bb.17:
	v_cmp_lt_i32_e32 vcc, 1, v6
	s_and_saveexec_b64 s[10:11], vcc
	s_xor_b64 s[10:11], exec, s[10:11]
	s_cbranch_execz .LBB117_21
; %bb.18:
	v_cmp_eq_u32_e32 vcc, 2, v6
	s_and_saveexec_b64 s[12:13], vcc
	s_cbranch_execz .LBB117_20
; %bb.19:
	v_mov_b32_e32 v6, 0x3e6a7578
	v_fmac_f32_e32 v6, 0x3c5b3c5e, v4
	v_mov_b32_e32 v7, 0x3f7a4bb2
	v_fmac_f32_e32 v7, v4, v6
	;; [unrolled: 2-line block ×8, first 2 shown]
	v_fma_f32 v6, v4, v8, 1.0
	v_rcp_f32_e32 v6, v6
	v_mov_b32_e32 v8, 0xbd9e233f
	v_fmac_f32_e32 v8, v4, v7
	v_mul_f32_e32 v7, v4, v8
	v_mul_f32_e32 v6, v7, v6
	v_fmac_f32_e32 v6, -0.5, v4
	v_add_f32_e32 v2, v2, v6
.LBB117_20:
	s_or_b64 exec, exec, s[12:13]
                                        ; implicit-def: $vgpr4
.LBB117_21:
	s_andn2_saveexec_b64 s[10:11], s[10:11]
	s_cbranch_execz .LBB117_23
; %bb.22:
	v_mul_f32_e32 v6, v4, v4
	v_mul_f32_e32 v7, v4, v6
	v_mov_b32_e32 v8, 0xbab7f476
	v_fmac_f32_e32 v8, 0x39a57b6b, v7
	v_mov_b32_e32 v9, 0x3bc7e707
	v_fmac_f32_e32 v9, v7, v8
	;; [unrolled: 2-line block ×12, first 2 shown]
	v_fmac_f32_e32 v10, v4, v11
	s_mov_b32 s12, 0xa2863e55
	v_fma_f32 v4, v7, -v10, s12
	v_fma_f32 v4, v6, v9, -v4
	v_add_f32_e32 v4, 0xbdf8cdce, v4
	v_add_f32_e32 v2, v2, v4
.LBB117_23:
	s_or_b64 exec, exec, s[10:11]
                                        ; implicit-def: $vgpr6
                                        ; implicit-def: $vgpr4
.LBB117_24:
	s_andn2_saveexec_b64 s[4:5], s[4:5]
	s_cbranch_execz .LBB117_28
; %bb.25:
	v_cmp_eq_u32_e32 vcc, 0, v6
	s_and_saveexec_b64 s[10:11], vcc
	s_cbranch_execz .LBB117_27
; %bb.26:
	v_mul_f32_e32 v6, v4, v4
	v_mov_b32_e32 v7, 0x39679767
	v_fmac_f32_e32 v7, 0x37d383a2, v6
	v_mov_b32_e32 v8, 0x3a9c54a1
	v_fmac_f32_e32 v8, v6, v7
	;; [unrolled: 2-line block ×10, first 2 shown]
	v_mul_f32_e32 v6, v6, v8
	v_fmac_f32_e32 v6, v4, v7
	v_fmac_f32_e32 v6, -0.5, v4
	v_add_f32_e32 v2, v2, v6
.LBB117_27:
	s_or_b64 exec, exec, s[10:11]
.LBB117_28:
	s_or_b64 exec, exec, s[4:5]
.LBB117_29:
	s_or_b64 exec, exec, s[8:9]
.LBB117_30:
	s_andn2_saveexec_b64 s[6:7], s[6:7]
	s_cbranch_execz .LBB117_32
; %bb.31:
	s_mov_b32 s4, 0x3e8a8991
	v_mov_b32_e32 v2, 0xbecd26ab
	v_fma_f32 v2, |v1|, s4, v2
	s_mov_b32 s4, 0x3f528d33
	v_fma_f32 v2, |v1|, v2, s4
	s_mov_b32 s4, 0x800000
	v_cmp_lt_f32_e64 vcc, |v1|, s4
	v_cndmask_b32_e64 v4, 0, 32, vcc
	v_ldexp_f32 v4, |v1|, v4
	v_log_f32_e32 v4, v4
	s_mov_b32 s4, 0xbf13c468
	v_fma_f32 v2, |v1|, v2, s4
	s_mov_b32 s4, 0x3f317217
	v_mul_f32_e32 v6, 0x3f317217, v4
	v_fma_f32 v7, v4, s4, -v6
	v_fmac_f32_e32 v7, 0x3377d1cf, v4
	s_mov_b32 s4, 0x7f800000
	v_add_f32_e32 v6, v6, v7
	v_cmp_lt_f32_e64 s[4:5], |v4|, s4
	v_cndmask_b32_e64 v4, v4, v6, s[4:5]
	v_mov_b32_e32 v6, 0x41b17218
	v_cndmask_b32_e32 v6, 0, v6, vcc
	v_sub_f32_e32 v4, v4, v6
	v_fma_f32 v2, |v1|, v2, -v4
.LBB117_32:
	s_or_b64 exec, exec, s[6:7]
	v_cmp_le_f32_e64 s[4:5], 0, v1
	v_cmp_nle_f32_e32 vcc, 0, v1
	s_and_saveexec_b64 s[6:7], vcc
	s_xor_b64 s[8:9], exec, s[6:7]
	s_cbranch_execz .LBB117_36
; %bb.33:
	s_mov_b32 s6, 0x4b000000
	s_mov_b32 s10, 0x35000000
	v_cmp_lt_f32_e64 s[6:7], |v1|, s6
	v_cmp_gt_f32_e64 s[10:11], |v1|, s10
	s_and_b64 s[6:7], s[6:7], s[10:11]
	s_and_saveexec_b64 s[10:11], s[6:7]
	s_cbranch_execz .LBB117_35
; %bb.34:
	v_mul_f32_e64 v4, |v1|, 0.5
	v_floor_f32_e32 v6, v4
	v_sub_f32_e32 v6, v4, v6
	v_min_f32_e32 v6, 0x3f7fffff, v6
	s_mov_b32 s12, 0x7f800000
	v_add_f32_e32 v6, v6, v6
	v_cmp_neq_f32_e32 vcc, s12, v4
	v_cndmask_b32_e32 v4, 0, v6, vcc
	v_cmp_gt_f32_e64 s[6:7], |v1|, 1.0
	v_cndmask_b32_e64 v4, |v1|, v4, s[6:7]
	v_add_f32_e32 v6, v4, v4
	v_rndne_f32_e32 v6, v6
	v_fmac_f32_e32 v4, -0.5, v6
	v_mul_f32_e32 v7, v4, v4
	v_mov_b32_e32 v8, 0xbf1f24be
	v_fmac_f32_e32 v8, 0x3e75aa41, v7
	v_mov_b32_e32 v9, 0x40234736
	v_fmac_f32_e32 v9, v7, v8
	;; [unrolled: 2-line block ×3, first 2 shown]
	v_mul_f32_e32 v9, v4, v7
	v_mul_f32_e32 v8, v9, v8
	v_fmac_f32_e32 v8, 0x40490fdb, v4
	v_mov_b32_e32 v4, 0x3e642e9d
	v_cvt_i32_f32_e32 v6, v6
	v_fmac_f32_e32 v4, 0x3d4be544, v7
	v_mov_b32_e32 v9, 0xbfaad1da
	v_fmac_f32_e32 v9, v7, v4
	v_mov_b32_e32 v4, 0x4081e0d3
	;; [unrolled: 2-line block ×3, first 2 shown]
	v_fmac_f32_e32 v9, v7, v4
	v_fma_f32 v4, v7, v9, 1.0
	v_and_b32_e32 v7, 1, v6
	v_cmp_eq_u32_e32 vcc, 0, v7
	v_lshlrev_b32_e32 v6, 30, v6
	s_brev_b32 s6, 1
	v_cndmask_b32_e32 v4, v4, v8, vcc
	v_and_or_b32 v3, v6, s6, v3
	v_xor_b32_e32 v3, v3, v4
	v_xor_b32_e32 v3, v3, v1
	v_mul_f32_e32 v3, v1, v3
	v_frexp_mant_f32_e64 v4, |v3|
	v_rcp_f32_e32 v4, v4
	v_frexp_exp_i32_f32_e32 v3, v3
	v_sub_u32_e32 v3, 2, v3
	s_mov_b32 s6, 0x800000
	v_mul_f32_e32 v4, 0x3f490fdb, v4
	v_ldexp_f32 v3, v4, v3
	v_cmp_gt_f32_e32 vcc, s6, v3
	v_cndmask_b32_e64 v4, 0, 32, vcc
	v_ldexp_f32 v3, v3, v4
	v_log_f32_e32 v3, v3
	s_mov_b32 s6, 0x3f317217
	v_mul_f32_e32 v4, 0x3f317217, v3
	v_fma_f32 v6, v3, s6, -v4
	v_fmac_f32_e32 v6, 0x3377d1cf, v3
	v_add_f32_e32 v4, v4, v6
	v_cmp_lt_f32_e64 s[6:7], |v3|, s12
	v_cndmask_b32_e64 v3, v3, v4, s[6:7]
	v_mov_b32_e32 v4, 0x41b17218
	v_cndmask_b32_e32 v4, 0, v4, vcc
	v_sub_f32_e32 v3, v3, v4
	v_sub_f32_e32 v2, v3, v2
	v_floor_f32_e32 v3, v1
	v_sub_f32_e32 v3, v1, v3
	v_min_f32_e32 v3, 0x3f7fffff, v3
	v_mov_b32_e32 v4, 0x7f800000
	v_cmp_neq_f32_e32 vcc, 0, v3
	v_cndmask_b32_e32 v2, v4, v2, vcc
.LBB117_35:
	s_or_b64 exec, exec, s[10:11]
.LBB117_36:
	s_andn2_saveexec_b64 s[8:9], s[8:9]
; %bb.37:
	v_cmp_eq_f32_e32 vcc, 1.0, v1
	v_cmp_eq_f32_e64 s[6:7], 2.0, v1
	s_or_b64 s[6:7], vcc, s[6:7]
	v_cndmask_b32_e64 v2, v2, 0, s[6:7]
; %bb.38:
	s_or_b64 exec, exec, s[8:9]
	v_add_u32_e32 v3, 1, v0
	v_cvt_f32_i32_e32 v4, v3
	s_movk_i32 s42, 0x7fff
	v_mov_b32_e32 v3, 0x7f800000
	v_mov_b32_e32 v8, 0x7f800000
	v_bfe_u32 v6, v4, 16, 1
	v_add3_u32 v4, v4, v6, s42
	v_and_b32_e32 v4, 0xffff0000, v4
	v_cmp_neq_f32_e32 vcc, 1.0, v4
	s_and_saveexec_b64 s[12:13], vcc
	s_cbranch_execz .LBB117_66
; %bb.39:
	v_cmp_ngt_f32_e32 vcc, 1.0, v4
	v_mov_b32_e32 v8, 0x7fc00000
	s_and_saveexec_b64 s[14:15], vcc
	s_cbranch_execz .LBB117_65
; %bb.40:
	s_waitcnt vmcnt(0) lgkmcnt(0)
	v_lshlrev_b32_e32 v5, 16, v5
	v_cmp_ge_f32_e32 vcc, 0, v5
	s_mov_b64 s[8:9], -1
                                        ; implicit-def: $vgpr8
	s_and_saveexec_b64 s[6:7], vcc
	s_cbranch_execz .LBB117_44
; %bb.41:
	v_floor_f32_e32 v6, v5
	v_cmp_neq_f32_e32 vcc, v6, v5
	s_mov_b64 s[8:9], 0
	v_mov_b32_e32 v8, 0x7f800000
	s_and_saveexec_b64 s[10:11], vcc
; %bb.42:
	v_floor_f32_e32 v6, v4
	v_cmp_eq_f32_e32 vcc, v6, v4
	v_mov_b32_e32 v8, 0x7fc00000
	s_and_b64 s[8:9], vcc, exec
; %bb.43:
	s_or_b64 exec, exec, s[10:11]
	s_orn2_b64 s[8:9], s[8:9], exec
.LBB117_44:
	s_or_b64 exec, exec, s[6:7]
	s_and_saveexec_b64 s[16:17], s[8:9]
	s_cbranch_execz .LBB117_64
; %bb.45:
	v_xor_b32_e32 v6, 0x80000000, v4
	v_bfe_u32 v7, v6, 16, 1
	s_movk_i32 s6, 0x7fff
	v_add3_u32 v6, v6, v7, s6
	v_and_b32_e32 v6, 0xffff0000, v6
	v_mov_b32_e32 v7, 0x7fc00000
	v_cmp_o_f32_e32 vcc, v4, v4
	v_cndmask_b32_e32 v8, v7, v6, vcc
	v_cmp_neq_f32_e32 vcc, 1.0, v5
	v_cndmask_b32_e32 v6, 1.0, v8, vcc
	v_cmp_neq_f32_e32 vcc, 0, v6
	v_cndmask_b32_e32 v12, 1.0, v5, vcc
	v_frexp_mant_f32_e64 v9, |v12|
	s_mov_b32 s26, 0x3f2aaaab
	v_cmp_gt_f32_e32 vcc, s26, v9
	v_cndmask_b32_e64 v10, 1.0, 2.0, vcc
	v_mul_f32_e32 v9, v9, v10
	v_add_f32_e32 v10, 1.0, v9
	v_rcp_f32_e32 v11, v10
	v_add_f32_e32 v13, -1.0, v9
	v_add_f32_e32 v14, -1.0, v10
	v_sub_f32_e32 v9, v9, v14
	v_mul_f32_e32 v14, v13, v11
	v_mul_f32_e32 v15, v10, v14
	v_fma_f32 v10, v14, v10, -v15
	v_fmac_f32_e32 v10, v14, v9
	v_add_f32_e32 v9, v15, v10
	v_sub_f32_e32 v16, v13, v9
	v_sub_f32_e32 v15, v9, v15
	v_sub_f32_e32 v13, v13, v16
	v_sub_f32_e32 v9, v13, v9
	v_sub_f32_e32 v10, v15, v10
	v_add_f32_e32 v9, v10, v9
	v_add_f32_e32 v9, v16, v9
	v_mul_f32_e32 v9, v11, v9
	v_add_f32_e32 v13, v14, v9
	v_sub_f32_e32 v10, v13, v14
	v_sub_f32_e32 v14, v9, v10
	v_mul_f32_e32 v10, v13, v13
	v_fma_f32 v11, v13, v13, -v10
	v_add_f32_e32 v9, v14, v14
	v_fmac_f32_e32 v11, v13, v9
	v_add_f32_e32 v15, v10, v11
	v_sub_f32_e32 v10, v15, v10
	v_sub_f32_e32 v10, v11, v10
	v_mul_f32_e32 v11, v13, v15
	v_fma_f32 v17, v15, v13, -v11
	v_fmac_f32_e32 v17, v15, v14
	v_mov_b32_e32 v16, 0x3e91f4c4
	v_fmac_f32_e32 v17, v10, v13
	v_fmac_f32_e32 v16, 0x3e76c4e1, v15
	v_mov_b32_e32 v9, 0x3ecccdef
	v_add_f32_e32 v18, v11, v17
	v_fma_f32 v16, v15, v16, v9
	v_sub_f32_e32 v11, v18, v11
	v_sub_f32_e32 v17, v17, v11
	v_mul_f32_e32 v11, v15, v16
	v_fma_f32 v15, v15, v16, -v11
	v_fmac_f32_e32 v15, v10, v16
	v_add_f32_e32 v16, v11, v15
	v_sub_f32_e32 v10, v16, v11
	v_sub_f32_e32 v15, v15, v10
	v_cvt_f64_f32_e64 v[10:11], |v12|
	v_add_f32_e32 v19, 0x3f2aaaaa, v16
	v_add_f32_e32 v20, 0xbf2aaaaa, v19
	v_add_f32_e32 v15, 0x31739010, v15
	v_frexp_exp_i32_f64_e32 v10, v[10:11]
	v_sub_f32_e32 v16, v16, v20
	v_add_f32_e32 v11, v15, v16
	v_add_f32_e32 v15, v19, v11
	v_sub_f32_e32 v16, v19, v15
	v_add_f32_e32 v11, v11, v16
	v_mul_f32_e32 v16, v18, v15
	v_fma_f32 v19, v18, v15, -v16
	v_subbrev_co_u32_e32 v10, vcc, 0, v10, vcc
	v_cvt_f32_i32_e32 v10, v10
	v_fmac_f32_e32 v19, v18, v11
	s_mov_b32 s28, 0x3f317218
	v_fmac_f32_e32 v19, v17, v15
	v_mul_f32_e32 v11, 0x3f317218, v10
	v_fma_f32 v15, v10, s28, -v11
	v_fmac_f32_e32 v15, 0xb102e308, v10
	v_ldexp_f32 v10, v14, 1
	v_add_f32_e32 v14, v11, v15
	v_sub_f32_e32 v11, v14, v11
	v_ldexp_f32 v13, v13, 1
	v_sub_f32_e32 v11, v15, v11
	v_add_f32_e32 v15, v16, v19
	v_sub_f32_e32 v16, v15, v16
	v_add_f32_e32 v17, v13, v15
	v_sub_f32_e32 v16, v19, v16
	v_sub_f32_e32 v13, v17, v13
	;; [unrolled: 1-line block ×3, first 2 shown]
	v_add_f32_e32 v10, v10, v16
	v_add_f32_e32 v10, v10, v13
	;; [unrolled: 1-line block ×3, first 2 shown]
	v_sub_f32_e32 v15, v13, v17
	v_sub_f32_e32 v10, v10, v15
	v_add_f32_e32 v15, v14, v13
	v_sub_f32_e32 v16, v15, v14
	v_sub_f32_e32 v17, v15, v16
	;; [unrolled: 1-line block ×4, first 2 shown]
	v_add_f32_e32 v13, v13, v14
	v_add_f32_e32 v14, v11, v10
	v_sub_f32_e32 v16, v14, v11
	v_sub_f32_e32 v17, v14, v16
	;; [unrolled: 1-line block ×4, first 2 shown]
	v_add_f32_e32 v10, v10, v11
	v_add_f32_e32 v11, v14, v13
	;; [unrolled: 1-line block ×3, first 2 shown]
	v_sub_f32_e32 v14, v13, v15
	v_sub_f32_e32 v11, v11, v14
	v_add_f32_e32 v10, v10, v11
	v_add_f32_e32 v11, v13, v10
	v_sub_f32_e32 v13, v11, v13
	v_sub_f32_e32 v10, v10, v13
	v_mul_f32_e32 v13, v6, v11
	v_fma_f32 v11, v6, v11, -v13
	v_fmac_f32_e32 v11, v6, v10
	s_movk_i32 s29, 0x204
	v_add_f32_e32 v10, v13, v11
	v_cmp_class_f32_e64 vcc, v13, s29
	v_sub_f32_e32 v14, v10, v13
	v_cndmask_b32_e32 v13, v10, v13, vcc
	s_mov_b32 s41, 0x42b17218
	v_mov_b32_e32 v10, 0x37000000
	v_cmp_eq_f32_e32 vcc, s41, v13
	v_sub_f32_e32 v11, v11, v14
	v_cndmask_b32_e32 v14, 0, v10, vcc
	v_sub_f32_e32 v15, v13, v14
	s_mov_b32 s43, 0x3fb8aa3b
	v_mul_f32_e32 v16, 0x3fb8aa3b, v15
	v_fma_f32 v17, v15, s43, -v16
	v_rndne_f32_e32 v18, v16
	v_fmac_f32_e32 v17, 0x32a5705f, v15
	v_sub_f32_e32 v16, v16, v18
	v_add_f32_e32 v16, v16, v17
	v_exp_f32_e32 v16, v16
	v_cvt_i32_f32_e32 v17, v18
	s_mov_b32 s40, 0x7f800000
	v_cmp_neq_f32_e64 vcc, |v13|, s40
	v_cndmask_b32_e32 v11, 0, v11, vcc
	s_mov_b32 s44, 0xc2ce8ed0
	v_add_f32_e32 v13, v14, v11
	v_ldexp_f32 v11, v16, v17
	v_cmp_ngt_f32_e32 vcc, s44, v15
	v_cndmask_b32_e32 v14, 0, v11, vcc
	v_mov_b32_e32 v11, 0x7f800000
	v_cmp_nlt_f32_e32 vcc, s41, v15
	v_cndmask_b32_e32 v14, v11, v14, vcc
	v_fma_f32 v13, v14, v13, v14
	v_cmp_class_f32_e64 vcc, v14, s29
	v_cndmask_b32_e32 v13, v13, v14, vcc
	v_trunc_f32_e32 v14, v6
	v_cmp_eq_f32_e32 vcc, v14, v6
	v_mul_f32_e32 v14, 0.5, v6
	v_trunc_f32_e32 v15, v14
	v_cmp_neq_f32_e64 s[6:7], v15, v14
	s_and_b64 s[6:7], vcc, s[6:7]
	v_cndmask_b32_e64 v14, 1.0, v12, s[6:7]
	s_brev_b32 s45, -2
	v_bfi_b32 v13, s45, v13, v14
	v_cmp_neq_f32_e64 s[8:9], v6, |v6|
	v_cmp_lt_f32_e64 s[10:11], |v12|, 1.0
	v_cndmask_b32_e32 v14, v7, v13, vcc
	v_cmp_gt_f32_e32 vcc, 0, v12
	s_xor_b64 s[8:9], s[8:9], s[10:11]
	v_cndmask_b32_e32 v13, v13, v14, vcc
	v_cndmask_b32_e64 v14, v11, 0, s[8:9]
	v_cmp_neq_f32_e64 vcc, |v12|, 1.0
	v_cndmask_b32_e32 v14, 1.0, v14, vcc
	v_cmp_class_f32_e64 vcc, v6, s29
	v_cndmask_b32_e32 v13, v13, v14, vcc
	v_cmp_eq_f32_e32 vcc, 0, v12
	v_cmp_gt_f32_e64 s[8:9], 0, v6
	s_xor_b64 s[8:9], s[8:9], vcc
	v_cmp_class_f32_e64 s[10:11], v12, s29
	v_cndmask_b32_e64 v14, v11, 0, s[8:9]
	v_cndmask_b32_e64 v15, 0, v12, s[6:7]
	v_bfi_b32 v14, s45, v14, v15
	s_or_b64 vcc, vcc, s[10:11]
	v_cndmask_b32_e32 v13, v13, v14, vcc
	v_cmp_o_f32_e32 vcc, v12, v6
	s_mov_b32 s27, 0
	v_cndmask_b32_e32 v6, v7, v13, vcc
	s_mov_b64 s[18:19], 0
	s_mov_b32 s46, 0x41100000
                                        ; implicit-def: $sgpr20_sgpr21
                                        ; implicit-def: $sgpr24_sgpr25
                                        ; implicit-def: $sgpr22_sgpr23
	s_branch .LBB117_47
.LBB117_46:                             ;   in Loop: Header=BB117_47 Depth=1
	s_or_b64 exec, exec, s[6:7]
	s_and_b64 s[6:7], exec, s[24:25]
	s_or_b64 s[18:19], s[6:7], s[18:19]
	s_andn2_b64 s[6:7], s[20:21], exec
	s_and_b64 s[8:9], s[22:23], exec
	s_or_b64 s[20:21], s[6:7], s[8:9]
	s_andn2_b64 exec, exec, s[18:19]
	s_cbranch_execz .LBB117_49
.LBB117_47:                             ; =>This Inner Loop Header: Depth=1
	v_add_f32_e32 v5, 1.0, v5
	v_cmp_neq_f32_e32 vcc, 1.0, v5
	v_cndmask_b32_e32 v12, 1.0, v8, vcc
	v_cmp_neq_f32_e32 vcc, 0, v12
	v_cndmask_b32_e32 v13, 1.0, v5, vcc
	v_frexp_mant_f32_e64 v14, |v13|
	v_cmp_gt_f32_e32 vcc, s26, v14
	v_cndmask_b32_e64 v15, 1.0, 2.0, vcc
	v_mul_f32_e32 v14, v14, v15
	v_add_f32_e32 v16, 1.0, v14
	v_add_f32_e32 v17, -1.0, v16
	v_add_f32_e32 v15, -1.0, v14
	v_sub_f32_e32 v14, v14, v17
	v_rcp_f32_e32 v17, v16
	v_cmp_gt_f32_e64 s[8:9], 0, v13
	v_cmp_lt_f32_e64 s[10:11], |v13|, 1.0
	s_or_b64 s[22:23], s[22:23], exec
	v_mul_f32_e32 v18, v15, v17
	v_mul_f32_e32 v19, v16, v18
	v_fma_f32 v16, v18, v16, -v19
	v_fmac_f32_e32 v16, v18, v14
	v_add_f32_e32 v14, v19, v16
	v_sub_f32_e32 v20, v15, v14
	v_sub_f32_e32 v19, v14, v19
	;; [unrolled: 1-line block ×5, first 2 shown]
	v_add_f32_e32 v14, v15, v14
	v_add_f32_e32 v14, v20, v14
	v_mul_f32_e32 v14, v17, v14
	v_add_f32_e32 v16, v18, v14
	v_sub_f32_e32 v15, v16, v18
	v_sub_f32_e32 v17, v14, v15
	v_mul_f32_e32 v14, v16, v16
	v_fma_f32 v15, v16, v16, -v14
	v_add_f32_e32 v18, v17, v17
	v_fmac_f32_e32 v15, v16, v18
	v_add_f32_e32 v18, v14, v15
	v_sub_f32_e32 v14, v18, v14
	v_sub_f32_e32 v14, v15, v14
	v_mul_f32_e32 v15, v16, v18
	v_fma_f32 v20, v18, v16, -v15
	v_fmac_f32_e32 v20, v18, v17
	v_mov_b32_e32 v19, 0x3e91f4c4
	v_fmac_f32_e32 v20, v14, v16
	v_fmac_f32_e32 v19, 0x3e76c4e1, v18
	v_add_f32_e32 v21, v15, v20
	v_fma_f32 v19, v18, v19, v9
	v_sub_f32_e32 v15, v21, v15
	v_sub_f32_e32 v15, v20, v15
	v_mul_f32_e32 v20, v18, v19
	v_fma_f32 v18, v18, v19, -v20
	v_fmac_f32_e32 v18, v14, v19
	v_add_f32_e32 v14, v20, v18
	v_add_f32_e32 v19, 0x3f2aaaaa, v14
	v_sub_f32_e32 v20, v14, v20
	v_sub_f32_e32 v18, v18, v20
	v_add_f32_e32 v20, 0xbf2aaaaa, v19
	v_add_f32_e32 v18, 0x31739010, v18
	v_sub_f32_e32 v14, v14, v20
	v_add_f32_e32 v14, v18, v14
	v_add_f32_e32 v18, v19, v14
	v_sub_f32_e32 v19, v19, v18
	v_add_f32_e32 v14, v14, v19
	v_mul_f32_e32 v19, v21, v18
	v_fma_f32 v20, v21, v18, -v19
	v_fmac_f32_e32 v20, v21, v14
	v_fmac_f32_e32 v20, v15, v18
	v_cvt_f64_f32_e64 v[14:15], |v13|
	v_ldexp_f32 v16, v16, 1
	s_or_b64 s[24:25], s[24:25], exec
	v_frexp_exp_i32_f64_e32 v14, v[14:15]
	v_subbrev_co_u32_e32 v14, vcc, 0, v14, vcc
	v_cvt_f32_i32_e32 v14, v14
	v_mul_f32_e32 v15, 0x3f317218, v14
	v_fma_f32 v18, v14, s28, -v15
	v_fmac_f32_e32 v18, 0xb102e308, v14
	v_ldexp_f32 v14, v17, 1
	v_add_f32_e32 v17, v15, v18
	v_sub_f32_e32 v15, v17, v15
	v_sub_f32_e32 v15, v18, v15
	v_add_f32_e32 v18, v19, v20
	v_sub_f32_e32 v19, v18, v19
	v_sub_f32_e32 v19, v20, v19
	;; [unrolled: 3-line block ×3, first 2 shown]
	v_add_f32_e32 v14, v14, v19
	v_add_f32_e32 v14, v14, v16
	;; [unrolled: 1-line block ×3, first 2 shown]
	v_sub_f32_e32 v18, v16, v20
	v_sub_f32_e32 v14, v14, v18
	v_add_f32_e32 v18, v17, v16
	v_sub_f32_e32 v19, v18, v17
	v_sub_f32_e32 v20, v18, v19
	;; [unrolled: 1-line block ×4, first 2 shown]
	v_add_f32_e32 v16, v16, v17
	v_add_f32_e32 v17, v15, v14
	v_sub_f32_e32 v19, v17, v15
	v_sub_f32_e32 v20, v17, v19
	;; [unrolled: 1-line block ×4, first 2 shown]
	v_add_f32_e32 v14, v14, v15
	v_add_f32_e32 v15, v17, v16
	;; [unrolled: 1-line block ×3, first 2 shown]
	v_sub_f32_e32 v17, v16, v18
	v_sub_f32_e32 v15, v15, v17
	v_add_f32_e32 v14, v14, v15
	v_add_f32_e32 v15, v16, v14
	v_sub_f32_e32 v16, v15, v16
	v_sub_f32_e32 v14, v14, v16
	v_mul_f32_e32 v16, v12, v15
	v_fma_f32 v15, v12, v15, -v16
	v_fmac_f32_e32 v15, v12, v14
	v_add_f32_e32 v14, v16, v15
	v_cmp_class_f32_e64 vcc, v16, s29
	v_sub_f32_e32 v17, v14, v16
	v_cndmask_b32_e32 v14, v14, v16, vcc
	v_sub_f32_e32 v15, v15, v17
	v_cmp_neq_f32_e64 vcc, |v14|, s40
	v_cndmask_b32_e32 v15, 0, v15, vcc
	v_cmp_eq_f32_e32 vcc, s41, v14
	v_cndmask_b32_e32 v16, 0, v10, vcc
	v_sub_f32_e32 v14, v14, v16
	v_add_f32_e32 v15, v16, v15
	v_mul_f32_e32 v16, 0x3fb8aa3b, v14
	v_fma_f32 v17, v14, s43, -v16
	v_rndne_f32_e32 v18, v16
	v_fmac_f32_e32 v17, 0x32a5705f, v14
	v_sub_f32_e32 v16, v16, v18
	v_add_f32_e32 v16, v16, v17
	v_exp_f32_e32 v16, v16
	v_cvt_i32_f32_e32 v17, v18
	v_cmp_ngt_f32_e32 vcc, s44, v14
	v_ldexp_f32 v16, v16, v17
	v_cndmask_b32_e32 v16, 0, v16, vcc
	v_cmp_nlt_f32_e32 vcc, s41, v14
	v_cndmask_b32_e32 v14, v11, v16, vcc
	v_fma_f32 v15, v14, v15, v14
	v_cmp_class_f32_e64 vcc, v14, s29
	v_cndmask_b32_e32 v14, v15, v14, vcc
	v_trunc_f32_e32 v15, v12
	v_cmp_eq_f32_e32 vcc, v15, v12
	v_mul_f32_e32 v15, 0.5, v12
	v_trunc_f32_e32 v16, v15
	v_cmp_neq_f32_e64 s[6:7], v16, v15
	s_and_b64 s[6:7], vcc, s[6:7]
	v_cndmask_b32_e64 v15, 1.0, v13, s[6:7]
	v_bfi_b32 v14, s45, v14, v15
	v_cndmask_b32_e32 v15, v7, v14, vcc
	v_cndmask_b32_e64 v14, v14, v15, s[8:9]
	v_cmp_neq_f32_e64 s[8:9], v12, |v12|
	s_xor_b64 s[8:9], s[8:9], s[10:11]
	v_cndmask_b32_e64 v15, v11, 0, s[8:9]
	v_cmp_neq_f32_e64 s[8:9], |v13|, 1.0
	v_cmp_class_f32_e64 vcc, v12, s29
	v_cndmask_b32_e64 v15, 1.0, v15, s[8:9]
	v_cndmask_b32_e32 v14, v14, v15, vcc
	v_cmp_eq_f32_e32 vcc, 0, v13
	v_cmp_gt_f32_e64 s[10:11], 0, v12
	s_xor_b64 s[10:11], s[10:11], vcc
	v_cmp_class_f32_e64 s[8:9], v13, s29
	v_cndmask_b32_e64 v15, v11, 0, s[10:11]
	v_cndmask_b32_e64 v16, 0, v13, s[6:7]
	s_or_b64 s[8:9], vcc, s[8:9]
	v_bfi_b32 v15, s45, v15, v16
	v_cndmask_b32_e64 v14, v14, v15, s[8:9]
	v_cmp_o_f32_e32 vcc, v13, v12
	v_cndmask_b32_e32 v12, v7, v14, vcc
	v_add_f32_e32 v6, v6, v12
	v_mul_f32_e32 v13, 0xa5000000, v6
	v_cmp_nlt_f32_e32 vcc, v13, v12
	v_mul_f32_e32 v13, 0x25000000, v6
	v_cmp_nlt_f32_e64 s[6:7], v12, v13
	s_or_b64 s[8:9], vcc, s[6:7]
	s_and_saveexec_b64 s[6:7], s[8:9]
	s_cbranch_execz .LBB117_46
; %bb.48:                               ;   in Loop: Header=BB117_47 Depth=1
	s_add_i32 s47, s27, 1
	s_cmp_gt_u32 s27, 7
	s_cselect_b64 s[8:9], -1, 0
	v_cmp_nge_f32_e32 vcc, s46, v5
	s_and_b64 s[8:9], s[8:9], vcc
	s_andn2_b64 s[10:11], s[24:25], exec
	s_and_b64 s[8:9], s[8:9], exec
	s_andn2_b64 s[22:23], s[22:23], exec
	s_or_b64 s[24:25], s[10:11], s[8:9]
	s_mov_b32 s27, s47
	s_branch .LBB117_46
.LBB117_49:
	s_or_b64 exec, exec, s[18:19]
	s_xor_b64 s[6:7], s[20:21], -1
                                        ; implicit-def: $vgpr8
	s_and_saveexec_b64 s[8:9], s[6:7]
	s_xor_b64 s[6:7], exec, s[8:9]
	s_cbranch_execz .LBB117_61
; %bb.50:
	v_mul_f32_e32 v7, v5, v12
	v_add_f32_e32 v10, -1.0, v4
	v_div_scale_f32 v8, s[8:9], v10, v10, v7
	v_div_scale_f32 v9, vcc, v7, v10, v7
	s_mov_b64 s[8:9], 0
	s_mov_b32 s43, 0x25000000
	s_mov_b64 s[22:23], 0
                                        ; implicit-def: $sgpr10_sgpr11
                                        ; implicit-def: $sgpr18_sgpr19
                                        ; implicit-def: $sgpr20_sgpr21
	v_rcp_f32_e32 v11, v8
	v_fma_f32 v13, -v8, v11, 1.0
	v_fmac_f32_e32 v11, v13, v11
	v_mul_f32_e32 v13, v9, v11
	v_fma_f32 v14, -v8, v13, v9
	v_fmac_f32_e32 v13, v14, v11
	v_fma_f32 v8, -v8, v13, v9
	v_div_fmas_f32 v11, v8, v11, v13
	v_mov_b32_e32 v9, 1.0
	v_mov_b32_e32 v8, 0
	v_div_fixup_f32 v7, v11, v10, v7
	v_add_f32_e32 v7, v6, v7
	v_fmac_f32_e32 v7, -0.5, v12
	s_branch .LBB117_53
.LBB117_51:                             ;   in Loop: Header=BB117_53 Depth=1
	s_or_b64 exec, exec, s[26:27]
	s_andn2_b64 s[20:21], s[20:21], exec
	s_and_b64 s[26:27], s[40:41], exec
	s_or_b64 s[20:21], s[20:21], s[26:27]
	s_andn2_b64 s[18:19], s[18:19], exec
	s_and_b64 s[26:27], s[28:29], exec
	s_or_b64 s[18:19], s[18:19], s[26:27]
.LBB117_52:                             ;   in Loop: Header=BB117_53 Depth=1
	s_or_b64 exec, exec, s[24:25]
	s_and_b64 s[24:25], exec, s[18:19]
	s_or_b64 s[8:9], s[24:25], s[8:9]
	s_andn2_b64 s[10:11], s[10:11], exec
	s_and_b64 s[24:25], s[20:21], exec
	s_or_b64 s[10:11], s[10:11], s[24:25]
	s_andn2_b64 exec, exec, s[8:9]
	s_cbranch_execz .LBB117_56
.LBB117_53:                             ; =>This Inner Loop Header: Depth=1
	v_div_scale_f32 v10, s[24:25], v5, v5, v12
	v_div_scale_f32 v11, vcc, v12, v5, v12
	s_getpc_b64 s[24:25]
	s_add_u32 s24, s24, _ZZ4zetaIN3c108BFloat16ELb1EET_S2_S2_E1A@rel32@lo+4
	s_addc_u32 s25, s25, _ZZ4zetaIN3c108BFloat16ELb1EET_S2_S2_E1A@rel32@hi+12
	s_add_u32 s24, s24, s22
	s_addc_u32 s25, s25, s23
	s_load_dword s26, s[24:25], 0x0
	s_or_b64 s[20:21], s[20:21], exec
	s_or_b64 s[18:19], s[18:19], exec
	v_rcp_f32_e32 v13, v10
	v_fma_f32 v14, -v10, v13, 1.0
	v_fmac_f32_e32 v13, v14, v13
	v_mul_f32_e32 v14, v11, v13
	v_fma_f32 v15, -v10, v14, v11
	v_fmac_f32_e32 v14, v15, v13
	v_fma_f32 v10, -v10, v14, v11
	v_div_fmas_f32 v11, v10, v13, v14
	v_add_f32_e32 v10, v8, v4
	v_mul_f32_e32 v10, v9, v10
	v_div_fixup_f32 v11, v11, v5, v12
	v_mul_f32_e32 v9, v11, v10
	s_waitcnt lgkmcnt(0)
	v_div_scale_f32 v12, s[24:25], s26, s26, v9
	v_div_scale_f32 v13, vcc, v9, s26, v9
	v_rcp_f32_e32 v14, v12
	v_fma_f32 v15, -v12, v14, 1.0
	v_fmac_f32_e32 v14, v15, v14
	v_mul_f32_e32 v15, v13, v14
	v_fma_f32 v16, -v12, v15, v13
	v_fmac_f32_e32 v15, v16, v14
	v_fma_f32 v12, -v12, v15, v13
	v_div_fmas_f32 v12, v12, v14, v15
	v_div_fixup_f32 v9, v12, s26, v9
	v_add_f32_e32 v7, v7, v9
	v_div_scale_f32 v12, s[24:25], v7, v7, v9
	v_div_scale_f32 v13, vcc, v9, v7, v9
	v_rcp_f32_e32 v14, v12
	v_fma_f32 v15, -v12, v14, 1.0
	v_fmac_f32_e32 v14, v15, v14
	v_mul_f32_e32 v15, v13, v14
	v_fma_f32 v16, -v12, v15, v13
	v_fmac_f32_e32 v15, v16, v14
	v_fma_f32 v12, -v12, v15, v13
	v_div_fmas_f32 v12, v12, v14, v15
	v_div_fixup_f32 v9, v12, v7, v9
	v_cmp_nlt_f32_e64 s[26:27], |v9|, s43
                                        ; implicit-def: $vgpr12
                                        ; implicit-def: $vgpr9
	s_and_saveexec_b64 s[24:25], s[26:27]
	s_cbranch_execz .LBB117_52
; %bb.54:                               ;   in Loop: Header=BB117_53 Depth=1
	v_div_scale_f32 v9, s[26:27], v5, v5, v11
	v_div_scale_f32 v12, vcc, v11, v5, v11
	v_add_f32_e32 v8, 1.0, v8
	s_mov_b64 s[40:41], -1
	v_rcp_f32_e32 v13, v9
	v_fma_f32 v14, -v9, v13, 1.0
	v_fmac_f32_e32 v13, v14, v13
	v_mul_f32_e32 v14, v12, v13
	v_fma_f32 v15, -v9, v14, v12
	v_fmac_f32_e32 v14, v15, v13
	v_fma_f32 v9, -v9, v14, v12
	v_div_fmas_f32 v9, v9, v13, v14
	v_div_fixup_f32 v9, v9, v5, v11
	v_div_scale_f32 v11, s[26:27], v5, v5, v9
	v_div_scale_f32 v12, vcc, v9, v5, v9
	s_getpc_b64 s[26:27]
	s_add_u32 s26, s26, _ZZ4zetaIN3c108BFloat16ELb1EET_S2_S2_E1A@rel32@lo+8
	s_addc_u32 s27, s27, _ZZ4zetaIN3c108BFloat16ELb1EET_S2_S2_E1A@rel32@hi+16
	s_add_u32 s26, s26, s22
	s_addc_u32 s27, s27, s23
	s_load_dword s28, s[26:27], 0x0
	v_rcp_f32_e32 v13, v11
	v_fma_f32 v14, -v11, v13, 1.0
	v_fmac_f32_e32 v13, v14, v13
	v_mul_f32_e32 v14, v12, v13
	v_fma_f32 v15, -v11, v14, v12
	v_fmac_f32_e32 v14, v15, v13
	v_fma_f32 v11, -v11, v14, v12
	v_div_fmas_f32 v12, v11, v13, v14
	v_add_f32_e32 v13, v8, v4
	v_add_f32_e32 v11, 1.0, v8
	v_mul_f32_e32 v8, v13, v10
	v_add_f32_e32 v10, v11, v4
	v_mul_f32_e32 v13, v8, v10
	v_div_fixup_f32 v10, v12, v5, v9
	v_mul_f32_e32 v8, v10, v13
	s_waitcnt lgkmcnt(0)
	v_div_scale_f32 v9, s[26:27], s28, s28, v8
	v_div_scale_f32 v12, vcc, v8, s28, v8
	v_rcp_f32_e32 v14, v9
	v_fma_f32 v15, -v9, v14, 1.0
	v_fmac_f32_e32 v14, v15, v14
	v_mul_f32_e32 v15, v12, v14
	v_fma_f32 v16, -v9, v15, v12
	v_fmac_f32_e32 v15, v16, v14
	v_fma_f32 v9, -v9, v15, v12
	v_div_fmas_f32 v9, v9, v14, v15
	v_div_fixup_f32 v8, v9, s28, v8
	v_add_f32_e32 v7, v7, v8
	v_div_scale_f32 v9, s[26:27], v7, v7, v8
	v_div_scale_f32 v12, vcc, v8, v7, v8
	s_mov_b64 s[28:29], -1
	v_rcp_f32_e32 v14, v9
	v_fma_f32 v15, -v9, v14, 1.0
	v_fmac_f32_e32 v14, v15, v14
	v_mul_f32_e32 v15, v12, v14
	v_fma_f32 v16, -v9, v15, v12
	v_fmac_f32_e32 v15, v16, v14
	v_fma_f32 v9, -v9, v15, v12
	v_div_fmas_f32 v9, v9, v14, v15
                                        ; implicit-def: $vgpr12
	v_div_fixup_f32 v8, v9, v7, v8
	v_cmp_nlt_f32_e64 s[44:45], |v8|, s43
                                        ; implicit-def: $vgpr8
                                        ; implicit-def: $vgpr9
	s_and_saveexec_b64 s[26:27], s[44:45]
	s_cbranch_execz .LBB117_51
; %bb.55:                               ;   in Loop: Header=BB117_53 Depth=1
	v_div_scale_f32 v8, s[28:29], v5, v5, v10
	v_div_scale_f32 v9, vcc, v10, v5, v10
	s_add_u32 s22, s22, 8
	s_addc_u32 s23, s23, 0
	s_cmp_eq_u32 s22, 48
	s_cselect_b64 s[28:29], -1, 0
	s_xor_b64 s[40:41], exec, -1
	s_orn2_b64 s[28:29], s[28:29], exec
	v_rcp_f32_e32 v12, v8
	v_fma_f32 v14, -v8, v12, 1.0
	v_fmac_f32_e32 v12, v14, v12
	v_mul_f32_e32 v14, v9, v12
	v_fma_f32 v15, -v8, v14, v9
	v_fmac_f32_e32 v14, v15, v12
	v_fma_f32 v8, -v8, v14, v9
	v_div_fmas_f32 v12, v8, v12, v14
	v_add_f32_e32 v8, 1.0, v11
	v_add_f32_e32 v9, v8, v4
	v_add_f32_e32 v8, 1.0, v8
	v_mul_f32_e32 v9, v9, v13
	v_div_fixup_f32 v12, v12, v5, v10
	s_branch .LBB117_51
.LBB117_56:
	s_or_b64 exec, exec, s[8:9]
	s_xor_b64 s[8:9], s[10:11], -1
                                        ; implicit-def: $vgpr8
	s_and_saveexec_b64 s[10:11], s[8:9]
	s_xor_b64 s[8:9], exec, s[10:11]
; %bb.57:
	v_bfe_u32 v4, v7, 16, 1
	s_movk_i32 s10, 0x7fff
	v_add3_u32 v4, v7, v4, s10
	v_and_b32_e32 v4, 0xffff0000, v4
	v_mov_b32_e32 v5, 0x7fc00000
	v_cmp_o_f32_e32 vcc, v7, v7
	v_cndmask_b32_e32 v8, v5, v4, vcc
; %bb.58:
	s_andn2_saveexec_b64 s[8:9], s[8:9]
; %bb.59:
	v_bfe_u32 v4, v7, 16, 1
	s_movk_i32 s10, 0x7fff
	v_add3_u32 v4, v7, v4, s10
	v_and_b32_e32 v4, 0xffff0000, v4
	v_mov_b32_e32 v5, 0x7fc00000
	v_cmp_o_f32_e32 vcc, v7, v7
	v_cndmask_b32_e32 v8, v5, v4, vcc
; %bb.60:
	s_or_b64 exec, exec, s[8:9]
.LBB117_61:
	s_andn2_saveexec_b64 s[6:7], s[6:7]
; %bb.62:
	v_bfe_u32 v4, v6, 16, 1
	s_movk_i32 s8, 0x7fff
	v_add3_u32 v4, v6, v4, s8
	v_and_b32_e32 v4, 0xffff0000, v4
	v_mov_b32_e32 v5, 0x7fc00000
	v_cmp_o_f32_e32 vcc, v6, v6
	v_cndmask_b32_e32 v8, v5, v4, vcc
; %bb.63:
	s_or_b64 exec, exec, s[6:7]
.LBB117_64:
	s_or_b64 exec, exec, s[16:17]
.LBB117_65:
	s_or_b64 exec, exec, s[14:15]
.LBB117_66:
	s_or_b64 exec, exec, s[12:13]
	s_mov_b32 s6, 0x4b000000
	v_cmp_lt_f32_e64 s[6:7], |v1|, s6
	v_mov_b32_e32 v4, 0x264
	s_or_b64 vcc, s[4:5], s[6:7]
	v_cndmask_b32_e32 v2, v3, v2, vcc
	v_cmp_class_f32_e32 vcc, v1, v4
	v_cndmask_b32_e32 v2, v2, v3, vcc
	v_cmp_u_f32_e32 vcc, v1, v1
	v_cndmask_b32_e32 v1, v2, v1, vcc
	s_mov_b32 s4, 0x3fb8aa3b
	v_mul_f32_e32 v2, 0x3fb8aa3b, v1
	v_fma_f32 v4, v1, s4, -v2
	s_waitcnt vmcnt(0) lgkmcnt(0)
	v_rndne_f32_e32 v5, v2
	v_fmac_f32_e32 v4, 0x32a5705f, v1
	v_sub_f32_e32 v2, v2, v5
	v_add_f32_e32 v2, v2, v4
	v_exp_f32_e32 v2, v2
	v_cvt_i32_f32_e32 v4, v5
	s_mov_b32 s4, 0xc2ce8ed0
	v_cmp_ngt_f32_e32 vcc, s4, v1
	s_mov_b32 s4, 0x42b17218
	v_ldexp_f32 v2, v2, v4
	v_cndmask_b32_e32 v2, 0, v2, vcc
	v_cmp_nlt_f32_e32 vcc, s4, v1
	v_and_b32_e32 v0, 1, v0
	v_cndmask_b32_e32 v1, v3, v2, vcc
	v_cmp_eq_u32_e32 vcc, 0, v0
	v_cndmask_b32_e64 v0, 1.0, -1.0, vcc
	v_mul_f32_e32 v0, v1, v0
	v_mul_f32_e32 v0, v0, v8
	v_bfe_u32 v1, v0, 16, 1
	v_add3_u32 v1, v0, v1, s42
	v_cmp_o_f32_e32 vcc, v0, v0
	v_mov_b32_e32 v0, 0x7fc0
	v_cndmask_b32_sdwa v0, v0, v1, vcc dst_sel:DWORD dst_unused:UNUSED_PAD src0_sel:DWORD src1_sel:WORD_1
	s_setpc_b64 s[30:31]
.Lfunc_end117:
	.size	_ZN2at6native6invokeIZZZNS0_21polygamma_kernel_cudaERNS_18TensorIteratorBaseElENKUlvE_clEvENKUlvE2_clEvEUlN3c108BFloat16EE_j15function_traitsIS8_EEENT1_11result_typeERKT_PrKPcPKT0_i, .Lfunc_end117-_ZN2at6native6invokeIZZZNS0_21polygamma_kernel_cudaERNS_18TensorIteratorBaseElENKUlvE_clEvENKUlvE2_clEvEUlN3c108BFloat16EE_j15function_traitsIS8_EEENT1_11result_typeERKT_PrKPcPKT0_i
                                        ; -- End function
	.set .L_ZN2at6native6invokeIZZZNS0_21polygamma_kernel_cudaERNS_18TensorIteratorBaseElENKUlvE_clEvENKUlvE2_clEvEUlN3c108BFloat16EE_j15function_traitsIS8_EEENT1_11result_typeERKT_PrKPcPKT0_i.num_vgpr, 22
	.set .L_ZN2at6native6invokeIZZZNS0_21polygamma_kernel_cudaERNS_18TensorIteratorBaseElENKUlvE_clEvENKUlvE2_clEvEUlN3c108BFloat16EE_j15function_traitsIS8_EEENT1_11result_typeERKT_PrKPcPKT0_i.num_agpr, 0
	.set .L_ZN2at6native6invokeIZZZNS0_21polygamma_kernel_cudaERNS_18TensorIteratorBaseElENKUlvE_clEvENKUlvE2_clEvEUlN3c108BFloat16EE_j15function_traitsIS8_EEENT1_11result_typeERKT_PrKPcPKT0_i.numbered_sgpr, 48
	.set .L_ZN2at6native6invokeIZZZNS0_21polygamma_kernel_cudaERNS_18TensorIteratorBaseElENKUlvE_clEvENKUlvE2_clEvEUlN3c108BFloat16EE_j15function_traitsIS8_EEENT1_11result_typeERKT_PrKPcPKT0_i.num_named_barrier, 0
	.set .L_ZN2at6native6invokeIZZZNS0_21polygamma_kernel_cudaERNS_18TensorIteratorBaseElENKUlvE_clEvENKUlvE2_clEvEUlN3c108BFloat16EE_j15function_traitsIS8_EEENT1_11result_typeERKT_PrKPcPKT0_i.private_seg_size, 0
	.set .L_ZN2at6native6invokeIZZZNS0_21polygamma_kernel_cudaERNS_18TensorIteratorBaseElENKUlvE_clEvENKUlvE2_clEvEUlN3c108BFloat16EE_j15function_traitsIS8_EEENT1_11result_typeERKT_PrKPcPKT0_i.uses_vcc, 1
	.set .L_ZN2at6native6invokeIZZZNS0_21polygamma_kernel_cudaERNS_18TensorIteratorBaseElENKUlvE_clEvENKUlvE2_clEvEUlN3c108BFloat16EE_j15function_traitsIS8_EEENT1_11result_typeERKT_PrKPcPKT0_i.uses_flat_scratch, 0
	.set .L_ZN2at6native6invokeIZZZNS0_21polygamma_kernel_cudaERNS_18TensorIteratorBaseElENKUlvE_clEvENKUlvE2_clEvEUlN3c108BFloat16EE_j15function_traitsIS8_EEENT1_11result_typeERKT_PrKPcPKT0_i.has_dyn_sized_stack, 0
	.set .L_ZN2at6native6invokeIZZZNS0_21polygamma_kernel_cudaERNS_18TensorIteratorBaseElENKUlvE_clEvENKUlvE2_clEvEUlN3c108BFloat16EE_j15function_traitsIS8_EEENT1_11result_typeERKT_PrKPcPKT0_i.has_recursion, 0
	.set .L_ZN2at6native6invokeIZZZNS0_21polygamma_kernel_cudaERNS_18TensorIteratorBaseElENKUlvE_clEvENKUlvE2_clEvEUlN3c108BFloat16EE_j15function_traitsIS8_EEENT1_11result_typeERKT_PrKPcPKT0_i.has_indirect_call, 0
	.section	.AMDGPU.csdata,"",@progbits
; Function info:
; codeLenInByte = 6096
; TotalNumSgprs: 52
; NumVgprs: 22
; ScratchSize: 0
; MemoryBound: 0
	.section	.text._ZN2at6native32elementwise_kernel_manual_unrollILi128ELi8EZNS0_22gpu_kernel_impl_nocastIZZZNS0_21polygamma_kernel_cudaERNS_18TensorIteratorBaseElENKUlvE_clEvENKUlvE2_clEvEUlN3c108BFloat16EE_EEvS4_RKT_EUlibE_EEviT1_,"axG",@progbits,_ZN2at6native32elementwise_kernel_manual_unrollILi128ELi8EZNS0_22gpu_kernel_impl_nocastIZZZNS0_21polygamma_kernel_cudaERNS_18TensorIteratorBaseElENKUlvE_clEvENKUlvE2_clEvEUlN3c108BFloat16EE_EEvS4_RKT_EUlibE_EEviT1_,comdat
	.globl	_ZN2at6native32elementwise_kernel_manual_unrollILi128ELi8EZNS0_22gpu_kernel_impl_nocastIZZZNS0_21polygamma_kernel_cudaERNS_18TensorIteratorBaseElENKUlvE_clEvENKUlvE2_clEvEUlN3c108BFloat16EE_EEvS4_RKT_EUlibE_EEviT1_ ; -- Begin function _ZN2at6native32elementwise_kernel_manual_unrollILi128ELi8EZNS0_22gpu_kernel_impl_nocastIZZZNS0_21polygamma_kernel_cudaERNS_18TensorIteratorBaseElENKUlvE_clEvENKUlvE2_clEvEUlN3c108BFloat16EE_EEvS4_RKT_EUlibE_EEviT1_
	.p2align	8
	.type	_ZN2at6native32elementwise_kernel_manual_unrollILi128ELi8EZNS0_22gpu_kernel_impl_nocastIZZZNS0_21polygamma_kernel_cudaERNS_18TensorIteratorBaseElENKUlvE_clEvENKUlvE2_clEvEUlN3c108BFloat16EE_EEvS4_RKT_EUlibE_EEviT1_,@function
_ZN2at6native32elementwise_kernel_manual_unrollILi128ELi8EZNS0_22gpu_kernel_impl_nocastIZZZNS0_21polygamma_kernel_cudaERNS_18TensorIteratorBaseElENKUlvE_clEvENKUlvE2_clEvEUlN3c108BFloat16EE_EEvS4_RKT_EUlibE_EEviT1_: ; @_ZN2at6native32elementwise_kernel_manual_unrollILi128ELi8EZNS0_22gpu_kernel_impl_nocastIZZZNS0_21polygamma_kernel_cudaERNS_18TensorIteratorBaseElENKUlvE_clEvENKUlvE2_clEvEUlN3c108BFloat16EE_EEvS4_RKT_EUlibE_EEviT1_
; %bb.0:
	s_load_dword s73, s[4:5], 0x0
	s_load_dword s33, s[4:5], 0x8
	s_add_u32 s0, s0, s7
	s_addc_u32 s1, s1, 0
	s_add_u32 s34, s4, 8
	s_addc_u32 s35, s5, 0
	v_lshl_or_b32 v28, s6, 10, v0
	s_waitcnt lgkmcnt(0)
	s_add_i32 s72, s33, -1
	v_or_b32_e32 v0, 0x380, v28
	s_cmp_gt_u32 s72, 1
	v_cmp_le_i32_e32 vcc, s73, v0
	s_cselect_b64 s[56:57], -1, 0
	s_mov_b32 s32, 0
	s_and_saveexec_b64 s[4:5], vcc
	s_xor_b64 s[58:59], exec, s[4:5]
	s_cbranch_execz .LBB118_7
; %bb.1:
	s_load_dwordx4 s[48:51], s[34:35], 0x4
	s_load_dwordx2 s[62:63], s[34:35], 0x14
	s_load_dwordx2 s[60:61], s[34:35], 0x158
	s_load_dwordx4 s[52:55], s[34:35], 0xc4
	s_load_dwordx4 s[36:39], s[34:35], 0x148
	s_cmp_lg_u32 s33, 0
	s_cselect_b64 s[68:69], -1, 0
	s_add_u32 s66, s34, 0xc4
	s_addc_u32 s67, s35, 0
	s_min_u32 s74, s72, 15
	s_cmp_gt_u32 s33, 1
	s_cselect_b64 s[64:65], -1, 0
	v_cmp_gt_i32_e32 vcc, s73, v28
	s_and_saveexec_b64 s[70:71], vcc
	s_cbranch_execz .LBB118_14
; %bb.2:
	s_andn2_b64 vcc, exec, s[56:57]
	s_cbranch_vccnz .LBB118_21
; %bb.3:
	s_andn2_b64 vcc, exec, s[68:69]
	s_cbranch_vccnz .LBB118_129
; %bb.4:
	s_add_i32 s29, s74, 1
	s_cmp_eq_u32 s72, 2
	s_cbranch_scc1 .LBB118_131
; %bb.5:
	s_and_b32 s28, s29, 28
	v_mov_b32_e32 v4, 0
	s_mov_b32 s30, 0
	s_mov_b64 s[24:25], s[34:35]
	s_mov_b64 s[26:27], s[66:67]
	v_mov_b32_e32 v22, 0
	v_mov_b32_e32 v0, v28
.LBB118_6:                              ; =>This Inner Loop Header: Depth=1
	s_load_dwordx8 s[12:19], s[24:25], 0x4
	s_load_dwordx4 s[20:23], s[24:25], 0x24
	s_load_dwordx8 s[4:11], s[26:27], 0x0
	s_add_u32 s24, s24, 48
	s_addc_u32 s25, s25, 0
	s_waitcnt lgkmcnt(0)
	v_mul_hi_u32 v1, s13, v0
	s_add_i32 s30, s30, 4
	s_add_u32 s26, s26, 32
	s_addc_u32 s27, s27, 0
	v_add_u32_e32 v1, v0, v1
	v_lshrrev_b32_e32 v1, s14, v1
	v_mul_lo_u32 v2, v1, s12
	v_mul_hi_u32 v3, s16, v1
	s_cmp_lg_u32 s28, s30
	v_sub_u32_e32 v0, v0, v2
	v_add_u32_e32 v2, v1, v3
	v_mul_lo_u32 v3, v0, s4
	v_mul_lo_u32 v5, v0, s5
	v_lshrrev_b32_e32 v0, s17, v2
	v_mul_lo_u32 v2, v0, s15
	v_mul_hi_u32 v6, s19, v0
	v_sub_u32_e32 v1, v1, v2
	v_add_u32_e32 v2, v0, v6
	v_lshrrev_b32_e32 v2, s20, v2
	v_mul_hi_u32 v7, s22, v2
	v_mul_lo_u32 v8, v2, s18
	v_mul_lo_u32 v6, v1, s6
	;; [unrolled: 1-line block ×3, first 2 shown]
	v_sub_u32_e32 v8, v0, v8
	v_add_u32_e32 v0, v2, v7
	v_lshrrev_b32_e32 v0, s23, v0
	v_mul_lo_u32 v7, v0, s21
	v_mul_lo_u32 v9, v8, s8
	;; [unrolled: 1-line block ×3, first 2 shown]
	v_add3_u32 v3, v3, v22, v6
	v_sub_u32_e32 v2, v2, v7
	v_mul_lo_u32 v7, v2, s10
	v_mul_lo_u32 v2, v2, s11
	v_add3_u32 v1, v5, v4, v1
	v_add3_u32 v22, v9, v3, v7
	;; [unrolled: 1-line block ×3, first 2 shown]
	s_cbranch_scc1 .LBB118_6
	s_branch .LBB118_132
.LBB118_7:
	s_andn2_saveexec_b64 s[4:5], s[58:59]
	s_cbranch_execz .LBB118_221
.LBB118_8:
	v_cndmask_b32_e64 v1, 0, 1, s[56:57]
	v_cmp_ne_u32_e64 s[4:5], 1, v1
	s_andn2_b64 vcc, exec, s[56:57]
	s_cbranch_vccnz .LBB118_20
; %bb.9:
	s_cmp_lg_u32 s33, 0
	s_mov_b32 s30, 0
	s_cbranch_scc0 .LBB118_23
; %bb.10:
	s_min_u32 s31, s72, 15
	s_add_i32 s31, s31, 1
	s_cmp_eq_u32 s72, 2
	s_cbranch_scc1 .LBB118_24
; %bb.11:
	s_and_b32 s30, s31, 28
	s_add_u32 s6, s34, 0xc4
	s_addc_u32 s7, s35, 0
	v_mov_b32_e32 v4, 0
	s_waitcnt lgkmcnt(0)
	s_mov_b32 s36, 0
	s_mov_b64 s[28:29], s[34:35]
	v_mov_b32_e32 v30, 0
	v_mov_b32_e32 v1, v28
.LBB118_12:                             ; =>This Inner Loop Header: Depth=1
	s_load_dwordx8 s[16:23], s[28:29], 0x4
	s_load_dwordx4 s[24:27], s[28:29], 0x24
	s_load_dwordx8 s[8:15], s[6:7], 0x0
	s_add_u32 s28, s28, 48
	s_addc_u32 s29, s29, 0
	s_waitcnt lgkmcnt(0)
	v_mul_hi_u32 v2, s17, v1
	s_add_i32 s36, s36, 4
	s_add_u32 s6, s6, 32
	s_addc_u32 s7, s7, 0
	v_add_u32_e32 v2, v1, v2
	v_lshrrev_b32_e32 v2, s18, v2
	v_mul_lo_u32 v3, v2, s16
	v_mul_hi_u32 v5, s20, v2
	s_cmp_lg_u32 s30, s36
	v_sub_u32_e32 v1, v1, v3
	v_add_u32_e32 v3, v2, v5
	v_mul_lo_u32 v5, v1, s8
	v_mul_lo_u32 v6, v1, s9
	v_lshrrev_b32_e32 v1, s21, v3
	v_mul_lo_u32 v3, v1, s19
	v_mul_hi_u32 v7, s23, v1
	v_sub_u32_e32 v2, v2, v3
	v_add_u32_e32 v3, v1, v7
	v_lshrrev_b32_e32 v3, s24, v3
	v_mul_hi_u32 v8, s26, v3
	v_mul_lo_u32 v9, v3, s22
	v_mul_lo_u32 v7, v2, s10
	;; [unrolled: 1-line block ×3, first 2 shown]
	v_sub_u32_e32 v9, v1, v9
	v_add_u32_e32 v1, v3, v8
	v_lshrrev_b32_e32 v1, s27, v1
	v_mul_lo_u32 v8, v1, s25
	v_mul_lo_u32 v10, v9, s12
	;; [unrolled: 1-line block ×3, first 2 shown]
	v_add3_u32 v5, v5, v30, v7
	v_sub_u32_e32 v3, v3, v8
	v_mul_lo_u32 v8, v3, s14
	v_mul_lo_u32 v3, v3, s15
	v_add3_u32 v2, v6, v4, v2
	v_add3_u32 v30, v10, v5, v8
	;; [unrolled: 1-line block ×3, first 2 shown]
	s_cbranch_scc1 .LBB118_12
; %bb.13:
	s_and_b32 s10, s31, 3
	s_cmp_eq_u32 s10, 0
	s_cbranch_scc0 .LBB118_25
	s_branch .LBB118_27
.LBB118_14:
	s_or_b64 exec, exec, s[70:71]
	v_cmp_gt_i32_e32 vcc, s73, v28
	s_and_saveexec_b64 s[70:71], vcc
	s_cbranch_execz .LBB118_139
.LBB118_15:
	s_andn2_b64 vcc, exec, s[56:57]
	s_cbranch_vccnz .LBB118_22
; %bb.16:
	s_andn2_b64 vcc, exec, s[68:69]
	s_cbranch_vccnz .LBB118_130
; %bb.17:
	s_add_i32 s29, s74, 1
	s_cmp_eq_u32 s72, 2
	s_cbranch_scc1 .LBB118_147
; %bb.18:
	s_and_b32 s28, s29, 28
	v_mov_b32_e32 v4, 0
	s_mov_b32 s30, 0
	s_mov_b64 s[24:25], s[34:35]
	s_mov_b64 s[26:27], s[66:67]
	v_mov_b32_e32 v22, 0
	v_mov_b32_e32 v0, v28
.LBB118_19:                             ; =>This Inner Loop Header: Depth=1
	s_load_dwordx8 s[12:19], s[24:25], 0x4
	s_load_dwordx4 s[20:23], s[24:25], 0x24
	s_load_dwordx8 s[4:11], s[26:27], 0x0
	s_add_u32 s24, s24, 48
	s_addc_u32 s25, s25, 0
	s_waitcnt lgkmcnt(0)
	v_mul_hi_u32 v1, s13, v0
	s_add_i32 s30, s30, 4
	s_add_u32 s26, s26, 32
	s_addc_u32 s27, s27, 0
	v_add_u32_e32 v1, v0, v1
	v_lshrrev_b32_e32 v1, s14, v1
	v_mul_lo_u32 v2, v1, s12
	v_mul_hi_u32 v3, s16, v1
	s_cmp_eq_u32 s28, s30
	v_sub_u32_e32 v0, v0, v2
	v_add_u32_e32 v2, v1, v3
	v_mul_lo_u32 v3, v0, s4
	v_mul_lo_u32 v5, v0, s5
	v_lshrrev_b32_e32 v0, s17, v2
	v_mul_lo_u32 v2, v0, s15
	v_mul_hi_u32 v6, s19, v0
	v_sub_u32_e32 v1, v1, v2
	v_add_u32_e32 v2, v0, v6
	v_lshrrev_b32_e32 v2, s20, v2
	v_mul_hi_u32 v7, s22, v2
	v_mul_lo_u32 v8, v2, s18
	v_mul_lo_u32 v6, v1, s6
	;; [unrolled: 1-line block ×3, first 2 shown]
	v_sub_u32_e32 v8, v0, v8
	v_add_u32_e32 v0, v2, v7
	v_lshrrev_b32_e32 v0, s23, v0
	v_mul_lo_u32 v7, v0, s21
	v_mul_lo_u32 v9, v8, s8
	;; [unrolled: 1-line block ×3, first 2 shown]
	v_add3_u32 v3, v3, v22, v6
	v_sub_u32_e32 v2, v2, v7
	v_mul_lo_u32 v7, v2, s10
	v_mul_lo_u32 v2, v2, s11
	v_add3_u32 v1, v5, v4, v1
	v_add3_u32 v22, v9, v3, v7
	;; [unrolled: 1-line block ×3, first 2 shown]
	s_cbranch_scc0 .LBB118_19
	s_branch .LBB118_148
.LBB118_20:
                                        ; implicit-def: $vgpr30
                                        ; implicit-def: $vgpr4
	s_branch .LBB118_28
.LBB118_21:
                                        ; implicit-def: $vgpr22
                                        ; implicit-def: $vgpr4
	s_branch .LBB118_136
.LBB118_22:
                                        ; implicit-def: $vgpr22
                                        ; implicit-def: $vgpr4
	s_branch .LBB118_152
.LBB118_23:
	v_mov_b32_e32 v30, 0
	v_mov_b32_e32 v4, 0
	s_branch .LBB118_27
.LBB118_24:
	v_mov_b32_e32 v30, 0
	v_mov_b32_e32 v4, 0
	;; [unrolled: 1-line block ×3, first 2 shown]
	s_and_b32 s10, s31, 3
	s_cmp_eq_u32 s10, 0
	s_cbranch_scc1 .LBB118_27
.LBB118_25:
	s_lshl_b32 s6, s30, 3
	s_add_u32 s6, s34, s6
	s_addc_u32 s7, s35, 0
	s_add_u32 s6, s6, 0xc4
	s_addc_u32 s7, s7, 0
	s_mul_i32 s8, s30, 12
	s_add_u32 s8, s34, s8
	s_addc_u32 s9, s35, 0
.LBB118_26:                             ; =>This Inner Loop Header: Depth=1
	s_load_dwordx2 s[12:13], s[8:9], 0x4
	s_load_dword s11, s[8:9], 0xc
	s_load_dwordx2 s[14:15], s[6:7], 0x0
	s_add_u32 s8, s8, 12
	s_addc_u32 s9, s9, 0
	s_waitcnt lgkmcnt(0)
	v_mul_hi_u32 v2, s13, v1
	s_add_u32 s6, s6, 8
	s_addc_u32 s7, s7, 0
	s_add_i32 s10, s10, -1
	v_add_u32_e32 v2, v1, v2
	v_lshrrev_b32_e32 v2, s11, v2
	v_mul_lo_u32 v3, v2, s12
	s_cmp_lg_u32 s10, 0
	v_sub_u32_e32 v1, v1, v3
	v_mad_u64_u32 v[30:31], s[12:13], v1, s14, v[30:31]
	v_mad_u64_u32 v[4:5], s[12:13], v1, s15, v[4:5]
	v_mov_b32_e32 v1, v2
	s_cbranch_scc1 .LBB118_26
.LBB118_27:
	s_cbranch_execnz .LBB118_30
.LBB118_28:
	s_load_dwordx4 s[8:11], s[34:35], 0x4
	s_load_dwordx2 s[6:7], s[34:35], 0xc4
	s_cmp_lt_u32 s33, 2
	s_waitcnt lgkmcnt(0)
	v_mul_hi_u32 v1, s9, v28
	v_add_u32_e32 v1, v28, v1
	v_lshrrev_b32_e32 v1, s10, v1
	v_mul_lo_u32 v2, v1, s8
	v_sub_u32_e32 v2, v28, v2
	v_mul_lo_u32 v30, v2, s6
	v_mul_lo_u32 v4, v2, s7
	s_cbranch_scc1 .LBB118_30
; %bb.29:
	s_load_dwordx4 s[8:11], s[34:35], 0x10
	s_load_dwordx2 s[6:7], s[34:35], 0xcc
	s_waitcnt lgkmcnt(0)
	v_mul_hi_u32 v2, s9, v1
	v_add_u32_e32 v2, v1, v2
	v_lshrrev_b32_e32 v2, s10, v2
	v_mul_lo_u32 v2, v2, s8
	v_sub_u32_e32 v1, v1, v2
	v_mad_u64_u32 v[30:31], s[8:9], v1, s6, v[30:31]
	v_mad_u64_u32 v[4:5], s[6:7], v1, s7, v[4:5]
.LBB118_30:
	s_and_b64 vcc, exec, s[4:5]
	v_add_u32_e32 v1, 0x80, v28
	s_cbranch_vccnz .LBB118_36
; %bb.31:
	s_cmp_lg_u32 s33, 0
	s_mov_b32 s30, 0
	s_cbranch_scc0 .LBB118_37
; %bb.32:
	s_min_u32 s31, s72, 15
	s_add_i32 s31, s31, 1
	s_cmp_eq_u32 s72, 2
	s_cbranch_scc1 .LBB118_38
; %bb.33:
	s_and_b32 s30, s31, 28
	s_add_u32 s6, s34, 0xc4
	s_addc_u32 s7, s35, 0
	v_mov_b32_e32 v22, 0
	s_waitcnt lgkmcnt(0)
	s_mov_b32 s36, 0
	s_mov_b64 s[28:29], s[34:35]
	v_mov_b32_e32 v31, 0
	v_mov_b32_e32 v2, v1
.LBB118_34:                             ; =>This Inner Loop Header: Depth=1
	s_load_dwordx8 s[16:23], s[28:29], 0x4
	s_load_dwordx4 s[24:27], s[28:29], 0x24
	s_load_dwordx8 s[8:15], s[6:7], 0x0
	s_add_u32 s28, s28, 48
	s_addc_u32 s29, s29, 0
	s_waitcnt lgkmcnt(0)
	v_mul_hi_u32 v3, s17, v2
	s_add_i32 s36, s36, 4
	s_add_u32 s6, s6, 32
	s_addc_u32 s7, s7, 0
	v_add_u32_e32 v3, v2, v3
	v_lshrrev_b32_e32 v3, s18, v3
	v_mul_lo_u32 v5, v3, s16
	v_mul_hi_u32 v6, s20, v3
	s_cmp_lg_u32 s30, s36
	v_sub_u32_e32 v2, v2, v5
	v_add_u32_e32 v5, v3, v6
	v_mul_lo_u32 v6, v2, s8
	v_mul_lo_u32 v7, v2, s9
	v_lshrrev_b32_e32 v2, s21, v5
	v_mul_lo_u32 v5, v2, s19
	v_mul_hi_u32 v8, s23, v2
	v_sub_u32_e32 v3, v3, v5
	v_add_u32_e32 v5, v2, v8
	v_lshrrev_b32_e32 v5, s24, v5
	v_mul_hi_u32 v9, s26, v5
	v_mul_lo_u32 v10, v5, s22
	v_mul_lo_u32 v8, v3, s10
	;; [unrolled: 1-line block ×3, first 2 shown]
	v_sub_u32_e32 v10, v2, v10
	v_add_u32_e32 v2, v5, v9
	v_lshrrev_b32_e32 v2, s27, v2
	v_mul_lo_u32 v9, v2, s25
	v_mul_lo_u32 v11, v10, s12
	;; [unrolled: 1-line block ×3, first 2 shown]
	v_add3_u32 v6, v6, v31, v8
	v_sub_u32_e32 v5, v5, v9
	v_mul_lo_u32 v9, v5, s14
	v_mul_lo_u32 v5, v5, s15
	v_add3_u32 v3, v7, v22, v3
	v_add3_u32 v31, v11, v6, v9
	;; [unrolled: 1-line block ×3, first 2 shown]
	s_cbranch_scc1 .LBB118_34
; %bb.35:
	s_and_b32 s10, s31, 3
	s_cmp_eq_u32 s10, 0
	s_cbranch_scc0 .LBB118_39
	s_branch .LBB118_41
.LBB118_36:
                                        ; implicit-def: $vgpr31
                                        ; implicit-def: $vgpr22
	s_branch .LBB118_42
.LBB118_37:
	v_mov_b32_e32 v31, 0
	v_mov_b32_e32 v22, 0
	s_branch .LBB118_41
.LBB118_38:
	v_mov_b32_e32 v31, 0
	v_mov_b32_e32 v22, 0
	;; [unrolled: 1-line block ×3, first 2 shown]
	s_and_b32 s10, s31, 3
	s_cmp_eq_u32 s10, 0
	s_cbranch_scc1 .LBB118_41
.LBB118_39:
	s_lshl_b32 s6, s30, 3
	s_add_u32 s6, s34, s6
	s_addc_u32 s7, s35, 0
	s_add_u32 s6, s6, 0xc4
	s_addc_u32 s7, s7, 0
	s_mul_i32 s8, s30, 12
	s_add_u32 s8, s34, s8
	s_addc_u32 s9, s35, 0
.LBB118_40:                             ; =>This Inner Loop Header: Depth=1
	s_load_dwordx2 s[12:13], s[8:9], 0x4
	s_load_dword s11, s[8:9], 0xc
	s_load_dwordx2 s[14:15], s[6:7], 0x0
	s_add_u32 s8, s8, 12
	s_addc_u32 s9, s9, 0
	s_waitcnt lgkmcnt(0)
	v_mul_hi_u32 v3, s13, v2
	s_add_u32 s6, s6, 8
	s_addc_u32 s7, s7, 0
	s_add_i32 s10, s10, -1
	v_add_u32_e32 v3, v2, v3
	v_lshrrev_b32_e32 v3, s11, v3
	v_mul_lo_u32 v5, v3, s12
	s_cmp_lg_u32 s10, 0
	v_sub_u32_e32 v2, v2, v5
	v_mad_u64_u32 v[31:32], s[12:13], v2, s14, v[31:32]
	v_mad_u64_u32 v[22:23], s[12:13], v2, s15, v[22:23]
	v_mov_b32_e32 v2, v3
	s_cbranch_scc1 .LBB118_40
.LBB118_41:
	s_cbranch_execnz .LBB118_44
.LBB118_42:
	s_load_dwordx4 s[8:11], s[34:35], 0x4
	s_load_dwordx2 s[6:7], s[34:35], 0xc4
	s_cmp_lt_u32 s33, 2
	s_waitcnt lgkmcnt(0)
	v_mul_hi_u32 v2, s9, v1
	v_add_u32_e32 v2, v1, v2
	v_lshrrev_b32_e32 v2, s10, v2
	v_mul_lo_u32 v3, v2, s8
	v_sub_u32_e32 v1, v1, v3
	v_mul_lo_u32 v31, v1, s6
	v_mul_lo_u32 v22, v1, s7
	s_cbranch_scc1 .LBB118_44
; %bb.43:
	s_load_dwordx4 s[8:11], s[34:35], 0x10
	s_load_dwordx2 s[6:7], s[34:35], 0xcc
	s_waitcnt lgkmcnt(0)
	v_mul_hi_u32 v1, s9, v2
	v_add_u32_e32 v1, v2, v1
	v_lshrrev_b32_e32 v1, s10, v1
	v_mul_lo_u32 v1, v1, s8
	v_sub_u32_e32 v1, v2, v1
	v_mad_u64_u32 v[31:32], s[8:9], v1, s6, v[31:32]
	v_mad_u64_u32 v[22:23], s[6:7], v1, s7, v[22:23]
.LBB118_44:
	s_and_b64 vcc, exec, s[4:5]
	v_add_u32_e32 v1, 0x100, v28
	s_cbranch_vccnz .LBB118_50
; %bb.45:
	s_cmp_lg_u32 s33, 0
	s_mov_b32 s30, 0
	s_cbranch_scc0 .LBB118_51
; %bb.46:
	s_min_u32 s31, s72, 15
	s_add_i32 s31, s31, 1
	s_cmp_eq_u32 s72, 2
	s_cbranch_scc1 .LBB118_52
; %bb.47:
	s_and_b32 s30, s31, 28
	s_add_u32 s6, s34, 0xc4
	s_addc_u32 s7, s35, 0
	v_mov_b32_e32 v23, 0
	s_waitcnt lgkmcnt(0)
	s_mov_b32 s36, 0
	s_mov_b64 s[28:29], s[34:35]
	v_mov_b32_e32 v32, 0
	v_mov_b32_e32 v2, v1
.LBB118_48:                             ; =>This Inner Loop Header: Depth=1
	s_load_dwordx8 s[16:23], s[28:29], 0x4
	s_load_dwordx4 s[24:27], s[28:29], 0x24
	s_load_dwordx8 s[8:15], s[6:7], 0x0
	s_add_u32 s28, s28, 48
	s_addc_u32 s29, s29, 0
	s_waitcnt lgkmcnt(0)
	v_mul_hi_u32 v3, s17, v2
	s_add_i32 s36, s36, 4
	s_add_u32 s6, s6, 32
	s_addc_u32 s7, s7, 0
	v_add_u32_e32 v3, v2, v3
	v_lshrrev_b32_e32 v3, s18, v3
	v_mul_lo_u32 v5, v3, s16
	v_mul_hi_u32 v6, s20, v3
	s_cmp_lg_u32 s30, s36
	v_sub_u32_e32 v2, v2, v5
	v_add_u32_e32 v5, v3, v6
	v_mul_lo_u32 v6, v2, s8
	v_mul_lo_u32 v7, v2, s9
	v_lshrrev_b32_e32 v2, s21, v5
	v_mul_lo_u32 v5, v2, s19
	v_mul_hi_u32 v8, s23, v2
	v_sub_u32_e32 v3, v3, v5
	v_add_u32_e32 v5, v2, v8
	v_lshrrev_b32_e32 v5, s24, v5
	v_mul_hi_u32 v9, s26, v5
	v_mul_lo_u32 v10, v5, s22
	v_mul_lo_u32 v8, v3, s10
	;; [unrolled: 1-line block ×3, first 2 shown]
	v_sub_u32_e32 v10, v2, v10
	v_add_u32_e32 v2, v5, v9
	v_lshrrev_b32_e32 v2, s27, v2
	v_mul_lo_u32 v9, v2, s25
	v_mul_lo_u32 v11, v10, s12
	;; [unrolled: 1-line block ×3, first 2 shown]
	v_add3_u32 v6, v6, v32, v8
	v_sub_u32_e32 v5, v5, v9
	v_mul_lo_u32 v9, v5, s14
	v_mul_lo_u32 v5, v5, s15
	v_add3_u32 v3, v7, v23, v3
	v_add3_u32 v32, v11, v6, v9
	;; [unrolled: 1-line block ×3, first 2 shown]
	s_cbranch_scc1 .LBB118_48
; %bb.49:
	s_and_b32 s10, s31, 3
	s_cmp_eq_u32 s10, 0
	s_cbranch_scc0 .LBB118_53
	s_branch .LBB118_55
.LBB118_50:
                                        ; implicit-def: $vgpr32
                                        ; implicit-def: $vgpr23
	s_branch .LBB118_56
.LBB118_51:
	v_mov_b32_e32 v32, 0
	v_mov_b32_e32 v23, 0
	s_branch .LBB118_55
.LBB118_52:
	v_mov_b32_e32 v32, 0
	v_mov_b32_e32 v23, 0
	;; [unrolled: 1-line block ×3, first 2 shown]
	s_and_b32 s10, s31, 3
	s_cmp_eq_u32 s10, 0
	s_cbranch_scc1 .LBB118_55
.LBB118_53:
	s_lshl_b32 s6, s30, 3
	s_add_u32 s6, s34, s6
	s_addc_u32 s7, s35, 0
	s_add_u32 s6, s6, 0xc4
	s_addc_u32 s7, s7, 0
	s_mul_i32 s8, s30, 12
	s_add_u32 s8, s34, s8
	s_addc_u32 s9, s35, 0
.LBB118_54:                             ; =>This Inner Loop Header: Depth=1
	s_load_dwordx2 s[12:13], s[8:9], 0x4
	s_load_dword s11, s[8:9], 0xc
	s_load_dwordx2 s[14:15], s[6:7], 0x0
	s_add_u32 s8, s8, 12
	s_addc_u32 s9, s9, 0
	s_waitcnt lgkmcnt(0)
	v_mul_hi_u32 v3, s13, v2
	s_add_u32 s6, s6, 8
	s_addc_u32 s7, s7, 0
	s_add_i32 s10, s10, -1
	v_add_u32_e32 v3, v2, v3
	v_lshrrev_b32_e32 v3, s11, v3
	v_mul_lo_u32 v5, v3, s12
	s_cmp_lg_u32 s10, 0
	v_sub_u32_e32 v2, v2, v5
	v_mad_u64_u32 v[32:33], s[12:13], v2, s14, v[32:33]
	v_mad_u64_u32 v[23:24], s[12:13], v2, s15, v[23:24]
	v_mov_b32_e32 v2, v3
	s_cbranch_scc1 .LBB118_54
.LBB118_55:
	s_cbranch_execnz .LBB118_58
.LBB118_56:
	s_load_dwordx4 s[8:11], s[34:35], 0x4
	s_load_dwordx2 s[6:7], s[34:35], 0xc4
	s_cmp_lt_u32 s33, 2
	s_waitcnt lgkmcnt(0)
	v_mul_hi_u32 v2, s9, v1
	v_add_u32_e32 v2, v1, v2
	v_lshrrev_b32_e32 v2, s10, v2
	v_mul_lo_u32 v3, v2, s8
	v_sub_u32_e32 v1, v1, v3
	v_mul_lo_u32 v32, v1, s6
	v_mul_lo_u32 v23, v1, s7
	s_cbranch_scc1 .LBB118_58
; %bb.57:
	s_load_dwordx4 s[8:11], s[34:35], 0x10
	s_load_dwordx2 s[6:7], s[34:35], 0xcc
	s_waitcnt lgkmcnt(0)
	v_mul_hi_u32 v1, s9, v2
	v_add_u32_e32 v1, v2, v1
	v_lshrrev_b32_e32 v1, s10, v1
	v_mul_lo_u32 v1, v1, s8
	v_sub_u32_e32 v1, v2, v1
	v_mad_u64_u32 v[32:33], s[8:9], v1, s6, v[32:33]
	v_mad_u64_u32 v[23:24], s[6:7], v1, s7, v[23:24]
.LBB118_58:
	s_and_b64 vcc, exec, s[4:5]
	v_add_u32_e32 v1, 0x180, v28
	s_cbranch_vccnz .LBB118_64
; %bb.59:
	s_cmp_lg_u32 s33, 0
	s_mov_b32 s30, 0
	s_cbranch_scc0 .LBB118_65
; %bb.60:
	s_min_u32 s31, s72, 15
	s_add_i32 s31, s31, 1
	s_cmp_eq_u32 s72, 2
	s_cbranch_scc1 .LBB118_66
; %bb.61:
	s_and_b32 s30, s31, 28
	s_add_u32 s6, s34, 0xc4
	s_addc_u32 s7, s35, 0
	v_mov_b32_e32 v24, 0
	s_waitcnt lgkmcnt(0)
	s_mov_b32 s36, 0
	s_mov_b64 s[28:29], s[34:35]
	v_mov_b32_e32 v33, 0
	v_mov_b32_e32 v2, v1
.LBB118_62:                             ; =>This Inner Loop Header: Depth=1
	s_load_dwordx8 s[16:23], s[28:29], 0x4
	s_load_dwordx4 s[24:27], s[28:29], 0x24
	s_load_dwordx8 s[8:15], s[6:7], 0x0
	s_add_u32 s28, s28, 48
	s_addc_u32 s29, s29, 0
	s_waitcnt lgkmcnt(0)
	v_mul_hi_u32 v3, s17, v2
	s_add_i32 s36, s36, 4
	s_add_u32 s6, s6, 32
	s_addc_u32 s7, s7, 0
	v_add_u32_e32 v3, v2, v3
	v_lshrrev_b32_e32 v3, s18, v3
	v_mul_lo_u32 v5, v3, s16
	v_mul_hi_u32 v6, s20, v3
	s_cmp_lg_u32 s30, s36
	v_sub_u32_e32 v2, v2, v5
	v_add_u32_e32 v5, v3, v6
	v_mul_lo_u32 v6, v2, s8
	v_mul_lo_u32 v7, v2, s9
	v_lshrrev_b32_e32 v2, s21, v5
	v_mul_lo_u32 v5, v2, s19
	v_mul_hi_u32 v8, s23, v2
	v_sub_u32_e32 v3, v3, v5
	v_add_u32_e32 v5, v2, v8
	v_lshrrev_b32_e32 v5, s24, v5
	v_mul_hi_u32 v9, s26, v5
	v_mul_lo_u32 v10, v5, s22
	v_mul_lo_u32 v8, v3, s10
	;; [unrolled: 1-line block ×3, first 2 shown]
	v_sub_u32_e32 v10, v2, v10
	v_add_u32_e32 v2, v5, v9
	v_lshrrev_b32_e32 v2, s27, v2
	v_mul_lo_u32 v9, v2, s25
	v_mul_lo_u32 v11, v10, s12
	;; [unrolled: 1-line block ×3, first 2 shown]
	v_add3_u32 v6, v6, v33, v8
	v_sub_u32_e32 v5, v5, v9
	v_mul_lo_u32 v9, v5, s14
	v_mul_lo_u32 v5, v5, s15
	v_add3_u32 v3, v7, v24, v3
	v_add3_u32 v33, v11, v6, v9
	;; [unrolled: 1-line block ×3, first 2 shown]
	s_cbranch_scc1 .LBB118_62
; %bb.63:
	s_and_b32 s10, s31, 3
	s_cmp_eq_u32 s10, 0
	s_cbranch_scc0 .LBB118_67
	s_branch .LBB118_69
.LBB118_64:
                                        ; implicit-def: $vgpr33
                                        ; implicit-def: $vgpr24
	s_branch .LBB118_70
.LBB118_65:
	v_mov_b32_e32 v33, 0
	v_mov_b32_e32 v24, 0
	s_branch .LBB118_69
.LBB118_66:
	v_mov_b32_e32 v33, 0
	v_mov_b32_e32 v24, 0
	;; [unrolled: 1-line block ×3, first 2 shown]
	s_and_b32 s10, s31, 3
	s_cmp_eq_u32 s10, 0
	s_cbranch_scc1 .LBB118_69
.LBB118_67:
	s_lshl_b32 s6, s30, 3
	s_add_u32 s6, s34, s6
	s_addc_u32 s7, s35, 0
	s_add_u32 s6, s6, 0xc4
	s_addc_u32 s7, s7, 0
	s_mul_i32 s8, s30, 12
	s_add_u32 s8, s34, s8
	s_addc_u32 s9, s35, 0
.LBB118_68:                             ; =>This Inner Loop Header: Depth=1
	s_load_dwordx2 s[12:13], s[8:9], 0x4
	s_load_dword s11, s[8:9], 0xc
	s_load_dwordx2 s[14:15], s[6:7], 0x0
	s_add_u32 s8, s8, 12
	s_addc_u32 s9, s9, 0
	s_waitcnt lgkmcnt(0)
	v_mul_hi_u32 v3, s13, v2
	s_add_u32 s6, s6, 8
	s_addc_u32 s7, s7, 0
	s_add_i32 s10, s10, -1
	v_add_u32_e32 v3, v2, v3
	v_lshrrev_b32_e32 v3, s11, v3
	v_mul_lo_u32 v5, v3, s12
	s_cmp_lg_u32 s10, 0
	v_sub_u32_e32 v2, v2, v5
	v_mad_u64_u32 v[33:34], s[12:13], v2, s14, v[33:34]
	v_mad_u64_u32 v[24:25], s[12:13], v2, s15, v[24:25]
	v_mov_b32_e32 v2, v3
	s_cbranch_scc1 .LBB118_68
.LBB118_69:
	s_cbranch_execnz .LBB118_72
.LBB118_70:
	s_load_dwordx4 s[8:11], s[34:35], 0x4
	s_load_dwordx2 s[6:7], s[34:35], 0xc4
	s_cmp_lt_u32 s33, 2
	s_waitcnt lgkmcnt(0)
	v_mul_hi_u32 v2, s9, v1
	v_add_u32_e32 v2, v1, v2
	v_lshrrev_b32_e32 v2, s10, v2
	v_mul_lo_u32 v3, v2, s8
	v_sub_u32_e32 v1, v1, v3
	v_mul_lo_u32 v33, v1, s6
	v_mul_lo_u32 v24, v1, s7
	s_cbranch_scc1 .LBB118_72
; %bb.71:
	s_load_dwordx4 s[8:11], s[34:35], 0x10
	s_load_dwordx2 s[6:7], s[34:35], 0xcc
	s_waitcnt lgkmcnt(0)
	v_mul_hi_u32 v1, s9, v2
	v_add_u32_e32 v1, v2, v1
	v_lshrrev_b32_e32 v1, s10, v1
	v_mul_lo_u32 v1, v1, s8
	v_sub_u32_e32 v1, v2, v1
	v_mad_u64_u32 v[33:34], s[8:9], v1, s6, v[33:34]
	v_mad_u64_u32 v[24:25], s[6:7], v1, s7, v[24:25]
.LBB118_72:
	s_and_b64 vcc, exec, s[4:5]
	v_add_u32_e32 v1, 0x200, v28
	s_cbranch_vccnz .LBB118_78
; %bb.73:
	s_cmp_lg_u32 s33, 0
	s_mov_b32 s30, 0
	s_cbranch_scc0 .LBB118_79
; %bb.74:
	s_min_u32 s31, s72, 15
	s_add_i32 s31, s31, 1
	s_cmp_eq_u32 s72, 2
	s_cbranch_scc1 .LBB118_80
; %bb.75:
	s_and_b32 s30, s31, 28
	s_add_u32 s6, s34, 0xc4
	s_addc_u32 s7, s35, 0
	v_mov_b32_e32 v25, 0
	s_waitcnt lgkmcnt(0)
	s_mov_b32 s36, 0
	s_mov_b64 s[28:29], s[34:35]
	v_mov_b32_e32 v34, 0
	v_mov_b32_e32 v2, v1
.LBB118_76:                             ; =>This Inner Loop Header: Depth=1
	s_load_dwordx8 s[16:23], s[28:29], 0x4
	s_load_dwordx4 s[24:27], s[28:29], 0x24
	s_load_dwordx8 s[8:15], s[6:7], 0x0
	s_add_u32 s28, s28, 48
	s_addc_u32 s29, s29, 0
	s_waitcnt lgkmcnt(0)
	v_mul_hi_u32 v3, s17, v2
	s_add_i32 s36, s36, 4
	s_add_u32 s6, s6, 32
	s_addc_u32 s7, s7, 0
	v_add_u32_e32 v3, v2, v3
	v_lshrrev_b32_e32 v3, s18, v3
	v_mul_lo_u32 v5, v3, s16
	v_mul_hi_u32 v6, s20, v3
	s_cmp_lg_u32 s30, s36
	v_sub_u32_e32 v2, v2, v5
	v_add_u32_e32 v5, v3, v6
	v_mul_lo_u32 v6, v2, s8
	v_mul_lo_u32 v7, v2, s9
	v_lshrrev_b32_e32 v2, s21, v5
	v_mul_lo_u32 v5, v2, s19
	v_mul_hi_u32 v8, s23, v2
	v_sub_u32_e32 v3, v3, v5
	v_add_u32_e32 v5, v2, v8
	v_lshrrev_b32_e32 v5, s24, v5
	v_mul_hi_u32 v9, s26, v5
	v_mul_lo_u32 v10, v5, s22
	v_mul_lo_u32 v8, v3, s10
	;; [unrolled: 1-line block ×3, first 2 shown]
	v_sub_u32_e32 v10, v2, v10
	v_add_u32_e32 v2, v5, v9
	v_lshrrev_b32_e32 v2, s27, v2
	v_mul_lo_u32 v9, v2, s25
	v_mul_lo_u32 v11, v10, s12
	;; [unrolled: 1-line block ×3, first 2 shown]
	v_add3_u32 v6, v6, v34, v8
	v_sub_u32_e32 v5, v5, v9
	v_mul_lo_u32 v9, v5, s14
	v_mul_lo_u32 v5, v5, s15
	v_add3_u32 v3, v7, v25, v3
	v_add3_u32 v34, v11, v6, v9
	v_add3_u32 v25, v10, v3, v5
	s_cbranch_scc1 .LBB118_76
; %bb.77:
	s_and_b32 s10, s31, 3
	s_cmp_eq_u32 s10, 0
	s_cbranch_scc0 .LBB118_81
	s_branch .LBB118_83
.LBB118_78:
                                        ; implicit-def: $vgpr34
                                        ; implicit-def: $vgpr25
	s_branch .LBB118_84
.LBB118_79:
	v_mov_b32_e32 v34, 0
	v_mov_b32_e32 v25, 0
	s_branch .LBB118_83
.LBB118_80:
	v_mov_b32_e32 v34, 0
	v_mov_b32_e32 v25, 0
	;; [unrolled: 1-line block ×3, first 2 shown]
	s_and_b32 s10, s31, 3
	s_cmp_eq_u32 s10, 0
	s_cbranch_scc1 .LBB118_83
.LBB118_81:
	s_lshl_b32 s6, s30, 3
	s_add_u32 s6, s34, s6
	s_addc_u32 s7, s35, 0
	s_add_u32 s6, s6, 0xc4
	s_addc_u32 s7, s7, 0
	s_mul_i32 s8, s30, 12
	s_add_u32 s8, s34, s8
	s_addc_u32 s9, s35, 0
.LBB118_82:                             ; =>This Inner Loop Header: Depth=1
	s_load_dwordx2 s[12:13], s[8:9], 0x4
	s_load_dword s11, s[8:9], 0xc
	s_load_dwordx2 s[14:15], s[6:7], 0x0
	s_add_u32 s8, s8, 12
	s_addc_u32 s9, s9, 0
	s_waitcnt lgkmcnt(0)
	v_mul_hi_u32 v3, s13, v2
	s_add_u32 s6, s6, 8
	s_addc_u32 s7, s7, 0
	s_add_i32 s10, s10, -1
	v_add_u32_e32 v3, v2, v3
	v_lshrrev_b32_e32 v3, s11, v3
	v_mul_lo_u32 v5, v3, s12
	s_cmp_lg_u32 s10, 0
	v_sub_u32_e32 v2, v2, v5
	v_mad_u64_u32 v[34:35], s[12:13], v2, s14, v[34:35]
	v_mad_u64_u32 v[25:26], s[12:13], v2, s15, v[25:26]
	v_mov_b32_e32 v2, v3
	s_cbranch_scc1 .LBB118_82
.LBB118_83:
	s_cbranch_execnz .LBB118_86
.LBB118_84:
	s_load_dwordx4 s[8:11], s[34:35], 0x4
	s_load_dwordx2 s[6:7], s[34:35], 0xc4
	s_cmp_lt_u32 s33, 2
	s_waitcnt lgkmcnt(0)
	v_mul_hi_u32 v2, s9, v1
	v_add_u32_e32 v2, v1, v2
	v_lshrrev_b32_e32 v2, s10, v2
	v_mul_lo_u32 v3, v2, s8
	v_sub_u32_e32 v1, v1, v3
	v_mul_lo_u32 v34, v1, s6
	v_mul_lo_u32 v25, v1, s7
	s_cbranch_scc1 .LBB118_86
; %bb.85:
	s_load_dwordx4 s[8:11], s[34:35], 0x10
	s_load_dwordx2 s[6:7], s[34:35], 0xcc
	s_waitcnt lgkmcnt(0)
	v_mul_hi_u32 v1, s9, v2
	v_add_u32_e32 v1, v2, v1
	v_lshrrev_b32_e32 v1, s10, v1
	v_mul_lo_u32 v1, v1, s8
	v_sub_u32_e32 v1, v2, v1
	v_mad_u64_u32 v[34:35], s[8:9], v1, s6, v[34:35]
	v_mad_u64_u32 v[25:26], s[6:7], v1, s7, v[25:26]
.LBB118_86:
	s_and_b64 vcc, exec, s[4:5]
	v_add_u32_e32 v1, 0x280, v28
	s_cbranch_vccnz .LBB118_92
; %bb.87:
	s_cmp_lg_u32 s33, 0
	s_mov_b32 s30, 0
	s_cbranch_scc0 .LBB118_93
; %bb.88:
	s_min_u32 s31, s72, 15
	s_add_i32 s31, s31, 1
	s_cmp_eq_u32 s72, 2
	s_cbranch_scc1 .LBB118_94
; %bb.89:
	s_and_b32 s30, s31, 28
	s_add_u32 s6, s34, 0xc4
	s_addc_u32 s7, s35, 0
	v_mov_b32_e32 v26, 0
	s_waitcnt lgkmcnt(0)
	s_mov_b32 s36, 0
	s_mov_b64 s[28:29], s[34:35]
	v_mov_b32_e32 v35, 0
	v_mov_b32_e32 v2, v1
.LBB118_90:                             ; =>This Inner Loop Header: Depth=1
	s_load_dwordx8 s[16:23], s[28:29], 0x4
	s_load_dwordx4 s[24:27], s[28:29], 0x24
	s_load_dwordx8 s[8:15], s[6:7], 0x0
	s_add_u32 s28, s28, 48
	s_addc_u32 s29, s29, 0
	s_waitcnt lgkmcnt(0)
	v_mul_hi_u32 v3, s17, v2
	s_add_i32 s36, s36, 4
	s_add_u32 s6, s6, 32
	s_addc_u32 s7, s7, 0
	v_add_u32_e32 v3, v2, v3
	v_lshrrev_b32_e32 v3, s18, v3
	v_mul_lo_u32 v5, v3, s16
	v_mul_hi_u32 v6, s20, v3
	s_cmp_lg_u32 s30, s36
	v_sub_u32_e32 v2, v2, v5
	v_add_u32_e32 v5, v3, v6
	v_mul_lo_u32 v6, v2, s8
	v_mul_lo_u32 v7, v2, s9
	v_lshrrev_b32_e32 v2, s21, v5
	v_mul_lo_u32 v5, v2, s19
	v_mul_hi_u32 v8, s23, v2
	v_sub_u32_e32 v3, v3, v5
	v_add_u32_e32 v5, v2, v8
	v_lshrrev_b32_e32 v5, s24, v5
	v_mul_hi_u32 v9, s26, v5
	v_mul_lo_u32 v10, v5, s22
	v_mul_lo_u32 v8, v3, s10
	;; [unrolled: 1-line block ×3, first 2 shown]
	v_sub_u32_e32 v10, v2, v10
	v_add_u32_e32 v2, v5, v9
	v_lshrrev_b32_e32 v2, s27, v2
	v_mul_lo_u32 v9, v2, s25
	v_mul_lo_u32 v11, v10, s12
	v_mul_lo_u32 v10, v10, s13
	v_add3_u32 v6, v6, v35, v8
	v_sub_u32_e32 v5, v5, v9
	v_mul_lo_u32 v9, v5, s14
	v_mul_lo_u32 v5, v5, s15
	v_add3_u32 v3, v7, v26, v3
	v_add3_u32 v35, v11, v6, v9
	;; [unrolled: 1-line block ×3, first 2 shown]
	s_cbranch_scc1 .LBB118_90
; %bb.91:
	s_and_b32 s10, s31, 3
	s_cmp_eq_u32 s10, 0
	s_cbranch_scc0 .LBB118_95
	s_branch .LBB118_97
.LBB118_92:
                                        ; implicit-def: $vgpr35
                                        ; implicit-def: $vgpr26
	s_branch .LBB118_98
.LBB118_93:
	v_mov_b32_e32 v35, 0
	v_mov_b32_e32 v26, 0
	s_branch .LBB118_97
.LBB118_94:
	v_mov_b32_e32 v35, 0
	v_mov_b32_e32 v26, 0
	;; [unrolled: 1-line block ×3, first 2 shown]
	s_and_b32 s10, s31, 3
	s_cmp_eq_u32 s10, 0
	s_cbranch_scc1 .LBB118_97
.LBB118_95:
	s_lshl_b32 s6, s30, 3
	s_add_u32 s6, s34, s6
	s_addc_u32 s7, s35, 0
	s_add_u32 s6, s6, 0xc4
	s_addc_u32 s7, s7, 0
	s_mul_i32 s8, s30, 12
	s_add_u32 s8, s34, s8
	s_addc_u32 s9, s35, 0
.LBB118_96:                             ; =>This Inner Loop Header: Depth=1
	s_load_dwordx2 s[12:13], s[8:9], 0x4
	s_load_dword s11, s[8:9], 0xc
	s_load_dwordx2 s[14:15], s[6:7], 0x0
	s_add_u32 s8, s8, 12
	s_addc_u32 s9, s9, 0
	s_waitcnt lgkmcnt(0)
	v_mul_hi_u32 v3, s13, v2
	s_add_u32 s6, s6, 8
	s_addc_u32 s7, s7, 0
	s_add_i32 s10, s10, -1
	v_add_u32_e32 v3, v2, v3
	v_lshrrev_b32_e32 v3, s11, v3
	v_mul_lo_u32 v5, v3, s12
	s_cmp_lg_u32 s10, 0
	v_sub_u32_e32 v2, v2, v5
	v_mad_u64_u32 v[35:36], s[12:13], v2, s14, v[35:36]
	v_mad_u64_u32 v[26:27], s[12:13], v2, s15, v[26:27]
	v_mov_b32_e32 v2, v3
	s_cbranch_scc1 .LBB118_96
.LBB118_97:
	s_cbranch_execnz .LBB118_100
.LBB118_98:
	s_load_dwordx4 s[8:11], s[34:35], 0x4
	s_load_dwordx2 s[6:7], s[34:35], 0xc4
	s_cmp_lt_u32 s33, 2
	s_waitcnt lgkmcnt(0)
	v_mul_hi_u32 v2, s9, v1
	v_add_u32_e32 v2, v1, v2
	v_lshrrev_b32_e32 v2, s10, v2
	v_mul_lo_u32 v3, v2, s8
	v_sub_u32_e32 v1, v1, v3
	v_mul_lo_u32 v35, v1, s6
	v_mul_lo_u32 v26, v1, s7
	s_cbranch_scc1 .LBB118_100
; %bb.99:
	s_load_dwordx4 s[8:11], s[34:35], 0x10
	s_load_dwordx2 s[6:7], s[34:35], 0xcc
	s_waitcnt lgkmcnt(0)
	v_mul_hi_u32 v1, s9, v2
	v_add_u32_e32 v1, v2, v1
	v_lshrrev_b32_e32 v1, s10, v1
	v_mul_lo_u32 v1, v1, s8
	v_sub_u32_e32 v1, v2, v1
	v_mad_u64_u32 v[35:36], s[8:9], v1, s6, v[35:36]
	v_mad_u64_u32 v[26:27], s[6:7], v1, s7, v[26:27]
.LBB118_100:
	s_and_b64 vcc, exec, s[4:5]
	v_add_u32_e32 v1, 0x300, v28
	s_cbranch_vccnz .LBB118_106
; %bb.101:
	s_cmp_lg_u32 s33, 0
	s_mov_b32 s30, 0
	s_cbranch_scc0 .LBB118_107
; %bb.102:
	s_min_u32 s31, s72, 15
	s_add_i32 s31, s31, 1
	s_cmp_eq_u32 s72, 2
	s_cbranch_scc1 .LBB118_108
; %bb.103:
	s_and_b32 s30, s31, 28
	s_add_u32 s6, s34, 0xc4
	s_addc_u32 s7, s35, 0
	v_mov_b32_e32 v27, 0
	s_waitcnt lgkmcnt(0)
	s_mov_b32 s36, 0
	s_mov_b64 s[28:29], s[34:35]
	v_mov_b32_e32 v36, 0
	v_mov_b32_e32 v2, v1
.LBB118_104:                            ; =>This Inner Loop Header: Depth=1
	s_load_dwordx8 s[16:23], s[28:29], 0x4
	s_load_dwordx4 s[24:27], s[28:29], 0x24
	s_load_dwordx8 s[8:15], s[6:7], 0x0
	s_add_u32 s28, s28, 48
	s_addc_u32 s29, s29, 0
	s_waitcnt lgkmcnt(0)
	v_mul_hi_u32 v3, s17, v2
	s_add_i32 s36, s36, 4
	s_add_u32 s6, s6, 32
	s_addc_u32 s7, s7, 0
	v_add_u32_e32 v3, v2, v3
	v_lshrrev_b32_e32 v3, s18, v3
	v_mul_lo_u32 v5, v3, s16
	v_mul_hi_u32 v6, s20, v3
	s_cmp_lg_u32 s30, s36
	v_sub_u32_e32 v2, v2, v5
	v_add_u32_e32 v5, v3, v6
	v_mul_lo_u32 v6, v2, s8
	v_mul_lo_u32 v7, v2, s9
	v_lshrrev_b32_e32 v2, s21, v5
	v_mul_lo_u32 v5, v2, s19
	v_mul_hi_u32 v8, s23, v2
	v_sub_u32_e32 v3, v3, v5
	v_add_u32_e32 v5, v2, v8
	v_lshrrev_b32_e32 v5, s24, v5
	v_mul_hi_u32 v9, s26, v5
	v_mul_lo_u32 v10, v5, s22
	v_mul_lo_u32 v8, v3, s10
	;; [unrolled: 1-line block ×3, first 2 shown]
	v_sub_u32_e32 v10, v2, v10
	v_add_u32_e32 v2, v5, v9
	v_lshrrev_b32_e32 v2, s27, v2
	v_mul_lo_u32 v9, v2, s25
	v_mul_lo_u32 v11, v10, s12
	;; [unrolled: 1-line block ×3, first 2 shown]
	v_add3_u32 v6, v6, v36, v8
	v_sub_u32_e32 v5, v5, v9
	v_mul_lo_u32 v9, v5, s14
	v_mul_lo_u32 v5, v5, s15
	v_add3_u32 v3, v7, v27, v3
	v_add3_u32 v36, v11, v6, v9
	;; [unrolled: 1-line block ×3, first 2 shown]
	s_cbranch_scc1 .LBB118_104
; %bb.105:
	s_and_b32 s10, s31, 3
	s_cmp_eq_u32 s10, 0
	s_cbranch_scc0 .LBB118_109
	s_branch .LBB118_111
.LBB118_106:
                                        ; implicit-def: $vgpr36
                                        ; implicit-def: $vgpr27
	s_branch .LBB118_112
.LBB118_107:
	v_mov_b32_e32 v36, 0
	v_mov_b32_e32 v27, 0
	s_branch .LBB118_111
.LBB118_108:
	v_mov_b32_e32 v36, 0
	v_mov_b32_e32 v27, 0
	;; [unrolled: 1-line block ×3, first 2 shown]
	s_and_b32 s10, s31, 3
	s_cmp_eq_u32 s10, 0
	s_cbranch_scc1 .LBB118_111
.LBB118_109:
	s_lshl_b32 s6, s30, 3
	s_add_u32 s6, s34, s6
	s_addc_u32 s7, s35, 0
	s_add_u32 s6, s6, 0xc4
	s_addc_u32 s7, s7, 0
	s_mul_i32 s8, s30, 12
	s_add_u32 s8, s34, s8
	s_addc_u32 s9, s35, 0
.LBB118_110:                            ; =>This Inner Loop Header: Depth=1
	s_load_dwordx2 s[12:13], s[8:9], 0x4
	s_load_dword s11, s[8:9], 0xc
	s_load_dwordx2 s[14:15], s[6:7], 0x0
	s_add_u32 s8, s8, 12
	s_addc_u32 s9, s9, 0
	s_waitcnt lgkmcnt(0)
	v_mul_hi_u32 v3, s13, v2
	s_add_u32 s6, s6, 8
	s_addc_u32 s7, s7, 0
	s_add_i32 s10, s10, -1
	v_add_u32_e32 v3, v2, v3
	v_lshrrev_b32_e32 v3, s11, v3
	v_mul_lo_u32 v5, v3, s12
	s_cmp_lg_u32 s10, 0
	v_sub_u32_e32 v2, v2, v5
	v_mad_u64_u32 v[36:37], s[12:13], v2, s14, v[36:37]
	v_mad_u64_u32 v[27:28], s[12:13], v2, s15, v[27:28]
	v_mov_b32_e32 v2, v3
	s_cbranch_scc1 .LBB118_110
.LBB118_111:
	s_cbranch_execnz .LBB118_114
.LBB118_112:
	s_load_dwordx4 s[8:11], s[34:35], 0x4
	s_load_dwordx2 s[6:7], s[34:35], 0xc4
	s_cmp_lt_u32 s33, 2
	s_waitcnt lgkmcnt(0)
	v_mul_hi_u32 v2, s9, v1
	v_add_u32_e32 v2, v1, v2
	v_lshrrev_b32_e32 v2, s10, v2
	v_mul_lo_u32 v3, v2, s8
	v_sub_u32_e32 v1, v1, v3
	v_mul_lo_u32 v36, v1, s6
	v_mul_lo_u32 v27, v1, s7
	s_cbranch_scc1 .LBB118_114
; %bb.113:
	s_load_dwordx4 s[8:11], s[34:35], 0x10
	s_load_dwordx2 s[6:7], s[34:35], 0xcc
	s_waitcnt lgkmcnt(0)
	v_mul_hi_u32 v1, s9, v2
	v_add_u32_e32 v1, v2, v1
	v_lshrrev_b32_e32 v1, s10, v1
	v_mul_lo_u32 v1, v1, s8
	v_sub_u32_e32 v1, v2, v1
	v_mad_u64_u32 v[36:37], s[8:9], v1, s6, v[36:37]
	v_mad_u64_u32 v[27:28], s[6:7], v1, s7, v[27:28]
.LBB118_114:
	s_and_b64 vcc, exec, s[4:5]
	s_cbranch_vccnz .LBB118_120
; %bb.115:
	s_cmp_lg_u32 s33, 0
	s_mov_b32 s28, 0
	s_cbranch_scc0 .LBB118_121
; %bb.116:
	s_min_u32 s29, s72, 15
	s_add_i32 s29, s29, 1
	s_cmp_eq_u32 s72, 2
	s_cbranch_scc1 .LBB118_122
; %bb.117:
	s_and_b32 s28, s29, 28
	s_add_u32 s24, s34, 0xc4
	s_addc_u32 s25, s35, 0
	v_mov_b32_e32 v28, 0
	s_mov_b32 s30, 0
	s_mov_b64 s[26:27], s[34:35]
	v_mov_b32_e32 v37, 0
	v_mov_b32_e32 v1, v0
.LBB118_118:                            ; =>This Inner Loop Header: Depth=1
	s_load_dwordx8 s[12:19], s[26:27], 0x4
	s_load_dwordx4 s[20:23], s[26:27], 0x24
	s_load_dwordx8 s[4:11], s[24:25], 0x0
	s_add_u32 s26, s26, 48
	s_addc_u32 s27, s27, 0
	s_waitcnt lgkmcnt(0)
	v_mul_hi_u32 v2, s13, v1
	s_add_i32 s30, s30, 4
	s_add_u32 s24, s24, 32
	s_addc_u32 s25, s25, 0
	v_add_u32_e32 v2, v1, v2
	v_lshrrev_b32_e32 v2, s14, v2
	v_mul_lo_u32 v3, v2, s12
	v_mul_hi_u32 v5, s16, v2
	s_cmp_lg_u32 s28, s30
	v_sub_u32_e32 v1, v1, v3
	v_add_u32_e32 v3, v2, v5
	v_mul_lo_u32 v5, v1, s4
	v_mul_lo_u32 v6, v1, s5
	v_lshrrev_b32_e32 v1, s17, v3
	v_mul_lo_u32 v3, v1, s15
	v_mul_hi_u32 v7, s19, v1
	v_sub_u32_e32 v2, v2, v3
	v_add_u32_e32 v3, v1, v7
	v_lshrrev_b32_e32 v3, s20, v3
	v_mul_hi_u32 v8, s22, v3
	v_mul_lo_u32 v9, v3, s18
	v_mul_lo_u32 v7, v2, s6
	;; [unrolled: 1-line block ×3, first 2 shown]
	v_sub_u32_e32 v9, v1, v9
	v_add_u32_e32 v1, v3, v8
	v_lshrrev_b32_e32 v1, s23, v1
	v_mul_lo_u32 v8, v1, s21
	v_mul_lo_u32 v10, v9, s8
	;; [unrolled: 1-line block ×3, first 2 shown]
	v_add3_u32 v5, v5, v37, v7
	v_sub_u32_e32 v3, v3, v8
	v_mul_lo_u32 v8, v3, s10
	v_mul_lo_u32 v3, v3, s11
	v_add3_u32 v2, v6, v28, v2
	v_add3_u32 v37, v10, v5, v8
	v_add3_u32 v28, v9, v2, v3
	s_cbranch_scc1 .LBB118_118
; %bb.119:
	s_and_b32 s8, s29, 3
	s_cmp_eq_u32 s8, 0
	s_cbranch_scc0 .LBB118_123
	s_branch .LBB118_125
.LBB118_120:
                                        ; implicit-def: $vgpr37
                                        ; implicit-def: $vgpr28
	s_branch .LBB118_126
.LBB118_121:
	v_mov_b32_e32 v37, 0
	v_mov_b32_e32 v28, 0
	s_branch .LBB118_125
.LBB118_122:
	v_mov_b32_e32 v37, 0
	v_mov_b32_e32 v28, 0
	;; [unrolled: 1-line block ×3, first 2 shown]
	s_and_b32 s8, s29, 3
	s_cmp_eq_u32 s8, 0
	s_cbranch_scc1 .LBB118_125
.LBB118_123:
	s_lshl_b32 s4, s28, 3
	s_add_u32 s4, s34, s4
	s_addc_u32 s5, s35, 0
	s_add_u32 s4, s4, 0xc4
	s_addc_u32 s5, s5, 0
	s_mul_i32 s6, s28, 12
	s_add_u32 s6, s34, s6
	s_addc_u32 s7, s35, 0
.LBB118_124:                            ; =>This Inner Loop Header: Depth=1
	s_load_dwordx2 s[10:11], s[6:7], 0x4
	s_load_dword s9, s[6:7], 0xc
	s_load_dwordx2 s[12:13], s[4:5], 0x0
	s_add_u32 s6, s6, 12
	s_addc_u32 s7, s7, 0
	s_waitcnt lgkmcnt(0)
	v_mul_hi_u32 v2, s11, v1
	s_add_u32 s4, s4, 8
	s_addc_u32 s5, s5, 0
	s_add_i32 s8, s8, -1
	v_add_u32_e32 v2, v1, v2
	v_lshrrev_b32_e32 v2, s9, v2
	v_mul_lo_u32 v3, v2, s10
	s_cmp_lg_u32 s8, 0
	v_sub_u32_e32 v1, v1, v3
	v_mad_u64_u32 v[37:38], s[10:11], v1, s12, v[37:38]
	v_mad_u64_u32 v[28:29], s[10:11], v1, s13, v[28:29]
	v_mov_b32_e32 v1, v2
	s_cbranch_scc1 .LBB118_124
.LBB118_125:
	s_cbranch_execnz .LBB118_128
.LBB118_126:
	s_load_dwordx4 s[4:7], s[34:35], 0x4
	s_load_dwordx2 s[8:9], s[34:35], 0xc4
	s_cmp_lt_u32 s33, 2
	s_waitcnt lgkmcnt(0)
	v_mul_hi_u32 v1, s5, v0
	v_add_u32_e32 v1, v0, v1
	v_lshrrev_b32_e32 v1, s6, v1
	v_mul_lo_u32 v2, v1, s4
	v_sub_u32_e32 v0, v0, v2
	v_mul_lo_u32 v37, v0, s8
	v_mul_lo_u32 v28, v0, s9
	s_cbranch_scc1 .LBB118_128
; %bb.127:
	s_load_dwordx4 s[4:7], s[34:35], 0x10
	s_load_dwordx2 s[8:9], s[34:35], 0xcc
	s_waitcnt lgkmcnt(0)
	v_mul_hi_u32 v0, s5, v1
	v_add_u32_e32 v0, v1, v0
	v_lshrrev_b32_e32 v0, s6, v0
	v_mul_lo_u32 v0, v0, s4
	v_sub_u32_e32 v0, v1, v0
	v_mad_u64_u32 v[37:38], s[4:5], v0, s8, v[37:38]
	v_mad_u64_u32 v[28:29], s[4:5], v0, s9, v[28:29]
.LBB118_128:
	s_waitcnt lgkmcnt(0)
	s_load_dwordx2 s[48:49], s[34:35], 0x158
	s_load_dwordx4 s[36:39], s[34:35], 0x148
	s_getpc_b64 s[34:35]
	s_add_u32 s34, s34, _ZN2at6native6invokeIZZZNS0_21polygamma_kernel_cudaERNS_18TensorIteratorBaseElENKUlvE_clEvENKUlvE2_clEvEUlN3c108BFloat16EE_j15function_traitsIS8_EEENT1_11result_typeERKT_PrKPcPKT0_i@rel32@lo+4
	s_addc_u32 s35, s35, _ZN2at6native6invokeIZZZNS0_21polygamma_kernel_cudaERNS_18TensorIteratorBaseElENKUlvE_clEvENKUlvE2_clEvEUlN3c108BFloat16EE_j15function_traitsIS8_EEENT1_11result_typeERKT_PrKPcPKT0_i@rel32@hi+12
	s_waitcnt lgkmcnt(0)
	v_mov_b32_e32 v0, s48
	v_mov_b32_e32 v1, s49
	v_mov_b32_e32 v2, s38
	v_mov_b32_e32 v3, s39
	s_swappc_b64 s[30:31], s[34:35]
	v_mov_b32_e32 v29, v0
	v_mov_b32_e32 v0, s48
	v_mov_b32_e32 v1, s49
	v_mov_b32_e32 v2, s38
	v_mov_b32_e32 v3, s39
	v_mov_b32_e32 v4, v22
	s_swappc_b64 s[30:31], s[34:35]
	v_mov_b32_e32 v22, v0
	v_mov_b32_e32 v0, s48
	;; [unrolled: 7-line block ×7, first 2 shown]
	v_mov_b32_e32 v1, s49
	v_mov_b32_e32 v2, s38
	;; [unrolled: 1-line block ×4, first 2 shown]
	s_swappc_b64 s[30:31], s[34:35]
	global_store_short v30, v29, s[36:37]
	global_store_short v31, v22, s[36:37]
	;; [unrolled: 1-line block ×8, first 2 shown]
	s_endpgm
.LBB118_129:
	v_mov_b32_e32 v22, 0
	v_mov_b32_e32 v4, 0
	s_branch .LBB118_135
.LBB118_130:
	v_mov_b32_e32 v22, 0
	v_mov_b32_e32 v4, 0
	s_branch .LBB118_151
.LBB118_131:
	s_mov_b32 s28, 0
	v_mov_b32_e32 v22, 0
	v_mov_b32_e32 v4, 0
	;; [unrolled: 1-line block ×3, first 2 shown]
.LBB118_132:
	s_and_b32 s8, s29, 3
	s_cmp_eq_u32 s8, 0
	s_cbranch_scc1 .LBB118_135
; %bb.133:
	s_lshl_b32 s4, s28, 3
	s_add_u32 s4, s34, s4
	s_addc_u32 s5, s35, 0
	s_add_u32 s4, s4, 0xc4
	s_addc_u32 s5, s5, 0
	s_mul_i32 s6, s28, 12
	s_add_u32 s6, s34, s6
	s_addc_u32 s7, s35, 0
.LBB118_134:                            ; =>This Inner Loop Header: Depth=1
	s_load_dwordx2 s[10:11], s[6:7], 0x4
	s_load_dword s9, s[6:7], 0xc
	s_load_dwordx2 s[12:13], s[4:5], 0x0
	s_add_u32 s6, s6, 12
	s_addc_u32 s7, s7, 0
	s_waitcnt lgkmcnt(0)
	v_mul_hi_u32 v1, s11, v0
	s_add_u32 s4, s4, 8
	s_addc_u32 s5, s5, 0
	s_add_i32 s8, s8, -1
	v_add_u32_e32 v1, v0, v1
	v_lshrrev_b32_e32 v1, s9, v1
	v_mul_lo_u32 v2, v1, s10
	s_cmp_lg_u32 s8, 0
	v_sub_u32_e32 v0, v0, v2
	v_mad_u64_u32 v[22:23], s[10:11], v0, s12, v[22:23]
	v_mad_u64_u32 v[4:5], s[10:11], v0, s13, v[4:5]
	v_mov_b32_e32 v0, v1
	s_cbranch_scc1 .LBB118_134
.LBB118_135:
	s_cbranch_execnz .LBB118_138
.LBB118_136:
	s_waitcnt lgkmcnt(0)
	v_mul_hi_u32 v0, s49, v28
	s_andn2_b64 vcc, exec, s[64:65]
	v_add_u32_e32 v0, v28, v0
	v_lshrrev_b32_e32 v0, s50, v0
	v_mul_lo_u32 v1, v0, s48
	v_sub_u32_e32 v1, v28, v1
	v_mul_lo_u32 v22, v1, s52
	v_mul_lo_u32 v4, v1, s53
	s_cbranch_vccnz .LBB118_138
; %bb.137:
	v_mul_hi_u32 v1, s62, v0
	v_add_u32_e32 v1, v0, v1
	v_lshrrev_b32_e32 v1, s63, v1
	v_mul_lo_u32 v1, v1, s51
	v_sub_u32_e32 v0, v0, v1
	v_mad_u64_u32 v[22:23], s[4:5], v0, s54, v[22:23]
	v_mad_u64_u32 v[4:5], s[4:5], v0, s55, v[4:5]
.LBB118_138:
	s_getpc_b64 s[4:5]
	s_add_u32 s4, s4, _ZN2at6native6invokeIZZZNS0_21polygamma_kernel_cudaERNS_18TensorIteratorBaseElENKUlvE_clEvENKUlvE2_clEvEUlN3c108BFloat16EE_j15function_traitsIS8_EEENT1_11result_typeERKT_PrKPcPKT0_i@rel32@lo+4
	s_addc_u32 s5, s5, _ZN2at6native6invokeIZZZNS0_21polygamma_kernel_cudaERNS_18TensorIteratorBaseElENKUlvE_clEvENKUlvE2_clEvEUlN3c108BFloat16EE_j15function_traitsIS8_EEENT1_11result_typeERKT_PrKPcPKT0_i@rel32@hi+12
	s_waitcnt lgkmcnt(0)
	v_mov_b32_e32 v0, s60
	v_mov_b32_e32 v1, s61
	;; [unrolled: 1-line block ×4, first 2 shown]
	s_swappc_b64 s[30:31], s[4:5]
	v_add_u32_e32 v28, 0x80, v28
	global_store_short v22, v0, s[36:37]
	s_or_b64 exec, exec, s[70:71]
	v_cmp_gt_i32_e32 vcc, s73, v28
	s_and_saveexec_b64 s[70:71], vcc
	s_cbranch_execnz .LBB118_15
.LBB118_139:
	s_or_b64 exec, exec, s[70:71]
	v_cmp_gt_i32_e32 vcc, s73, v28
	s_and_saveexec_b64 s[70:71], vcc
	s_cbranch_execz .LBB118_155
.LBB118_140:
	s_andn2_b64 vcc, exec, s[56:57]
	s_cbranch_vccnz .LBB118_145
; %bb.141:
	s_andn2_b64 vcc, exec, s[68:69]
	s_cbranch_vccnz .LBB118_146
; %bb.142:
	s_add_i32 s29, s74, 1
	s_cmp_eq_u32 s72, 2
	s_cbranch_scc1 .LBB118_163
; %bb.143:
	s_and_b32 s28, s29, 28
	v_mov_b32_e32 v4, 0
	s_mov_b32 s30, 0
	s_mov_b64 s[24:25], s[34:35]
	s_mov_b64 s[26:27], s[66:67]
	v_mov_b32_e32 v22, 0
	v_mov_b32_e32 v0, v28
.LBB118_144:                            ; =>This Inner Loop Header: Depth=1
	s_load_dwordx8 s[12:19], s[24:25], 0x4
	s_load_dwordx4 s[20:23], s[24:25], 0x24
	s_load_dwordx8 s[4:11], s[26:27], 0x0
	s_add_u32 s24, s24, 48
	s_addc_u32 s25, s25, 0
	s_waitcnt lgkmcnt(0)
	v_mul_hi_u32 v1, s13, v0
	s_add_i32 s30, s30, 4
	s_add_u32 s26, s26, 32
	s_addc_u32 s27, s27, 0
	v_add_u32_e32 v1, v0, v1
	v_lshrrev_b32_e32 v1, s14, v1
	v_mul_lo_u32 v2, v1, s12
	v_mul_hi_u32 v3, s16, v1
	s_cmp_eq_u32 s28, s30
	v_sub_u32_e32 v0, v0, v2
	v_add_u32_e32 v2, v1, v3
	v_mul_lo_u32 v3, v0, s4
	v_mul_lo_u32 v5, v0, s5
	v_lshrrev_b32_e32 v0, s17, v2
	v_mul_lo_u32 v2, v0, s15
	v_mul_hi_u32 v6, s19, v0
	v_sub_u32_e32 v1, v1, v2
	v_add_u32_e32 v2, v0, v6
	v_lshrrev_b32_e32 v2, s20, v2
	v_mul_hi_u32 v7, s22, v2
	v_mul_lo_u32 v8, v2, s18
	v_mul_lo_u32 v6, v1, s6
	;; [unrolled: 1-line block ×3, first 2 shown]
	v_sub_u32_e32 v8, v0, v8
	v_add_u32_e32 v0, v2, v7
	v_lshrrev_b32_e32 v0, s23, v0
	v_mul_lo_u32 v7, v0, s21
	v_mul_lo_u32 v9, v8, s8
	;; [unrolled: 1-line block ×3, first 2 shown]
	v_add3_u32 v3, v3, v22, v6
	v_sub_u32_e32 v2, v2, v7
	v_mul_lo_u32 v7, v2, s10
	v_mul_lo_u32 v2, v2, s11
	v_add3_u32 v1, v5, v4, v1
	v_add3_u32 v22, v9, v3, v7
	v_add3_u32 v4, v8, v1, v2
	s_cbranch_scc0 .LBB118_144
	s_branch .LBB118_164
.LBB118_145:
                                        ; implicit-def: $vgpr22
                                        ; implicit-def: $vgpr4
	s_branch .LBB118_168
.LBB118_146:
	v_mov_b32_e32 v22, 0
	v_mov_b32_e32 v4, 0
	s_branch .LBB118_167
.LBB118_147:
	s_mov_b32 s28, 0
	v_mov_b32_e32 v22, 0
	v_mov_b32_e32 v4, 0
	v_mov_b32_e32 v0, v28
.LBB118_148:
	s_and_b32 s8, s29, 3
	s_cmp_eq_u32 s8, 0
	s_cbranch_scc1 .LBB118_151
; %bb.149:
	s_lshl_b32 s4, s28, 3
	s_add_u32 s4, s34, s4
	s_addc_u32 s5, s35, 0
	s_add_u32 s4, s4, 0xc4
	s_addc_u32 s5, s5, 0
	s_mul_i32 s6, s28, 12
	s_add_u32 s6, s34, s6
	s_addc_u32 s7, s35, 0
.LBB118_150:                            ; =>This Inner Loop Header: Depth=1
	s_load_dwordx2 s[10:11], s[6:7], 0x4
	s_load_dword s9, s[6:7], 0xc
	s_load_dwordx2 s[12:13], s[4:5], 0x0
	s_add_u32 s6, s6, 12
	s_addc_u32 s7, s7, 0
	s_waitcnt lgkmcnt(0)
	v_mul_hi_u32 v1, s11, v0
	s_add_u32 s4, s4, 8
	s_addc_u32 s5, s5, 0
	s_add_i32 s8, s8, -1
	v_add_u32_e32 v1, v0, v1
	v_lshrrev_b32_e32 v1, s9, v1
	v_mul_lo_u32 v2, v1, s10
	s_cmp_lg_u32 s8, 0
	v_sub_u32_e32 v0, v0, v2
	v_mad_u64_u32 v[22:23], s[10:11], v0, s12, v[22:23]
	v_mad_u64_u32 v[4:5], s[10:11], v0, s13, v[4:5]
	v_mov_b32_e32 v0, v1
	s_cbranch_scc1 .LBB118_150
.LBB118_151:
	s_cbranch_execnz .LBB118_154
.LBB118_152:
	s_waitcnt lgkmcnt(0)
	v_mul_hi_u32 v0, s49, v28
	s_andn2_b64 vcc, exec, s[64:65]
	v_add_u32_e32 v0, v28, v0
	v_lshrrev_b32_e32 v0, s50, v0
	v_mul_lo_u32 v1, v0, s48
	v_sub_u32_e32 v1, v28, v1
	v_mul_lo_u32 v22, v1, s52
	v_mul_lo_u32 v4, v1, s53
	s_cbranch_vccnz .LBB118_154
; %bb.153:
	v_mul_hi_u32 v1, s62, v0
	v_add_u32_e32 v1, v0, v1
	v_lshrrev_b32_e32 v1, s63, v1
	v_mul_lo_u32 v1, v1, s51
	v_sub_u32_e32 v0, v0, v1
	v_mad_u64_u32 v[22:23], s[4:5], v0, s54, v[22:23]
	v_mad_u64_u32 v[4:5], s[4:5], v0, s55, v[4:5]
.LBB118_154:
	s_getpc_b64 s[4:5]
	s_add_u32 s4, s4, _ZN2at6native6invokeIZZZNS0_21polygamma_kernel_cudaERNS_18TensorIteratorBaseElENKUlvE_clEvENKUlvE2_clEvEUlN3c108BFloat16EE_j15function_traitsIS8_EEENT1_11result_typeERKT_PrKPcPKT0_i@rel32@lo+4
	s_addc_u32 s5, s5, _ZN2at6native6invokeIZZZNS0_21polygamma_kernel_cudaERNS_18TensorIteratorBaseElENKUlvE_clEvENKUlvE2_clEvEUlN3c108BFloat16EE_j15function_traitsIS8_EEENT1_11result_typeERKT_PrKPcPKT0_i@rel32@hi+12
	s_waitcnt lgkmcnt(0)
	v_mov_b32_e32 v0, s60
	v_mov_b32_e32 v1, s61
	;; [unrolled: 1-line block ×4, first 2 shown]
	s_swappc_b64 s[30:31], s[4:5]
	v_add_u32_e32 v28, 0x80, v28
	global_store_short v22, v0, s[36:37]
	s_or_b64 exec, exec, s[70:71]
	v_cmp_gt_i32_e32 vcc, s73, v28
	s_and_saveexec_b64 s[70:71], vcc
	s_cbranch_execnz .LBB118_140
.LBB118_155:
	s_or_b64 exec, exec, s[70:71]
	v_cmp_gt_i32_e32 vcc, s73, v28
	s_and_saveexec_b64 s[70:71], vcc
	s_cbranch_execz .LBB118_171
.LBB118_156:
	s_andn2_b64 vcc, exec, s[56:57]
	s_cbranch_vccnz .LBB118_161
; %bb.157:
	s_andn2_b64 vcc, exec, s[68:69]
	s_cbranch_vccnz .LBB118_162
; %bb.158:
	s_add_i32 s29, s74, 1
	s_cmp_eq_u32 s72, 2
	s_cbranch_scc1 .LBB118_179
; %bb.159:
	s_and_b32 s28, s29, 28
	v_mov_b32_e32 v4, 0
	s_mov_b32 s30, 0
	s_mov_b64 s[24:25], s[34:35]
	s_mov_b64 s[26:27], s[66:67]
	v_mov_b32_e32 v22, 0
	v_mov_b32_e32 v0, v28
.LBB118_160:                            ; =>This Inner Loop Header: Depth=1
	s_load_dwordx8 s[12:19], s[24:25], 0x4
	s_load_dwordx4 s[20:23], s[24:25], 0x24
	s_load_dwordx8 s[4:11], s[26:27], 0x0
	s_add_u32 s24, s24, 48
	s_addc_u32 s25, s25, 0
	s_waitcnt lgkmcnt(0)
	v_mul_hi_u32 v1, s13, v0
	s_add_i32 s30, s30, 4
	s_add_u32 s26, s26, 32
	s_addc_u32 s27, s27, 0
	v_add_u32_e32 v1, v0, v1
	v_lshrrev_b32_e32 v1, s14, v1
	v_mul_lo_u32 v2, v1, s12
	v_mul_hi_u32 v3, s16, v1
	s_cmp_eq_u32 s28, s30
	v_sub_u32_e32 v0, v0, v2
	v_add_u32_e32 v2, v1, v3
	v_mul_lo_u32 v3, v0, s4
	v_mul_lo_u32 v5, v0, s5
	v_lshrrev_b32_e32 v0, s17, v2
	v_mul_lo_u32 v2, v0, s15
	v_mul_hi_u32 v6, s19, v0
	v_sub_u32_e32 v1, v1, v2
	v_add_u32_e32 v2, v0, v6
	v_lshrrev_b32_e32 v2, s20, v2
	v_mul_hi_u32 v7, s22, v2
	v_mul_lo_u32 v8, v2, s18
	v_mul_lo_u32 v6, v1, s6
	;; [unrolled: 1-line block ×3, first 2 shown]
	v_sub_u32_e32 v8, v0, v8
	v_add_u32_e32 v0, v2, v7
	v_lshrrev_b32_e32 v0, s23, v0
	v_mul_lo_u32 v7, v0, s21
	v_mul_lo_u32 v9, v8, s8
	;; [unrolled: 1-line block ×3, first 2 shown]
	v_add3_u32 v3, v3, v22, v6
	v_sub_u32_e32 v2, v2, v7
	v_mul_lo_u32 v7, v2, s10
	v_mul_lo_u32 v2, v2, s11
	v_add3_u32 v1, v5, v4, v1
	v_add3_u32 v22, v9, v3, v7
	;; [unrolled: 1-line block ×3, first 2 shown]
	s_cbranch_scc0 .LBB118_160
	s_branch .LBB118_180
.LBB118_161:
                                        ; implicit-def: $vgpr22
                                        ; implicit-def: $vgpr4
	s_branch .LBB118_184
.LBB118_162:
	v_mov_b32_e32 v22, 0
	v_mov_b32_e32 v4, 0
	s_branch .LBB118_183
.LBB118_163:
	s_mov_b32 s28, 0
	v_mov_b32_e32 v22, 0
	v_mov_b32_e32 v4, 0
	;; [unrolled: 1-line block ×3, first 2 shown]
.LBB118_164:
	s_and_b32 s8, s29, 3
	s_cmp_eq_u32 s8, 0
	s_cbranch_scc1 .LBB118_167
; %bb.165:
	s_lshl_b32 s4, s28, 3
	s_add_u32 s4, s34, s4
	s_addc_u32 s5, s35, 0
	s_add_u32 s4, s4, 0xc4
	s_addc_u32 s5, s5, 0
	s_mul_i32 s6, s28, 12
	s_add_u32 s6, s34, s6
	s_addc_u32 s7, s35, 0
.LBB118_166:                            ; =>This Inner Loop Header: Depth=1
	s_load_dwordx2 s[10:11], s[6:7], 0x4
	s_load_dword s9, s[6:7], 0xc
	s_load_dwordx2 s[12:13], s[4:5], 0x0
	s_add_u32 s6, s6, 12
	s_addc_u32 s7, s7, 0
	s_waitcnt lgkmcnt(0)
	v_mul_hi_u32 v1, s11, v0
	s_add_u32 s4, s4, 8
	s_addc_u32 s5, s5, 0
	s_add_i32 s8, s8, -1
	v_add_u32_e32 v1, v0, v1
	v_lshrrev_b32_e32 v1, s9, v1
	v_mul_lo_u32 v2, v1, s10
	s_cmp_lg_u32 s8, 0
	v_sub_u32_e32 v0, v0, v2
	v_mad_u64_u32 v[22:23], s[10:11], v0, s12, v[22:23]
	v_mad_u64_u32 v[4:5], s[10:11], v0, s13, v[4:5]
	v_mov_b32_e32 v0, v1
	s_cbranch_scc1 .LBB118_166
.LBB118_167:
	s_cbranch_execnz .LBB118_170
.LBB118_168:
	s_waitcnt lgkmcnt(0)
	v_mul_hi_u32 v0, s49, v28
	s_andn2_b64 vcc, exec, s[64:65]
	v_add_u32_e32 v0, v28, v0
	v_lshrrev_b32_e32 v0, s50, v0
	v_mul_lo_u32 v1, v0, s48
	v_sub_u32_e32 v1, v28, v1
	v_mul_lo_u32 v22, v1, s52
	v_mul_lo_u32 v4, v1, s53
	s_cbranch_vccnz .LBB118_170
; %bb.169:
	v_mul_hi_u32 v1, s62, v0
	v_add_u32_e32 v1, v0, v1
	v_lshrrev_b32_e32 v1, s63, v1
	v_mul_lo_u32 v1, v1, s51
	v_sub_u32_e32 v0, v0, v1
	v_mad_u64_u32 v[22:23], s[4:5], v0, s54, v[22:23]
	v_mad_u64_u32 v[4:5], s[4:5], v0, s55, v[4:5]
.LBB118_170:
	s_getpc_b64 s[4:5]
	s_add_u32 s4, s4, _ZN2at6native6invokeIZZZNS0_21polygamma_kernel_cudaERNS_18TensorIteratorBaseElENKUlvE_clEvENKUlvE2_clEvEUlN3c108BFloat16EE_j15function_traitsIS8_EEENT1_11result_typeERKT_PrKPcPKT0_i@rel32@lo+4
	s_addc_u32 s5, s5, _ZN2at6native6invokeIZZZNS0_21polygamma_kernel_cudaERNS_18TensorIteratorBaseElENKUlvE_clEvENKUlvE2_clEvEUlN3c108BFloat16EE_j15function_traitsIS8_EEENT1_11result_typeERKT_PrKPcPKT0_i@rel32@hi+12
	s_waitcnt lgkmcnt(0)
	v_mov_b32_e32 v0, s60
	v_mov_b32_e32 v1, s61
	;; [unrolled: 1-line block ×4, first 2 shown]
	s_swappc_b64 s[30:31], s[4:5]
	v_add_u32_e32 v28, 0x80, v28
	global_store_short v22, v0, s[36:37]
	s_or_b64 exec, exec, s[70:71]
	v_cmp_gt_i32_e32 vcc, s73, v28
	s_and_saveexec_b64 s[70:71], vcc
	s_cbranch_execnz .LBB118_156
.LBB118_171:
	s_or_b64 exec, exec, s[70:71]
	v_cmp_gt_i32_e32 vcc, s73, v28
	s_and_saveexec_b64 s[70:71], vcc
	s_cbranch_execz .LBB118_187
.LBB118_172:
	s_andn2_b64 vcc, exec, s[56:57]
	s_cbranch_vccnz .LBB118_177
; %bb.173:
	s_andn2_b64 vcc, exec, s[68:69]
	s_cbranch_vccnz .LBB118_178
; %bb.174:
	s_add_i32 s29, s74, 1
	s_cmp_eq_u32 s72, 2
	s_cbranch_scc1 .LBB118_195
; %bb.175:
	s_and_b32 s28, s29, 28
	v_mov_b32_e32 v4, 0
	s_mov_b32 s30, 0
	s_mov_b64 s[24:25], s[34:35]
	s_mov_b64 s[26:27], s[66:67]
	v_mov_b32_e32 v22, 0
	v_mov_b32_e32 v0, v28
.LBB118_176:                            ; =>This Inner Loop Header: Depth=1
	s_load_dwordx8 s[12:19], s[24:25], 0x4
	s_load_dwordx4 s[20:23], s[24:25], 0x24
	s_load_dwordx8 s[4:11], s[26:27], 0x0
	s_add_u32 s24, s24, 48
	s_addc_u32 s25, s25, 0
	s_waitcnt lgkmcnt(0)
	v_mul_hi_u32 v1, s13, v0
	s_add_i32 s30, s30, 4
	s_add_u32 s26, s26, 32
	s_addc_u32 s27, s27, 0
	v_add_u32_e32 v1, v0, v1
	v_lshrrev_b32_e32 v1, s14, v1
	v_mul_lo_u32 v2, v1, s12
	v_mul_hi_u32 v3, s16, v1
	s_cmp_eq_u32 s28, s30
	v_sub_u32_e32 v0, v0, v2
	v_add_u32_e32 v2, v1, v3
	v_mul_lo_u32 v3, v0, s4
	v_mul_lo_u32 v5, v0, s5
	v_lshrrev_b32_e32 v0, s17, v2
	v_mul_lo_u32 v2, v0, s15
	v_mul_hi_u32 v6, s19, v0
	v_sub_u32_e32 v1, v1, v2
	v_add_u32_e32 v2, v0, v6
	v_lshrrev_b32_e32 v2, s20, v2
	v_mul_hi_u32 v7, s22, v2
	v_mul_lo_u32 v8, v2, s18
	v_mul_lo_u32 v6, v1, s6
	;; [unrolled: 1-line block ×3, first 2 shown]
	v_sub_u32_e32 v8, v0, v8
	v_add_u32_e32 v0, v2, v7
	v_lshrrev_b32_e32 v0, s23, v0
	v_mul_lo_u32 v7, v0, s21
	v_mul_lo_u32 v9, v8, s8
	;; [unrolled: 1-line block ×3, first 2 shown]
	v_add3_u32 v3, v3, v22, v6
	v_sub_u32_e32 v2, v2, v7
	v_mul_lo_u32 v7, v2, s10
	v_mul_lo_u32 v2, v2, s11
	v_add3_u32 v1, v5, v4, v1
	v_add3_u32 v22, v9, v3, v7
	;; [unrolled: 1-line block ×3, first 2 shown]
	s_cbranch_scc0 .LBB118_176
	s_branch .LBB118_196
.LBB118_177:
                                        ; implicit-def: $vgpr22
                                        ; implicit-def: $vgpr4
	s_branch .LBB118_200
.LBB118_178:
	v_mov_b32_e32 v22, 0
	v_mov_b32_e32 v4, 0
	s_branch .LBB118_199
.LBB118_179:
	s_mov_b32 s28, 0
	v_mov_b32_e32 v22, 0
	v_mov_b32_e32 v4, 0
	;; [unrolled: 1-line block ×3, first 2 shown]
.LBB118_180:
	s_and_b32 s8, s29, 3
	s_cmp_eq_u32 s8, 0
	s_cbranch_scc1 .LBB118_183
; %bb.181:
	s_lshl_b32 s4, s28, 3
	s_add_u32 s4, s34, s4
	s_addc_u32 s5, s35, 0
	s_add_u32 s4, s4, 0xc4
	s_addc_u32 s5, s5, 0
	s_mul_i32 s6, s28, 12
	s_add_u32 s6, s34, s6
	s_addc_u32 s7, s35, 0
.LBB118_182:                            ; =>This Inner Loop Header: Depth=1
	s_load_dwordx2 s[10:11], s[6:7], 0x4
	s_load_dword s9, s[6:7], 0xc
	s_load_dwordx2 s[12:13], s[4:5], 0x0
	s_add_u32 s6, s6, 12
	s_addc_u32 s7, s7, 0
	s_waitcnt lgkmcnt(0)
	v_mul_hi_u32 v1, s11, v0
	s_add_u32 s4, s4, 8
	s_addc_u32 s5, s5, 0
	s_add_i32 s8, s8, -1
	v_add_u32_e32 v1, v0, v1
	v_lshrrev_b32_e32 v1, s9, v1
	v_mul_lo_u32 v2, v1, s10
	s_cmp_lg_u32 s8, 0
	v_sub_u32_e32 v0, v0, v2
	v_mad_u64_u32 v[22:23], s[10:11], v0, s12, v[22:23]
	v_mad_u64_u32 v[4:5], s[10:11], v0, s13, v[4:5]
	v_mov_b32_e32 v0, v1
	s_cbranch_scc1 .LBB118_182
.LBB118_183:
	s_cbranch_execnz .LBB118_186
.LBB118_184:
	s_waitcnt lgkmcnt(0)
	v_mul_hi_u32 v0, s49, v28
	s_andn2_b64 vcc, exec, s[64:65]
	v_add_u32_e32 v0, v28, v0
	v_lshrrev_b32_e32 v0, s50, v0
	v_mul_lo_u32 v1, v0, s48
	v_sub_u32_e32 v1, v28, v1
	v_mul_lo_u32 v22, v1, s52
	v_mul_lo_u32 v4, v1, s53
	s_cbranch_vccnz .LBB118_186
; %bb.185:
	v_mul_hi_u32 v1, s62, v0
	v_add_u32_e32 v1, v0, v1
	v_lshrrev_b32_e32 v1, s63, v1
	v_mul_lo_u32 v1, v1, s51
	v_sub_u32_e32 v0, v0, v1
	v_mad_u64_u32 v[22:23], s[4:5], v0, s54, v[22:23]
	v_mad_u64_u32 v[4:5], s[4:5], v0, s55, v[4:5]
.LBB118_186:
	s_getpc_b64 s[4:5]
	s_add_u32 s4, s4, _ZN2at6native6invokeIZZZNS0_21polygamma_kernel_cudaERNS_18TensorIteratorBaseElENKUlvE_clEvENKUlvE2_clEvEUlN3c108BFloat16EE_j15function_traitsIS8_EEENT1_11result_typeERKT_PrKPcPKT0_i@rel32@lo+4
	s_addc_u32 s5, s5, _ZN2at6native6invokeIZZZNS0_21polygamma_kernel_cudaERNS_18TensorIteratorBaseElENKUlvE_clEvENKUlvE2_clEvEUlN3c108BFloat16EE_j15function_traitsIS8_EEENT1_11result_typeERKT_PrKPcPKT0_i@rel32@hi+12
	s_waitcnt lgkmcnt(0)
	v_mov_b32_e32 v0, s60
	v_mov_b32_e32 v1, s61
	;; [unrolled: 1-line block ×4, first 2 shown]
	s_swappc_b64 s[30:31], s[4:5]
	v_add_u32_e32 v28, 0x80, v28
	global_store_short v22, v0, s[36:37]
	s_or_b64 exec, exec, s[70:71]
	v_cmp_gt_i32_e32 vcc, s73, v28
	s_and_saveexec_b64 s[70:71], vcc
	s_cbranch_execnz .LBB118_172
.LBB118_187:
	s_or_b64 exec, exec, s[70:71]
	v_cmp_gt_i32_e32 vcc, s73, v28
	s_and_saveexec_b64 s[70:71], vcc
	s_cbranch_execz .LBB118_203
.LBB118_188:
	s_andn2_b64 vcc, exec, s[56:57]
	s_cbranch_vccnz .LBB118_193
; %bb.189:
	s_andn2_b64 vcc, exec, s[68:69]
	s_cbranch_vccnz .LBB118_194
; %bb.190:
	s_add_i32 s29, s74, 1
	s_cmp_eq_u32 s72, 2
	s_cbranch_scc1 .LBB118_211
; %bb.191:
	s_and_b32 s28, s29, 28
	v_mov_b32_e32 v4, 0
	s_mov_b32 s30, 0
	s_mov_b64 s[24:25], s[34:35]
	s_mov_b64 s[26:27], s[66:67]
	v_mov_b32_e32 v22, 0
	v_mov_b32_e32 v0, v28
.LBB118_192:                            ; =>This Inner Loop Header: Depth=1
	s_load_dwordx8 s[12:19], s[24:25], 0x4
	s_load_dwordx4 s[20:23], s[24:25], 0x24
	s_load_dwordx8 s[4:11], s[26:27], 0x0
	s_add_u32 s24, s24, 48
	s_addc_u32 s25, s25, 0
	s_waitcnt lgkmcnt(0)
	v_mul_hi_u32 v1, s13, v0
	s_add_i32 s30, s30, 4
	s_add_u32 s26, s26, 32
	s_addc_u32 s27, s27, 0
	v_add_u32_e32 v1, v0, v1
	v_lshrrev_b32_e32 v1, s14, v1
	v_mul_lo_u32 v2, v1, s12
	v_mul_hi_u32 v3, s16, v1
	s_cmp_eq_u32 s28, s30
	v_sub_u32_e32 v0, v0, v2
	v_add_u32_e32 v2, v1, v3
	v_mul_lo_u32 v3, v0, s4
	v_mul_lo_u32 v5, v0, s5
	v_lshrrev_b32_e32 v0, s17, v2
	v_mul_lo_u32 v2, v0, s15
	v_mul_hi_u32 v6, s19, v0
	v_sub_u32_e32 v1, v1, v2
	v_add_u32_e32 v2, v0, v6
	v_lshrrev_b32_e32 v2, s20, v2
	v_mul_hi_u32 v7, s22, v2
	v_mul_lo_u32 v8, v2, s18
	v_mul_lo_u32 v6, v1, s6
	;; [unrolled: 1-line block ×3, first 2 shown]
	v_sub_u32_e32 v8, v0, v8
	v_add_u32_e32 v0, v2, v7
	v_lshrrev_b32_e32 v0, s23, v0
	v_mul_lo_u32 v7, v0, s21
	v_mul_lo_u32 v9, v8, s8
	;; [unrolled: 1-line block ×3, first 2 shown]
	v_add3_u32 v3, v3, v22, v6
	v_sub_u32_e32 v2, v2, v7
	v_mul_lo_u32 v7, v2, s10
	v_mul_lo_u32 v2, v2, s11
	v_add3_u32 v1, v5, v4, v1
	v_add3_u32 v22, v9, v3, v7
	;; [unrolled: 1-line block ×3, first 2 shown]
	s_cbranch_scc0 .LBB118_192
	s_branch .LBB118_212
.LBB118_193:
                                        ; implicit-def: $vgpr22
                                        ; implicit-def: $vgpr4
	s_branch .LBB118_216
.LBB118_194:
	v_mov_b32_e32 v22, 0
	v_mov_b32_e32 v4, 0
	s_branch .LBB118_215
.LBB118_195:
	s_mov_b32 s28, 0
	v_mov_b32_e32 v22, 0
	v_mov_b32_e32 v4, 0
	v_mov_b32_e32 v0, v28
.LBB118_196:
	s_and_b32 s8, s29, 3
	s_cmp_eq_u32 s8, 0
	s_cbranch_scc1 .LBB118_199
; %bb.197:
	s_lshl_b32 s4, s28, 3
	s_add_u32 s4, s34, s4
	s_addc_u32 s5, s35, 0
	s_add_u32 s4, s4, 0xc4
	s_addc_u32 s5, s5, 0
	s_mul_i32 s6, s28, 12
	s_add_u32 s6, s34, s6
	s_addc_u32 s7, s35, 0
.LBB118_198:                            ; =>This Inner Loop Header: Depth=1
	s_load_dwordx2 s[10:11], s[6:7], 0x4
	s_load_dword s9, s[6:7], 0xc
	s_load_dwordx2 s[12:13], s[4:5], 0x0
	s_add_u32 s6, s6, 12
	s_addc_u32 s7, s7, 0
	s_waitcnt lgkmcnt(0)
	v_mul_hi_u32 v1, s11, v0
	s_add_u32 s4, s4, 8
	s_addc_u32 s5, s5, 0
	s_add_i32 s8, s8, -1
	v_add_u32_e32 v1, v0, v1
	v_lshrrev_b32_e32 v1, s9, v1
	v_mul_lo_u32 v2, v1, s10
	s_cmp_lg_u32 s8, 0
	v_sub_u32_e32 v0, v0, v2
	v_mad_u64_u32 v[22:23], s[10:11], v0, s12, v[22:23]
	v_mad_u64_u32 v[4:5], s[10:11], v0, s13, v[4:5]
	v_mov_b32_e32 v0, v1
	s_cbranch_scc1 .LBB118_198
.LBB118_199:
	s_cbranch_execnz .LBB118_202
.LBB118_200:
	s_waitcnt lgkmcnt(0)
	v_mul_hi_u32 v0, s49, v28
	s_andn2_b64 vcc, exec, s[64:65]
	v_add_u32_e32 v0, v28, v0
	v_lshrrev_b32_e32 v0, s50, v0
	v_mul_lo_u32 v1, v0, s48
	v_sub_u32_e32 v1, v28, v1
	v_mul_lo_u32 v22, v1, s52
	v_mul_lo_u32 v4, v1, s53
	s_cbranch_vccnz .LBB118_202
; %bb.201:
	v_mul_hi_u32 v1, s62, v0
	v_add_u32_e32 v1, v0, v1
	v_lshrrev_b32_e32 v1, s63, v1
	v_mul_lo_u32 v1, v1, s51
	v_sub_u32_e32 v0, v0, v1
	v_mad_u64_u32 v[22:23], s[4:5], v0, s54, v[22:23]
	v_mad_u64_u32 v[4:5], s[4:5], v0, s55, v[4:5]
.LBB118_202:
	s_getpc_b64 s[4:5]
	s_add_u32 s4, s4, _ZN2at6native6invokeIZZZNS0_21polygamma_kernel_cudaERNS_18TensorIteratorBaseElENKUlvE_clEvENKUlvE2_clEvEUlN3c108BFloat16EE_j15function_traitsIS8_EEENT1_11result_typeERKT_PrKPcPKT0_i@rel32@lo+4
	s_addc_u32 s5, s5, _ZN2at6native6invokeIZZZNS0_21polygamma_kernel_cudaERNS_18TensorIteratorBaseElENKUlvE_clEvENKUlvE2_clEvEUlN3c108BFloat16EE_j15function_traitsIS8_EEENT1_11result_typeERKT_PrKPcPKT0_i@rel32@hi+12
	s_waitcnt lgkmcnt(0)
	v_mov_b32_e32 v0, s60
	v_mov_b32_e32 v1, s61
	;; [unrolled: 1-line block ×4, first 2 shown]
	s_swappc_b64 s[30:31], s[4:5]
	v_add_u32_e32 v28, 0x80, v28
	global_store_short v22, v0, s[36:37]
	s_or_b64 exec, exec, s[70:71]
	v_cmp_gt_i32_e32 vcc, s73, v28
	s_and_saveexec_b64 s[70:71], vcc
	s_cbranch_execnz .LBB118_188
.LBB118_203:
	s_or_b64 exec, exec, s[70:71]
	v_cmp_gt_i32_e32 vcc, s73, v28
	s_and_saveexec_b64 s[70:71], vcc
	s_cbranch_execz .LBB118_219
.LBB118_204:
	s_andn2_b64 vcc, exec, s[56:57]
	s_cbranch_vccnz .LBB118_209
; %bb.205:
	s_andn2_b64 vcc, exec, s[68:69]
	s_cbranch_vccnz .LBB118_210
; %bb.206:
	s_add_i32 s29, s74, 1
	s_cmp_eq_u32 s72, 2
	s_cbranch_scc1 .LBB118_222
; %bb.207:
	s_and_b32 s28, s29, 28
	v_mov_b32_e32 v4, 0
	s_mov_b32 s30, 0
	s_mov_b64 s[24:25], s[34:35]
	s_mov_b64 s[26:27], s[66:67]
	v_mov_b32_e32 v22, 0
	v_mov_b32_e32 v0, v28
.LBB118_208:                            ; =>This Inner Loop Header: Depth=1
	s_load_dwordx8 s[12:19], s[24:25], 0x4
	s_load_dwordx4 s[20:23], s[24:25], 0x24
	s_load_dwordx8 s[4:11], s[26:27], 0x0
	s_add_u32 s24, s24, 48
	s_addc_u32 s25, s25, 0
	s_waitcnt lgkmcnt(0)
	v_mul_hi_u32 v1, s13, v0
	s_add_i32 s30, s30, 4
	s_add_u32 s26, s26, 32
	s_addc_u32 s27, s27, 0
	v_add_u32_e32 v1, v0, v1
	v_lshrrev_b32_e32 v1, s14, v1
	v_mul_lo_u32 v2, v1, s12
	v_mul_hi_u32 v3, s16, v1
	s_cmp_eq_u32 s28, s30
	v_sub_u32_e32 v0, v0, v2
	v_add_u32_e32 v2, v1, v3
	v_mul_lo_u32 v3, v0, s4
	v_mul_lo_u32 v5, v0, s5
	v_lshrrev_b32_e32 v0, s17, v2
	v_mul_lo_u32 v2, v0, s15
	v_mul_hi_u32 v6, s19, v0
	v_sub_u32_e32 v1, v1, v2
	v_add_u32_e32 v2, v0, v6
	v_lshrrev_b32_e32 v2, s20, v2
	v_mul_hi_u32 v7, s22, v2
	v_mul_lo_u32 v8, v2, s18
	v_mul_lo_u32 v6, v1, s6
	;; [unrolled: 1-line block ×3, first 2 shown]
	v_sub_u32_e32 v8, v0, v8
	v_add_u32_e32 v0, v2, v7
	v_lshrrev_b32_e32 v0, s23, v0
	v_mul_lo_u32 v7, v0, s21
	v_mul_lo_u32 v9, v8, s8
	;; [unrolled: 1-line block ×3, first 2 shown]
	v_add3_u32 v3, v3, v22, v6
	v_sub_u32_e32 v2, v2, v7
	v_mul_lo_u32 v7, v2, s10
	v_mul_lo_u32 v2, v2, s11
	v_add3_u32 v1, v5, v4, v1
	v_add3_u32 v22, v9, v3, v7
	;; [unrolled: 1-line block ×3, first 2 shown]
	s_cbranch_scc0 .LBB118_208
	s_branch .LBB118_223
.LBB118_209:
                                        ; implicit-def: $vgpr22
                                        ; implicit-def: $vgpr4
	s_branch .LBB118_227
.LBB118_210:
	v_mov_b32_e32 v22, 0
	v_mov_b32_e32 v4, 0
	s_branch .LBB118_226
.LBB118_211:
	s_mov_b32 s28, 0
	v_mov_b32_e32 v22, 0
	v_mov_b32_e32 v4, 0
	;; [unrolled: 1-line block ×3, first 2 shown]
.LBB118_212:
	s_and_b32 s8, s29, 3
	s_cmp_eq_u32 s8, 0
	s_cbranch_scc1 .LBB118_215
; %bb.213:
	s_lshl_b32 s4, s28, 3
	s_add_u32 s4, s34, s4
	s_addc_u32 s5, s35, 0
	s_add_u32 s4, s4, 0xc4
	s_addc_u32 s5, s5, 0
	s_mul_i32 s6, s28, 12
	s_add_u32 s6, s34, s6
	s_addc_u32 s7, s35, 0
.LBB118_214:                            ; =>This Inner Loop Header: Depth=1
	s_load_dwordx2 s[10:11], s[6:7], 0x4
	s_load_dword s9, s[6:7], 0xc
	s_load_dwordx2 s[12:13], s[4:5], 0x0
	s_add_u32 s6, s6, 12
	s_addc_u32 s7, s7, 0
	s_waitcnt lgkmcnt(0)
	v_mul_hi_u32 v1, s11, v0
	s_add_u32 s4, s4, 8
	s_addc_u32 s5, s5, 0
	s_add_i32 s8, s8, -1
	v_add_u32_e32 v1, v0, v1
	v_lshrrev_b32_e32 v1, s9, v1
	v_mul_lo_u32 v2, v1, s10
	s_cmp_lg_u32 s8, 0
	v_sub_u32_e32 v0, v0, v2
	v_mad_u64_u32 v[22:23], s[10:11], v0, s12, v[22:23]
	v_mad_u64_u32 v[4:5], s[10:11], v0, s13, v[4:5]
	v_mov_b32_e32 v0, v1
	s_cbranch_scc1 .LBB118_214
.LBB118_215:
	s_cbranch_execnz .LBB118_218
.LBB118_216:
	s_waitcnt lgkmcnt(0)
	v_mul_hi_u32 v0, s49, v28
	s_andn2_b64 vcc, exec, s[64:65]
	v_add_u32_e32 v0, v28, v0
	v_lshrrev_b32_e32 v0, s50, v0
	v_mul_lo_u32 v1, v0, s48
	v_sub_u32_e32 v1, v28, v1
	v_mul_lo_u32 v22, v1, s52
	v_mul_lo_u32 v4, v1, s53
	s_cbranch_vccnz .LBB118_218
; %bb.217:
	v_mul_hi_u32 v1, s62, v0
	v_add_u32_e32 v1, v0, v1
	v_lshrrev_b32_e32 v1, s63, v1
	v_mul_lo_u32 v1, v1, s51
	v_sub_u32_e32 v0, v0, v1
	v_mad_u64_u32 v[22:23], s[4:5], v0, s54, v[22:23]
	v_mad_u64_u32 v[4:5], s[4:5], v0, s55, v[4:5]
.LBB118_218:
	s_getpc_b64 s[4:5]
	s_add_u32 s4, s4, _ZN2at6native6invokeIZZZNS0_21polygamma_kernel_cudaERNS_18TensorIteratorBaseElENKUlvE_clEvENKUlvE2_clEvEUlN3c108BFloat16EE_j15function_traitsIS8_EEENT1_11result_typeERKT_PrKPcPKT0_i@rel32@lo+4
	s_addc_u32 s5, s5, _ZN2at6native6invokeIZZZNS0_21polygamma_kernel_cudaERNS_18TensorIteratorBaseElENKUlvE_clEvENKUlvE2_clEvEUlN3c108BFloat16EE_j15function_traitsIS8_EEENT1_11result_typeERKT_PrKPcPKT0_i@rel32@hi+12
	s_waitcnt lgkmcnt(0)
	v_mov_b32_e32 v0, s60
	v_mov_b32_e32 v1, s61
	;; [unrolled: 1-line block ×4, first 2 shown]
	s_swappc_b64 s[30:31], s[4:5]
	v_add_u32_e32 v28, 0x80, v28
	global_store_short v22, v0, s[36:37]
	s_or_b64 exec, exec, s[70:71]
	v_cmp_gt_i32_e32 vcc, s73, v28
	s_and_saveexec_b64 s[70:71], vcc
	s_cbranch_execnz .LBB118_204
.LBB118_219:
	s_or_b64 exec, exec, s[70:71]
	v_cmp_gt_i32_e32 vcc, s73, v28
	s_and_saveexec_b64 s[70:71], vcc
	s_cbranch_execnz .LBB118_230
.LBB118_220:
	s_or_b64 exec, exec, s[70:71]
                                        ; implicit-def: $vgpr0
                                        ; implicit-def: $vgpr28
	s_andn2_saveexec_b64 s[4:5], s[58:59]
	s_cbranch_execnz .LBB118_8
.LBB118_221:
	s_endpgm
.LBB118_222:
	s_mov_b32 s28, 0
	v_mov_b32_e32 v22, 0
	v_mov_b32_e32 v4, 0
	;; [unrolled: 1-line block ×3, first 2 shown]
.LBB118_223:
	s_and_b32 s8, s29, 3
	s_cmp_eq_u32 s8, 0
	s_cbranch_scc1 .LBB118_226
; %bb.224:
	s_lshl_b32 s4, s28, 3
	s_add_u32 s4, s34, s4
	s_addc_u32 s5, s35, 0
	s_add_u32 s4, s4, 0xc4
	s_addc_u32 s5, s5, 0
	s_mul_i32 s6, s28, 12
	s_add_u32 s6, s34, s6
	s_addc_u32 s7, s35, 0
.LBB118_225:                            ; =>This Inner Loop Header: Depth=1
	s_load_dwordx2 s[10:11], s[6:7], 0x4
	s_load_dword s9, s[6:7], 0xc
	s_load_dwordx2 s[12:13], s[4:5], 0x0
	s_add_u32 s6, s6, 12
	s_addc_u32 s7, s7, 0
	s_waitcnt lgkmcnt(0)
	v_mul_hi_u32 v1, s11, v0
	s_add_u32 s4, s4, 8
	s_addc_u32 s5, s5, 0
	s_add_i32 s8, s8, -1
	v_add_u32_e32 v1, v0, v1
	v_lshrrev_b32_e32 v1, s9, v1
	v_mul_lo_u32 v2, v1, s10
	s_cmp_lg_u32 s8, 0
	v_sub_u32_e32 v0, v0, v2
	v_mad_u64_u32 v[22:23], s[10:11], v0, s12, v[22:23]
	v_mad_u64_u32 v[4:5], s[10:11], v0, s13, v[4:5]
	v_mov_b32_e32 v0, v1
	s_cbranch_scc1 .LBB118_225
.LBB118_226:
	s_cbranch_execnz .LBB118_229
.LBB118_227:
	s_waitcnt lgkmcnt(0)
	v_mul_hi_u32 v0, s49, v28
	s_andn2_b64 vcc, exec, s[64:65]
	v_add_u32_e32 v0, v28, v0
	v_lshrrev_b32_e32 v0, s50, v0
	v_mul_lo_u32 v1, v0, s48
	v_sub_u32_e32 v1, v28, v1
	v_mul_lo_u32 v22, v1, s52
	v_mul_lo_u32 v4, v1, s53
	s_cbranch_vccnz .LBB118_229
; %bb.228:
	v_mul_hi_u32 v1, s62, v0
	v_add_u32_e32 v1, v0, v1
	v_lshrrev_b32_e32 v1, s63, v1
	v_mul_lo_u32 v1, v1, s51
	v_sub_u32_e32 v0, v0, v1
	v_mad_u64_u32 v[22:23], s[4:5], v0, s54, v[22:23]
	v_mad_u64_u32 v[4:5], s[4:5], v0, s55, v[4:5]
.LBB118_229:
	s_getpc_b64 s[4:5]
	s_add_u32 s4, s4, _ZN2at6native6invokeIZZZNS0_21polygamma_kernel_cudaERNS_18TensorIteratorBaseElENKUlvE_clEvENKUlvE2_clEvEUlN3c108BFloat16EE_j15function_traitsIS8_EEENT1_11result_typeERKT_PrKPcPKT0_i@rel32@lo+4
	s_addc_u32 s5, s5, _ZN2at6native6invokeIZZZNS0_21polygamma_kernel_cudaERNS_18TensorIteratorBaseElENKUlvE_clEvENKUlvE2_clEvEUlN3c108BFloat16EE_j15function_traitsIS8_EEENT1_11result_typeERKT_PrKPcPKT0_i@rel32@hi+12
	s_waitcnt lgkmcnt(0)
	v_mov_b32_e32 v0, s60
	v_mov_b32_e32 v1, s61
	;; [unrolled: 1-line block ×4, first 2 shown]
	s_swappc_b64 s[30:31], s[4:5]
	v_add_u32_e32 v28, 0x80, v28
	global_store_short v22, v0, s[36:37]
	s_or_b64 exec, exec, s[70:71]
	v_cmp_gt_i32_e32 vcc, s73, v28
	s_and_saveexec_b64 s[70:71], vcc
	s_cbranch_execz .LBB118_220
.LBB118_230:
	s_andn2_b64 vcc, exec, s[56:57]
	s_cbranch_vccnz .LBB118_235
; %bb.231:
	s_andn2_b64 vcc, exec, s[68:69]
	s_cbranch_vccnz .LBB118_236
; %bb.232:
	s_add_i32 s74, s74, 1
	s_cmp_eq_u32 s72, 2
	s_cbranch_scc1 .LBB118_237
; %bb.233:
	s_and_b32 s26, s74, 28
	v_mov_b32_e32 v4, 0
	s_mov_b32 s27, 0
	s_mov_b64 s[24:25], s[34:35]
	v_mov_b32_e32 v22, 0
	v_mov_b32_e32 v0, v28
.LBB118_234:                            ; =>This Inner Loop Header: Depth=1
	s_load_dwordx8 s[12:19], s[24:25], 0x4
	s_load_dwordx4 s[20:23], s[24:25], 0x24
	s_load_dwordx8 s[4:11], s[66:67], 0x0
	s_add_u32 s24, s24, 48
	s_addc_u32 s25, s25, 0
	s_waitcnt lgkmcnt(0)
	v_mul_hi_u32 v1, s13, v0
	s_add_i32 s27, s27, 4
	s_add_u32 s66, s66, 32
	s_addc_u32 s67, s67, 0
	v_add_u32_e32 v1, v0, v1
	v_lshrrev_b32_e32 v1, s14, v1
	v_mul_lo_u32 v2, v1, s12
	v_mul_hi_u32 v3, s16, v1
	s_cmp_eq_u32 s26, s27
	v_sub_u32_e32 v0, v0, v2
	v_add_u32_e32 v2, v1, v3
	v_mul_lo_u32 v3, v0, s4
	v_mul_lo_u32 v5, v0, s5
	v_lshrrev_b32_e32 v0, s17, v2
	v_mul_lo_u32 v2, v0, s15
	v_mul_hi_u32 v6, s19, v0
	v_sub_u32_e32 v1, v1, v2
	v_add_u32_e32 v2, v0, v6
	v_lshrrev_b32_e32 v2, s20, v2
	v_mul_hi_u32 v7, s22, v2
	v_mul_lo_u32 v8, v2, s18
	v_mul_lo_u32 v6, v1, s6
	v_mul_lo_u32 v1, v1, s7
	v_sub_u32_e32 v8, v0, v8
	v_add_u32_e32 v0, v2, v7
	v_lshrrev_b32_e32 v0, s23, v0
	v_mul_lo_u32 v7, v0, s21
	v_mul_lo_u32 v9, v8, s8
	v_mul_lo_u32 v8, v8, s9
	v_add3_u32 v3, v3, v22, v6
	v_sub_u32_e32 v2, v2, v7
	v_mul_lo_u32 v7, v2, s10
	v_mul_lo_u32 v2, v2, s11
	v_add3_u32 v1, v5, v4, v1
	v_add3_u32 v22, v9, v3, v7
	;; [unrolled: 1-line block ×3, first 2 shown]
	s_cbranch_scc0 .LBB118_234
	s_branch .LBB118_238
.LBB118_235:
                                        ; implicit-def: $vgpr22
                                        ; implicit-def: $vgpr4
	s_branch .LBB118_242
.LBB118_236:
	v_mov_b32_e32 v22, 0
	v_mov_b32_e32 v4, 0
	s_branch .LBB118_241
.LBB118_237:
	s_mov_b32 s26, 0
	v_mov_b32_e32 v22, 0
	v_mov_b32_e32 v4, 0
	;; [unrolled: 1-line block ×3, first 2 shown]
.LBB118_238:
	s_and_b32 s8, s74, 3
	s_cmp_eq_u32 s8, 0
	s_cbranch_scc1 .LBB118_241
; %bb.239:
	s_lshl_b32 s4, s26, 3
	s_add_u32 s4, s34, s4
	s_addc_u32 s5, s35, 0
	s_add_u32 s4, s4, 0xc4
	s_addc_u32 s5, s5, 0
	s_mul_i32 s6, s26, 12
	s_add_u32 s6, s34, s6
	s_addc_u32 s7, s35, 0
.LBB118_240:                            ; =>This Inner Loop Header: Depth=1
	s_load_dwordx2 s[10:11], s[6:7], 0x4
	s_load_dword s9, s[6:7], 0xc
	s_load_dwordx2 s[12:13], s[4:5], 0x0
	s_add_u32 s6, s6, 12
	s_addc_u32 s7, s7, 0
	s_waitcnt lgkmcnt(0)
	v_mul_hi_u32 v1, s11, v0
	s_add_u32 s4, s4, 8
	s_addc_u32 s5, s5, 0
	s_add_i32 s8, s8, -1
	v_add_u32_e32 v1, v0, v1
	v_lshrrev_b32_e32 v1, s9, v1
	v_mul_lo_u32 v2, v1, s10
	s_cmp_lg_u32 s8, 0
	v_sub_u32_e32 v0, v0, v2
	v_mad_u64_u32 v[22:23], s[10:11], v0, s12, v[22:23]
	v_mad_u64_u32 v[4:5], s[10:11], v0, s13, v[4:5]
	v_mov_b32_e32 v0, v1
	s_cbranch_scc1 .LBB118_240
.LBB118_241:
	s_cbranch_execnz .LBB118_244
.LBB118_242:
	s_waitcnt lgkmcnt(0)
	v_mul_hi_u32 v0, s49, v28
	s_andn2_b64 vcc, exec, s[64:65]
	v_add_u32_e32 v0, v28, v0
	v_lshrrev_b32_e32 v0, s50, v0
	v_mul_lo_u32 v1, v0, s48
	v_sub_u32_e32 v1, v28, v1
	v_mul_lo_u32 v22, v1, s52
	v_mul_lo_u32 v4, v1, s53
	s_cbranch_vccnz .LBB118_244
; %bb.243:
	v_mul_hi_u32 v1, s62, v0
	v_add_u32_e32 v1, v0, v1
	v_lshrrev_b32_e32 v1, s63, v1
	v_mul_lo_u32 v1, v1, s51
	v_sub_u32_e32 v0, v0, v1
	v_mad_u64_u32 v[22:23], s[4:5], v0, s54, v[22:23]
	v_mad_u64_u32 v[4:5], s[4:5], v0, s55, v[4:5]
.LBB118_244:
	s_getpc_b64 s[4:5]
	s_add_u32 s4, s4, _ZN2at6native6invokeIZZZNS0_21polygamma_kernel_cudaERNS_18TensorIteratorBaseElENKUlvE_clEvENKUlvE2_clEvEUlN3c108BFloat16EE_j15function_traitsIS8_EEENT1_11result_typeERKT_PrKPcPKT0_i@rel32@lo+4
	s_addc_u32 s5, s5, _ZN2at6native6invokeIZZZNS0_21polygamma_kernel_cudaERNS_18TensorIteratorBaseElENKUlvE_clEvENKUlvE2_clEvEUlN3c108BFloat16EE_j15function_traitsIS8_EEENT1_11result_typeERKT_PrKPcPKT0_i@rel32@hi+12
	s_waitcnt lgkmcnt(0)
	v_mov_b32_e32 v0, s60
	v_mov_b32_e32 v1, s61
	;; [unrolled: 1-line block ×4, first 2 shown]
	s_swappc_b64 s[30:31], s[4:5]
	global_store_short v22, v0, s[36:37]
	s_or_b64 exec, exec, s[70:71]
                                        ; implicit-def: $vgpr0
                                        ; implicit-def: $vgpr28
	s_andn2_saveexec_b64 s[4:5], s[58:59]
	s_cbranch_execz .LBB118_221
	s_branch .LBB118_8
	.section	.rodata,"a",@progbits
	.p2align	6, 0x0
	.amdhsa_kernel _ZN2at6native32elementwise_kernel_manual_unrollILi128ELi8EZNS0_22gpu_kernel_impl_nocastIZZZNS0_21polygamma_kernel_cudaERNS_18TensorIteratorBaseElENKUlvE_clEvENKUlvE2_clEvEUlN3c108BFloat16EE_EEvS4_RKT_EUlibE_EEviT1_
		.amdhsa_group_segment_fixed_size 0
		.amdhsa_private_segment_fixed_size 0
		.amdhsa_kernarg_size 360
		.amdhsa_user_sgpr_count 6
		.amdhsa_user_sgpr_private_segment_buffer 1
		.amdhsa_user_sgpr_dispatch_ptr 0
		.amdhsa_user_sgpr_queue_ptr 0
		.amdhsa_user_sgpr_kernarg_segment_ptr 1
		.amdhsa_user_sgpr_dispatch_id 0
		.amdhsa_user_sgpr_flat_scratch_init 0
		.amdhsa_user_sgpr_private_segment_size 0
		.amdhsa_uses_dynamic_stack 0
		.amdhsa_system_sgpr_private_segment_wavefront_offset 0
		.amdhsa_system_sgpr_workgroup_id_x 1
		.amdhsa_system_sgpr_workgroup_id_y 0
		.amdhsa_system_sgpr_workgroup_id_z 0
		.amdhsa_system_sgpr_workgroup_info 0
		.amdhsa_system_vgpr_workitem_id 0
		.amdhsa_next_free_vgpr 39
		.amdhsa_next_free_sgpr 75
		.amdhsa_reserve_vcc 1
		.amdhsa_reserve_flat_scratch 0
		.amdhsa_float_round_mode_32 0
		.amdhsa_float_round_mode_16_64 0
		.amdhsa_float_denorm_mode_32 3
		.amdhsa_float_denorm_mode_16_64 3
		.amdhsa_dx10_clamp 1
		.amdhsa_ieee_mode 1
		.amdhsa_fp16_overflow 0
		.amdhsa_exception_fp_ieee_invalid_op 0
		.amdhsa_exception_fp_denorm_src 0
		.amdhsa_exception_fp_ieee_div_zero 0
		.amdhsa_exception_fp_ieee_overflow 0
		.amdhsa_exception_fp_ieee_underflow 0
		.amdhsa_exception_fp_ieee_inexact 0
		.amdhsa_exception_int_div_zero 0
	.end_amdhsa_kernel
	.section	.text._ZN2at6native32elementwise_kernel_manual_unrollILi128ELi8EZNS0_22gpu_kernel_impl_nocastIZZZNS0_21polygamma_kernel_cudaERNS_18TensorIteratorBaseElENKUlvE_clEvENKUlvE2_clEvEUlN3c108BFloat16EE_EEvS4_RKT_EUlibE_EEviT1_,"axG",@progbits,_ZN2at6native32elementwise_kernel_manual_unrollILi128ELi8EZNS0_22gpu_kernel_impl_nocastIZZZNS0_21polygamma_kernel_cudaERNS_18TensorIteratorBaseElENKUlvE_clEvENKUlvE2_clEvEUlN3c108BFloat16EE_EEvS4_RKT_EUlibE_EEviT1_,comdat
.Lfunc_end118:
	.size	_ZN2at6native32elementwise_kernel_manual_unrollILi128ELi8EZNS0_22gpu_kernel_impl_nocastIZZZNS0_21polygamma_kernel_cudaERNS_18TensorIteratorBaseElENKUlvE_clEvENKUlvE2_clEvEUlN3c108BFloat16EE_EEvS4_RKT_EUlibE_EEviT1_, .Lfunc_end118-_ZN2at6native32elementwise_kernel_manual_unrollILi128ELi8EZNS0_22gpu_kernel_impl_nocastIZZZNS0_21polygamma_kernel_cudaERNS_18TensorIteratorBaseElENKUlvE_clEvENKUlvE2_clEvEUlN3c108BFloat16EE_EEvS4_RKT_EUlibE_EEviT1_
                                        ; -- End function
	.set _ZN2at6native32elementwise_kernel_manual_unrollILi128ELi8EZNS0_22gpu_kernel_impl_nocastIZZZNS0_21polygamma_kernel_cudaERNS_18TensorIteratorBaseElENKUlvE_clEvENKUlvE2_clEvEUlN3c108BFloat16EE_EEvS4_RKT_EUlibE_EEviT1_.num_vgpr, max(39, .L_ZN2at6native6invokeIZZZNS0_21polygamma_kernel_cudaERNS_18TensorIteratorBaseElENKUlvE_clEvENKUlvE2_clEvEUlN3c108BFloat16EE_j15function_traitsIS8_EEENT1_11result_typeERKT_PrKPcPKT0_i.num_vgpr)
	.set _ZN2at6native32elementwise_kernel_manual_unrollILi128ELi8EZNS0_22gpu_kernel_impl_nocastIZZZNS0_21polygamma_kernel_cudaERNS_18TensorIteratorBaseElENKUlvE_clEvENKUlvE2_clEvEUlN3c108BFloat16EE_EEvS4_RKT_EUlibE_EEviT1_.num_agpr, max(0, .L_ZN2at6native6invokeIZZZNS0_21polygamma_kernel_cudaERNS_18TensorIteratorBaseElENKUlvE_clEvENKUlvE2_clEvEUlN3c108BFloat16EE_j15function_traitsIS8_EEENT1_11result_typeERKT_PrKPcPKT0_i.num_agpr)
	.set _ZN2at6native32elementwise_kernel_manual_unrollILi128ELi8EZNS0_22gpu_kernel_impl_nocastIZZZNS0_21polygamma_kernel_cudaERNS_18TensorIteratorBaseElENKUlvE_clEvENKUlvE2_clEvEUlN3c108BFloat16EE_EEvS4_RKT_EUlibE_EEviT1_.numbered_sgpr, max(75, .L_ZN2at6native6invokeIZZZNS0_21polygamma_kernel_cudaERNS_18TensorIteratorBaseElENKUlvE_clEvENKUlvE2_clEvEUlN3c108BFloat16EE_j15function_traitsIS8_EEENT1_11result_typeERKT_PrKPcPKT0_i.numbered_sgpr)
	.set _ZN2at6native32elementwise_kernel_manual_unrollILi128ELi8EZNS0_22gpu_kernel_impl_nocastIZZZNS0_21polygamma_kernel_cudaERNS_18TensorIteratorBaseElENKUlvE_clEvENKUlvE2_clEvEUlN3c108BFloat16EE_EEvS4_RKT_EUlibE_EEviT1_.num_named_barrier, max(0, .L_ZN2at6native6invokeIZZZNS0_21polygamma_kernel_cudaERNS_18TensorIteratorBaseElENKUlvE_clEvENKUlvE2_clEvEUlN3c108BFloat16EE_j15function_traitsIS8_EEENT1_11result_typeERKT_PrKPcPKT0_i.num_named_barrier)
	.set _ZN2at6native32elementwise_kernel_manual_unrollILi128ELi8EZNS0_22gpu_kernel_impl_nocastIZZZNS0_21polygamma_kernel_cudaERNS_18TensorIteratorBaseElENKUlvE_clEvENKUlvE2_clEvEUlN3c108BFloat16EE_EEvS4_RKT_EUlibE_EEviT1_.private_seg_size, 0+max(.L_ZN2at6native6invokeIZZZNS0_21polygamma_kernel_cudaERNS_18TensorIteratorBaseElENKUlvE_clEvENKUlvE2_clEvEUlN3c108BFloat16EE_j15function_traitsIS8_EEENT1_11result_typeERKT_PrKPcPKT0_i.private_seg_size)
	.set _ZN2at6native32elementwise_kernel_manual_unrollILi128ELi8EZNS0_22gpu_kernel_impl_nocastIZZZNS0_21polygamma_kernel_cudaERNS_18TensorIteratorBaseElENKUlvE_clEvENKUlvE2_clEvEUlN3c108BFloat16EE_EEvS4_RKT_EUlibE_EEviT1_.uses_vcc, or(1, .L_ZN2at6native6invokeIZZZNS0_21polygamma_kernel_cudaERNS_18TensorIteratorBaseElENKUlvE_clEvENKUlvE2_clEvEUlN3c108BFloat16EE_j15function_traitsIS8_EEENT1_11result_typeERKT_PrKPcPKT0_i.uses_vcc)
	.set _ZN2at6native32elementwise_kernel_manual_unrollILi128ELi8EZNS0_22gpu_kernel_impl_nocastIZZZNS0_21polygamma_kernel_cudaERNS_18TensorIteratorBaseElENKUlvE_clEvENKUlvE2_clEvEUlN3c108BFloat16EE_EEvS4_RKT_EUlibE_EEviT1_.uses_flat_scratch, or(0, .L_ZN2at6native6invokeIZZZNS0_21polygamma_kernel_cudaERNS_18TensorIteratorBaseElENKUlvE_clEvENKUlvE2_clEvEUlN3c108BFloat16EE_j15function_traitsIS8_EEENT1_11result_typeERKT_PrKPcPKT0_i.uses_flat_scratch)
	.set _ZN2at6native32elementwise_kernel_manual_unrollILi128ELi8EZNS0_22gpu_kernel_impl_nocastIZZZNS0_21polygamma_kernel_cudaERNS_18TensorIteratorBaseElENKUlvE_clEvENKUlvE2_clEvEUlN3c108BFloat16EE_EEvS4_RKT_EUlibE_EEviT1_.has_dyn_sized_stack, or(0, .L_ZN2at6native6invokeIZZZNS0_21polygamma_kernel_cudaERNS_18TensorIteratorBaseElENKUlvE_clEvENKUlvE2_clEvEUlN3c108BFloat16EE_j15function_traitsIS8_EEENT1_11result_typeERKT_PrKPcPKT0_i.has_dyn_sized_stack)
	.set _ZN2at6native32elementwise_kernel_manual_unrollILi128ELi8EZNS0_22gpu_kernel_impl_nocastIZZZNS0_21polygamma_kernel_cudaERNS_18TensorIteratorBaseElENKUlvE_clEvENKUlvE2_clEvEUlN3c108BFloat16EE_EEvS4_RKT_EUlibE_EEviT1_.has_recursion, or(0, .L_ZN2at6native6invokeIZZZNS0_21polygamma_kernel_cudaERNS_18TensorIteratorBaseElENKUlvE_clEvENKUlvE2_clEvEUlN3c108BFloat16EE_j15function_traitsIS8_EEENT1_11result_typeERKT_PrKPcPKT0_i.has_recursion)
	.set _ZN2at6native32elementwise_kernel_manual_unrollILi128ELi8EZNS0_22gpu_kernel_impl_nocastIZZZNS0_21polygamma_kernel_cudaERNS_18TensorIteratorBaseElENKUlvE_clEvENKUlvE2_clEvEUlN3c108BFloat16EE_EEvS4_RKT_EUlibE_EEviT1_.has_indirect_call, or(0, .L_ZN2at6native6invokeIZZZNS0_21polygamma_kernel_cudaERNS_18TensorIteratorBaseElENKUlvE_clEvENKUlvE2_clEvEUlN3c108BFloat16EE_j15function_traitsIS8_EEENT1_11result_typeERKT_PrKPcPKT0_i.has_indirect_call)
	.section	.AMDGPU.csdata,"",@progbits
; Kernel info:
; codeLenInByte = 11592
; TotalNumSgprs: 79
; NumVgprs: 39
; ScratchSize: 0
; MemoryBound: 0
; FloatMode: 240
; IeeeMode: 1
; LDSByteSize: 0 bytes/workgroup (compile time only)
; SGPRBlocks: 9
; VGPRBlocks: 9
; NumSGPRsForWavesPerEU: 79
; NumVGPRsForWavesPerEU: 39
; Occupancy: 6
; WaveLimiterHint : 1
; COMPUTE_PGM_RSRC2:SCRATCH_EN: 0
; COMPUTE_PGM_RSRC2:USER_SGPR: 6
; COMPUTE_PGM_RSRC2:TRAP_HANDLER: 0
; COMPUTE_PGM_RSRC2:TGID_X_EN: 1
; COMPUTE_PGM_RSRC2:TGID_Y_EN: 0
; COMPUTE_PGM_RSRC2:TGID_Z_EN: 0
; COMPUTE_PGM_RSRC2:TIDIG_COMP_CNT: 0
	.text
	.p2align	2                               ; -- Begin function _ZN2at6native6invokeIZZZNS0_21polygamma_kernel_cudaERNS_18TensorIteratorBaseElENKUlvE_clEvENKUlvE2_clEvEUlN3c108BFloat16EE_i15function_traitsIS8_EEENT1_11result_typeERKT_PrKPcPKT0_PKNS6_10ScalarTypeEi
	.type	_ZN2at6native6invokeIZZZNS0_21polygamma_kernel_cudaERNS_18TensorIteratorBaseElENKUlvE_clEvENKUlvE2_clEvEUlN3c108BFloat16EE_i15function_traitsIS8_EEENT1_11result_typeERKT_PrKPcPKT0_PKNS6_10ScalarTypeEi,@function
_ZN2at6native6invokeIZZZNS0_21polygamma_kernel_cudaERNS_18TensorIteratorBaseElENKUlvE_clEvENKUlvE2_clEvEUlN3c108BFloat16EE_i15function_traitsIS8_EEENT1_11result_typeERKT_PrKPcPKT0_PKNS6_10ScalarTypeEi: ; @_ZN2at6native6invokeIZZZNS0_21polygamma_kernel_cudaERNS_18TensorIteratorBaseElENKUlvE_clEvENKUlvE2_clEvEUlN3c108BFloat16EE_i15function_traitsIS8_EEENT1_11result_typeERKT_PrKPcPKT0_PKNS6_10ScalarTypeEi
; %bb.0:
	s_waitcnt vmcnt(0) expcnt(0) lgkmcnt(0)
	v_mul_lo_u32 v1, v6, v4
	s_mov_b64 s[6:7], 0
	v_ashrrev_i32_e32 v4, 31, v1
	v_add_co_u32_e32 v1, vcc, v2, v1
	v_addc_co_u32_e32 v2, vcc, v3, v4, vcc
	v_mov_b32_e32 v3, 10
	v_cmp_gt_i16_sdwa s[4:5], v5, v3 src0_sel:BYTE_0 src1_sel:DWORD
                                        ; implicit-def: $vgpr3
	s_and_saveexec_b64 s[8:9], s[4:5]
	s_xor_b64 s[4:5], exec, s[8:9]
	s_cbranch_execnz .LBB119_4
; %bb.1:
	s_andn2_saveexec_b64 s[4:5], s[4:5]
	s_cbranch_execnz .LBB119_10
.LBB119_2:
	s_or_b64 exec, exec, s[4:5]
                                        ; implicit-def: $vgpr1
	s_and_saveexec_b64 s[12:13], s[6:7]
	s_cbranch_execnz .LBB119_51
.LBB119_3:
	s_or_b64 exec, exec, s[12:13]
	v_mov_b32_e32 v0, v1
	s_waitcnt vmcnt(0) lgkmcnt(0)
	s_setpc_b64 s[30:31]
.LBB119_4:
	v_mov_b32_e32 v3, 25
	v_cmp_gt_i16_sdwa s[10:11], v5, v3 src0_sel:BYTE_0 src1_sel:DWORD
	s_mov_b64 s[12:13], 0
	s_mov_b64 s[8:9], 0
                                        ; implicit-def: $vgpr3
	s_and_saveexec_b64 s[14:15], s[10:11]
	s_xor_b64 s[10:11], exec, s[14:15]
	s_cbranch_execnz .LBB119_100
; %bb.5:
	s_andn2_saveexec_b64 s[10:11], s[10:11]
	s_cbranch_execnz .LBB119_131
.LBB119_6:
	s_or_b64 exec, exec, s[10:11]
	s_and_saveexec_b64 s[10:11], s[12:13]
	s_cbranch_execnz .LBB119_154
.LBB119_7:
	s_or_b64 exec, exec, s[10:11]
	s_and_saveexec_b64 s[10:11], s[6:7]
	s_xor_b64 s[6:7], exec, s[10:11]
	s_cbranch_execz .LBB119_9
.LBB119_8:
	flat_load_ubyte v1, v[1:2]
	s_or_b64 s[8:9], s[8:9], exec
	s_waitcnt vmcnt(0) lgkmcnt(0)
	v_cmp_ne_u16_e32 vcc, 0, v1
	v_cndmask_b32_e64 v1, 0, 1.0, vcc
	v_lshrrev_b32_e32 v3, 16, v1
.LBB119_9:
	s_or_b64 exec, exec, s[6:7]
	s_and_b64 s[6:7], s[8:9], exec
                                        ; implicit-def: $vgpr5
                                        ; implicit-def: $vgpr1_vgpr2
	s_andn2_saveexec_b64 s[4:5], s[4:5]
	s_cbranch_execz .LBB119_2
.LBB119_10:
	s_waitcnt vmcnt(0) lgkmcnt(0)
	v_mov_b32_e32 v3, 4
	v_cmp_gt_i16_sdwa s[8:9], v5, v3 src0_sel:BYTE_0 src1_sel:DWORD
                                        ; implicit-def: $vgpr3
	s_and_saveexec_b64 s[10:11], s[8:9]
	s_xor_b64 s[8:9], exec, s[10:11]
	s_cbranch_execz .LBB119_32
; %bb.11:
	v_mov_b32_e32 v3, 7
	v_cmp_gt_i16_sdwa s[10:11], v5, v3 src0_sel:BYTE_0 src1_sel:DWORD
                                        ; implicit-def: $vgpr3
	s_and_saveexec_b64 s[12:13], s[10:11]
	s_xor_b64 s[10:11], exec, s[12:13]
	s_cbranch_execz .LBB119_21
; %bb.12:
	;; [unrolled: 7-line block ×4, first 2 shown]
	flat_load_dwordx2 v[1:2], v[1:2]
	s_movk_i32 s16, 0x7fff
	s_waitcnt vmcnt(0) lgkmcnt(0)
	v_cvt_f32_f64_e32 v1, v[1:2]
	v_mov_b32_e32 v2, 0x7fc0
	v_bfe_u32 v3, v1, 16, 1
	v_cmp_o_f32_e32 vcc, v1, v1
	v_add3_u32 v1, v1, v3, s16
	v_cndmask_b32_sdwa v3, v2, v1, vcc dst_sel:DWORD dst_unused:UNUSED_PAD src0_sel:DWORD src1_sel:WORD_1
                                        ; implicit-def: $vgpr1_vgpr2
.LBB119_15:
	s_andn2_saveexec_b64 s[14:15], s[14:15]
	s_cbranch_execz .LBB119_17
; %bb.16:
	flat_load_dword v1, v[1:2]
	s_movk_i32 s16, 0x7fff
	v_mov_b32_e32 v2, 0x7fc0
	s_waitcnt vmcnt(0) lgkmcnt(0)
	v_bfe_u32 v3, v1, 16, 1
	v_cmp_o_f32_e32 vcc, v1, v1
	v_add3_u32 v1, v1, v3, s16
	v_cndmask_b32_sdwa v3, v2, v1, vcc dst_sel:DWORD dst_unused:UNUSED_PAD src0_sel:DWORD src1_sel:WORD_1
.LBB119_17:
	s_or_b64 exec, exec, s[14:15]
                                        ; implicit-def: $vgpr1_vgpr2
.LBB119_18:
	s_andn2_saveexec_b64 s[12:13], s[12:13]
	s_cbranch_execz .LBB119_20
; %bb.19:
	flat_load_dword v1, v[1:2]
	s_movk_i32 s14, 0x7fff
	v_mov_b32_e32 v3, 0x7fc0
	s_waitcnt vmcnt(0) lgkmcnt(0)
	v_cvt_f32_f16_e32 v2, v1
	v_cmp_o_f16_e32 vcc, v1, v1
	v_bfe_u32 v1, v2, 16, 1
	v_add3_u32 v1, v2, v1, s14
	v_cndmask_b32_sdwa v3, v3, v1, vcc dst_sel:DWORD dst_unused:UNUSED_PAD src0_sel:DWORD src1_sel:WORD_1
.LBB119_20:
	s_or_b64 exec, exec, s[12:13]
                                        ; implicit-def: $vgpr1_vgpr2
                                        ; implicit-def: $vgpr5
.LBB119_21:
	s_andn2_saveexec_b64 s[10:11], s[10:11]
	s_cbranch_execz .LBB119_31
; %bb.22:
	v_mov_b32_e32 v3, 5
	v_cmp_gt_i16_sdwa s[12:13], v5, v3 src0_sel:BYTE_0 src1_sel:DWORD
                                        ; implicit-def: $vgpr3
	s_and_saveexec_b64 s[14:15], s[12:13]
	s_xor_b64 s[12:13], exec, s[14:15]
	s_cbranch_execz .LBB119_28
; %bb.23:
	v_mov_b32_e32 v3, 6
	v_cmp_gt_i16_sdwa s[14:15], v5, v3 src0_sel:BYTE_0 src1_sel:DWORD
                                        ; implicit-def: $vgpr3
	s_and_saveexec_b64 s[16:17], s[14:15]
	s_xor_b64 s[14:15], exec, s[16:17]
	s_cbranch_execz .LBB119_25
; %bb.24:
	flat_load_dwordx2 v[1:2], v[1:2]
	s_movk_i32 s16, 0x7fff
	s_waitcnt vmcnt(0) lgkmcnt(0)
	v_cvt_f32_f64_e32 v1, v[1:2]
	v_mov_b32_e32 v2, 0x7fc0
	v_bfe_u32 v3, v1, 16, 1
	v_cmp_o_f32_e32 vcc, v1, v1
	v_add3_u32 v1, v1, v3, s16
	v_cndmask_b32_sdwa v3, v2, v1, vcc dst_sel:DWORD dst_unused:UNUSED_PAD src0_sel:DWORD src1_sel:WORD_1
                                        ; implicit-def: $vgpr1_vgpr2
.LBB119_25:
	s_andn2_saveexec_b64 s[14:15], s[14:15]
	s_cbranch_execz .LBB119_27
; %bb.26:
	flat_load_dword v1, v[1:2]
	s_movk_i32 s16, 0x7fff
	v_mov_b32_e32 v2, 0x7fc0
	s_waitcnt vmcnt(0) lgkmcnt(0)
	v_bfe_u32 v3, v1, 16, 1
	v_cmp_o_f32_e32 vcc, v1, v1
	v_add3_u32 v1, v1, v3, s16
	v_cndmask_b32_sdwa v3, v2, v1, vcc dst_sel:DWORD dst_unused:UNUSED_PAD src0_sel:DWORD src1_sel:WORD_1
.LBB119_27:
	s_or_b64 exec, exec, s[14:15]
                                        ; implicit-def: $vgpr1_vgpr2
.LBB119_28:
	s_andn2_saveexec_b64 s[12:13], s[12:13]
	s_cbranch_execz .LBB119_30
; %bb.29:
	flat_load_ushort v1, v[1:2]
	s_movk_i32 s14, 0x7fff
	v_mov_b32_e32 v3, 0x7fc0
	s_waitcnt vmcnt(0) lgkmcnt(0)
	v_cvt_f32_f16_e32 v2, v1
	v_cmp_o_f16_e32 vcc, v1, v1
	v_bfe_u32 v1, v2, 16, 1
	v_add3_u32 v1, v2, v1, s14
	v_cndmask_b32_sdwa v3, v3, v1, vcc dst_sel:DWORD dst_unused:UNUSED_PAD src0_sel:DWORD src1_sel:WORD_1
.LBB119_30:
	s_or_b64 exec, exec, s[12:13]
.LBB119_31:
	s_or_b64 exec, exec, s[10:11]
                                        ; implicit-def: $vgpr5
                                        ; implicit-def: $vgpr1_vgpr2
.LBB119_32:
	s_andn2_saveexec_b64 s[8:9], s[8:9]
	s_cbranch_execz .LBB119_50
; %bb.33:
	v_mov_b32_e32 v3, 1
	v_cmp_gt_i16_sdwa s[10:11], v5, v3 src0_sel:BYTE_0 src1_sel:DWORD
                                        ; implicit-def: $vgpr3
	s_and_saveexec_b64 s[12:13], s[10:11]
	s_xor_b64 s[10:11], exec, s[12:13]
	s_cbranch_execz .LBB119_43
; %bb.34:
	v_mov_b32_e32 v3, 2
	v_cmp_gt_i16_sdwa s[12:13], v5, v3 src0_sel:BYTE_0 src1_sel:DWORD
                                        ; implicit-def: $vgpr3
	s_and_saveexec_b64 s[14:15], s[12:13]
	s_xor_b64 s[12:13], exec, s[14:15]
	;; [unrolled: 7-line block ×3, first 2 shown]
	s_cbranch_execz .LBB119_37
; %bb.36:
	flat_load_dwordx2 v[1:2], v[1:2]
	s_movk_i32 s16, 0x7fff
	s_waitcnt vmcnt(0) lgkmcnt(0)
	v_xor_b32_e32 v4, v1, v2
	v_ffbh_i32_e32 v3, v2
	v_ashrrev_i32_e32 v4, 31, v4
	v_add_u32_e32 v3, -1, v3
	v_add_u32_e32 v4, 32, v4
	v_min_u32_e32 v3, v3, v4
	v_lshlrev_b64 v[1:2], v3, v[1:2]
	v_min_u32_e32 v1, 1, v1
	v_or_b32_e32 v1, v2, v1
	v_cvt_f32_i32_e32 v1, v1
	v_sub_u32_e32 v2, 32, v3
	v_ldexp_f32 v1, v1, v2
	v_bfe_u32 v2, v1, 16, 1
	v_add3_u32 v1, v1, v2, s16
	v_lshrrev_b32_e32 v3, 16, v1
                                        ; implicit-def: $vgpr1_vgpr2
.LBB119_37:
	s_andn2_saveexec_b64 s[14:15], s[14:15]
	s_cbranch_execz .LBB119_39
; %bb.38:
	flat_load_dword v1, v[1:2]
	s_movk_i32 s16, 0x7fff
	s_waitcnt vmcnt(0) lgkmcnt(0)
	v_cvt_f32_i32_e32 v1, v1
	v_bfe_u32 v2, v1, 16, 1
	v_add3_u32 v1, v1, v2, s16
	v_lshrrev_b32_e32 v3, 16, v1
.LBB119_39:
	s_or_b64 exec, exec, s[14:15]
                                        ; implicit-def: $vgpr1_vgpr2
.LBB119_40:
	s_andn2_saveexec_b64 s[12:13], s[12:13]
	s_cbranch_execz .LBB119_42
; %bb.41:
	flat_load_sshort v1, v[1:2]
	s_movk_i32 s14, 0x7fff
	s_waitcnt vmcnt(0) lgkmcnt(0)
	v_cvt_f32_i32_e32 v1, v1
	v_bfe_u32 v2, v1, 16, 1
	v_add3_u32 v1, v1, v2, s14
	v_lshrrev_b32_e32 v3, 16, v1
.LBB119_42:
	s_or_b64 exec, exec, s[12:13]
                                        ; implicit-def: $vgpr1_vgpr2
                                        ; implicit-def: $vgpr5
.LBB119_43:
	s_andn2_saveexec_b64 s[10:11], s[10:11]
	s_cbranch_execz .LBB119_49
; %bb.44:
	v_mov_b32_e32 v3, 0
	v_cmp_gt_i16_sdwa s[12:13], v5, v3 src0_sel:BYTE_0 src1_sel:DWORD
                                        ; implicit-def: $vgpr3
	s_and_saveexec_b64 s[14:15], s[12:13]
	s_xor_b64 s[12:13], exec, s[14:15]
	s_cbranch_execz .LBB119_46
; %bb.45:
	flat_load_sbyte v1, v[1:2]
	s_movk_i32 s14, 0x7fff
	s_waitcnt vmcnt(0) lgkmcnt(0)
	v_cvt_f32_i32_e32 v1, v1
	v_bfe_u32 v2, v1, 16, 1
	v_add3_u32 v1, v1, v2, s14
	v_lshrrev_b32_e32 v3, 16, v1
                                        ; implicit-def: $vgpr1_vgpr2
.LBB119_46:
	s_andn2_saveexec_b64 s[12:13], s[12:13]
	s_cbranch_execz .LBB119_48
; %bb.47:
	flat_load_ubyte v1, v[1:2]
	s_movk_i32 s14, 0x7fff
	s_waitcnt vmcnt(0) lgkmcnt(0)
	v_cvt_f32_ubyte0_e32 v1, v1
	v_bfe_u32 v2, v1, 16, 1
	v_add3_u32 v1, v1, v2, s14
	v_lshrrev_b32_e32 v3, 16, v1
.LBB119_48:
	s_or_b64 exec, exec, s[12:13]
.LBB119_49:
	s_or_b64 exec, exec, s[10:11]
.LBB119_50:
	s_or_b64 exec, exec, s[8:9]
	s_or_b64 s[6:7], s[6:7], exec
	s_or_b64 exec, exec, s[4:5]
                                        ; implicit-def: $vgpr1
	s_and_saveexec_b64 s[12:13], s[6:7]
	s_cbranch_execz .LBB119_3
.LBB119_51:
	v_cvt_f32_i32_e32 v1, v0
	s_movk_i32 s4, 0x7fff
	v_mov_b32_e32 v2, 0x7fc00000
	v_bfe_u32 v4, v1, 16, 1
	v_add3_u32 v1, v1, v4, s4
	v_and_b32_e32 v1, 0xffff0000, v1
	v_add_f32_e32 v1, 1.0, v1
	v_bfe_u32 v4, v1, 16, 1
	v_add3_u32 v4, v1, v4, s4
	v_and_b32_e32 v4, 0xffff0000, v4
	v_cmp_o_f32_e32 vcc, v1, v1
	v_cndmask_b32_e32 v1, v2, v4, vcc
	s_mov_b32 s4, 0x3c800000
	v_and_b32_e32 v4, 0x7fffffff, v1
	v_cmp_nlt_f32_e64 s[4:5], |v1|, s4
                                        ; implicit-def: $vgpr2
	s_and_saveexec_b64 s[6:7], s[4:5]
	s_xor_b64 s[6:7], exec, s[6:7]
	s_cbranch_execz .LBB119_81
; %bb.52:
	v_cmp_nlt_f32_e64 s[4:5], |v1|, 2.0
                                        ; implicit-def: $vgpr2
	s_and_saveexec_b64 s[8:9], s[4:5]
	s_xor_b64 s[8:9], exec, s[8:9]
	s_cbranch_execz .LBB119_62
; %bb.53:
	s_mov_b32 s4, 0x41000000
	v_cmp_nlt_f32_e64 s[4:5], |v1|, s4
                                        ; implicit-def: $vgpr2
	s_and_saveexec_b64 s[10:11], s[4:5]
	s_xor_b64 s[10:11], exec, s[10:11]
	s_cbranch_execz .LBB119_59
; %bb.54:
	s_mov_b32 s4, 0x5c800000
	v_cmp_nlt_f32_e64 s[4:5], |v1|, s4
                                        ; implicit-def: $vgpr2
	s_and_saveexec_b64 s[14:15], s[4:5]
	s_xor_b64 s[14:15], exec, s[14:15]
	s_cbranch_execz .LBB119_56
; %bb.55:
	s_mov_b32 s4, 0x800000
	v_cmp_lt_f32_e64 vcc, |v1|, s4
	v_cndmask_b32_e64 v2, 0, 32, vcc
	v_ldexp_f32 v2, |v1|, v2
	v_log_f32_e32 v2, v2
	s_mov_b32 s4, 0x3f317217
	s_mov_b32 s5, 0x7f800000
	v_mul_f32_e32 v5, 0x3f317217, v2
	v_fma_f32 v6, v2, s4, -v5
	v_fmac_f32_e32 v6, 0x3377d1cf, v2
	v_add_f32_e32 v5, v5, v6
	v_cmp_lt_f32_e64 s[4:5], |v2|, s5
	v_cndmask_b32_e64 v2, v2, v5, s[4:5]
	v_mov_b32_e32 v5, 0x41b17218
	v_cndmask_b32_e32 v5, 0, v5, vcc
	v_sub_f32_e32 v2, v2, v5
	v_fma_f32 v2, |v1|, v2, -|v1|
.LBB119_56:
	s_andn2_saveexec_b64 s[14:15], s[14:15]
	s_cbranch_execz .LBB119_58
; %bb.57:
	v_rcp_f32_e64 v5, |v1|
	v_mov_b32_e32 v2, 0x3a5b3dd2
	v_mov_b32_e32 v6, 0xba1c065c
	;; [unrolled: 1-line block ×3, first 2 shown]
	v_mul_f32_e32 v8, v5, v5
	v_fmac_f32_e32 v2, 0xbad5c4e8, v8
	v_fmac_f32_e32 v6, v8, v2
	s_mov_b32 s4, 0x800000
	v_fmac_f32_e32 v7, v8, v6
	v_mov_b32_e32 v2, 0xbb360b61
	v_cmp_lt_f32_e64 vcc, |v1|, s4
	v_fmac_f32_e32 v2, v8, v7
	v_cndmask_b32_e64 v7, 0, 32, vcc
	v_ldexp_f32 v7, |v1|, v7
	v_log_f32_e32 v7, v7
	v_mov_b32_e32 v6, 0x3daaaaab
	v_fmac_f32_e32 v6, v8, v2
	v_mov_b32_e32 v2, 0x3ed67f1d
	v_fmac_f32_e32 v2, v5, v6
	s_mov_b32 s4, 0x3f317217
	v_mul_f32_e32 v6, 0x3f317217, v7
	v_fma_f32 v8, v7, s4, -v6
	v_fmac_f32_e32 v8, 0x3377d1cf, v7
	s_mov_b32 s4, 0x7f800000
	v_add_f32_e32 v6, v6, v8
	v_cmp_lt_f32_e64 s[4:5], |v7|, s4
	v_cndmask_b32_e64 v6, v7, v6, s[4:5]
	v_mov_b32_e32 v7, 0x41b17218
	v_cndmask_b32_e32 v7, 0, v7, vcc
	v_sub_f32_e32 v6, v6, v7
	v_add_f32_e64 v5, |v1|, -0.5
	v_add_f32_e32 v6, -1.0, v6
	v_fmac_f32_e32 v2, v5, v6
.LBB119_58:
	s_or_b64 exec, exec, s[14:15]
.LBB119_59:
	s_andn2_saveexec_b64 s[10:11], s[10:11]
	s_cbranch_execz .LBB119_61
; %bb.60:
	v_cvt_i32_f32_e32 v2, v4
	v_mov_b32_e32 v5, 0x3af135b4
	v_mov_b32_e32 v6, 0x3cda40e4
	;; [unrolled: 1-line block ×3, first 2 shown]
	v_cvt_f32_i32_e32 v8, v2
	v_mov_b32_e32 v9, 0x3ea6cc7a
	v_mov_b32_e32 v10, 0x3e5c245a
	v_cmp_lt_i32_e32 vcc, 2, v2
	v_sub_f32_e64 v8, |v1|, v8
	v_fmac_f32_e32 v5, 0x3805ff67, v8
	v_fmac_f32_e32 v6, v8, v5
	;; [unrolled: 1-line block ×3, first 2 shown]
	v_mov_b32_e32 v6, 0x3a4beed6
	v_fmac_f32_e32 v9, v8, v7
	v_fmac_f32_e32 v6, 0x36f5d7bd, v8
	v_mov_b32_e32 v7, 0x3c98bf54
	v_fmac_f32_e32 v7, v8, v6
	v_mov_b32_e32 v6, 0x3e300f6e
	;; [unrolled: 2-line block ×4, first 2 shown]
	v_fmac_f32_e32 v6, v8, v7
	v_add_f32_e32 v7, 2.0, v8
	v_mov_b32_e32 v11, 0xbd9e233f
	v_fmac_f32_e32 v10, v8, v9
	v_add_f32_e32 v9, 0x40400000, v8
	v_cndmask_b32_e32 v7, 1.0, v7, vcc
	v_cmp_lt_i32_e32 vcc, 3, v2
	v_fmac_f32_e32 v11, v8, v10
	v_add_f32_e32 v10, 4.0, v8
	v_cndmask_b32_e32 v9, 1.0, v9, vcc
	v_cmp_lt_i32_e32 vcc, 4, v2
	v_mul_f32_e32 v5, v8, v11
	v_add_f32_e32 v11, 0x40a00000, v8
	v_mul_f32_e32 v7, v7, v9
	v_cndmask_b32_e32 v9, 1.0, v10, vcc
	v_cmp_lt_i32_e32 vcc, 5, v2
	v_add_f32_e32 v12, 0x40c00000, v8
	v_mul_f32_e32 v7, v9, v7
	v_cndmask_b32_e32 v9, 1.0, v11, vcc
	v_cmp_lt_i32_e32 vcc, 6, v2
	v_mul_f32_e32 v7, v9, v7
	v_cndmask_b32_e32 v2, 1.0, v12, vcc
	v_mul_f32_e32 v2, v2, v7
	s_mov_b32 s4, 0x800000
	v_cmp_gt_f32_e32 vcc, s4, v2
	v_cndmask_b32_e64 v7, 0, 32, vcc
	v_fma_f32 v6, v8, v6, 1.0
	v_ldexp_f32 v2, v2, v7
	v_rcp_f32_e32 v6, v6
	v_log_f32_e32 v2, v2
	s_mov_b32 s4, 0x3f317217
	v_mul_f32_e32 v5, v5, v6
	v_mul_f32_e32 v6, 0x3f317217, v2
	v_fma_f32 v7, v2, s4, -v6
	v_fmac_f32_e32 v7, 0x3377d1cf, v2
	s_mov_b32 s4, 0x7f800000
	v_add_f32_e32 v6, v6, v7
	v_cmp_lt_f32_e64 s[4:5], |v2|, s4
	v_cndmask_b32_e64 v2, v2, v6, s[4:5]
	v_mov_b32_e32 v6, 0x41b17218
	v_cndmask_b32_e32 v6, 0, v6, vcc
	v_fmac_f32_e32 v5, 0.5, v8
	v_sub_f32_e32 v2, v2, v6
	v_add_f32_e32 v2, v2, v5
.LBB119_61:
	s_or_b64 exec, exec, s[10:11]
.LBB119_62:
	s_andn2_saveexec_b64 s[8:9], s[8:9]
	s_cbranch_execz .LBB119_80
; %bb.63:
	s_mov_b32 s4, 0x3f666666
	v_cmp_le_f32_e64 s[4:5], |v1|, s4
                                        ; implicit-def: $vgpr2
                                        ; implicit-def: $vgpr6
                                        ; implicit-def: $vgpr5
	s_and_saveexec_b64 s[10:11], s[4:5]
	s_xor_b64 s[10:11], exec, s[10:11]
	s_cbranch_execz .LBB119_65
; %bb.64:
	s_mov_b32 s4, 0x800000
	v_cmp_lt_f32_e64 vcc, |v1|, s4
	v_cndmask_b32_e64 v2, 0, 32, vcc
	v_ldexp_f32 v2, |v1|, v2
	v_log_f32_e32 v2, v2
	s_mov_b32 s4, 0x3f317217
	s_mov_b32 s5, 0x7f800000
	v_mul_f32_e32 v5, 0x3f317217, v2
	v_fma_f32 v6, v2, s4, -v5
	v_fmac_f32_e32 v6, 0x3377d1cf, v2
	v_add_f32_e32 v5, v5, v6
	v_cmp_lt_f32_e64 s[4:5], |v2|, s5
	v_cndmask_b32_e64 v2, v2, v5, s[4:5]
	v_mov_b32_e32 v5, 0x41b17218
	v_cndmask_b32_e32 v5, 0, v5, vcc
	s_mov_b32 s4, 0x3f3b4a23
	s_mov_b32 s5, 0xbeec5b0c
	v_sub_f32_e32 v2, v2, v5
	v_sub_f32_e64 v5, 1.0, |v1|
	v_add_f32_e64 v6, |v1|, s5
	v_cmp_lt_f32_e64 vcc, |v1|, s4
	s_mov_b32 s4, 0x3e6d3309
	v_cndmask_b32_e32 v5, v5, v6, vcc
	v_cndmask_b32_e64 v6, 0, 1, vcc
	v_cmp_lt_f32_e64 s[4:5], |v1|, s4
	v_xor_b32_e32 v2, 0x80000000, v2
	v_cndmask_b32_e64 v5, v5, |v1|, s[4:5]
	v_cndmask_b32_e64 v6, v6, 2, s[4:5]
.LBB119_65:
	s_andn2_saveexec_b64 s[4:5], s[10:11]
	s_cbranch_execz .LBB119_67
; %bb.66:
	s_mov_b32 s10, 0x3fdda512
	s_mov_b32 s11, 0xbfbb16c3
	v_sub_f32_e64 v2, 2.0, |v1|
	v_add_f32_e64 v5, |v1|, s11
	v_cmp_lt_f32_e64 vcc, |v1|, s10
	v_cndmask_b32_e32 v5, v2, v5, vcc
	v_cndmask_b32_e64 v2, v2, 1.0, vcc
	v_cvt_i32_f32_e32 v2, v2
	s_mov_b32 s10, 0x3f9d70a4
	v_add_f32_e64 v6, |v1|, -1.0
	v_cmp_lt_f32_e64 vcc, |v1|, s10
	v_cndmask_b32_e32 v5, v5, v6, vcc
	v_cndmask_b32_e64 v6, v2, 2, vcc
	v_mov_b32_e32 v2, 0
.LBB119_67:
	s_or_b64 exec, exec, s[4:5]
	v_cmp_lt_i32_e32 vcc, 0, v6
	s_and_saveexec_b64 s[4:5], vcc
	s_xor_b64 s[4:5], exec, s[4:5]
	s_cbranch_execz .LBB119_75
; %bb.68:
	v_cmp_lt_i32_e32 vcc, 1, v6
	s_and_saveexec_b64 s[10:11], vcc
	s_xor_b64 s[10:11], exec, s[10:11]
	s_cbranch_execz .LBB119_72
; %bb.69:
	v_cmp_eq_u32_e32 vcc, 2, v6
	s_and_saveexec_b64 s[14:15], vcc
	s_cbranch_execz .LBB119_71
; %bb.70:
	v_mov_b32_e32 v6, 0x3e6a7578
	v_fmac_f32_e32 v6, 0x3c5b3c5e, v5
	v_mov_b32_e32 v7, 0x3f7a4bb2
	v_fmac_f32_e32 v7, v5, v6
	;; [unrolled: 2-line block ×8, first 2 shown]
	v_fma_f32 v6, v5, v8, 1.0
	v_rcp_f32_e32 v6, v6
	v_mov_b32_e32 v8, 0xbd9e233f
	v_fmac_f32_e32 v8, v5, v7
	v_mul_f32_e32 v7, v5, v8
	v_mul_f32_e32 v6, v7, v6
	v_fmac_f32_e32 v6, -0.5, v5
	v_add_f32_e32 v2, v2, v6
.LBB119_71:
	s_or_b64 exec, exec, s[14:15]
                                        ; implicit-def: $vgpr5
.LBB119_72:
	s_andn2_saveexec_b64 s[10:11], s[10:11]
	s_cbranch_execz .LBB119_74
; %bb.73:
	v_mul_f32_e32 v6, v5, v5
	v_mul_f32_e32 v7, v5, v6
	v_mov_b32_e32 v8, 0xbab7f476
	v_fmac_f32_e32 v8, 0x39a57b6b, v7
	v_mov_b32_e32 v9, 0x3bc7e707
	v_fmac_f32_e32 v9, v7, v8
	;; [unrolled: 2-line block ×12, first 2 shown]
	v_fmac_f32_e32 v10, v5, v11
	s_mov_b32 s14, 0xa2863e55
	v_fma_f32 v5, v7, -v10, s14
	v_fma_f32 v5, v6, v9, -v5
	v_add_f32_e32 v5, 0xbdf8cdce, v5
	v_add_f32_e32 v2, v2, v5
.LBB119_74:
	s_or_b64 exec, exec, s[10:11]
                                        ; implicit-def: $vgpr6
                                        ; implicit-def: $vgpr5
.LBB119_75:
	s_andn2_saveexec_b64 s[4:5], s[4:5]
	s_cbranch_execz .LBB119_79
; %bb.76:
	v_cmp_eq_u32_e32 vcc, 0, v6
	s_and_saveexec_b64 s[10:11], vcc
	s_cbranch_execz .LBB119_78
; %bb.77:
	v_mul_f32_e32 v6, v5, v5
	v_mov_b32_e32 v7, 0x39679767
	v_fmac_f32_e32 v7, 0x37d383a2, v6
	v_mov_b32_e32 v8, 0x3a9c54a1
	v_fmac_f32_e32 v8, v6, v7
	;; [unrolled: 2-line block ×10, first 2 shown]
	v_mul_f32_e32 v6, v6, v8
	v_fmac_f32_e32 v6, v5, v7
	v_fmac_f32_e32 v6, -0.5, v5
	v_add_f32_e32 v2, v2, v6
.LBB119_78:
	s_or_b64 exec, exec, s[10:11]
.LBB119_79:
	s_or_b64 exec, exec, s[4:5]
.LBB119_80:
	s_or_b64 exec, exec, s[8:9]
.LBB119_81:
	s_andn2_saveexec_b64 s[6:7], s[6:7]
	s_cbranch_execz .LBB119_83
; %bb.82:
	s_mov_b32 s4, 0x3e8a8991
	v_mov_b32_e32 v2, 0xbecd26ab
	v_fma_f32 v2, |v1|, s4, v2
	s_mov_b32 s4, 0x3f528d33
	v_fma_f32 v2, |v1|, v2, s4
	s_mov_b32 s4, 0x800000
	v_cmp_lt_f32_e64 vcc, |v1|, s4
	v_cndmask_b32_e64 v5, 0, 32, vcc
	v_ldexp_f32 v5, |v1|, v5
	v_log_f32_e32 v5, v5
	s_mov_b32 s4, 0xbf13c468
	v_fma_f32 v2, |v1|, v2, s4
	s_mov_b32 s4, 0x3f317217
	v_mul_f32_e32 v6, 0x3f317217, v5
	v_fma_f32 v7, v5, s4, -v6
	v_fmac_f32_e32 v7, 0x3377d1cf, v5
	s_mov_b32 s4, 0x7f800000
	v_add_f32_e32 v6, v6, v7
	v_cmp_lt_f32_e64 s[4:5], |v5|, s4
	v_cndmask_b32_e64 v5, v5, v6, s[4:5]
	v_mov_b32_e32 v6, 0x41b17218
	v_cndmask_b32_e32 v6, 0, v6, vcc
	v_sub_f32_e32 v5, v5, v6
	v_fma_f32 v2, |v1|, v2, -v5
.LBB119_83:
	s_or_b64 exec, exec, s[6:7]
	v_cmp_le_f32_e64 s[4:5], 0, v1
	v_cmp_nle_f32_e32 vcc, 0, v1
	s_and_saveexec_b64 s[6:7], vcc
	s_xor_b64 s[8:9], exec, s[6:7]
	s_cbranch_execz .LBB119_87
; %bb.84:
	s_mov_b32 s6, 0x4b000000
	s_mov_b32 s10, 0x35000000
	v_cmp_lt_f32_e64 s[6:7], |v1|, s6
	v_cmp_gt_f32_e64 s[10:11], |v1|, s10
	s_and_b64 s[6:7], s[6:7], s[10:11]
	s_and_saveexec_b64 s[10:11], s[6:7]
	s_cbranch_execz .LBB119_86
; %bb.85:
	v_mul_f32_e64 v5, |v1|, 0.5
	v_floor_f32_e32 v6, v5
	v_sub_f32_e32 v6, v5, v6
	v_min_f32_e32 v6, 0x3f7fffff, v6
	s_mov_b32 s14, 0x7f800000
	v_add_f32_e32 v6, v6, v6
	v_cmp_neq_f32_e32 vcc, s14, v5
	v_cndmask_b32_e32 v5, 0, v6, vcc
	v_cmp_gt_f32_e64 s[6:7], |v1|, 1.0
	v_cndmask_b32_e64 v5, |v1|, v5, s[6:7]
	v_add_f32_e32 v6, v5, v5
	v_rndne_f32_e32 v6, v6
	v_fmac_f32_e32 v5, -0.5, v6
	v_mul_f32_e32 v7, v5, v5
	v_mov_b32_e32 v8, 0xbf1f24be
	v_fmac_f32_e32 v8, 0x3e75aa41, v7
	v_mov_b32_e32 v9, 0x40234736
	v_fmac_f32_e32 v9, v7, v8
	;; [unrolled: 2-line block ×3, first 2 shown]
	v_mul_f32_e32 v9, v5, v7
	v_mul_f32_e32 v8, v9, v8
	v_fmac_f32_e32 v8, 0x40490fdb, v5
	v_mov_b32_e32 v5, 0x3e642e9d
	v_cvt_i32_f32_e32 v6, v6
	v_fmac_f32_e32 v5, 0x3d4be544, v7
	v_mov_b32_e32 v9, 0xbfaad1da
	v_fmac_f32_e32 v9, v7, v5
	v_mov_b32_e32 v5, 0x4081e0d3
	;; [unrolled: 2-line block ×3, first 2 shown]
	v_fmac_f32_e32 v9, v7, v5
	v_fma_f32 v5, v7, v9, 1.0
	v_and_b32_e32 v7, 1, v6
	v_cmp_eq_u32_e32 vcc, 0, v7
	v_lshlrev_b32_e32 v6, 30, v6
	s_brev_b32 s6, 1
	v_cndmask_b32_e32 v5, v5, v8, vcc
	v_and_or_b32 v4, v6, s6, v4
	v_xor_b32_e32 v4, v4, v5
	v_xor_b32_e32 v4, v4, v1
	v_mul_f32_e32 v4, v1, v4
	v_frexp_mant_f32_e64 v5, |v4|
	v_rcp_f32_e32 v5, v5
	v_frexp_exp_i32_f32_e32 v4, v4
	v_sub_u32_e32 v4, 2, v4
	s_mov_b32 s6, 0x800000
	v_mul_f32_e32 v5, 0x3f490fdb, v5
	v_ldexp_f32 v4, v5, v4
	v_cmp_gt_f32_e32 vcc, s6, v4
	v_cndmask_b32_e64 v5, 0, 32, vcc
	v_ldexp_f32 v4, v4, v5
	v_log_f32_e32 v4, v4
	s_mov_b32 s6, 0x3f317217
	v_mul_f32_e32 v5, 0x3f317217, v4
	v_fma_f32 v6, v4, s6, -v5
	v_fmac_f32_e32 v6, 0x3377d1cf, v4
	v_add_f32_e32 v5, v5, v6
	v_cmp_lt_f32_e64 s[6:7], |v4|, s14
	v_cndmask_b32_e64 v4, v4, v5, s[6:7]
	v_mov_b32_e32 v5, 0x41b17218
	v_cndmask_b32_e32 v5, 0, v5, vcc
	v_sub_f32_e32 v4, v4, v5
	v_sub_f32_e32 v2, v4, v2
	v_floor_f32_e32 v4, v1
	v_sub_f32_e32 v4, v1, v4
	v_min_f32_e32 v4, 0x3f7fffff, v4
	v_mov_b32_e32 v5, 0x7f800000
	v_cmp_neq_f32_e32 vcc, 0, v4
	v_cndmask_b32_e32 v2, v5, v2, vcc
.LBB119_86:
	s_or_b64 exec, exec, s[10:11]
.LBB119_87:
	s_andn2_saveexec_b64 s[8:9], s[8:9]
; %bb.88:
	v_cmp_eq_f32_e32 vcc, 1.0, v1
	v_cmp_eq_f32_e64 s[6:7], 2.0, v1
	s_or_b64 s[6:7], vcc, s[6:7]
	v_cndmask_b32_e64 v2, v2, 0, s[6:7]
; %bb.89:
	s_or_b64 exec, exec, s[8:9]
	v_add_u32_e32 v4, 1, v0
	v_cvt_f32_i32_e32 v5, v4
	s_movk_i32 s44, 0x7fff
	v_mov_b32_e32 v4, 0x7f800000
	v_mov_b32_e32 v8, 0x7f800000
	v_bfe_u32 v6, v5, 16, 1
	v_add3_u32 v5, v5, v6, s44
	v_and_b32_e32 v5, 0xffff0000, v5
	v_cmp_neq_f32_e32 vcc, 1.0, v5
	s_and_saveexec_b64 s[14:15], vcc
	s_cbranch_execz .LBB119_176
; %bb.90:
	v_cmp_ngt_f32_e32 vcc, 1.0, v5
	v_mov_b32_e32 v8, 0x7fc00000
	s_and_saveexec_b64 s[16:17], vcc
	s_cbranch_execz .LBB119_175
; %bb.91:
	s_waitcnt vmcnt(0) lgkmcnt(0)
	v_lshlrev_b32_e32 v3, 16, v3
	v_cmp_ge_f32_e32 vcc, 0, v3
	s_mov_b64 s[8:9], -1
                                        ; implicit-def: $vgpr8
	s_and_saveexec_b64 s[6:7], vcc
	s_cbranch_execz .LBB119_95
; %bb.92:
	v_floor_f32_e32 v6, v3
	v_cmp_neq_f32_e32 vcc, v6, v3
	s_mov_b64 s[8:9], 0
	v_mov_b32_e32 v8, 0x7f800000
	s_and_saveexec_b64 s[10:11], vcc
; %bb.93:
	v_floor_f32_e32 v6, v5
	v_cmp_eq_f32_e32 vcc, v6, v5
	v_mov_b32_e32 v8, 0x7fc00000
	s_and_b64 s[8:9], vcc, exec
; %bb.94:
	s_or_b64 exec, exec, s[10:11]
	s_orn2_b64 s[8:9], s[8:9], exec
.LBB119_95:
	s_or_b64 exec, exec, s[6:7]
	s_and_saveexec_b64 s[18:19], s[8:9]
	s_cbranch_execz .LBB119_174
; %bb.96:
	v_xor_b32_e32 v6, 0x80000000, v5
	v_bfe_u32 v7, v6, 16, 1
	s_movk_i32 s6, 0x7fff
	v_add3_u32 v6, v6, v7, s6
	v_and_b32_e32 v6, 0xffff0000, v6
	v_mov_b32_e32 v7, 0x7fc00000
	v_cmp_o_f32_e32 vcc, v5, v5
	v_cndmask_b32_e32 v8, v7, v6, vcc
	v_cmp_neq_f32_e32 vcc, 1.0, v3
	v_cndmask_b32_e32 v6, 1.0, v8, vcc
	v_cmp_neq_f32_e32 vcc, 0, v6
	v_cndmask_b32_e32 v12, 1.0, v3, vcc
	v_frexp_mant_f32_e64 v9, |v12|
	s_mov_b32 s28, 0x3f2aaaab
	v_cmp_gt_f32_e32 vcc, s28, v9
	v_cndmask_b32_e64 v10, 1.0, 2.0, vcc
	v_mul_f32_e32 v9, v9, v10
	v_add_f32_e32 v10, 1.0, v9
	v_rcp_f32_e32 v11, v10
	v_add_f32_e32 v13, -1.0, v9
	v_add_f32_e32 v14, -1.0, v10
	v_sub_f32_e32 v9, v9, v14
	v_mul_f32_e32 v14, v13, v11
	v_mul_f32_e32 v15, v10, v14
	v_fma_f32 v10, v14, v10, -v15
	v_fmac_f32_e32 v10, v14, v9
	v_add_f32_e32 v9, v15, v10
	v_sub_f32_e32 v16, v13, v9
	v_sub_f32_e32 v15, v9, v15
	;; [unrolled: 1-line block ×5, first 2 shown]
	v_add_f32_e32 v9, v10, v9
	v_add_f32_e32 v9, v16, v9
	v_mul_f32_e32 v9, v11, v9
	v_add_f32_e32 v13, v14, v9
	v_sub_f32_e32 v10, v13, v14
	v_sub_f32_e32 v14, v9, v10
	v_mul_f32_e32 v10, v13, v13
	v_fma_f32 v11, v13, v13, -v10
	v_add_f32_e32 v9, v14, v14
	v_fmac_f32_e32 v11, v13, v9
	v_add_f32_e32 v15, v10, v11
	v_sub_f32_e32 v10, v15, v10
	v_sub_f32_e32 v10, v11, v10
	v_mul_f32_e32 v11, v13, v15
	v_fma_f32 v17, v15, v13, -v11
	v_fmac_f32_e32 v17, v15, v14
	v_mov_b32_e32 v16, 0x3e91f4c4
	v_fmac_f32_e32 v17, v10, v13
	v_fmac_f32_e32 v16, 0x3e76c4e1, v15
	v_mov_b32_e32 v9, 0x3ecccdef
	v_add_f32_e32 v18, v11, v17
	v_fma_f32 v16, v15, v16, v9
	v_sub_f32_e32 v11, v18, v11
	v_sub_f32_e32 v17, v17, v11
	v_mul_f32_e32 v11, v15, v16
	v_fma_f32 v15, v15, v16, -v11
	v_fmac_f32_e32 v15, v10, v16
	v_add_f32_e32 v16, v11, v15
	v_sub_f32_e32 v10, v16, v11
	v_sub_f32_e32 v15, v15, v10
	v_cvt_f64_f32_e64 v[10:11], |v12|
	v_add_f32_e32 v19, 0x3f2aaaaa, v16
	v_add_f32_e32 v20, 0xbf2aaaaa, v19
	;; [unrolled: 1-line block ×3, first 2 shown]
	v_frexp_exp_i32_f64_e32 v10, v[10:11]
	v_sub_f32_e32 v16, v16, v20
	v_add_f32_e32 v11, v15, v16
	v_add_f32_e32 v15, v19, v11
	v_sub_f32_e32 v16, v19, v15
	v_add_f32_e32 v11, v11, v16
	v_mul_f32_e32 v16, v18, v15
	v_fma_f32 v19, v18, v15, -v16
	v_subbrev_co_u32_e32 v10, vcc, 0, v10, vcc
	v_cvt_f32_i32_e32 v10, v10
	v_fmac_f32_e32 v19, v18, v11
	s_mov_b32 s40, 0x3f317218
	v_fmac_f32_e32 v19, v17, v15
	v_mul_f32_e32 v11, 0x3f317218, v10
	v_fma_f32 v15, v10, s40, -v11
	v_fmac_f32_e32 v15, 0xb102e308, v10
	v_ldexp_f32 v10, v14, 1
	v_add_f32_e32 v14, v11, v15
	v_sub_f32_e32 v11, v14, v11
	v_ldexp_f32 v13, v13, 1
	v_sub_f32_e32 v11, v15, v11
	v_add_f32_e32 v15, v16, v19
	v_sub_f32_e32 v16, v15, v16
	v_add_f32_e32 v17, v13, v15
	v_sub_f32_e32 v16, v19, v16
	v_sub_f32_e32 v13, v17, v13
	;; [unrolled: 1-line block ×3, first 2 shown]
	v_add_f32_e32 v10, v10, v16
	v_add_f32_e32 v10, v10, v13
	;; [unrolled: 1-line block ×3, first 2 shown]
	v_sub_f32_e32 v15, v13, v17
	v_sub_f32_e32 v10, v10, v15
	v_add_f32_e32 v15, v14, v13
	v_sub_f32_e32 v16, v15, v14
	v_sub_f32_e32 v17, v15, v16
	;; [unrolled: 1-line block ×4, first 2 shown]
	v_add_f32_e32 v13, v13, v14
	v_add_f32_e32 v14, v11, v10
	v_sub_f32_e32 v16, v14, v11
	v_sub_f32_e32 v17, v14, v16
	;; [unrolled: 1-line block ×4, first 2 shown]
	v_add_f32_e32 v10, v10, v11
	v_add_f32_e32 v11, v14, v13
	;; [unrolled: 1-line block ×3, first 2 shown]
	v_sub_f32_e32 v14, v13, v15
	v_sub_f32_e32 v11, v11, v14
	v_add_f32_e32 v10, v10, v11
	v_add_f32_e32 v11, v13, v10
	v_sub_f32_e32 v13, v11, v13
	v_sub_f32_e32 v10, v10, v13
	v_mul_f32_e32 v13, v6, v11
	v_fma_f32 v11, v6, v11, -v13
	v_fmac_f32_e32 v11, v6, v10
	s_movk_i32 s41, 0x204
	v_add_f32_e32 v10, v13, v11
	v_cmp_class_f32_e64 vcc, v13, s41
	v_sub_f32_e32 v14, v10, v13
	v_cndmask_b32_e32 v13, v10, v13, vcc
	s_mov_b32 s43, 0x42b17218
	v_mov_b32_e32 v10, 0x37000000
	v_cmp_eq_f32_e32 vcc, s43, v13
	v_sub_f32_e32 v11, v11, v14
	v_cndmask_b32_e32 v14, 0, v10, vcc
	v_sub_f32_e32 v15, v13, v14
	s_mov_b32 s45, 0x3fb8aa3b
	v_mul_f32_e32 v16, 0x3fb8aa3b, v15
	v_fma_f32 v17, v15, s45, -v16
	v_rndne_f32_e32 v18, v16
	v_fmac_f32_e32 v17, 0x32a5705f, v15
	v_sub_f32_e32 v16, v16, v18
	v_add_f32_e32 v16, v16, v17
	v_exp_f32_e32 v16, v16
	v_cvt_i32_f32_e32 v17, v18
	s_mov_b32 s42, 0x7f800000
	v_cmp_neq_f32_e64 vcc, |v13|, s42
	v_cndmask_b32_e32 v11, 0, v11, vcc
	s_mov_b32 s46, 0xc2ce8ed0
	v_add_f32_e32 v13, v14, v11
	v_ldexp_f32 v11, v16, v17
	v_cmp_ngt_f32_e32 vcc, s46, v15
	v_cndmask_b32_e32 v14, 0, v11, vcc
	v_mov_b32_e32 v11, 0x7f800000
	v_cmp_nlt_f32_e32 vcc, s43, v15
	v_cndmask_b32_e32 v14, v11, v14, vcc
	v_fma_f32 v13, v14, v13, v14
	v_cmp_class_f32_e64 vcc, v14, s41
	v_cndmask_b32_e32 v13, v13, v14, vcc
	v_trunc_f32_e32 v14, v6
	v_cmp_eq_f32_e32 vcc, v14, v6
	v_mul_f32_e32 v14, 0.5, v6
	v_trunc_f32_e32 v15, v14
	v_cmp_neq_f32_e64 s[6:7], v15, v14
	s_and_b64 s[6:7], vcc, s[6:7]
	v_cndmask_b32_e64 v14, 1.0, v12, s[6:7]
	s_brev_b32 s47, -2
	v_bfi_b32 v13, s47, v13, v14
	v_cmp_neq_f32_e64 s[8:9], v6, |v6|
	v_cmp_lt_f32_e64 s[10:11], |v12|, 1.0
	v_cndmask_b32_e32 v14, v7, v13, vcc
	v_cmp_gt_f32_e32 vcc, 0, v12
	s_xor_b64 s[8:9], s[8:9], s[10:11]
	v_cndmask_b32_e32 v13, v13, v14, vcc
	v_cndmask_b32_e64 v14, v11, 0, s[8:9]
	v_cmp_neq_f32_e64 vcc, |v12|, 1.0
	v_cndmask_b32_e32 v14, 1.0, v14, vcc
	v_cmp_class_f32_e64 vcc, v6, s41
	v_cndmask_b32_e32 v13, v13, v14, vcc
	v_cmp_eq_f32_e32 vcc, 0, v12
	v_cmp_gt_f32_e64 s[8:9], 0, v6
	s_xor_b64 s[8:9], s[8:9], vcc
	v_cmp_class_f32_e64 s[10:11], v12, s41
	v_cndmask_b32_e64 v14, v11, 0, s[8:9]
	v_cndmask_b32_e64 v15, 0, v12, s[6:7]
	v_bfi_b32 v14, s47, v14, v15
	s_or_b64 vcc, vcc, s[10:11]
	v_cndmask_b32_e32 v13, v13, v14, vcc
	v_cmp_o_f32_e32 vcc, v12, v6
	s_mov_b32 s29, 0
	v_cndmask_b32_e32 v6, v7, v13, vcc
	s_mov_b64 s[20:21], 0
	s_mov_b32 s56, 0x41100000
                                        ; implicit-def: $sgpr22_sgpr23
                                        ; implicit-def: $sgpr26_sgpr27
                                        ; implicit-def: $sgpr24_sgpr25
	s_branch .LBB119_98
.LBB119_97:                             ;   in Loop: Header=BB119_98 Depth=1
	s_or_b64 exec, exec, s[6:7]
	s_and_b64 s[6:7], exec, s[26:27]
	s_or_b64 s[20:21], s[6:7], s[20:21]
	s_andn2_b64 s[6:7], s[22:23], exec
	s_and_b64 s[8:9], s[24:25], exec
	s_or_b64 s[22:23], s[6:7], s[8:9]
	s_andn2_b64 exec, exec, s[20:21]
	s_cbranch_execz .LBB119_155
.LBB119_98:                             ; =>This Inner Loop Header: Depth=1
	v_add_f32_e32 v3, 1.0, v3
	v_cmp_neq_f32_e32 vcc, 1.0, v3
	v_cndmask_b32_e32 v12, 1.0, v8, vcc
	v_cmp_neq_f32_e32 vcc, 0, v12
	v_cndmask_b32_e32 v13, 1.0, v3, vcc
	v_frexp_mant_f32_e64 v14, |v13|
	v_cmp_gt_f32_e32 vcc, s28, v14
	v_cndmask_b32_e64 v15, 1.0, 2.0, vcc
	v_mul_f32_e32 v14, v14, v15
	v_add_f32_e32 v16, 1.0, v14
	v_add_f32_e32 v17, -1.0, v16
	v_add_f32_e32 v15, -1.0, v14
	v_sub_f32_e32 v14, v14, v17
	v_rcp_f32_e32 v17, v16
	v_cmp_gt_f32_e64 s[8:9], 0, v13
	v_cmp_lt_f32_e64 s[10:11], |v13|, 1.0
	s_or_b64 s[24:25], s[24:25], exec
	v_mul_f32_e32 v18, v15, v17
	v_mul_f32_e32 v19, v16, v18
	v_fma_f32 v16, v18, v16, -v19
	v_fmac_f32_e32 v16, v18, v14
	v_add_f32_e32 v14, v19, v16
	v_sub_f32_e32 v20, v15, v14
	v_sub_f32_e32 v19, v14, v19
	v_sub_f32_e32 v15, v15, v20
	v_sub_f32_e32 v14, v15, v14
	v_sub_f32_e32 v15, v19, v16
	v_add_f32_e32 v14, v15, v14
	v_add_f32_e32 v14, v20, v14
	v_mul_f32_e32 v14, v17, v14
	v_add_f32_e32 v16, v18, v14
	v_sub_f32_e32 v15, v16, v18
	v_sub_f32_e32 v17, v14, v15
	v_mul_f32_e32 v14, v16, v16
	v_fma_f32 v15, v16, v16, -v14
	v_add_f32_e32 v18, v17, v17
	v_fmac_f32_e32 v15, v16, v18
	v_add_f32_e32 v18, v14, v15
	v_sub_f32_e32 v14, v18, v14
	v_sub_f32_e32 v14, v15, v14
	v_mul_f32_e32 v15, v16, v18
	v_fma_f32 v20, v18, v16, -v15
	v_fmac_f32_e32 v20, v18, v17
	v_mov_b32_e32 v19, 0x3e91f4c4
	v_fmac_f32_e32 v20, v14, v16
	v_fmac_f32_e32 v19, 0x3e76c4e1, v18
	v_add_f32_e32 v21, v15, v20
	v_fma_f32 v19, v18, v19, v9
	v_sub_f32_e32 v15, v21, v15
	v_sub_f32_e32 v15, v20, v15
	v_mul_f32_e32 v20, v18, v19
	v_fma_f32 v18, v18, v19, -v20
	v_fmac_f32_e32 v18, v14, v19
	v_add_f32_e32 v14, v20, v18
	v_add_f32_e32 v19, 0x3f2aaaaa, v14
	v_sub_f32_e32 v20, v14, v20
	v_sub_f32_e32 v18, v18, v20
	v_add_f32_e32 v20, 0xbf2aaaaa, v19
	v_add_f32_e32 v18, 0x31739010, v18
	v_sub_f32_e32 v14, v14, v20
	v_add_f32_e32 v14, v18, v14
	v_add_f32_e32 v18, v19, v14
	v_sub_f32_e32 v19, v19, v18
	v_add_f32_e32 v14, v14, v19
	v_mul_f32_e32 v19, v21, v18
	v_fma_f32 v20, v21, v18, -v19
	v_fmac_f32_e32 v20, v21, v14
	v_fmac_f32_e32 v20, v15, v18
	v_cvt_f64_f32_e64 v[14:15], |v13|
	v_ldexp_f32 v16, v16, 1
	s_or_b64 s[26:27], s[26:27], exec
	v_frexp_exp_i32_f64_e32 v14, v[14:15]
	v_subbrev_co_u32_e32 v14, vcc, 0, v14, vcc
	v_cvt_f32_i32_e32 v14, v14
	v_mul_f32_e32 v15, 0x3f317218, v14
	v_fma_f32 v18, v14, s40, -v15
	v_fmac_f32_e32 v18, 0xb102e308, v14
	v_ldexp_f32 v14, v17, 1
	v_add_f32_e32 v17, v15, v18
	v_sub_f32_e32 v15, v17, v15
	v_sub_f32_e32 v15, v18, v15
	v_add_f32_e32 v18, v19, v20
	v_sub_f32_e32 v19, v18, v19
	v_sub_f32_e32 v19, v20, v19
	;; [unrolled: 3-line block ×3, first 2 shown]
	v_add_f32_e32 v14, v14, v19
	v_add_f32_e32 v14, v14, v16
	;; [unrolled: 1-line block ×3, first 2 shown]
	v_sub_f32_e32 v18, v16, v20
	v_sub_f32_e32 v14, v14, v18
	v_add_f32_e32 v18, v17, v16
	v_sub_f32_e32 v19, v18, v17
	v_sub_f32_e32 v20, v18, v19
	;; [unrolled: 1-line block ×4, first 2 shown]
	v_add_f32_e32 v16, v16, v17
	v_add_f32_e32 v17, v15, v14
	v_sub_f32_e32 v19, v17, v15
	v_sub_f32_e32 v20, v17, v19
	;; [unrolled: 1-line block ×4, first 2 shown]
	v_add_f32_e32 v14, v14, v15
	v_add_f32_e32 v15, v17, v16
	;; [unrolled: 1-line block ×3, first 2 shown]
	v_sub_f32_e32 v17, v16, v18
	v_sub_f32_e32 v15, v15, v17
	v_add_f32_e32 v14, v14, v15
	v_add_f32_e32 v15, v16, v14
	v_sub_f32_e32 v16, v15, v16
	v_sub_f32_e32 v14, v14, v16
	v_mul_f32_e32 v16, v12, v15
	v_fma_f32 v15, v12, v15, -v16
	v_fmac_f32_e32 v15, v12, v14
	v_add_f32_e32 v14, v16, v15
	v_cmp_class_f32_e64 vcc, v16, s41
	v_sub_f32_e32 v17, v14, v16
	v_cndmask_b32_e32 v14, v14, v16, vcc
	v_sub_f32_e32 v15, v15, v17
	v_cmp_neq_f32_e64 vcc, |v14|, s42
	v_cndmask_b32_e32 v15, 0, v15, vcc
	v_cmp_eq_f32_e32 vcc, s43, v14
	v_cndmask_b32_e32 v16, 0, v10, vcc
	v_sub_f32_e32 v14, v14, v16
	v_add_f32_e32 v15, v16, v15
	v_mul_f32_e32 v16, 0x3fb8aa3b, v14
	v_fma_f32 v17, v14, s45, -v16
	v_rndne_f32_e32 v18, v16
	v_fmac_f32_e32 v17, 0x32a5705f, v14
	v_sub_f32_e32 v16, v16, v18
	v_add_f32_e32 v16, v16, v17
	v_exp_f32_e32 v16, v16
	v_cvt_i32_f32_e32 v17, v18
	v_cmp_ngt_f32_e32 vcc, s46, v14
	v_ldexp_f32 v16, v16, v17
	v_cndmask_b32_e32 v16, 0, v16, vcc
	v_cmp_nlt_f32_e32 vcc, s43, v14
	v_cndmask_b32_e32 v14, v11, v16, vcc
	v_fma_f32 v15, v14, v15, v14
	v_cmp_class_f32_e64 vcc, v14, s41
	v_cndmask_b32_e32 v14, v15, v14, vcc
	v_trunc_f32_e32 v15, v12
	v_cmp_eq_f32_e32 vcc, v15, v12
	v_mul_f32_e32 v15, 0.5, v12
	v_trunc_f32_e32 v16, v15
	v_cmp_neq_f32_e64 s[6:7], v16, v15
	s_and_b64 s[6:7], vcc, s[6:7]
	v_cndmask_b32_e64 v15, 1.0, v13, s[6:7]
	v_bfi_b32 v14, s47, v14, v15
	v_cndmask_b32_e32 v15, v7, v14, vcc
	v_cndmask_b32_e64 v14, v14, v15, s[8:9]
	v_cmp_neq_f32_e64 s[8:9], v12, |v12|
	s_xor_b64 s[8:9], s[8:9], s[10:11]
	v_cndmask_b32_e64 v15, v11, 0, s[8:9]
	v_cmp_neq_f32_e64 s[8:9], |v13|, 1.0
	v_cmp_class_f32_e64 vcc, v12, s41
	v_cndmask_b32_e64 v15, 1.0, v15, s[8:9]
	v_cndmask_b32_e32 v14, v14, v15, vcc
	v_cmp_eq_f32_e32 vcc, 0, v13
	v_cmp_gt_f32_e64 s[10:11], 0, v12
	s_xor_b64 s[10:11], s[10:11], vcc
	v_cmp_class_f32_e64 s[8:9], v13, s41
	v_cndmask_b32_e64 v15, v11, 0, s[10:11]
	v_cndmask_b32_e64 v16, 0, v13, s[6:7]
	s_or_b64 s[8:9], vcc, s[8:9]
	v_bfi_b32 v15, s47, v15, v16
	v_cndmask_b32_e64 v14, v14, v15, s[8:9]
	v_cmp_o_f32_e32 vcc, v13, v12
	v_cndmask_b32_e32 v12, v7, v14, vcc
	v_add_f32_e32 v6, v6, v12
	v_mul_f32_e32 v13, 0xa5000000, v6
	v_cmp_nlt_f32_e32 vcc, v13, v12
	v_mul_f32_e32 v13, 0x25000000, v6
	v_cmp_nlt_f32_e64 s[6:7], v12, v13
	s_or_b64 s[8:9], vcc, s[6:7]
	s_and_saveexec_b64 s[6:7], s[8:9]
	s_cbranch_execz .LBB119_97
; %bb.99:                               ;   in Loop: Header=BB119_98 Depth=1
	s_add_i32 s57, s29, 1
	s_cmp_gt_u32 s29, 7
	s_cselect_b64 s[8:9], -1, 0
	v_cmp_nge_f32_e32 vcc, s56, v3
	s_and_b64 s[8:9], s[8:9], vcc
	s_andn2_b64 s[10:11], s[26:27], exec
	s_and_b64 s[8:9], s[8:9], exec
	s_andn2_b64 s[24:25], s[24:25], exec
	s_or_b64 s[26:27], s[10:11], s[8:9]
	s_mov_b32 s29, s57
	s_branch .LBB119_97
.LBB119_100:
	v_mov_b32_e32 v3, 28
	v_cmp_gt_i16_sdwa s[8:9], v5, v3 src0_sel:BYTE_0 src1_sel:DWORD
	s_mov_b64 s[14:15], 0
                                        ; implicit-def: $vgpr3
	s_and_saveexec_b64 s[16:17], s[8:9]
	s_xor_b64 s[8:9], exec, s[16:17]
	s_cbranch_execz .LBB119_116
; %bb.101:
	v_mov_b32_e32 v3, 43
	v_cmp_gt_i16_sdwa s[12:13], v5, v3 src0_sel:BYTE_0 src1_sel:DWORD
	s_mov_b64 s[16:17], 0
	s_mov_b64 s[18:19], 0
                                        ; implicit-def: $vgpr3
	s_and_saveexec_b64 s[14:15], s[12:13]
	s_xor_b64 s[12:13], exec, s[14:15]
	s_cbranch_execz .LBB119_111
; %bb.102:
	v_mov_b32_e32 v3, 45
	v_cmp_gt_i16_sdwa s[18:19], v5, v3 src0_sel:BYTE_0 src1_sel:DWORD
	s_mov_b64 s[14:15], 0
                                        ; implicit-def: $vgpr3
	s_and_saveexec_b64 s[20:21], s[18:19]
	s_xor_b64 s[18:19], exec, s[20:21]
	s_cbranch_execz .LBB119_106
; %bb.103:
	v_mov_b32_e32 v3, 46
	v_cmp_eq_u16_sdwa s[22:23], v5, v3 src0_sel:BYTE_0 src1_sel:DWORD
	s_mov_b64 s[20:21], -1
                                        ; implicit-def: $vgpr3
	s_and_saveexec_b64 s[16:17], s[22:23]
	s_cbranch_execz .LBB119_105
; %bb.104:
	flat_load_dword v3, v[1:2]
	s_mov_b64 s[14:15], exec
	s_xor_b64 s[20:21], exec, -1
.LBB119_105:
	s_or_b64 exec, exec, s[16:17]
	s_and_b64 s[16:17], s[14:15], exec
	s_and_b64 s[14:15], s[20:21], exec
                                        ; implicit-def: $vgpr5
.LBB119_106:
	s_andn2_saveexec_b64 s[18:19], s[18:19]
	s_cbranch_execz .LBB119_110
; %bb.107:
	s_waitcnt vmcnt(0) lgkmcnt(0)
	v_mov_b32_e32 v3, 44
	v_cmp_eq_u16_sdwa s[26:27], v5, v3 src0_sel:BYTE_0 src1_sel:DWORD
	s_mov_b64 s[24:25], -1
	s_mov_b64 s[22:23], s[16:17]
                                        ; implicit-def: $vgpr3
	s_and_saveexec_b64 s[20:21], s[26:27]
	s_cbranch_execz .LBB119_109
; %bb.108:
	flat_load_ubyte v3, v[1:2]
	s_movk_i32 s24, 0xff
	v_mov_b32_e32 v4, 0x7f800001
	v_mov_b32_e32 v5, 0x400000
	;; [unrolled: 1-line block ×3, first 2 shown]
	s_or_b64 s[22:23], s[16:17], exec
	s_waitcnt vmcnt(0) lgkmcnt(0)
	v_lshlrev_b32_e32 v7, 23, v3
	v_cmp_ne_u32_e32 vcc, s24, v3
	v_cndmask_b32_e32 v4, v4, v7, vcc
	v_cmp_ne_u32_e32 vcc, 0, v3
	v_cndmask_b32_e32 v3, v5, v4, vcc
	v_add_u32_e32 v4, 0x7fff, v3
	v_cmp_o_f32_e32 vcc, v3, v3
	v_cndmask_b32_sdwa v3, v6, v4, vcc dst_sel:DWORD dst_unused:UNUSED_PAD src0_sel:DWORD src1_sel:WORD_1
	s_xor_b64 s[24:25], exec, -1
.LBB119_109:
	s_or_b64 exec, exec, s[20:21]
	s_andn2_b64 s[16:17], s[16:17], exec
	s_and_b64 s[20:21], s[22:23], exec
	s_or_b64 s[16:17], s[16:17], s[20:21]
	s_andn2_b64 s[14:15], s[14:15], exec
	s_and_b64 s[20:21], s[24:25], exec
	s_or_b64 s[14:15], s[14:15], s[20:21]
.LBB119_110:
	s_or_b64 exec, exec, s[18:19]
	s_and_b64 s[18:19], s[16:17], exec
	s_and_b64 s[16:17], s[14:15], exec
                                        ; implicit-def: $vgpr5
.LBB119_111:
	s_andn2_saveexec_b64 s[12:13], s[12:13]
	s_cbranch_execz .LBB119_115
; %bb.112:
	s_waitcnt vmcnt(0) lgkmcnt(0)
	v_mov_b32_e32 v3, 29
	v_cmp_eq_u16_sdwa s[24:25], v5, v3 src0_sel:BYTE_0 src1_sel:DWORD
	s_mov_b64 s[22:23], -1
	s_mov_b64 s[20:21], s[18:19]
                                        ; implicit-def: $vgpr3
	s_and_saveexec_b64 s[14:15], s[24:25]
	s_cbranch_execz .LBB119_114
; %bb.113:
	flat_load_dwordx2 v[3:4], v[1:2]
	s_movk_i32 s22, 0x7fff
	s_or_b64 s[20:21], s[18:19], exec
	s_waitcnt vmcnt(0) lgkmcnt(0)
	v_ffbh_u32_e32 v5, v4
	v_min_u32_e32 v5, 32, v5
	v_lshlrev_b64 v[3:4], v5, v[3:4]
	v_min_u32_e32 v3, 1, v3
	v_or_b32_e32 v3, v4, v3
	v_cvt_f32_u32_e32 v3, v3
	v_sub_u32_e32 v4, 32, v5
	v_ldexp_f32 v3, v3, v4
	v_bfe_u32 v4, v3, 16, 1
	v_add3_u32 v3, v3, v4, s22
	v_lshrrev_b32_e32 v3, 16, v3
	s_xor_b64 s[22:23], exec, -1
.LBB119_114:
	s_or_b64 exec, exec, s[14:15]
	s_andn2_b64 s[14:15], s[18:19], exec
	s_and_b64 s[18:19], s[20:21], exec
	s_or_b64 s[18:19], s[14:15], s[18:19]
	s_andn2_b64 s[14:15], s[16:17], exec
	s_and_b64 s[16:17], s[22:23], exec
	s_or_b64 s[16:17], s[14:15], s[16:17]
.LBB119_115:
	s_or_b64 exec, exec, s[12:13]
	s_and_b64 s[14:15], s[18:19], exec
	s_and_b64 s[12:13], s[16:17], exec
                                        ; implicit-def: $vgpr5
.LBB119_116:
	s_andn2_saveexec_b64 s[8:9], s[8:9]
	s_cbranch_execz .LBB119_130
; %bb.117:
	s_waitcnt vmcnt(0) lgkmcnt(0)
	v_mov_b32_e32 v3, 26
	v_cmp_gt_i16_sdwa s[16:17], v5, v3 src0_sel:BYTE_0 src1_sel:DWORD
                                        ; implicit-def: $vgpr3
	s_and_saveexec_b64 s[18:19], s[16:17]
	s_xor_b64 s[16:17], exec, s[18:19]
	s_cbranch_execz .LBB119_123
; %bb.118:
	v_mov_b32_e32 v3, 27
	v_cmp_gt_i16_sdwa s[18:19], v5, v3 src0_sel:BYTE_0 src1_sel:DWORD
                                        ; implicit-def: $vgpr3
	s_and_saveexec_b64 s[20:21], s[18:19]
	s_xor_b64 s[18:19], exec, s[20:21]
	s_cbranch_execz .LBB119_120
; %bb.119:
	flat_load_dword v3, v[1:2]
	s_movk_i32 s20, 0x7fff
	s_waitcnt vmcnt(0) lgkmcnt(0)
	v_cvt_f32_u32_e32 v3, v3
	v_bfe_u32 v4, v3, 16, 1
	v_add3_u32 v3, v3, v4, s20
	v_lshrrev_b32_e32 v3, 16, v3
.LBB119_120:
	s_andn2_saveexec_b64 s[18:19], s[18:19]
	s_cbranch_execz .LBB119_122
; %bb.121:
	flat_load_ushort v3, v[1:2]
	s_movk_i32 s20, 0x7fff
	s_waitcnt vmcnt(0) lgkmcnt(0)
	v_cvt_f32_u32_e32 v3, v3
	v_bfe_u32 v4, v3, 16, 1
	v_add3_u32 v3, v3, v4, s20
	v_lshrrev_b32_e32 v3, 16, v3
.LBB119_122:
	s_or_b64 exec, exec, s[18:19]
.LBB119_123:
	s_andn2_saveexec_b64 s[16:17], s[16:17]
	s_cbranch_execz .LBB119_129
; %bb.124:
	flat_load_ubyte v3, v[1:2]
	s_movk_i32 s18, 0x7f
	s_waitcnt vmcnt(0) lgkmcnt(0)
	v_cmp_lt_i16_e32 vcc, s18, v3
	s_mov_b64 s[18:19], 0
	s_and_saveexec_b64 s[20:21], vcc
	s_xor_b64 s[20:21], exec, s[20:21]
	s_cbranch_execnz .LBB119_162
; %bb.125:
	s_or_saveexec_b64 s[20:21], s[20:21]
	v_mov_b32_e32 v4, 0x7f800001
	s_xor_b64 exec, exec, s[20:21]
	s_cbranch_execnz .LBB119_165
.LBB119_126:
	s_or_b64 exec, exec, s[20:21]
	s_and_saveexec_b64 s[20:21], s[18:19]
	s_cbranch_execz .LBB119_128
.LBB119_127:
	v_lshlrev_b32_e32 v4, 24, v3
	v_and_b32_e32 v3, 0xffff, v3
	v_and_b32_e32 v5, 7, v3
	v_ffbh_u32_e32 v7, v5
	v_min_u32_e32 v7, 32, v7
	v_subrev_u32_e32 v8, 28, v7
	v_bfe_u32 v6, v3, 3, 4
	v_lshlrev_b32_e32 v3, v8, v3
	v_sub_u32_e32 v7, 29, v7
	v_and_b32_e32 v3, 7, v3
	v_cmp_eq_u32_e32 vcc, 0, v6
	v_cndmask_b32_e32 v6, v6, v7, vcc
	v_cndmask_b32_e32 v3, v5, v3, vcc
	v_mov_b32_e32 v5, 0x3b800000
	v_lshlrev_b32_e32 v3, 20, v3
	v_and_b32_e32 v4, 0x80000000, v4
	v_lshl_add_u32 v5, v6, 23, v5
	v_or3_b32 v4, v4, v5, v3
.LBB119_128:
	s_or_b64 exec, exec, s[20:21]
	v_bfe_u32 v3, v4, 16, 1
	s_movk_i32 s18, 0x7fff
	v_add3_u32 v3, v4, v3, s18
	v_cmp_o_f32_e32 vcc, v4, v4
	v_mov_b32_e32 v4, 0x7fc0
	v_cndmask_b32_sdwa v3, v4, v3, vcc dst_sel:DWORD dst_unused:UNUSED_PAD src0_sel:DWORD src1_sel:WORD_1
.LBB119_129:
	s_or_b64 exec, exec, s[16:17]
	s_or_b64 s[14:15], s[14:15], exec
.LBB119_130:
	s_or_b64 exec, exec, s[8:9]
	s_and_b64 s[8:9], s[14:15], exec
	s_and_b64 s[12:13], s[12:13], exec
                                        ; implicit-def: $vgpr5
	s_andn2_saveexec_b64 s[10:11], s[10:11]
	s_cbranch_execz .LBB119_6
.LBB119_131:
	s_waitcnt vmcnt(0) lgkmcnt(0)
	v_mov_b32_e32 v3, 22
	v_cmp_gt_i16_sdwa s[6:7], v5, v3 src0_sel:BYTE_0 src1_sel:DWORD
	s_mov_b64 s[14:15], s[8:9]
                                        ; implicit-def: $vgpr3
	s_and_saveexec_b64 s[16:17], s[6:7]
	s_xor_b64 s[6:7], exec, s[16:17]
	s_cbranch_execz .LBB119_145
; %bb.132:
	v_mov_b32_e32 v3, 23
	v_cmp_gt_i16_sdwa s[14:15], v5, v3 src0_sel:BYTE_0 src1_sel:DWORD
                                        ; implicit-def: $vgpr3
	s_and_saveexec_b64 s[16:17], s[14:15]
	s_xor_b64 s[14:15], exec, s[16:17]
	s_cbranch_execz .LBB119_142
; %bb.133:
	v_mov_b32_e32 v3, 24
	v_cmp_gt_i16_sdwa s[16:17], v5, v3 src0_sel:BYTE_0 src1_sel:DWORD
                                        ; implicit-def: $vgpr3
	s_and_saveexec_b64 s[18:19], s[16:17]
	s_xor_b64 s[16:17], exec, s[18:19]
	s_cbranch_execz .LBB119_139
; %bb.134:
	flat_load_ubyte v3, v[1:2]
	s_movk_i32 s18, 0x7f
	s_waitcnt vmcnt(0) lgkmcnt(0)
	v_cmp_lt_i16_e32 vcc, s18, v3
	s_mov_b64 s[18:19], 0
	s_and_saveexec_b64 s[20:21], vcc
	s_xor_b64 s[20:21], exec, s[20:21]
	s_cbranch_execnz .LBB119_177
; %bb.135:
	s_or_saveexec_b64 s[20:21], s[20:21]
	v_mov_b32_e32 v4, 0x7f800001
	s_xor_b64 exec, exec, s[20:21]
	s_cbranch_execnz .LBB119_180
.LBB119_136:
	s_or_b64 exec, exec, s[20:21]
	s_and_saveexec_b64 s[20:21], s[18:19]
	s_cbranch_execz .LBB119_138
.LBB119_137:
	v_lshlrev_b32_e32 v4, 24, v3
	v_and_b32_e32 v3, 0xffff, v3
	v_and_b32_e32 v5, 3, v3
	v_ffbh_u32_e32 v7, v5
	v_min_u32_e32 v7, 32, v7
	v_subrev_u32_e32 v8, 29, v7
	v_bfe_u32 v6, v3, 2, 5
	v_lshlrev_b32_e32 v3, v8, v3
	v_sub_u32_e32 v7, 30, v7
	v_and_b32_e32 v3, 3, v3
	v_cmp_eq_u32_e32 vcc, 0, v6
	v_cndmask_b32_e32 v6, v6, v7, vcc
	v_cndmask_b32_e32 v3, v5, v3, vcc
	v_mov_b32_e32 v5, 0x37800000
	v_lshlrev_b32_e32 v3, 21, v3
	v_and_b32_e32 v4, 0x80000000, v4
	v_lshl_add_u32 v5, v6, 23, v5
	v_or3_b32 v4, v4, v5, v3
.LBB119_138:
	s_or_b64 exec, exec, s[20:21]
	v_bfe_u32 v3, v4, 16, 1
	s_movk_i32 s18, 0x7fff
	v_add3_u32 v3, v4, v3, s18
	v_cmp_o_f32_e32 vcc, v4, v4
	v_mov_b32_e32 v4, 0x7fc0
	v_cndmask_b32_sdwa v3, v4, v3, vcc dst_sel:DWORD dst_unused:UNUSED_PAD src0_sel:DWORD src1_sel:WORD_1
.LBB119_139:
	s_andn2_saveexec_b64 s[16:17], s[16:17]
	s_cbranch_execz .LBB119_141
; %bb.140:
	flat_load_ubyte v3, v[1:2]
	s_mov_b32 s18, 0x7f800000
	s_brev_b32 s19, 1
	s_movk_i32 s20, 0x7fff
	s_waitcnt vmcnt(0) lgkmcnt(0)
	v_lshlrev_b32_e32 v3, 24, v3
	v_and_b32_e32 v4, 0x7f000000, v3
	v_ffbh_u32_e32 v5, v4
	v_min_u32_e32 v5, 32, v5
	v_sub_u32_e64 v5, v5, 4 clamp
	v_lshlrev_b32_e32 v7, v5, v4
	v_lshlrev_b32_e32 v5, 23, v5
	v_lshrrev_b32_e32 v7, 4, v7
	v_add_u32_e32 v6, 0x1000000, v4
	v_sub_u32_e32 v5, v7, v5
	v_ashrrev_i32_e32 v6, 8, v6
	v_add_u32_e32 v5, 0x3c000000, v5
	v_and_or_b32 v5, v6, s18, v5
	v_cmp_ne_u32_e32 vcc, 0, v4
	v_cndmask_b32_e32 v4, 0, v5, vcc
	v_and_or_b32 v3, v3, s19, v4
	v_bfe_u32 v4, v4, 16, 1
	v_add3_u32 v4, v3, v4, s20
	v_cmp_o_f32_e32 vcc, v3, v3
	v_mov_b32_e32 v3, 0x7fc0
	v_cndmask_b32_sdwa v3, v3, v4, vcc dst_sel:DWORD dst_unused:UNUSED_PAD src0_sel:DWORD src1_sel:WORD_1
.LBB119_141:
	s_or_b64 exec, exec, s[16:17]
.LBB119_142:
	s_andn2_saveexec_b64 s[14:15], s[14:15]
	s_cbranch_execz .LBB119_144
; %bb.143:
	flat_load_ubyte v3, v[1:2]
	s_movk_i32 s16, 0x7f00
	s_brev_b32 s17, 16
	s_brev_b32 s18, 1
	s_movk_i32 s19, 0x7fff
	s_waitcnt vmcnt(0) lgkmcnt(0)
	v_lshlrev_b16_e32 v4, 8, v3
	v_lshlrev_b32_e32 v3, 25, v3
	v_lshrrev_b32_e32 v5, 4, v3
	v_and_or_b32 v6, v4, s16, 0.5
	v_or_b32_e32 v5, 0x70000000, v5
	v_add_f32_e32 v6, -0.5, v6
	v_mul_f32_e32 v5, 0x7800000, v5
	v_cmp_gt_u32_e32 vcc, s17, v3
	v_bfe_i32 v4, v4, 0, 16
	v_cndmask_b32_e32 v3, v5, v6, vcc
	v_and_or_b32 v4, v4, s18, v3
	v_bfe_u32 v3, v3, 16, 1
	v_add3_u32 v3, v4, v3, s19
	v_cmp_o_f32_e32 vcc, v4, v4
	v_mov_b32_e32 v4, 0x7fc0
	v_cndmask_b32_sdwa v3, v4, v3, vcc dst_sel:DWORD dst_unused:UNUSED_PAD src0_sel:DWORD src1_sel:WORD_1
.LBB119_144:
	s_or_b64 exec, exec, s[14:15]
	s_or_b64 s[14:15], s[8:9], exec
                                        ; implicit-def: $vgpr5
.LBB119_145:
	s_or_saveexec_b64 s[6:7], s[6:7]
	s_mov_b64 s[18:19], 0
	s_mov_b64 s[16:17], s[12:13]
	s_xor_b64 exec, exec, s[6:7]
	s_cbranch_execz .LBB119_153
; %bb.146:
	v_mov_b32_e32 v3, 14
	v_cmp_gt_i16_sdwa s[20:21], v5, v3 src0_sel:BYTE_0 src1_sel:DWORD
	s_mov_b64 s[16:17], s[12:13]
	s_mov_b64 s[18:19], s[14:15]
                                        ; implicit-def: $vgpr3
	s_and_saveexec_b64 s[22:23], s[20:21]
	s_xor_b64 s[20:21], exec, s[22:23]
	s_cbranch_execz .LBB119_150
; %bb.147:
	v_mov_b32_e32 v3, 15
	v_cmp_eq_u16_sdwa s[24:25], v5, v3 src0_sel:BYTE_0 src1_sel:DWORD
	s_mov_b64 s[16:17], -1
	s_mov_b64 s[18:19], s[14:15]
                                        ; implicit-def: $vgpr3
	s_and_saveexec_b64 s[22:23], s[24:25]
	s_cbranch_execz .LBB119_149
; %bb.148:
	flat_load_ushort v3, v[1:2]
	s_or_b64 s[18:19], s[14:15], exec
	s_xor_b64 s[16:17], exec, -1
.LBB119_149:
	s_or_b64 exec, exec, s[22:23]
	s_andn2_b64 s[22:23], s[14:15], exec
	s_and_b64 s[18:19], s[18:19], exec
	s_or_b64 s[18:19], s[22:23], s[18:19]
	s_andn2_b64 s[22:23], s[12:13], exec
	s_and_b64 s[16:17], s[16:17], exec
	s_or_b64 s[16:17], s[22:23], s[16:17]
                                        ; implicit-def: $vgpr5
.LBB119_150:
	s_or_saveexec_b64 s[20:21], s[20:21]
	s_mov_b64 s[22:23], 0
	s_xor_b64 exec, exec, s[20:21]
; %bb.151:
	v_mov_b32_e32 v4, 11
	v_cmp_ne_u16_sdwa s[24:25], v5, v4 src0_sel:BYTE_0 src1_sel:DWORD
	s_andn2_b64 s[16:17], s[16:17], exec
	s_and_b64 s[24:25], s[24:25], exec
	s_mov_b64 s[22:23], exec
	s_or_b64 s[16:17], s[16:17], s[24:25]
; %bb.152:
	s_or_b64 exec, exec, s[20:21]
	s_andn2_b64 s[14:15], s[14:15], exec
	s_and_b64 s[18:19], s[18:19], exec
	s_andn2_b64 s[20:21], s[12:13], exec
	s_and_b64 s[16:17], s[16:17], exec
	s_or_b64 s[14:15], s[14:15], s[18:19]
	s_and_b64 s[18:19], s[22:23], exec
	s_or_b64 s[16:17], s[20:21], s[16:17]
.LBB119_153:
	s_or_b64 exec, exec, s[6:7]
	s_andn2_b64 s[6:7], s[8:9], exec
	s_and_b64 s[8:9], s[14:15], exec
	s_andn2_b64 s[12:13], s[12:13], exec
	s_and_b64 s[14:15], s[16:17], exec
	s_or_b64 s[8:9], s[6:7], s[8:9]
	s_and_b64 s[6:7], s[18:19], exec
	s_or_b64 s[12:13], s[12:13], s[14:15]
	s_or_b64 exec, exec, s[10:11]
	s_and_saveexec_b64 s[10:11], s[12:13]
	s_cbranch_execz .LBB119_7
.LBB119_154:
	s_trap 2
	; divergent unreachable
	s_andn2_b64 s[6:7], s[6:7], exec
	s_or_b64 exec, exec, s[10:11]
	s_and_saveexec_b64 s[10:11], s[6:7]
	s_xor_b64 s[6:7], exec, s[10:11]
	s_cbranch_execnz .LBB119_8
	s_branch .LBB119_9
.LBB119_155:
	s_or_b64 exec, exec, s[20:21]
	s_xor_b64 s[6:7], s[22:23], -1
                                        ; implicit-def: $vgpr8
	s_and_saveexec_b64 s[8:9], s[6:7]
	s_xor_b64 s[6:7], exec, s[8:9]
	s_cbranch_execz .LBB119_171
; %bb.156:
	v_mul_f32_e32 v7, v3, v12
	v_add_f32_e32 v10, -1.0, v5
	v_div_scale_f32 v8, s[8:9], v10, v10, v7
	v_div_scale_f32 v9, vcc, v7, v10, v7
	s_mov_b64 s[8:9], 0
	s_mov_b32 s45, 0x25000000
	s_mov_b64 s[24:25], 0
                                        ; implicit-def: $sgpr10_sgpr11
                                        ; implicit-def: $sgpr20_sgpr21
                                        ; implicit-def: $sgpr22_sgpr23
	v_rcp_f32_e32 v11, v8
	v_fma_f32 v13, -v8, v11, 1.0
	v_fmac_f32_e32 v11, v13, v11
	v_mul_f32_e32 v13, v9, v11
	v_fma_f32 v14, -v8, v13, v9
	v_fmac_f32_e32 v13, v14, v11
	v_fma_f32 v8, -v8, v13, v9
	v_div_fmas_f32 v11, v8, v11, v13
	v_mov_b32_e32 v9, 1.0
	v_mov_b32_e32 v8, 0
	v_div_fixup_f32 v7, v11, v10, v7
	v_add_f32_e32 v7, v6, v7
	v_fmac_f32_e32 v7, -0.5, v12
	s_branch .LBB119_159
.LBB119_157:                            ;   in Loop: Header=BB119_159 Depth=1
	s_or_b64 exec, exec, s[28:29]
	s_andn2_b64 s[22:23], s[22:23], exec
	s_and_b64 s[28:29], s[42:43], exec
	s_or_b64 s[22:23], s[22:23], s[28:29]
	s_andn2_b64 s[20:21], s[20:21], exec
	s_and_b64 s[28:29], s[40:41], exec
	s_or_b64 s[20:21], s[20:21], s[28:29]
.LBB119_158:                            ;   in Loop: Header=BB119_159 Depth=1
	s_or_b64 exec, exec, s[26:27]
	s_and_b64 s[26:27], exec, s[20:21]
	s_or_b64 s[8:9], s[26:27], s[8:9]
	s_andn2_b64 s[10:11], s[10:11], exec
	s_and_b64 s[26:27], s[22:23], exec
	s_or_b64 s[10:11], s[10:11], s[26:27]
	s_andn2_b64 exec, exec, s[8:9]
	s_cbranch_execz .LBB119_166
.LBB119_159:                            ; =>This Inner Loop Header: Depth=1
	v_div_scale_f32 v10, s[26:27], v3, v3, v12
	v_div_scale_f32 v11, vcc, v12, v3, v12
	s_getpc_b64 s[26:27]
	s_add_u32 s26, s26, _ZZ4zetaIN3c108BFloat16ELb1EET_S2_S2_E1A@rel32@lo+4
	s_addc_u32 s27, s27, _ZZ4zetaIN3c108BFloat16ELb1EET_S2_S2_E1A@rel32@hi+12
	s_add_u32 s26, s26, s24
	s_addc_u32 s27, s27, s25
	s_load_dword s28, s[26:27], 0x0
	s_or_b64 s[22:23], s[22:23], exec
	s_or_b64 s[20:21], s[20:21], exec
	v_rcp_f32_e32 v13, v10
	v_fma_f32 v14, -v10, v13, 1.0
	v_fmac_f32_e32 v13, v14, v13
	v_mul_f32_e32 v14, v11, v13
	v_fma_f32 v15, -v10, v14, v11
	v_fmac_f32_e32 v14, v15, v13
	v_fma_f32 v10, -v10, v14, v11
	v_div_fmas_f32 v11, v10, v13, v14
	v_add_f32_e32 v10, v8, v5
	v_mul_f32_e32 v10, v9, v10
	v_div_fixup_f32 v11, v11, v3, v12
	v_mul_f32_e32 v9, v11, v10
	s_waitcnt lgkmcnt(0)
	v_div_scale_f32 v12, s[26:27], s28, s28, v9
	v_div_scale_f32 v13, vcc, v9, s28, v9
	v_rcp_f32_e32 v14, v12
	v_fma_f32 v15, -v12, v14, 1.0
	v_fmac_f32_e32 v14, v15, v14
	v_mul_f32_e32 v15, v13, v14
	v_fma_f32 v16, -v12, v15, v13
	v_fmac_f32_e32 v15, v16, v14
	v_fma_f32 v12, -v12, v15, v13
	v_div_fmas_f32 v12, v12, v14, v15
	v_div_fixup_f32 v9, v12, s28, v9
	v_add_f32_e32 v7, v7, v9
	v_div_scale_f32 v12, s[26:27], v7, v7, v9
	v_div_scale_f32 v13, vcc, v9, v7, v9
	v_rcp_f32_e32 v14, v12
	v_fma_f32 v15, -v12, v14, 1.0
	v_fmac_f32_e32 v14, v15, v14
	v_mul_f32_e32 v15, v13, v14
	v_fma_f32 v16, -v12, v15, v13
	v_fmac_f32_e32 v15, v16, v14
	v_fma_f32 v12, -v12, v15, v13
	v_div_fmas_f32 v12, v12, v14, v15
	v_div_fixup_f32 v9, v12, v7, v9
	v_cmp_nlt_f32_e64 s[28:29], |v9|, s45
                                        ; implicit-def: $vgpr12
                                        ; implicit-def: $vgpr9
	s_and_saveexec_b64 s[26:27], s[28:29]
	s_cbranch_execz .LBB119_158
; %bb.160:                              ;   in Loop: Header=BB119_159 Depth=1
	v_div_scale_f32 v9, s[28:29], v3, v3, v11
	v_div_scale_f32 v12, vcc, v11, v3, v11
	v_add_f32_e32 v8, 1.0, v8
	s_mov_b64 s[42:43], -1
	v_rcp_f32_e32 v13, v9
	v_fma_f32 v14, -v9, v13, 1.0
	v_fmac_f32_e32 v13, v14, v13
	v_mul_f32_e32 v14, v12, v13
	v_fma_f32 v15, -v9, v14, v12
	v_fmac_f32_e32 v14, v15, v13
	v_fma_f32 v9, -v9, v14, v12
	v_div_fmas_f32 v9, v9, v13, v14
	v_div_fixup_f32 v9, v9, v3, v11
	v_div_scale_f32 v11, s[28:29], v3, v3, v9
	v_div_scale_f32 v12, vcc, v9, v3, v9
	s_getpc_b64 s[28:29]
	s_add_u32 s28, s28, _ZZ4zetaIN3c108BFloat16ELb1EET_S2_S2_E1A@rel32@lo+8
	s_addc_u32 s29, s29, _ZZ4zetaIN3c108BFloat16ELb1EET_S2_S2_E1A@rel32@hi+16
	s_add_u32 s28, s28, s24
	s_addc_u32 s29, s29, s25
	s_load_dword s40, s[28:29], 0x0
	v_rcp_f32_e32 v13, v11
	v_fma_f32 v14, -v11, v13, 1.0
	v_fmac_f32_e32 v13, v14, v13
	v_mul_f32_e32 v14, v12, v13
	v_fma_f32 v15, -v11, v14, v12
	v_fmac_f32_e32 v14, v15, v13
	v_fma_f32 v11, -v11, v14, v12
	v_div_fmas_f32 v12, v11, v13, v14
	v_add_f32_e32 v13, v8, v5
	v_add_f32_e32 v11, 1.0, v8
	v_mul_f32_e32 v8, v13, v10
	v_add_f32_e32 v10, v11, v5
	v_mul_f32_e32 v13, v8, v10
	v_div_fixup_f32 v10, v12, v3, v9
	v_mul_f32_e32 v8, v10, v13
	s_waitcnt lgkmcnt(0)
	v_div_scale_f32 v9, s[28:29], s40, s40, v8
	v_div_scale_f32 v12, vcc, v8, s40, v8
	v_rcp_f32_e32 v14, v9
	v_fma_f32 v15, -v9, v14, 1.0
	v_fmac_f32_e32 v14, v15, v14
	v_mul_f32_e32 v15, v12, v14
	v_fma_f32 v16, -v9, v15, v12
	v_fmac_f32_e32 v15, v16, v14
	v_fma_f32 v9, -v9, v15, v12
	v_div_fmas_f32 v9, v9, v14, v15
	v_div_fixup_f32 v8, v9, s40, v8
	v_add_f32_e32 v7, v7, v8
	v_div_scale_f32 v9, s[28:29], v7, v7, v8
	v_div_scale_f32 v12, vcc, v8, v7, v8
	s_mov_b64 s[40:41], -1
	v_rcp_f32_e32 v14, v9
	v_fma_f32 v15, -v9, v14, 1.0
	v_fmac_f32_e32 v14, v15, v14
	v_mul_f32_e32 v15, v12, v14
	v_fma_f32 v16, -v9, v15, v12
	v_fmac_f32_e32 v15, v16, v14
	v_fma_f32 v9, -v9, v15, v12
	v_div_fmas_f32 v9, v9, v14, v15
                                        ; implicit-def: $vgpr12
	v_div_fixup_f32 v8, v9, v7, v8
	v_cmp_nlt_f32_e64 s[46:47], |v8|, s45
                                        ; implicit-def: $vgpr8
                                        ; implicit-def: $vgpr9
	s_and_saveexec_b64 s[28:29], s[46:47]
	s_cbranch_execz .LBB119_157
; %bb.161:                              ;   in Loop: Header=BB119_159 Depth=1
	v_div_scale_f32 v8, s[40:41], v3, v3, v10
	v_div_scale_f32 v9, vcc, v10, v3, v10
	s_add_u32 s24, s24, 8
	s_addc_u32 s25, s25, 0
	s_cmp_eq_u32 s24, 48
	s_cselect_b64 s[40:41], -1, 0
	s_xor_b64 s[42:43], exec, -1
	s_orn2_b64 s[40:41], s[40:41], exec
	v_rcp_f32_e32 v12, v8
	v_fma_f32 v14, -v8, v12, 1.0
	v_fmac_f32_e32 v12, v14, v12
	v_mul_f32_e32 v14, v9, v12
	v_fma_f32 v15, -v8, v14, v9
	v_fmac_f32_e32 v14, v15, v12
	v_fma_f32 v8, -v8, v14, v9
	v_div_fmas_f32 v12, v8, v12, v14
	v_add_f32_e32 v8, 1.0, v11
	v_add_f32_e32 v9, v8, v5
	v_add_f32_e32 v8, 1.0, v8
	v_mul_f32_e32 v9, v9, v13
	v_div_fixup_f32 v12, v12, v3, v10
	s_branch .LBB119_157
.LBB119_162:
	s_movk_i32 s18, 0x80
	v_cmp_eq_u16_e32 vcc, s18, v3
	s_mov_b64 s[18:19], -1
	s_and_saveexec_b64 s[22:23], vcc
; %bb.163:
	s_xor_b64 s[18:19], exec, -1
; %bb.164:
	s_or_b64 exec, exec, s[22:23]
	s_and_b64 s[18:19], s[18:19], exec
	s_or_saveexec_b64 s[20:21], s[20:21]
	v_mov_b32_e32 v4, 0x7f800001
	s_xor_b64 exec, exec, s[20:21]
	s_cbranch_execz .LBB119_126
.LBB119_165:
	v_cmp_ne_u16_e32 vcc, 0, v3
	s_andn2_b64 s[18:19], s[18:19], exec
	s_and_b64 s[22:23], vcc, exec
	v_mov_b32_e32 v4, 0
	s_or_b64 s[18:19], s[18:19], s[22:23]
	s_or_b64 exec, exec, s[20:21]
	s_and_saveexec_b64 s[20:21], s[18:19]
	s_cbranch_execnz .LBB119_127
	s_branch .LBB119_128
.LBB119_166:
	s_or_b64 exec, exec, s[8:9]
	s_xor_b64 s[8:9], s[10:11], -1
                                        ; implicit-def: $vgpr8
	s_and_saveexec_b64 s[10:11], s[8:9]
	s_xor_b64 s[8:9], exec, s[10:11]
; %bb.167:
	v_bfe_u32 v3, v7, 16, 1
	s_movk_i32 s10, 0x7fff
	v_add3_u32 v3, v7, v3, s10
	v_and_b32_e32 v3, 0xffff0000, v3
	v_mov_b32_e32 v5, 0x7fc00000
	v_cmp_o_f32_e32 vcc, v7, v7
	v_cndmask_b32_e32 v8, v5, v3, vcc
; %bb.168:
	s_andn2_saveexec_b64 s[8:9], s[8:9]
; %bb.169:
	v_bfe_u32 v3, v7, 16, 1
	s_movk_i32 s10, 0x7fff
	v_add3_u32 v3, v7, v3, s10
	v_and_b32_e32 v3, 0xffff0000, v3
	v_mov_b32_e32 v5, 0x7fc00000
	v_cmp_o_f32_e32 vcc, v7, v7
	v_cndmask_b32_e32 v8, v5, v3, vcc
; %bb.170:
	s_or_b64 exec, exec, s[8:9]
.LBB119_171:
	s_andn2_saveexec_b64 s[6:7], s[6:7]
; %bb.172:
	v_bfe_u32 v3, v6, 16, 1
	s_movk_i32 s8, 0x7fff
	v_add3_u32 v3, v6, v3, s8
	v_and_b32_e32 v3, 0xffff0000, v3
	v_mov_b32_e32 v5, 0x7fc00000
	v_cmp_o_f32_e32 vcc, v6, v6
	v_cndmask_b32_e32 v8, v5, v3, vcc
; %bb.173:
	s_or_b64 exec, exec, s[6:7]
.LBB119_174:
	s_or_b64 exec, exec, s[18:19]
.LBB119_175:
	s_or_b64 exec, exec, s[16:17]
.LBB119_176:
	s_or_b64 exec, exec, s[14:15]
	s_mov_b32 s6, 0x4b000000
	v_cmp_lt_f32_e64 s[6:7], |v1|, s6
	s_waitcnt vmcnt(0) lgkmcnt(0)
	v_mov_b32_e32 v3, 0x264
	s_or_b64 vcc, s[4:5], s[6:7]
	v_cndmask_b32_e32 v2, v4, v2, vcc
	v_cmp_class_f32_e32 vcc, v1, v3
	v_cndmask_b32_e32 v2, v2, v4, vcc
	v_cmp_u_f32_e32 vcc, v1, v1
	v_cndmask_b32_e32 v1, v2, v1, vcc
	s_mov_b32 s4, 0x3fb8aa3b
	v_mul_f32_e32 v2, 0x3fb8aa3b, v1
	v_fma_f32 v3, v1, s4, -v2
	v_rndne_f32_e32 v5, v2
	v_fmac_f32_e32 v3, 0x32a5705f, v1
	v_sub_f32_e32 v2, v2, v5
	v_add_f32_e32 v2, v2, v3
	v_exp_f32_e32 v2, v2
	v_cvt_i32_f32_e32 v3, v5
	s_mov_b32 s4, 0xc2ce8ed0
	v_cmp_ngt_f32_e32 vcc, s4, v1
	s_mov_b32 s4, 0x42b17218
	v_ldexp_f32 v2, v2, v3
	v_cndmask_b32_e32 v2, 0, v2, vcc
	v_cmp_nlt_f32_e32 vcc, s4, v1
	v_and_b32_e32 v0, 1, v0
	v_cndmask_b32_e32 v1, v4, v2, vcc
	v_cmp_eq_u32_e32 vcc, 0, v0
	v_cndmask_b32_e64 v0, 1.0, -1.0, vcc
	v_mul_f32_e32 v0, v1, v0
	v_mul_f32_e32 v0, v0, v8
	v_bfe_u32 v1, v0, 16, 1
	v_add3_u32 v1, v0, v1, s44
	v_cmp_o_f32_e32 vcc, v0, v0
	v_mov_b32_e32 v0, 0x7fc0
	v_cndmask_b32_sdwa v1, v0, v1, vcc dst_sel:DWORD dst_unused:UNUSED_PAD src0_sel:DWORD src1_sel:WORD_1
	s_or_b64 exec, exec, s[12:13]
	v_mov_b32_e32 v0, v1
	s_setpc_b64 s[30:31]
.LBB119_177:
	s_movk_i32 s18, 0x80
	v_cmp_eq_u16_e32 vcc, s18, v3
	s_mov_b64 s[18:19], -1
	s_and_saveexec_b64 s[22:23], vcc
; %bb.178:
	s_xor_b64 s[18:19], exec, -1
; %bb.179:
	s_or_b64 exec, exec, s[22:23]
	s_and_b64 s[18:19], s[18:19], exec
	s_or_saveexec_b64 s[20:21], s[20:21]
	v_mov_b32_e32 v4, 0x7f800001
	s_xor_b64 exec, exec, s[20:21]
	s_cbranch_execz .LBB119_136
.LBB119_180:
	v_cmp_ne_u16_e32 vcc, 0, v3
	s_andn2_b64 s[18:19], s[18:19], exec
	s_and_b64 s[22:23], vcc, exec
	v_mov_b32_e32 v4, 0
	s_or_b64 s[18:19], s[18:19], s[22:23]
	s_or_b64 exec, exec, s[20:21]
	s_and_saveexec_b64 s[20:21], s[18:19]
	s_cbranch_execnz .LBB119_137
	s_branch .LBB119_138
.Lfunc_end119:
	.size	_ZN2at6native6invokeIZZZNS0_21polygamma_kernel_cudaERNS_18TensorIteratorBaseElENKUlvE_clEvENKUlvE2_clEvEUlN3c108BFloat16EE_i15function_traitsIS8_EEENT1_11result_typeERKT_PrKPcPKT0_PKNS6_10ScalarTypeEi, .Lfunc_end119-_ZN2at6native6invokeIZZZNS0_21polygamma_kernel_cudaERNS_18TensorIteratorBaseElENKUlvE_clEvENKUlvE2_clEvEUlN3c108BFloat16EE_i15function_traitsIS8_EEENT1_11result_typeERKT_PrKPcPKT0_PKNS6_10ScalarTypeEi
                                        ; -- End function
	.set .L_ZN2at6native6invokeIZZZNS0_21polygamma_kernel_cudaERNS_18TensorIteratorBaseElENKUlvE_clEvENKUlvE2_clEvEUlN3c108BFloat16EE_i15function_traitsIS8_EEENT1_11result_typeERKT_PrKPcPKT0_PKNS6_10ScalarTypeEi.num_vgpr, 22
	.set .L_ZN2at6native6invokeIZZZNS0_21polygamma_kernel_cudaERNS_18TensorIteratorBaseElENKUlvE_clEvENKUlvE2_clEvEUlN3c108BFloat16EE_i15function_traitsIS8_EEENT1_11result_typeERKT_PrKPcPKT0_PKNS6_10ScalarTypeEi.num_agpr, 0
	.set .L_ZN2at6native6invokeIZZZNS0_21polygamma_kernel_cudaERNS_18TensorIteratorBaseElENKUlvE_clEvENKUlvE2_clEvEUlN3c108BFloat16EE_i15function_traitsIS8_EEENT1_11result_typeERKT_PrKPcPKT0_PKNS6_10ScalarTypeEi.numbered_sgpr, 58
	.set .L_ZN2at6native6invokeIZZZNS0_21polygamma_kernel_cudaERNS_18TensorIteratorBaseElENKUlvE_clEvENKUlvE2_clEvEUlN3c108BFloat16EE_i15function_traitsIS8_EEENT1_11result_typeERKT_PrKPcPKT0_PKNS6_10ScalarTypeEi.num_named_barrier, 0
	.set .L_ZN2at6native6invokeIZZZNS0_21polygamma_kernel_cudaERNS_18TensorIteratorBaseElENKUlvE_clEvENKUlvE2_clEvEUlN3c108BFloat16EE_i15function_traitsIS8_EEENT1_11result_typeERKT_PrKPcPKT0_PKNS6_10ScalarTypeEi.private_seg_size, 0
	.set .L_ZN2at6native6invokeIZZZNS0_21polygamma_kernel_cudaERNS_18TensorIteratorBaseElENKUlvE_clEvENKUlvE2_clEvEUlN3c108BFloat16EE_i15function_traitsIS8_EEENT1_11result_typeERKT_PrKPcPKT0_PKNS6_10ScalarTypeEi.uses_vcc, 1
	.set .L_ZN2at6native6invokeIZZZNS0_21polygamma_kernel_cudaERNS_18TensorIteratorBaseElENKUlvE_clEvENKUlvE2_clEvEUlN3c108BFloat16EE_i15function_traitsIS8_EEENT1_11result_typeERKT_PrKPcPKT0_PKNS6_10ScalarTypeEi.uses_flat_scratch, 0
	.set .L_ZN2at6native6invokeIZZZNS0_21polygamma_kernel_cudaERNS_18TensorIteratorBaseElENKUlvE_clEvENKUlvE2_clEvEUlN3c108BFloat16EE_i15function_traitsIS8_EEENT1_11result_typeERKT_PrKPcPKT0_PKNS6_10ScalarTypeEi.has_dyn_sized_stack, 0
	.set .L_ZN2at6native6invokeIZZZNS0_21polygamma_kernel_cudaERNS_18TensorIteratorBaseElENKUlvE_clEvENKUlvE2_clEvEUlN3c108BFloat16EE_i15function_traitsIS8_EEENT1_11result_typeERKT_PrKPcPKT0_PKNS6_10ScalarTypeEi.has_recursion, 0
	.set .L_ZN2at6native6invokeIZZZNS0_21polygamma_kernel_cudaERNS_18TensorIteratorBaseElENKUlvE_clEvENKUlvE2_clEvEUlN3c108BFloat16EE_i15function_traitsIS8_EEENT1_11result_typeERKT_PrKPcPKT0_PKNS6_10ScalarTypeEi.has_indirect_call, 0
	.section	.AMDGPU.csdata,"",@progbits
; Function info:
; codeLenInByte = 9148
; TotalNumSgprs: 62
; NumVgprs: 22
; ScratchSize: 0
; MemoryBound: 0
	.section	.text._ZN2at6native32elementwise_kernel_manual_unrollILi128ELi4EZNS0_15gpu_kernel_implIZZZNS0_21polygamma_kernel_cudaERNS_18TensorIteratorBaseElENKUlvE_clEvENKUlvE2_clEvEUlN3c108BFloat16EE_EEvS4_RKT_EUlibE_EEviT1_,"axG",@progbits,_ZN2at6native32elementwise_kernel_manual_unrollILi128ELi4EZNS0_15gpu_kernel_implIZZZNS0_21polygamma_kernel_cudaERNS_18TensorIteratorBaseElENKUlvE_clEvENKUlvE2_clEvEUlN3c108BFloat16EE_EEvS4_RKT_EUlibE_EEviT1_,comdat
	.globl	_ZN2at6native32elementwise_kernel_manual_unrollILi128ELi4EZNS0_15gpu_kernel_implIZZZNS0_21polygamma_kernel_cudaERNS_18TensorIteratorBaseElENKUlvE_clEvENKUlvE2_clEvEUlN3c108BFloat16EE_EEvS4_RKT_EUlibE_EEviT1_ ; -- Begin function _ZN2at6native32elementwise_kernel_manual_unrollILi128ELi4EZNS0_15gpu_kernel_implIZZZNS0_21polygamma_kernel_cudaERNS_18TensorIteratorBaseElENKUlvE_clEvENKUlvE2_clEvEUlN3c108BFloat16EE_EEvS4_RKT_EUlibE_EEviT1_
	.p2align	8
	.type	_ZN2at6native32elementwise_kernel_manual_unrollILi128ELi4EZNS0_15gpu_kernel_implIZZZNS0_21polygamma_kernel_cudaERNS_18TensorIteratorBaseElENKUlvE_clEvENKUlvE2_clEvEUlN3c108BFloat16EE_EEvS4_RKT_EUlibE_EEviT1_,@function
_ZN2at6native32elementwise_kernel_manual_unrollILi128ELi4EZNS0_15gpu_kernel_implIZZZNS0_21polygamma_kernel_cudaERNS_18TensorIteratorBaseElENKUlvE_clEvENKUlvE2_clEvEUlN3c108BFloat16EE_EEvS4_RKT_EUlibE_EEviT1_: ; @_ZN2at6native32elementwise_kernel_manual_unrollILi128ELi4EZNS0_15gpu_kernel_implIZZZNS0_21polygamma_kernel_cudaERNS_18TensorIteratorBaseElENKUlvE_clEvENKUlvE2_clEvEUlN3c108BFloat16EE_EEvS4_RKT_EUlibE_EEviT1_
; %bb.0:
	s_load_dword s33, s[4:5], 0x28
	s_load_dword s68, s[4:5], 0x0
	s_load_dwordx8 s[48:55], s[4:5], 0x8
	v_lshl_or_b32 v22, s6, 9, v0
	s_add_u32 s0, s0, s7
	v_or_b32_e32 v26, 0x180, v22
	s_addc_u32 s1, s1, 0
	s_waitcnt lgkmcnt(0)
	s_bfe_u32 s70, s33, 0x80008
	v_cmp_le_i32_e32 vcc, s68, v26
	s_mov_b64 s[34:35], 0
	s_mov_b64 s[38:39], 0
	s_mov_b32 s32, 0
	s_and_saveexec_b64 s[4:5], vcc
	s_xor_b64 s[36:37], exec, s[4:5]
	s_cbranch_execz .LBB120_508
; %bb.1:
	v_cmp_gt_i32_e32 vcc, s68, v22
	s_mov_b64 s[4:5], -1
	s_mov_b64 s[62:63], 0
	s_and_saveexec_b64 s[58:59], vcc
	s_cbranch_execz .LBB120_124
; %bb.2:
	s_getpc_b64 s[4:5]
	s_add_u32 s4, s4, _ZN2at6native6invokeIZZZNS0_21polygamma_kernel_cudaERNS_18TensorIteratorBaseElENKUlvE_clEvENKUlvE2_clEvEUlN3c108BFloat16EE_i15function_traitsIS8_EEENT1_11result_typeERKT_PrKPcPKT0_PKNS6_10ScalarTypeEi@rel32@lo+4
	s_addc_u32 s5, s5, _ZN2at6native6invokeIZZZNS0_21polygamma_kernel_cudaERNS_18TensorIteratorBaseElENKUlvE_clEvENKUlvE2_clEvEUlN3c108BFloat16EE_i15function_traitsIS8_EEENT1_11result_typeERKT_PrKPcPKT0_PKNS6_10ScalarTypeEi@rel32@hi+12
	v_mov_b32_e32 v0, s54
	v_mov_b32_e32 v1, s55
	;; [unrolled: 1-line block ×7, first 2 shown]
	s_swappc_b64 s[30:31], s[4:5]
	v_mul_lo_u32 v1, v22, s52
	v_mov_b32_e32 v2, s49
	s_and_b32 s12, s33, 0xff
	s_cmp_lt_i32 s12, 11
	v_ashrrev_i32_e32 v3, 31, v1
	v_add_co_u32_e32 v1, vcc, s48, v1
	v_addc_co_u32_e32 v2, vcc, v2, v3, vcc
	s_cbranch_scc1 .LBB120_9
; %bb.3:
	s_and_b32 s13, 0xffff, s12
	s_cmp_gt_i32 s13, 25
	s_cbranch_scc0 .LBB120_12
; %bb.4:
	s_cmp_gt_i32 s13, 28
	s_cbranch_scc0 .LBB120_13
; %bb.5:
	;; [unrolled: 3-line block ×4, first 2 shown]
	s_mov_b64 s[8:9], 0
	s_mov_b64 s[4:5], -1
	s_cmp_eq_u32 s13, 46
	s_mov_b64 s[6:7], 0
	s_cbranch_scc0 .LBB120_16
; %bb.8:
	v_and_b32_e32 v3, 0xffff, v0
	global_store_dword v[1:2], v3, off
	s_mov_b64 s[6:7], -1
	s_mov_b64 s[4:5], 0
	s_branch .LBB120_16
.LBB120_9:
	s_mov_b64 s[4:5], 0
	s_mov_b64 s[6:7], 0
	s_cbranch_execnz .LBB120_84
.LBB120_10:
	s_andn2_b64 vcc, exec, s[6:7]
	s_cbranch_vccnz .LBB120_122
.LBB120_11:
	v_add_u32_e32 v22, 0x80, v22
	s_mov_b64 s[6:7], -1
	s_branch .LBB120_123
.LBB120_12:
	s_mov_b64 s[4:5], 0
	s_mov_b64 s[6:7], 0
	s_cbranch_execnz .LBB120_43
	s_branch .LBB120_83
.LBB120_13:
	s_mov_b64 s[8:9], -1
	s_mov_b64 s[4:5], 0
	s_mov_b64 s[6:7], 0
	s_branch .LBB120_26
.LBB120_14:
	s_mov_b64 s[8:9], -1
	s_mov_b64 s[4:5], 0
	s_mov_b64 s[6:7], 0
	s_branch .LBB120_22
.LBB120_15:
	s_mov_b64 s[8:9], -1
	s_mov_b64 s[4:5], 0
	s_mov_b64 s[6:7], 0
.LBB120_16:
	s_and_b64 vcc, exec, s[8:9]
	s_cbranch_vccz .LBB120_21
; %bb.17:
	s_cmp_eq_u32 s13, 44
	s_mov_b64 s[4:5], -1
	s_cbranch_scc0 .LBB120_21
; %bb.18:
	v_and_b32_e32 v4, 0xffff, v0
	v_bfe_u32 v3, v4, 7, 8
	s_movk_i32 s4, 0xff
	v_cmp_ne_u32_e32 vcc, s4, v3
	v_mov_b32_e32 v5, 0xff
	s_and_saveexec_b64 s[6:7], vcc
	s_cbranch_execz .LBB120_20
; %bb.19:
	v_lshlrev_b32_e32 v6, 16, v4
	s_mov_b32 s4, 0x3f0000
	v_lshrrev_b32_e32 v5, 7, v4
	v_and_b32_e32 v4, 64, v4
	v_and_or_b32 v3, v6, s4, v3
	v_cmp_ne_u32_e32 vcc, 0, v4
	v_cmp_ne_u32_e64 s[4:5], 0, v3
	s_and_b64 s[4:5], vcc, s[4:5]
	v_cndmask_b32_e64 v3, 0, 1, s[4:5]
	v_add_u32_e32 v5, v5, v3
.LBB120_20:
	s_or_b64 exec, exec, s[6:7]
	s_mov_b64 s[6:7], -1
	s_mov_b64 s[4:5], 0
	global_store_byte v[1:2], v5, off
.LBB120_21:
	s_mov_b64 s[8:9], 0
.LBB120_22:
	s_and_b64 vcc, exec, s[8:9]
	s_cbranch_vccz .LBB120_25
; %bb.23:
	s_cmp_eq_u32 s13, 29
	s_mov_b64 s[4:5], -1
	s_cbranch_scc0 .LBB120_25
; %bb.24:
	v_lshlrev_b32_e32 v3, 16, v0
	v_trunc_f32_e32 v3, v3
	v_mul_f32_e32 v4, 0x2f800000, v3
	v_floor_f32_e32 v5, v4
	v_fmac_f32_e32 v3, 0xcf800000, v5
	v_cvt_u32_f32_e32 v4, v5
	v_cvt_u32_f32_e32 v3, v3
	s_mov_b64 s[6:7], -1
	s_mov_b64 s[4:5], 0
	s_mov_b64 s[8:9], 0
	global_store_dwordx2 v[1:2], v[3:4], off
	s_branch .LBB120_26
.LBB120_25:
	s_mov_b64 s[8:9], 0
.LBB120_26:
	s_and_b64 vcc, exec, s[8:9]
	s_cbranch_vccz .LBB120_42
; %bb.27:
	s_cmp_lt_i32 s13, 27
	s_mov_b64 s[6:7], -1
	s_cbranch_scc1 .LBB120_33
; %bb.28:
	s_cmp_gt_i32 s13, 27
	s_cbranch_scc0 .LBB120_30
; %bb.29:
	v_lshlrev_b32_e32 v3, 16, v0
	v_cvt_u32_f32_e32 v3, v3
	s_mov_b64 s[6:7], 0
	global_store_dword v[1:2], v3, off
.LBB120_30:
	s_andn2_b64 vcc, exec, s[6:7]
	s_cbranch_vccnz .LBB120_32
; %bb.31:
	v_lshlrev_b32_e32 v3, 16, v0
	v_cvt_u32_f32_e32 v3, v3
	global_store_short v[1:2], v3, off
.LBB120_32:
	s_mov_b64 s[6:7], 0
.LBB120_33:
	s_andn2_b64 vcc, exec, s[6:7]
	s_cbranch_vccnz .LBB120_41
; %bb.34:
	v_lshlrev_b32_e32 v5, 16, v0
	v_and_b32_e32 v4, 0x7fffffff, v5
	s_mov_b32 s6, 0x43800000
	v_cmp_gt_u32_e32 vcc, s6, v4
	v_mov_b32_e32 v6, 0x80
	s_and_saveexec_b64 s[6:7], vcc
	s_cbranch_execz .LBB120_40
; %bb.35:
	s_mov_b32 s8, 0x3bffffff
	v_and_b32_e32 v3, 0xffff, v0
	v_cmp_lt_u32_e32 vcc, s8, v4
	s_mov_b64 s[8:9], 0
                                        ; implicit-def: $vgpr4
	s_and_saveexec_b64 s[10:11], vcc
	s_xor_b64 s[10:11], exec, s[10:11]
	s_cbranch_execz .LBB120_141
; %bb.36:
	v_bfe_u32 v4, v3, 4, 1
	s_mov_b32 s14, 0x487ffff
	v_add3_u32 v4, v5, v4, s14
	s_mov_b64 s[8:9], exec
	v_lshrrev_b32_e32 v4, 20, v4
                                        ; implicit-def: $vgpr5
	s_andn2_saveexec_b64 s[10:11], s[10:11]
	s_cbranch_execnz .LBB120_142
.LBB120_37:
	s_or_b64 exec, exec, s[10:11]
	v_mov_b32_e32 v6, 0
	s_and_saveexec_b64 s[10:11], s[8:9]
.LBB120_38:
	v_lshrrev_b32_e32 v3, 8, v3
	s_movk_i32 s8, 0x80
	v_and_or_b32 v6, v3, s8, v4
.LBB120_39:
	s_or_b64 exec, exec, s[10:11]
.LBB120_40:
	s_or_b64 exec, exec, s[6:7]
	global_store_byte v[1:2], v6, off
.LBB120_41:
	s_mov_b64 s[6:7], -1
.LBB120_42:
	s_branch .LBB120_83
.LBB120_43:
	s_cmp_gt_i32 s13, 22
	s_mov_b64 s[8:9], -1
	s_cbranch_scc0 .LBB120_75
; %bb.44:
	s_cmp_lt_i32 s13, 24
	s_mov_b64 s[6:7], -1
	s_cbranch_scc1 .LBB120_64
; %bb.45:
	s_cmp_gt_i32 s13, 24
	s_cbranch_scc0 .LBB120_53
; %bb.46:
	v_lshlrev_b32_e32 v5, 16, v0
	v_and_b32_e32 v4, 0x7fffffff, v5
	s_mov_b32 s6, 0x47800000
	v_cmp_gt_u32_e32 vcc, s6, v4
	v_mov_b32_e32 v6, 0x80
	s_and_saveexec_b64 s[6:7], vcc
	s_cbranch_execz .LBB120_52
; %bb.47:
	s_mov_b32 s8, 0x37ffffff
	v_and_b32_e32 v3, 0xffff, v0
	v_cmp_lt_u32_e32 vcc, s8, v4
	s_mov_b64 s[8:9], 0
                                        ; implicit-def: $vgpr4
	s_and_saveexec_b64 s[10:11], vcc
	s_xor_b64 s[10:11], exec, s[10:11]
	s_cbranch_execz .LBB120_144
; %bb.48:
	v_bfe_u32 v4, v3, 5, 1
	s_mov_b32 s14, 0x88fffff
	v_add3_u32 v4, v5, v4, s14
	s_mov_b64 s[8:9], exec
	v_lshrrev_b32_e32 v4, 21, v4
                                        ; implicit-def: $vgpr5
	s_andn2_saveexec_b64 s[10:11], s[10:11]
	s_cbranch_execnz .LBB120_145
.LBB120_49:
	s_or_b64 exec, exec, s[10:11]
	v_mov_b32_e32 v6, 0
	s_and_saveexec_b64 s[10:11], s[8:9]
.LBB120_50:
	v_lshrrev_b32_e32 v3, 8, v3
	s_movk_i32 s8, 0x80
	v_and_or_b32 v6, v3, s8, v4
.LBB120_51:
	s_or_b64 exec, exec, s[10:11]
.LBB120_52:
	s_or_b64 exec, exec, s[6:7]
	s_mov_b64 s[6:7], 0
	global_store_byte v[1:2], v6, off
.LBB120_53:
	s_and_b64 vcc, exec, s[6:7]
	s_cbranch_vccz .LBB120_63
; %bb.54:
	v_lshlrev_b32_e32 v5, 16, v0
	v_and_b32_e32 v6, 0x7fffffff, v5
	s_mov_b32 s6, 0x43f00000
	v_and_b32_e32 v3, 0xffff, v0
	v_cmp_gt_u32_e32 vcc, s6, v6
                                        ; implicit-def: $vgpr4
	s_and_saveexec_b64 s[6:7], vcc
	s_xor_b64 s[6:7], exec, s[6:7]
	s_cbranch_execz .LBB120_60
; %bb.55:
	s_mov_b32 s8, 0x3c7fffff
	v_cmp_lt_u32_e32 vcc, s8, v6
                                        ; implicit-def: $vgpr4
	s_and_saveexec_b64 s[8:9], vcc
	s_xor_b64 s[8:9], exec, s[8:9]
; %bb.56:
	v_bfe_u32 v4, v3, 4, 1
	s_mov_b32 s10, 0x407ffff
	v_add3_u32 v4, v5, v4, s10
	v_lshrrev_b32_e32 v5, 20, v4
	v_and_b32_e32 v4, 0xff00000, v4
	s_mov_b32 s10, 0x7f00000
	v_mov_b32_e32 v6, 0x7e
	v_cmp_ne_u32_e32 vcc, s10, v4
	v_cndmask_b32_e32 v4, v6, v5, vcc
                                        ; implicit-def: $vgpr5
; %bb.57:
	s_andn2_saveexec_b64 s[8:9], s[8:9]
; %bb.58:
	s_mov_b32 s10, 0x46800000
	v_add_f32_e64 v4, |v5|, s10
; %bb.59:
	s_or_b64 exec, exec, s[8:9]
                                        ; implicit-def: $vgpr6
.LBB120_60:
	s_andn2_saveexec_b64 s[6:7], s[6:7]
; %bb.61:
	s_mov_b32 s8, 0x7f800000
	v_mov_b32_e32 v4, 0x7e
	v_mov_b32_e32 v5, 0x7f
	v_cmp_lt_u32_e32 vcc, s8, v6
	v_cndmask_b32_e32 v4, v4, v5, vcc
; %bb.62:
	s_or_b64 exec, exec, s[6:7]
	v_lshrrev_b32_e32 v3, 8, v3
	s_movk_i32 s6, 0x80
	v_and_or_b32 v3, v3, s6, v4
	global_store_byte v[1:2], v3, off
.LBB120_63:
	s_mov_b64 s[6:7], 0
.LBB120_64:
	s_andn2_b64 vcc, exec, s[6:7]
	s_cbranch_vccnz .LBB120_74
; %bb.65:
	v_lshlrev_b32_e32 v5, 16, v0
	v_and_b32_e32 v6, 0x7fffffff, v5
	s_mov_b32 s6, 0x47800000
	v_and_b32_e32 v3, 0xffff, v0
	v_cmp_gt_u32_e32 vcc, s6, v6
                                        ; implicit-def: $vgpr4
	s_and_saveexec_b64 s[6:7], vcc
	s_xor_b64 s[6:7], exec, s[6:7]
	s_cbranch_execz .LBB120_71
; %bb.66:
	s_mov_b32 s8, 0x387fffff
	v_cmp_lt_u32_e32 vcc, s8, v6
                                        ; implicit-def: $vgpr4
	s_and_saveexec_b64 s[8:9], vcc
	s_xor_b64 s[8:9], exec, s[8:9]
; %bb.67:
	v_bfe_u32 v4, v3, 5, 1
	s_mov_b32 s10, 0x80fffff
	v_add3_u32 v4, v5, v4, s10
	v_lshrrev_b32_e32 v4, 21, v4
                                        ; implicit-def: $vgpr5
; %bb.68:
	s_andn2_saveexec_b64 s[8:9], s[8:9]
; %bb.69:
	s_mov_b32 s10, 0x43000000
	v_add_f32_e64 v4, |v5|, s10
; %bb.70:
	s_or_b64 exec, exec, s[8:9]
                                        ; implicit-def: $vgpr6
.LBB120_71:
	s_andn2_saveexec_b64 s[6:7], s[6:7]
; %bb.72:
	s_mov_b32 s8, 0x7f800000
	v_mov_b32_e32 v4, 0x7c
	v_mov_b32_e32 v5, 0x7f
	v_cmp_lt_u32_e32 vcc, s8, v6
	v_cndmask_b32_e32 v4, v4, v5, vcc
; %bb.73:
	s_or_b64 exec, exec, s[6:7]
	v_lshrrev_b32_e32 v3, 8, v3
	s_movk_i32 s6, 0x80
	v_and_or_b32 v3, v3, s6, v4
	global_store_byte v[1:2], v3, off
.LBB120_74:
	s_mov_b64 s[8:9], 0
	s_mov_b64 s[6:7], -1
.LBB120_75:
	s_andn2_b64 vcc, exec, s[8:9]
	s_cbranch_vccnz .LBB120_83
; %bb.76:
	s_cmp_gt_i32 s13, 14
	s_mov_b64 s[8:9], -1
	s_cbranch_scc0 .LBB120_80
; %bb.77:
	s_cmp_eq_u32 s13, 15
	s_mov_b64 s[4:5], -1
	s_cbranch_scc0 .LBB120_79
; %bb.78:
	global_store_short v[1:2], v0, off
	s_mov_b64 s[6:7], -1
	s_mov_b64 s[4:5], 0
.LBB120_79:
	s_mov_b64 s[8:9], 0
.LBB120_80:
	s_and_b64 vcc, exec, s[8:9]
	s_cbranch_vccz .LBB120_83
; %bb.81:
	s_cmp_eq_u32 s13, 11
	s_mov_b64 s[4:5], -1
	s_cbranch_scc0 .LBB120_83
; %bb.82:
	v_and_b32_e32 v3, 0x7fff, v0
	v_cmp_ne_u16_e32 vcc, 0, v3
	v_cndmask_b32_e64 v3, 0, 1, vcc
	s_mov_b64 s[6:7], -1
	s_mov_b64 s[4:5], 0
	global_store_byte v[1:2], v3, off
.LBB120_83:
	s_branch .LBB120_10
.LBB120_84:
	s_and_b32 s8, 0xffff, s12
	s_cmp_lt_i32 s8, 5
	s_mov_b64 s[6:7], -1
	s_cbranch_scc1 .LBB120_105
; %bb.85:
	s_cmp_lt_i32 s8, 8
	s_cbranch_scc1 .LBB120_95
; %bb.86:
	s_cmp_lt_i32 s8, 9
	s_cbranch_scc1 .LBB120_92
; %bb.87:
	s_cmp_gt_i32 s8, 9
	s_cbranch_scc0 .LBB120_89
; %bb.88:
	v_lshlrev_b32_e32 v3, 16, v0
	v_cvt_f64_f32_e32 v[3:4], v3
	v_mov_b32_e32 v5, 0
	v_mov_b32_e32 v6, v5
	s_mov_b64 s[6:7], 0
	global_store_dwordx4 v[1:2], v[3:6], off
.LBB120_89:
	s_andn2_b64 vcc, exec, s[6:7]
	s_cbranch_vccnz .LBB120_91
; %bb.90:
	v_lshlrev_b32_e32 v3, 16, v0
	v_mov_b32_e32 v4, 0
	global_store_dwordx2 v[1:2], v[3:4], off
.LBB120_91:
	s_mov_b64 s[6:7], 0
.LBB120_92:
	s_andn2_b64 vcc, exec, s[6:7]
	s_cbranch_vccnz .LBB120_94
; %bb.93:
	v_lshlrev_b32_e32 v3, 16, v0
	v_cvt_f16_f32_e32 v3, v3
	global_store_dword v[1:2], v3, off
.LBB120_94:
	s_mov_b64 s[6:7], 0
.LBB120_95:
	s_andn2_b64 vcc, exec, s[6:7]
	s_cbranch_vccnz .LBB120_104
; %bb.96:
	s_cmp_lt_i32 s8, 6
	s_mov_b64 s[6:7], -1
	s_cbranch_scc1 .LBB120_102
; %bb.97:
	s_cmp_gt_i32 s8, 6
	s_cbranch_scc0 .LBB120_99
; %bb.98:
	v_lshlrev_b32_e32 v3, 16, v0
	v_cvt_f64_f32_e32 v[3:4], v3
	s_mov_b64 s[6:7], 0
	global_store_dwordx2 v[1:2], v[3:4], off
.LBB120_99:
	s_andn2_b64 vcc, exec, s[6:7]
	s_cbranch_vccnz .LBB120_101
; %bb.100:
	v_lshlrev_b32_e32 v3, 16, v0
	global_store_dword v[1:2], v3, off
.LBB120_101:
	s_mov_b64 s[6:7], 0
.LBB120_102:
	s_andn2_b64 vcc, exec, s[6:7]
	s_cbranch_vccnz .LBB120_104
; %bb.103:
	v_lshlrev_b32_e32 v3, 16, v0
	v_cvt_f16_f32_e32 v3, v3
	global_store_short v[1:2], v3, off
.LBB120_104:
	s_mov_b64 s[6:7], 0
.LBB120_105:
	s_andn2_b64 vcc, exec, s[6:7]
	s_cbranch_vccnz .LBB120_121
; %bb.106:
	s_cmp_lt_i32 s8, 2
	s_mov_b64 s[6:7], -1
	s_cbranch_scc1 .LBB120_116
; %bb.107:
	s_cmp_lt_i32 s8, 3
	s_cbranch_scc1 .LBB120_113
; %bb.108:
	s_cmp_gt_i32 s8, 3
	s_cbranch_scc0 .LBB120_110
; %bb.109:
	v_lshlrev_b32_e32 v3, 16, v0
	v_trunc_f32_e32 v3, v3
	s_mov_b32 s6, 0x2f800000
	v_mul_f32_e64 v4, |v3|, s6
	v_floor_f32_e32 v4, v4
	s_mov_b32 s6, 0xcf800000
	v_cvt_u32_f32_e32 v5, v4
	v_fma_f32 v4, v4, s6, |v3|
	v_cvt_u32_f32_e32 v4, v4
	v_ashrrev_i32_e32 v6, 31, v3
	v_xor_b32_e32 v5, v5, v6
	s_mov_b64 s[6:7], 0
	v_xor_b32_e32 v3, v4, v6
	v_sub_co_u32_e32 v3, vcc, v3, v6
	v_subb_co_u32_e32 v4, vcc, v5, v6, vcc
	global_store_dwordx2 v[1:2], v[3:4], off
.LBB120_110:
	s_andn2_b64 vcc, exec, s[6:7]
	s_cbranch_vccnz .LBB120_112
; %bb.111:
	v_lshlrev_b32_e32 v3, 16, v0
	v_cvt_i32_f32_e32 v3, v3
	global_store_dword v[1:2], v3, off
.LBB120_112:
	s_mov_b64 s[6:7], 0
.LBB120_113:
	s_andn2_b64 vcc, exec, s[6:7]
	s_cbranch_vccnz .LBB120_115
; %bb.114:
	v_lshlrev_b32_e32 v3, 16, v0
	v_cvt_i32_f32_e32 v3, v3
	global_store_short v[1:2], v3, off
.LBB120_115:
	s_mov_b64 s[6:7], 0
.LBB120_116:
	s_andn2_b64 vcc, exec, s[6:7]
	s_cbranch_vccnz .LBB120_121
; %bb.117:
	s_mov_b64 s[6:7], -1
	s_cmp_gt_i32 s8, 0
	v_lshlrev_b32_e32 v0, 16, v0
	s_cbranch_scc0 .LBB120_119
; %bb.118:
	v_cvt_i32_f32_e32 v3, v0
	s_mov_b64 s[6:7], 0
	global_store_byte v[1:2], v3, off
.LBB120_119:
	s_andn2_b64 vcc, exec, s[6:7]
	s_cbranch_vccnz .LBB120_121
; %bb.120:
	v_trunc_f32_e32 v0, v0
	s_mov_b32 s6, 0x2f800000
	v_mul_f32_e64 v3, |v0|, s6
	v_floor_f32_e32 v3, v3
	s_mov_b32 s6, 0xcf800000
	v_fma_f32 v3, v3, s6, |v0|
	v_cvt_u32_f32_e32 v3, v3
	v_ashrrev_i32_e32 v0, 31, v0
	v_xor_b32_e32 v3, v3, v0
	v_sub_u32_e32 v0, v3, v0
	global_store_byte v[1:2], v0, off
.LBB120_121:
	s_branch .LBB120_11
.LBB120_122:
	s_mov_b64 s[6:7], 0
                                        ; implicit-def: $vgpr22
.LBB120_123:
	s_and_b64 s[38:39], s[4:5], exec
	s_orn2_b64 s[4:5], s[6:7], exec
.LBB120_124:
	s_or_b64 exec, exec, s[58:59]
	s_mov_b64 s[6:7], 0
                                        ; implicit-def: $sgpr14
                                        ; implicit-def: $vgpr1_vgpr2
                                        ; implicit-def: $vgpr0
	s_and_saveexec_b64 s[58:59], s[4:5]
	s_cbranch_execz .LBB120_133
; %bb.125:
	v_cmp_gt_i32_e32 vcc, s68, v22
	s_mov_b64 s[8:9], -1
	s_mov_b64 s[60:61], s[38:39]
	s_and_saveexec_b64 s[62:63], vcc
	s_cbranch_execz .LBB120_256
; %bb.126:
	s_getpc_b64 s[4:5]
	s_add_u32 s4, s4, _ZN2at6native6invokeIZZZNS0_21polygamma_kernel_cudaERNS_18TensorIteratorBaseElENKUlvE_clEvENKUlvE2_clEvEUlN3c108BFloat16EE_i15function_traitsIS8_EEENT1_11result_typeERKT_PrKPcPKT0_PKNS6_10ScalarTypeEi@rel32@lo+4
	s_addc_u32 s5, s5, _ZN2at6native6invokeIZZZNS0_21polygamma_kernel_cudaERNS_18TensorIteratorBaseElENKUlvE_clEvENKUlvE2_clEvEUlN3c108BFloat16EE_i15function_traitsIS8_EEENT1_11result_typeERKT_PrKPcPKT0_PKNS6_10ScalarTypeEi@rel32@hi+12
	v_mov_b32_e32 v0, s54
	v_mov_b32_e32 v1, s55
	;; [unrolled: 1-line block ×7, first 2 shown]
	s_swappc_b64 s[30:31], s[4:5]
	v_mul_lo_u32 v1, v22, s52
	v_mov_b32_e32 v2, s49
	s_and_b32 s12, s33, 0xff
	s_cmp_lt_i32 s12, 11
	v_ashrrev_i32_e32 v3, 31, v1
	v_add_co_u32_e32 v1, vcc, s48, v1
	v_addc_co_u32_e32 v2, vcc, v2, v3, vcc
	s_cbranch_scc1 .LBB120_136
; %bb.127:
	s_and_b32 s13, 0xffff, s12
	s_cmp_gt_i32 s13, 25
	s_cbranch_scc0 .LBB120_139
; %bb.128:
	s_cmp_gt_i32 s13, 28
	s_cbranch_scc0 .LBB120_140
; %bb.129:
	;; [unrolled: 3-line block ×4, first 2 shown]
	s_mov_b64 s[8:9], 0
	s_mov_b64 s[4:5], -1
	s_cmp_eq_u32 s13, 46
	s_mov_b64 s[6:7], 0
	s_cbranch_scc0 .LBB120_147
; %bb.132:
	v_and_b32_e32 v3, 0xffff, v0
	global_store_dword v[1:2], v3, off
	s_mov_b64 s[6:7], -1
	s_mov_b64 s[4:5], 0
	s_branch .LBB120_147
.LBB120_133:
	s_or_b64 exec, exec, s[58:59]
	s_mov_b64 s[4:5], 0
	s_and_saveexec_b64 s[8:9], s[38:39]
	s_cbranch_execnz .LBB120_468
.LBB120_134:
	s_or_b64 exec, exec, s[8:9]
	s_and_saveexec_b64 s[8:9], s[62:63]
	s_xor_b64 s[8:9], exec, s[8:9]
	s_cbranch_execz .LBB120_469
.LBB120_135:
	v_and_b32_e32 v3, 0x7fff, v0
	v_cmp_ne_u16_e32 vcc, 0, v3
	v_cndmask_b32_e64 v3, 0, 1, vcc
	global_store_byte v[1:2], v3, off
	s_or_b64 exec, exec, s[8:9]
	s_and_saveexec_b64 s[8:9], s[6:7]
	s_xor_b64 s[6:7], exec, s[8:9]
	s_cbranch_execz .LBB120_507
	s_branch .LBB120_470
.LBB120_136:
	s_mov_b64 s[6:7], 0
	s_mov_b64 s[4:5], s[38:39]
	s_cbranch_execnz .LBB120_216
.LBB120_137:
	s_andn2_b64 vcc, exec, s[6:7]
	s_cbranch_vccnz .LBB120_254
.LBB120_138:
	v_add_u32_e32 v22, 0x80, v22
	s_mov_b64 s[6:7], -1
	s_branch .LBB120_255
.LBB120_139:
	s_mov_b64 s[8:9], -1
	s_mov_b64 s[6:7], 0
	s_mov_b64 s[4:5], s[38:39]
	s_branch .LBB120_174
.LBB120_140:
	s_mov_b64 s[8:9], -1
	s_mov_b64 s[6:7], 0
	s_mov_b64 s[4:5], s[38:39]
	s_branch .LBB120_157
.LBB120_141:
	s_andn2_saveexec_b64 s[10:11], s[10:11]
	s_cbranch_execz .LBB120_37
.LBB120_142:
	s_mov_b32 s14, 0x46000000
	v_add_f32_e64 v4, |v5|, s14
	v_and_b32_e32 v4, 0xff, v4
	v_cmp_ne_u32_e32 vcc, 0, v4
	s_andn2_b64 s[8:9], s[8:9], exec
	s_and_b64 s[14:15], vcc, exec
	s_or_b64 s[8:9], s[8:9], s[14:15]
	s_or_b64 exec, exec, s[10:11]
	v_mov_b32_e32 v6, 0
	s_and_saveexec_b64 s[10:11], s[8:9]
	s_cbranch_execnz .LBB120_38
	s_branch .LBB120_39
.LBB120_143:
	s_mov_b64 s[8:9], -1
	s_mov_b64 s[6:7], 0
	s_mov_b64 s[4:5], s[38:39]
	s_branch .LBB120_153
.LBB120_144:
	s_andn2_saveexec_b64 s[10:11], s[10:11]
	s_cbranch_execz .LBB120_49
.LBB120_145:
	s_mov_b32 s14, 0x42800000
	v_add_f32_e64 v4, |v5|, s14
	v_and_b32_e32 v4, 0xff, v4
	v_cmp_ne_u32_e32 vcc, 0, v4
	s_andn2_b64 s[8:9], s[8:9], exec
	s_and_b64 s[14:15], vcc, exec
	s_or_b64 s[8:9], s[8:9], s[14:15]
	s_or_b64 exec, exec, s[10:11]
	v_mov_b32_e32 v6, 0
	s_and_saveexec_b64 s[10:11], s[8:9]
	s_cbranch_execnz .LBB120_50
	s_branch .LBB120_51
.LBB120_146:
	s_mov_b64 s[8:9], -1
	s_mov_b64 s[6:7], 0
	s_mov_b64 s[4:5], s[38:39]
.LBB120_147:
	s_and_b64 vcc, exec, s[8:9]
	s_cbranch_vccz .LBB120_152
; %bb.148:
	s_cmp_eq_u32 s13, 44
	s_mov_b64 s[4:5], -1
	s_cbranch_scc0 .LBB120_152
; %bb.149:
	v_and_b32_e32 v4, 0xffff, v0
	v_bfe_u32 v3, v4, 7, 8
	s_movk_i32 s4, 0xff
	v_cmp_ne_u32_e32 vcc, s4, v3
	v_mov_b32_e32 v5, 0xff
	s_and_saveexec_b64 s[6:7], vcc
	s_cbranch_execz .LBB120_151
; %bb.150:
	v_lshlrev_b32_e32 v6, 16, v4
	s_mov_b32 s4, 0x3f0000
	v_lshrrev_b32_e32 v5, 7, v4
	v_and_b32_e32 v4, 64, v4
	v_and_or_b32 v3, v6, s4, v3
	v_cmp_ne_u32_e32 vcc, 0, v4
	v_cmp_ne_u32_e64 s[4:5], 0, v3
	s_and_b64 s[4:5], vcc, s[4:5]
	v_cndmask_b32_e64 v3, 0, 1, s[4:5]
	v_add_u32_e32 v5, v5, v3
.LBB120_151:
	s_or_b64 exec, exec, s[6:7]
	s_mov_b64 s[6:7], -1
	s_mov_b64 s[4:5], 0
	global_store_byte v[1:2], v5, off
.LBB120_152:
	s_mov_b64 s[8:9], 0
.LBB120_153:
	s_and_b64 vcc, exec, s[8:9]
	s_cbranch_vccz .LBB120_156
; %bb.154:
	s_cmp_eq_u32 s13, 29
	s_mov_b64 s[4:5], -1
	s_cbranch_scc0 .LBB120_156
; %bb.155:
	v_lshlrev_b32_e32 v3, 16, v0
	v_trunc_f32_e32 v3, v3
	v_mul_f32_e32 v4, 0x2f800000, v3
	v_floor_f32_e32 v5, v4
	v_fmac_f32_e32 v3, 0xcf800000, v5
	v_cvt_u32_f32_e32 v4, v5
	v_cvt_u32_f32_e32 v3, v3
	s_mov_b64 s[6:7], -1
	s_mov_b64 s[4:5], 0
	s_mov_b64 s[8:9], 0
	global_store_dwordx2 v[1:2], v[3:4], off
	s_branch .LBB120_157
.LBB120_156:
	s_mov_b64 s[8:9], 0
.LBB120_157:
	s_and_b64 vcc, exec, s[8:9]
	s_cbranch_vccz .LBB120_173
; %bb.158:
	s_cmp_lt_i32 s13, 27
	s_mov_b64 s[6:7], -1
	s_cbranch_scc1 .LBB120_164
; %bb.159:
	s_cmp_gt_i32 s13, 27
	s_cbranch_scc0 .LBB120_161
; %bb.160:
	v_lshlrev_b32_e32 v3, 16, v0
	v_cvt_u32_f32_e32 v3, v3
	s_mov_b64 s[6:7], 0
	global_store_dword v[1:2], v3, off
.LBB120_161:
	s_andn2_b64 vcc, exec, s[6:7]
	s_cbranch_vccnz .LBB120_163
; %bb.162:
	v_lshlrev_b32_e32 v3, 16, v0
	v_cvt_u32_f32_e32 v3, v3
	global_store_short v[1:2], v3, off
.LBB120_163:
	s_mov_b64 s[6:7], 0
.LBB120_164:
	s_andn2_b64 vcc, exec, s[6:7]
	s_cbranch_vccnz .LBB120_172
; %bb.165:
	v_lshlrev_b32_e32 v5, 16, v0
	v_and_b32_e32 v4, 0x7fffffff, v5
	s_mov_b32 s6, 0x43800000
	v_cmp_gt_u32_e32 vcc, s6, v4
	v_mov_b32_e32 v6, 0x80
	s_and_saveexec_b64 s[6:7], vcc
	s_cbranch_execz .LBB120_171
; %bb.166:
	s_mov_b32 s8, 0x3bffffff
	v_and_b32_e32 v3, 0xffff, v0
	v_cmp_lt_u32_e32 vcc, s8, v4
	s_mov_b64 s[8:9], 0
                                        ; implicit-def: $vgpr4
	s_and_saveexec_b64 s[10:11], vcc
	s_xor_b64 s[10:11], exec, s[10:11]
	s_cbranch_execz .LBB120_268
; %bb.167:
	v_bfe_u32 v4, v3, 4, 1
	s_mov_b32 s14, 0x487ffff
	v_add3_u32 v4, v5, v4, s14
	s_mov_b64 s[8:9], exec
	v_lshrrev_b32_e32 v4, 20, v4
                                        ; implicit-def: $vgpr5
	s_andn2_saveexec_b64 s[10:11], s[10:11]
	s_cbranch_execnz .LBB120_269
.LBB120_168:
	s_or_b64 exec, exec, s[10:11]
	v_mov_b32_e32 v6, 0
	s_and_saveexec_b64 s[10:11], s[8:9]
.LBB120_169:
	v_lshrrev_b32_e32 v3, 8, v3
	s_movk_i32 s8, 0x80
	v_and_or_b32 v6, v3, s8, v4
.LBB120_170:
	s_or_b64 exec, exec, s[10:11]
.LBB120_171:
	s_or_b64 exec, exec, s[6:7]
	global_store_byte v[1:2], v6, off
.LBB120_172:
	s_mov_b64 s[6:7], -1
.LBB120_173:
	s_mov_b64 s[8:9], 0
.LBB120_174:
	s_and_b64 vcc, exec, s[8:9]
	s_cbranch_vccz .LBB120_215
; %bb.175:
	s_cmp_gt_i32 s13, 22
	s_mov_b64 s[8:9], -1
	s_cbranch_scc0 .LBB120_207
; %bb.176:
	s_cmp_lt_i32 s13, 24
	s_mov_b64 s[6:7], -1
	s_cbranch_scc1 .LBB120_196
; %bb.177:
	s_cmp_gt_i32 s13, 24
	s_cbranch_scc0 .LBB120_185
; %bb.178:
	v_lshlrev_b32_e32 v5, 16, v0
	v_and_b32_e32 v4, 0x7fffffff, v5
	s_mov_b32 s6, 0x47800000
	v_cmp_gt_u32_e32 vcc, s6, v4
	v_mov_b32_e32 v6, 0x80
	s_and_saveexec_b64 s[6:7], vcc
	s_cbranch_execz .LBB120_184
; %bb.179:
	s_mov_b32 s8, 0x37ffffff
	v_and_b32_e32 v3, 0xffff, v0
	v_cmp_lt_u32_e32 vcc, s8, v4
	s_mov_b64 s[8:9], 0
                                        ; implicit-def: $vgpr4
	s_and_saveexec_b64 s[10:11], vcc
	s_xor_b64 s[10:11], exec, s[10:11]
	s_cbranch_execz .LBB120_271
; %bb.180:
	v_bfe_u32 v4, v3, 5, 1
	s_mov_b32 s14, 0x88fffff
	v_add3_u32 v4, v5, v4, s14
	s_mov_b64 s[8:9], exec
	v_lshrrev_b32_e32 v4, 21, v4
                                        ; implicit-def: $vgpr5
	s_andn2_saveexec_b64 s[10:11], s[10:11]
	s_cbranch_execnz .LBB120_272
.LBB120_181:
	s_or_b64 exec, exec, s[10:11]
	v_mov_b32_e32 v6, 0
	s_and_saveexec_b64 s[10:11], s[8:9]
.LBB120_182:
	v_lshrrev_b32_e32 v3, 8, v3
	s_movk_i32 s8, 0x80
	v_and_or_b32 v6, v3, s8, v4
.LBB120_183:
	s_or_b64 exec, exec, s[10:11]
.LBB120_184:
	s_or_b64 exec, exec, s[6:7]
	s_mov_b64 s[6:7], 0
	global_store_byte v[1:2], v6, off
.LBB120_185:
	s_and_b64 vcc, exec, s[6:7]
	s_cbranch_vccz .LBB120_195
; %bb.186:
	v_lshlrev_b32_e32 v5, 16, v0
	v_and_b32_e32 v6, 0x7fffffff, v5
	s_mov_b32 s6, 0x43f00000
	v_and_b32_e32 v3, 0xffff, v0
	v_cmp_gt_u32_e32 vcc, s6, v6
                                        ; implicit-def: $vgpr4
	s_and_saveexec_b64 s[6:7], vcc
	s_xor_b64 s[6:7], exec, s[6:7]
	s_cbranch_execz .LBB120_192
; %bb.187:
	s_mov_b32 s8, 0x3c7fffff
	v_cmp_lt_u32_e32 vcc, s8, v6
                                        ; implicit-def: $vgpr4
	s_and_saveexec_b64 s[8:9], vcc
	s_xor_b64 s[8:9], exec, s[8:9]
; %bb.188:
	v_bfe_u32 v4, v3, 4, 1
	s_mov_b32 s10, 0x407ffff
	v_add3_u32 v4, v5, v4, s10
	v_lshrrev_b32_e32 v5, 20, v4
	v_and_b32_e32 v4, 0xff00000, v4
	s_mov_b32 s10, 0x7f00000
	v_mov_b32_e32 v6, 0x7e
	v_cmp_ne_u32_e32 vcc, s10, v4
	v_cndmask_b32_e32 v4, v6, v5, vcc
                                        ; implicit-def: $vgpr5
; %bb.189:
	s_andn2_saveexec_b64 s[8:9], s[8:9]
; %bb.190:
	s_mov_b32 s10, 0x46800000
	v_add_f32_e64 v4, |v5|, s10
; %bb.191:
	s_or_b64 exec, exec, s[8:9]
                                        ; implicit-def: $vgpr6
.LBB120_192:
	s_andn2_saveexec_b64 s[6:7], s[6:7]
; %bb.193:
	s_mov_b32 s8, 0x7f800000
	v_mov_b32_e32 v4, 0x7e
	v_mov_b32_e32 v5, 0x7f
	v_cmp_lt_u32_e32 vcc, s8, v6
	v_cndmask_b32_e32 v4, v4, v5, vcc
; %bb.194:
	s_or_b64 exec, exec, s[6:7]
	v_lshrrev_b32_e32 v3, 8, v3
	s_movk_i32 s6, 0x80
	v_and_or_b32 v3, v3, s6, v4
	global_store_byte v[1:2], v3, off
.LBB120_195:
	s_mov_b64 s[6:7], 0
.LBB120_196:
	s_andn2_b64 vcc, exec, s[6:7]
	s_cbranch_vccnz .LBB120_206
; %bb.197:
	v_lshlrev_b32_e32 v5, 16, v0
	v_and_b32_e32 v6, 0x7fffffff, v5
	s_mov_b32 s6, 0x47800000
	v_and_b32_e32 v3, 0xffff, v0
	v_cmp_gt_u32_e32 vcc, s6, v6
                                        ; implicit-def: $vgpr4
	s_and_saveexec_b64 s[6:7], vcc
	s_xor_b64 s[6:7], exec, s[6:7]
	s_cbranch_execz .LBB120_203
; %bb.198:
	s_mov_b32 s8, 0x387fffff
	v_cmp_lt_u32_e32 vcc, s8, v6
                                        ; implicit-def: $vgpr4
	s_and_saveexec_b64 s[8:9], vcc
	s_xor_b64 s[8:9], exec, s[8:9]
; %bb.199:
	v_bfe_u32 v4, v3, 5, 1
	s_mov_b32 s10, 0x80fffff
	v_add3_u32 v4, v5, v4, s10
	v_lshrrev_b32_e32 v4, 21, v4
                                        ; implicit-def: $vgpr5
; %bb.200:
	s_andn2_saveexec_b64 s[8:9], s[8:9]
; %bb.201:
	s_mov_b32 s10, 0x43000000
	v_add_f32_e64 v4, |v5|, s10
; %bb.202:
	s_or_b64 exec, exec, s[8:9]
                                        ; implicit-def: $vgpr6
.LBB120_203:
	s_andn2_saveexec_b64 s[6:7], s[6:7]
; %bb.204:
	s_mov_b32 s8, 0x7f800000
	v_mov_b32_e32 v4, 0x7c
	v_mov_b32_e32 v5, 0x7f
	v_cmp_lt_u32_e32 vcc, s8, v6
	v_cndmask_b32_e32 v4, v4, v5, vcc
; %bb.205:
	s_or_b64 exec, exec, s[6:7]
	v_lshrrev_b32_e32 v3, 8, v3
	s_movk_i32 s6, 0x80
	v_and_or_b32 v3, v3, s6, v4
	global_store_byte v[1:2], v3, off
.LBB120_206:
	s_mov_b64 s[8:9], 0
	s_mov_b64 s[6:7], -1
.LBB120_207:
	s_andn2_b64 vcc, exec, s[8:9]
	s_cbranch_vccnz .LBB120_215
; %bb.208:
	s_cmp_gt_i32 s13, 14
	s_mov_b64 s[8:9], -1
	s_cbranch_scc0 .LBB120_212
; %bb.209:
	s_cmp_eq_u32 s13, 15
	s_mov_b64 s[4:5], -1
	s_cbranch_scc0 .LBB120_211
; %bb.210:
	global_store_short v[1:2], v0, off
	s_mov_b64 s[6:7], -1
	s_mov_b64 s[4:5], 0
.LBB120_211:
	s_mov_b64 s[8:9], 0
.LBB120_212:
	s_and_b64 vcc, exec, s[8:9]
	s_cbranch_vccz .LBB120_215
; %bb.213:
	s_cmp_eq_u32 s13, 11
	s_mov_b64 s[4:5], -1
	s_cbranch_scc0 .LBB120_215
; %bb.214:
	v_and_b32_e32 v3, 0x7fff, v0
	v_cmp_ne_u16_e32 vcc, 0, v3
	v_cndmask_b32_e64 v3, 0, 1, vcc
	s_mov_b64 s[6:7], -1
	s_mov_b64 s[4:5], 0
	global_store_byte v[1:2], v3, off
.LBB120_215:
	s_branch .LBB120_137
.LBB120_216:
	s_and_b32 s8, 0xffff, s12
	s_cmp_lt_i32 s8, 5
	s_mov_b64 s[6:7], -1
	s_cbranch_scc1 .LBB120_237
; %bb.217:
	s_cmp_lt_i32 s8, 8
	s_cbranch_scc1 .LBB120_227
; %bb.218:
	s_cmp_lt_i32 s8, 9
	s_cbranch_scc1 .LBB120_224
; %bb.219:
	s_cmp_gt_i32 s8, 9
	s_cbranch_scc0 .LBB120_221
; %bb.220:
	v_lshlrev_b32_e32 v3, 16, v0
	v_cvt_f64_f32_e32 v[3:4], v3
	v_mov_b32_e32 v5, 0
	v_mov_b32_e32 v6, v5
	s_mov_b64 s[6:7], 0
	global_store_dwordx4 v[1:2], v[3:6], off
.LBB120_221:
	s_andn2_b64 vcc, exec, s[6:7]
	s_cbranch_vccnz .LBB120_223
; %bb.222:
	v_lshlrev_b32_e32 v3, 16, v0
	v_mov_b32_e32 v4, 0
	global_store_dwordx2 v[1:2], v[3:4], off
.LBB120_223:
	s_mov_b64 s[6:7], 0
.LBB120_224:
	s_andn2_b64 vcc, exec, s[6:7]
	s_cbranch_vccnz .LBB120_226
; %bb.225:
	v_lshlrev_b32_e32 v3, 16, v0
	v_cvt_f16_f32_e32 v3, v3
	global_store_dword v[1:2], v3, off
.LBB120_226:
	s_mov_b64 s[6:7], 0
.LBB120_227:
	s_andn2_b64 vcc, exec, s[6:7]
	s_cbranch_vccnz .LBB120_236
; %bb.228:
	s_cmp_lt_i32 s8, 6
	s_mov_b64 s[6:7], -1
	s_cbranch_scc1 .LBB120_234
; %bb.229:
	s_cmp_gt_i32 s8, 6
	s_cbranch_scc0 .LBB120_231
; %bb.230:
	v_lshlrev_b32_e32 v3, 16, v0
	v_cvt_f64_f32_e32 v[3:4], v3
	s_mov_b64 s[6:7], 0
	global_store_dwordx2 v[1:2], v[3:4], off
.LBB120_231:
	s_andn2_b64 vcc, exec, s[6:7]
	s_cbranch_vccnz .LBB120_233
; %bb.232:
	v_lshlrev_b32_e32 v3, 16, v0
	global_store_dword v[1:2], v3, off
.LBB120_233:
	s_mov_b64 s[6:7], 0
.LBB120_234:
	s_andn2_b64 vcc, exec, s[6:7]
	s_cbranch_vccnz .LBB120_236
; %bb.235:
	v_lshlrev_b32_e32 v3, 16, v0
	v_cvt_f16_f32_e32 v3, v3
	global_store_short v[1:2], v3, off
.LBB120_236:
	s_mov_b64 s[6:7], 0
.LBB120_237:
	s_andn2_b64 vcc, exec, s[6:7]
	s_cbranch_vccnz .LBB120_253
; %bb.238:
	s_cmp_lt_i32 s8, 2
	s_mov_b64 s[6:7], -1
	s_cbranch_scc1 .LBB120_248
; %bb.239:
	s_cmp_lt_i32 s8, 3
	s_cbranch_scc1 .LBB120_245
; %bb.240:
	s_cmp_gt_i32 s8, 3
	s_cbranch_scc0 .LBB120_242
; %bb.241:
	v_lshlrev_b32_e32 v3, 16, v0
	v_trunc_f32_e32 v3, v3
	s_mov_b32 s6, 0x2f800000
	v_mul_f32_e64 v4, |v3|, s6
	v_floor_f32_e32 v4, v4
	s_mov_b32 s6, 0xcf800000
	v_cvt_u32_f32_e32 v5, v4
	v_fma_f32 v4, v4, s6, |v3|
	v_cvt_u32_f32_e32 v4, v4
	v_ashrrev_i32_e32 v6, 31, v3
	v_xor_b32_e32 v5, v5, v6
	s_mov_b64 s[6:7], 0
	v_xor_b32_e32 v3, v4, v6
	v_sub_co_u32_e32 v3, vcc, v3, v6
	v_subb_co_u32_e32 v4, vcc, v5, v6, vcc
	global_store_dwordx2 v[1:2], v[3:4], off
.LBB120_242:
	s_andn2_b64 vcc, exec, s[6:7]
	s_cbranch_vccnz .LBB120_244
; %bb.243:
	v_lshlrev_b32_e32 v3, 16, v0
	v_cvt_i32_f32_e32 v3, v3
	global_store_dword v[1:2], v3, off
.LBB120_244:
	s_mov_b64 s[6:7], 0
.LBB120_245:
	s_andn2_b64 vcc, exec, s[6:7]
	s_cbranch_vccnz .LBB120_247
; %bb.246:
	v_lshlrev_b32_e32 v3, 16, v0
	v_cvt_i32_f32_e32 v3, v3
	global_store_short v[1:2], v3, off
.LBB120_247:
	s_mov_b64 s[6:7], 0
.LBB120_248:
	s_andn2_b64 vcc, exec, s[6:7]
	s_cbranch_vccnz .LBB120_253
; %bb.249:
	s_mov_b64 s[6:7], -1
	s_cmp_gt_i32 s8, 0
	v_lshlrev_b32_e32 v0, 16, v0
	s_cbranch_scc0 .LBB120_251
; %bb.250:
	v_cvt_i32_f32_e32 v3, v0
	s_mov_b64 s[6:7], 0
	global_store_byte v[1:2], v3, off
.LBB120_251:
	s_andn2_b64 vcc, exec, s[6:7]
	s_cbranch_vccnz .LBB120_253
; %bb.252:
	v_trunc_f32_e32 v0, v0
	s_mov_b32 s6, 0x2f800000
	v_mul_f32_e64 v3, |v0|, s6
	v_floor_f32_e32 v3, v3
	s_mov_b32 s6, 0xcf800000
	v_fma_f32 v3, v3, s6, |v0|
	v_cvt_u32_f32_e32 v3, v3
	v_ashrrev_i32_e32 v0, 31, v0
	v_xor_b32_e32 v3, v3, v0
	v_sub_u32_e32 v0, v3, v0
	global_store_byte v[1:2], v0, off
.LBB120_253:
	s_branch .LBB120_138
.LBB120_254:
	s_mov_b64 s[6:7], 0
                                        ; implicit-def: $vgpr22
.LBB120_255:
	s_andn2_b64 s[8:9], s[38:39], exec
	s_and_b64 s[4:5], s[4:5], exec
	s_or_b64 s[60:61], s[8:9], s[4:5]
	s_orn2_b64 s[8:9], s[6:7], exec
.LBB120_256:
	s_or_b64 exec, exec, s[62:63]
	s_mov_b64 s[4:5], 0
	s_mov_b64 s[6:7], 0
                                        ; implicit-def: $sgpr14
                                        ; implicit-def: $vgpr1_vgpr2
                                        ; implicit-def: $vgpr0
	s_and_saveexec_b64 s[62:63], s[8:9]
	s_cbranch_execz .LBB120_467
; %bb.257:
	v_cmp_gt_i32_e32 vcc, s68, v22
	s_mov_b64 s[6:7], -1
	s_mov_b64 s[66:67], s[60:61]
	s_and_saveexec_b64 s[64:65], vcc
	s_cbranch_execz .LBB120_386
; %bb.258:
	s_getpc_b64 s[4:5]
	s_add_u32 s4, s4, _ZN2at6native6invokeIZZZNS0_21polygamma_kernel_cudaERNS_18TensorIteratorBaseElENKUlvE_clEvENKUlvE2_clEvEUlN3c108BFloat16EE_i15function_traitsIS8_EEENT1_11result_typeERKT_PrKPcPKT0_PKNS6_10ScalarTypeEi@rel32@lo+4
	s_addc_u32 s5, s5, _ZN2at6native6invokeIZZZNS0_21polygamma_kernel_cudaERNS_18TensorIteratorBaseElENKUlvE_clEvENKUlvE2_clEvEUlN3c108BFloat16EE_i15function_traitsIS8_EEENT1_11result_typeERKT_PrKPcPKT0_PKNS6_10ScalarTypeEi@rel32@hi+12
	v_mov_b32_e32 v0, s54
	v_mov_b32_e32 v1, s55
	;; [unrolled: 1-line block ×7, first 2 shown]
	s_swappc_b64 s[30:31], s[4:5]
	v_mul_lo_u32 v1, v22, s52
	v_mov_b32_e32 v2, s49
	s_and_b32 s12, s33, 0xff
	s_cmp_lt_i32 s12, 11
	v_ashrrev_i32_e32 v3, 31, v1
	v_add_co_u32_e32 v1, vcc, s48, v1
	v_addc_co_u32_e32 v2, vcc, v2, v3, vcc
	s_cbranch_scc1 .LBB120_265
; %bb.259:
	s_and_b32 s13, 0xffff, s12
	s_cmp_gt_i32 s13, 25
	s_cbranch_scc0 .LBB120_266
; %bb.260:
	s_cmp_gt_i32 s13, 28
	s_cbranch_scc0 .LBB120_267
; %bb.261:
	;; [unrolled: 3-line block ×4, first 2 shown]
	s_mov_b64 s[8:9], 0
	s_mov_b64 s[4:5], -1
	s_cmp_eq_u32 s13, 46
	s_mov_b64 s[6:7], 0
	s_cbranch_scc0 .LBB120_274
; %bb.264:
	v_and_b32_e32 v3, 0xffff, v0
	global_store_dword v[1:2], v3, off
	s_mov_b64 s[6:7], -1
	s_mov_b64 s[4:5], 0
	s_branch .LBB120_274
.LBB120_265:
	s_mov_b64 s[8:9], -1
	s_mov_b64 s[6:7], 0
	s_mov_b64 s[4:5], s[60:61]
	s_branch .LBB120_343
.LBB120_266:
	s_mov_b64 s[8:9], -1
	s_mov_b64 s[6:7], 0
	s_mov_b64 s[4:5], s[60:61]
	s_branch .LBB120_301
.LBB120_267:
	s_mov_b64 s[8:9], -1
	s_mov_b64 s[6:7], 0
	s_mov_b64 s[4:5], s[60:61]
	s_branch .LBB120_284
.LBB120_268:
	s_andn2_saveexec_b64 s[10:11], s[10:11]
	s_cbranch_execz .LBB120_168
.LBB120_269:
	s_mov_b32 s14, 0x46000000
	v_add_f32_e64 v4, |v5|, s14
	v_and_b32_e32 v4, 0xff, v4
	v_cmp_ne_u32_e32 vcc, 0, v4
	s_andn2_b64 s[8:9], s[8:9], exec
	s_and_b64 s[14:15], vcc, exec
	s_or_b64 s[8:9], s[8:9], s[14:15]
	s_or_b64 exec, exec, s[10:11]
	v_mov_b32_e32 v6, 0
	s_and_saveexec_b64 s[10:11], s[8:9]
	s_cbranch_execnz .LBB120_169
	s_branch .LBB120_170
.LBB120_270:
	s_mov_b64 s[8:9], -1
	s_mov_b64 s[6:7], 0
	s_mov_b64 s[4:5], s[60:61]
	s_branch .LBB120_280
.LBB120_271:
	s_andn2_saveexec_b64 s[10:11], s[10:11]
	s_cbranch_execz .LBB120_181
.LBB120_272:
	s_mov_b32 s14, 0x42800000
	v_add_f32_e64 v4, |v5|, s14
	v_and_b32_e32 v4, 0xff, v4
	v_cmp_ne_u32_e32 vcc, 0, v4
	s_andn2_b64 s[8:9], s[8:9], exec
	s_and_b64 s[14:15], vcc, exec
	s_or_b64 s[8:9], s[8:9], s[14:15]
	s_or_b64 exec, exec, s[10:11]
	v_mov_b32_e32 v6, 0
	s_and_saveexec_b64 s[10:11], s[8:9]
	s_cbranch_execnz .LBB120_182
	s_branch .LBB120_183
.LBB120_273:
	s_mov_b64 s[8:9], -1
	s_mov_b64 s[6:7], 0
	s_mov_b64 s[4:5], s[60:61]
.LBB120_274:
	s_and_b64 vcc, exec, s[8:9]
	s_cbranch_vccz .LBB120_279
; %bb.275:
	s_cmp_eq_u32 s13, 44
	s_mov_b64 s[4:5], -1
	s_cbranch_scc0 .LBB120_279
; %bb.276:
	v_and_b32_e32 v4, 0xffff, v0
	v_bfe_u32 v3, v4, 7, 8
	s_movk_i32 s4, 0xff
	v_cmp_ne_u32_e32 vcc, s4, v3
	v_mov_b32_e32 v5, 0xff
	s_and_saveexec_b64 s[6:7], vcc
	s_cbranch_execz .LBB120_278
; %bb.277:
	v_lshlrev_b32_e32 v6, 16, v4
	s_mov_b32 s4, 0x3f0000
	v_lshrrev_b32_e32 v5, 7, v4
	v_and_b32_e32 v4, 64, v4
	v_and_or_b32 v3, v6, s4, v3
	v_cmp_ne_u32_e32 vcc, 0, v4
	v_cmp_ne_u32_e64 s[4:5], 0, v3
	s_and_b64 s[4:5], vcc, s[4:5]
	v_cndmask_b32_e64 v3, 0, 1, s[4:5]
	v_add_u32_e32 v5, v5, v3
.LBB120_278:
	s_or_b64 exec, exec, s[6:7]
	s_mov_b64 s[6:7], -1
	s_mov_b64 s[4:5], 0
	global_store_byte v[1:2], v5, off
.LBB120_279:
	s_mov_b64 s[8:9], 0
.LBB120_280:
	s_and_b64 vcc, exec, s[8:9]
	s_cbranch_vccz .LBB120_283
; %bb.281:
	s_cmp_eq_u32 s13, 29
	s_mov_b64 s[4:5], -1
	s_cbranch_scc0 .LBB120_283
; %bb.282:
	v_lshlrev_b32_e32 v3, 16, v0
	v_trunc_f32_e32 v3, v3
	v_mul_f32_e32 v4, 0x2f800000, v3
	v_floor_f32_e32 v5, v4
	v_fmac_f32_e32 v3, 0xcf800000, v5
	v_cvt_u32_f32_e32 v4, v5
	v_cvt_u32_f32_e32 v3, v3
	s_mov_b64 s[6:7], -1
	s_mov_b64 s[4:5], 0
	s_mov_b64 s[8:9], 0
	global_store_dwordx2 v[1:2], v[3:4], off
	s_branch .LBB120_284
.LBB120_283:
	s_mov_b64 s[8:9], 0
.LBB120_284:
	s_and_b64 vcc, exec, s[8:9]
	s_cbranch_vccz .LBB120_300
; %bb.285:
	s_cmp_lt_i32 s13, 27
	s_mov_b64 s[6:7], -1
	s_cbranch_scc1 .LBB120_291
; %bb.286:
	s_cmp_gt_i32 s13, 27
	s_cbranch_scc0 .LBB120_288
; %bb.287:
	v_lshlrev_b32_e32 v3, 16, v0
	v_cvt_u32_f32_e32 v3, v3
	s_mov_b64 s[6:7], 0
	global_store_dword v[1:2], v3, off
.LBB120_288:
	s_andn2_b64 vcc, exec, s[6:7]
	s_cbranch_vccnz .LBB120_290
; %bb.289:
	v_lshlrev_b32_e32 v3, 16, v0
	v_cvt_u32_f32_e32 v3, v3
	global_store_short v[1:2], v3, off
.LBB120_290:
	s_mov_b64 s[6:7], 0
.LBB120_291:
	s_andn2_b64 vcc, exec, s[6:7]
	s_cbranch_vccnz .LBB120_299
; %bb.292:
	v_lshlrev_b32_e32 v5, 16, v0
	v_and_b32_e32 v4, 0x7fffffff, v5
	s_mov_b32 s6, 0x43800000
	v_cmp_gt_u32_e32 vcc, s6, v4
	v_mov_b32_e32 v6, 0x80
	s_and_saveexec_b64 s[6:7], vcc
	s_cbranch_execz .LBB120_298
; %bb.293:
	s_mov_b32 s8, 0x3bffffff
	v_and_b32_e32 v3, 0xffff, v0
	v_cmp_lt_u32_e32 vcc, s8, v4
	s_mov_b64 s[8:9], 0
                                        ; implicit-def: $vgpr4
	s_and_saveexec_b64 s[10:11], vcc
	s_xor_b64 s[10:11], exec, s[10:11]
	s_cbranch_execz .LBB120_998
; %bb.294:
	v_bfe_u32 v4, v3, 4, 1
	s_mov_b32 s14, 0x487ffff
	v_add3_u32 v4, v5, v4, s14
	s_mov_b64 s[8:9], exec
	v_lshrrev_b32_e32 v4, 20, v4
                                        ; implicit-def: $vgpr5
	s_andn2_saveexec_b64 s[10:11], s[10:11]
	s_cbranch_execnz .LBB120_999
.LBB120_295:
	s_or_b64 exec, exec, s[10:11]
	v_mov_b32_e32 v6, 0
	s_and_saveexec_b64 s[10:11], s[8:9]
.LBB120_296:
	v_lshrrev_b32_e32 v3, 8, v3
	s_movk_i32 s8, 0x80
	v_and_or_b32 v6, v3, s8, v4
.LBB120_297:
	s_or_b64 exec, exec, s[10:11]
.LBB120_298:
	s_or_b64 exec, exec, s[6:7]
	global_store_byte v[1:2], v6, off
.LBB120_299:
	s_mov_b64 s[6:7], -1
.LBB120_300:
	s_mov_b64 s[8:9], 0
.LBB120_301:
	s_and_b64 vcc, exec, s[8:9]
	s_cbranch_vccz .LBB120_342
; %bb.302:
	s_cmp_gt_i32 s13, 22
	s_mov_b64 s[8:9], -1
	s_cbranch_scc0 .LBB120_334
; %bb.303:
	s_cmp_lt_i32 s13, 24
	s_mov_b64 s[6:7], -1
	s_cbranch_scc1 .LBB120_323
; %bb.304:
	s_cmp_gt_i32 s13, 24
	s_cbranch_scc0 .LBB120_312
; %bb.305:
	v_lshlrev_b32_e32 v5, 16, v0
	v_and_b32_e32 v4, 0x7fffffff, v5
	s_mov_b32 s6, 0x47800000
	v_cmp_gt_u32_e32 vcc, s6, v4
	v_mov_b32_e32 v6, 0x80
	s_and_saveexec_b64 s[6:7], vcc
	s_cbranch_execz .LBB120_311
; %bb.306:
	s_mov_b32 s8, 0x37ffffff
	v_and_b32_e32 v3, 0xffff, v0
	v_cmp_lt_u32_e32 vcc, s8, v4
	s_mov_b64 s[8:9], 0
                                        ; implicit-def: $vgpr4
	s_and_saveexec_b64 s[10:11], vcc
	s_xor_b64 s[10:11], exec, s[10:11]
	s_cbranch_execz .LBB120_1005
; %bb.307:
	v_bfe_u32 v4, v3, 5, 1
	s_mov_b32 s14, 0x88fffff
	v_add3_u32 v4, v5, v4, s14
	s_mov_b64 s[8:9], exec
	v_lshrrev_b32_e32 v4, 21, v4
                                        ; implicit-def: $vgpr5
	s_andn2_saveexec_b64 s[10:11], s[10:11]
	s_cbranch_execnz .LBB120_1006
.LBB120_308:
	s_or_b64 exec, exec, s[10:11]
	v_mov_b32_e32 v6, 0
	s_and_saveexec_b64 s[10:11], s[8:9]
.LBB120_309:
	v_lshrrev_b32_e32 v3, 8, v3
	s_movk_i32 s8, 0x80
	v_and_or_b32 v6, v3, s8, v4
.LBB120_310:
	s_or_b64 exec, exec, s[10:11]
.LBB120_311:
	s_or_b64 exec, exec, s[6:7]
	s_mov_b64 s[6:7], 0
	global_store_byte v[1:2], v6, off
.LBB120_312:
	s_and_b64 vcc, exec, s[6:7]
	s_cbranch_vccz .LBB120_322
; %bb.313:
	v_lshlrev_b32_e32 v5, 16, v0
	v_and_b32_e32 v6, 0x7fffffff, v5
	s_mov_b32 s6, 0x43f00000
	v_and_b32_e32 v3, 0xffff, v0
	v_cmp_gt_u32_e32 vcc, s6, v6
                                        ; implicit-def: $vgpr4
	s_and_saveexec_b64 s[6:7], vcc
	s_xor_b64 s[6:7], exec, s[6:7]
	s_cbranch_execz .LBB120_319
; %bb.314:
	s_mov_b32 s8, 0x3c7fffff
	v_cmp_lt_u32_e32 vcc, s8, v6
                                        ; implicit-def: $vgpr4
	s_and_saveexec_b64 s[8:9], vcc
	s_xor_b64 s[8:9], exec, s[8:9]
; %bb.315:
	v_bfe_u32 v4, v3, 4, 1
	s_mov_b32 s10, 0x407ffff
	v_add3_u32 v4, v5, v4, s10
	v_lshrrev_b32_e32 v5, 20, v4
	v_and_b32_e32 v4, 0xff00000, v4
	s_mov_b32 s10, 0x7f00000
	v_mov_b32_e32 v6, 0x7e
	v_cmp_ne_u32_e32 vcc, s10, v4
	v_cndmask_b32_e32 v4, v6, v5, vcc
                                        ; implicit-def: $vgpr5
; %bb.316:
	s_andn2_saveexec_b64 s[8:9], s[8:9]
; %bb.317:
	s_mov_b32 s10, 0x46800000
	v_add_f32_e64 v4, |v5|, s10
; %bb.318:
	s_or_b64 exec, exec, s[8:9]
                                        ; implicit-def: $vgpr6
.LBB120_319:
	s_andn2_saveexec_b64 s[6:7], s[6:7]
; %bb.320:
	s_mov_b32 s8, 0x7f800000
	v_mov_b32_e32 v4, 0x7e
	v_mov_b32_e32 v5, 0x7f
	v_cmp_lt_u32_e32 vcc, s8, v6
	v_cndmask_b32_e32 v4, v4, v5, vcc
; %bb.321:
	s_or_b64 exec, exec, s[6:7]
	v_lshrrev_b32_e32 v3, 8, v3
	s_movk_i32 s6, 0x80
	v_and_or_b32 v3, v3, s6, v4
	global_store_byte v[1:2], v3, off
.LBB120_322:
	s_mov_b64 s[6:7], 0
.LBB120_323:
	s_andn2_b64 vcc, exec, s[6:7]
	s_cbranch_vccnz .LBB120_333
; %bb.324:
	v_lshlrev_b32_e32 v5, 16, v0
	v_and_b32_e32 v6, 0x7fffffff, v5
	s_mov_b32 s6, 0x47800000
	v_and_b32_e32 v3, 0xffff, v0
	v_cmp_gt_u32_e32 vcc, s6, v6
                                        ; implicit-def: $vgpr4
	s_and_saveexec_b64 s[6:7], vcc
	s_xor_b64 s[6:7], exec, s[6:7]
	s_cbranch_execz .LBB120_330
; %bb.325:
	s_mov_b32 s8, 0x387fffff
	v_cmp_lt_u32_e32 vcc, s8, v6
                                        ; implicit-def: $vgpr4
	s_and_saveexec_b64 s[8:9], vcc
	s_xor_b64 s[8:9], exec, s[8:9]
; %bb.326:
	v_bfe_u32 v4, v3, 5, 1
	s_mov_b32 s10, 0x80fffff
	v_add3_u32 v4, v5, v4, s10
	v_lshrrev_b32_e32 v4, 21, v4
                                        ; implicit-def: $vgpr5
; %bb.327:
	s_andn2_saveexec_b64 s[8:9], s[8:9]
; %bb.328:
	s_mov_b32 s10, 0x43000000
	v_add_f32_e64 v4, |v5|, s10
; %bb.329:
	s_or_b64 exec, exec, s[8:9]
                                        ; implicit-def: $vgpr6
.LBB120_330:
	s_andn2_saveexec_b64 s[6:7], s[6:7]
; %bb.331:
	s_mov_b32 s8, 0x7f800000
	v_mov_b32_e32 v4, 0x7c
	v_mov_b32_e32 v5, 0x7f
	v_cmp_lt_u32_e32 vcc, s8, v6
	v_cndmask_b32_e32 v4, v4, v5, vcc
; %bb.332:
	s_or_b64 exec, exec, s[6:7]
	v_lshrrev_b32_e32 v3, 8, v3
	s_movk_i32 s6, 0x80
	v_and_or_b32 v3, v3, s6, v4
	global_store_byte v[1:2], v3, off
.LBB120_333:
	s_mov_b64 s[8:9], 0
	s_mov_b64 s[6:7], -1
.LBB120_334:
	s_andn2_b64 vcc, exec, s[8:9]
	s_cbranch_vccnz .LBB120_342
; %bb.335:
	s_cmp_gt_i32 s13, 14
	s_mov_b64 s[8:9], -1
	s_cbranch_scc0 .LBB120_339
; %bb.336:
	s_cmp_eq_u32 s13, 15
	s_mov_b64 s[4:5], -1
	s_cbranch_scc0 .LBB120_338
; %bb.337:
	global_store_short v[1:2], v0, off
	s_mov_b64 s[6:7], -1
	s_mov_b64 s[4:5], 0
.LBB120_338:
	s_mov_b64 s[8:9], 0
.LBB120_339:
	s_and_b64 vcc, exec, s[8:9]
	s_cbranch_vccz .LBB120_342
; %bb.340:
	s_cmp_eq_u32 s13, 11
	s_mov_b64 s[4:5], -1
	s_cbranch_scc0 .LBB120_342
; %bb.341:
	v_and_b32_e32 v3, 0x7fff, v0
	v_cmp_ne_u16_e32 vcc, 0, v3
	v_cndmask_b32_e64 v3, 0, 1, vcc
	s_mov_b64 s[6:7], -1
	s_mov_b64 s[4:5], 0
	global_store_byte v[1:2], v3, off
.LBB120_342:
	s_mov_b64 s[8:9], 0
.LBB120_343:
	s_and_b64 vcc, exec, s[8:9]
	s_cbranch_vccz .LBB120_382
; %bb.344:
	s_and_b32 s8, 0xffff, s12
	s_cmp_lt_i32 s8, 5
	s_mov_b64 s[6:7], -1
	s_cbranch_scc1 .LBB120_365
; %bb.345:
	s_cmp_lt_i32 s8, 8
	s_cbranch_scc1 .LBB120_355
; %bb.346:
	s_cmp_lt_i32 s8, 9
	s_cbranch_scc1 .LBB120_352
; %bb.347:
	s_cmp_gt_i32 s8, 9
	s_cbranch_scc0 .LBB120_349
; %bb.348:
	v_lshlrev_b32_e32 v3, 16, v0
	v_cvt_f64_f32_e32 v[3:4], v3
	v_mov_b32_e32 v5, 0
	v_mov_b32_e32 v6, v5
	s_mov_b64 s[6:7], 0
	global_store_dwordx4 v[1:2], v[3:6], off
.LBB120_349:
	s_andn2_b64 vcc, exec, s[6:7]
	s_cbranch_vccnz .LBB120_351
; %bb.350:
	v_lshlrev_b32_e32 v3, 16, v0
	v_mov_b32_e32 v4, 0
	global_store_dwordx2 v[1:2], v[3:4], off
.LBB120_351:
	s_mov_b64 s[6:7], 0
.LBB120_352:
	s_andn2_b64 vcc, exec, s[6:7]
	s_cbranch_vccnz .LBB120_354
; %bb.353:
	v_lshlrev_b32_e32 v3, 16, v0
	v_cvt_f16_f32_e32 v3, v3
	global_store_dword v[1:2], v3, off
.LBB120_354:
	s_mov_b64 s[6:7], 0
.LBB120_355:
	s_andn2_b64 vcc, exec, s[6:7]
	s_cbranch_vccnz .LBB120_364
; %bb.356:
	s_cmp_lt_i32 s8, 6
	s_mov_b64 s[6:7], -1
	s_cbranch_scc1 .LBB120_362
; %bb.357:
	s_cmp_gt_i32 s8, 6
	s_cbranch_scc0 .LBB120_359
; %bb.358:
	v_lshlrev_b32_e32 v3, 16, v0
	v_cvt_f64_f32_e32 v[3:4], v3
	s_mov_b64 s[6:7], 0
	global_store_dwordx2 v[1:2], v[3:4], off
.LBB120_359:
	s_andn2_b64 vcc, exec, s[6:7]
	s_cbranch_vccnz .LBB120_361
; %bb.360:
	v_lshlrev_b32_e32 v3, 16, v0
	global_store_dword v[1:2], v3, off
.LBB120_361:
	s_mov_b64 s[6:7], 0
.LBB120_362:
	s_andn2_b64 vcc, exec, s[6:7]
	s_cbranch_vccnz .LBB120_364
; %bb.363:
	v_lshlrev_b32_e32 v3, 16, v0
	v_cvt_f16_f32_e32 v3, v3
	global_store_short v[1:2], v3, off
.LBB120_364:
	s_mov_b64 s[6:7], 0
.LBB120_365:
	s_andn2_b64 vcc, exec, s[6:7]
	s_cbranch_vccnz .LBB120_381
; %bb.366:
	s_cmp_lt_i32 s8, 2
	s_mov_b64 s[6:7], -1
	s_cbranch_scc1 .LBB120_376
; %bb.367:
	s_cmp_lt_i32 s8, 3
	s_cbranch_scc1 .LBB120_373
; %bb.368:
	s_cmp_gt_i32 s8, 3
	s_cbranch_scc0 .LBB120_370
; %bb.369:
	v_lshlrev_b32_e32 v3, 16, v0
	v_trunc_f32_e32 v3, v3
	s_mov_b32 s6, 0x2f800000
	v_mul_f32_e64 v4, |v3|, s6
	v_floor_f32_e32 v4, v4
	s_mov_b32 s6, 0xcf800000
	v_cvt_u32_f32_e32 v5, v4
	v_fma_f32 v4, v4, s6, |v3|
	v_cvt_u32_f32_e32 v4, v4
	v_ashrrev_i32_e32 v6, 31, v3
	v_xor_b32_e32 v5, v5, v6
	s_mov_b64 s[6:7], 0
	v_xor_b32_e32 v3, v4, v6
	v_sub_co_u32_e32 v3, vcc, v3, v6
	v_subb_co_u32_e32 v4, vcc, v5, v6, vcc
	global_store_dwordx2 v[1:2], v[3:4], off
.LBB120_370:
	s_andn2_b64 vcc, exec, s[6:7]
	s_cbranch_vccnz .LBB120_372
; %bb.371:
	v_lshlrev_b32_e32 v3, 16, v0
	v_cvt_i32_f32_e32 v3, v3
	global_store_dword v[1:2], v3, off
.LBB120_372:
	s_mov_b64 s[6:7], 0
.LBB120_373:
	s_andn2_b64 vcc, exec, s[6:7]
	s_cbranch_vccnz .LBB120_375
; %bb.374:
	v_lshlrev_b32_e32 v3, 16, v0
	v_cvt_i32_f32_e32 v3, v3
	global_store_short v[1:2], v3, off
.LBB120_375:
	s_mov_b64 s[6:7], 0
.LBB120_376:
	s_andn2_b64 vcc, exec, s[6:7]
	s_cbranch_vccnz .LBB120_381
; %bb.377:
	s_mov_b64 s[6:7], -1
	s_cmp_gt_i32 s8, 0
	v_lshlrev_b32_e32 v0, 16, v0
	s_cbranch_scc0 .LBB120_379
; %bb.378:
	v_cvt_i32_f32_e32 v3, v0
	s_mov_b64 s[6:7], 0
	global_store_byte v[1:2], v3, off
.LBB120_379:
	s_andn2_b64 vcc, exec, s[6:7]
	s_cbranch_vccnz .LBB120_381
; %bb.380:
	v_trunc_f32_e32 v0, v0
	s_mov_b32 s6, 0x2f800000
	v_mul_f32_e64 v3, |v0|, s6
	v_floor_f32_e32 v3, v3
	s_mov_b32 s6, 0xcf800000
	v_fma_f32 v3, v3, s6, |v0|
	v_cvt_u32_f32_e32 v3, v3
	v_ashrrev_i32_e32 v0, 31, v0
	v_xor_b32_e32 v3, v3, v0
	v_sub_u32_e32 v0, v3, v0
	global_store_byte v[1:2], v0, off
.LBB120_381:
	s_mov_b64 s[6:7], -1
.LBB120_382:
	s_andn2_b64 vcc, exec, s[6:7]
	s_cbranch_vccnz .LBB120_384
; %bb.383:
	v_add_u32_e32 v22, 0x80, v22
	s_mov_b64 s[6:7], -1
	s_branch .LBB120_385
.LBB120_384:
	s_mov_b64 s[6:7], 0
                                        ; implicit-def: $vgpr22
.LBB120_385:
	s_andn2_b64 s[8:9], s[60:61], exec
	s_and_b64 s[4:5], s[4:5], exec
	s_or_b64 s[66:67], s[8:9], s[4:5]
	s_orn2_b64 s[6:7], s[6:7], exec
.LBB120_386:
	s_or_b64 exec, exec, s[64:65]
	s_mov_b64 s[4:5], 0
	s_mov_b64 s[10:11], 0
                                        ; implicit-def: $sgpr14
                                        ; implicit-def: $vgpr1_vgpr2
                                        ; implicit-def: $vgpr0
	s_and_saveexec_b64 s[64:65], s[6:7]
	s_cbranch_execz .LBB120_466
; %bb.387:
	v_cmp_gt_i32_e32 vcc, s68, v22
	s_mov_b64 s[6:7], 0
	s_mov_b64 s[8:9], s[66:67]
                                        ; implicit-def: $sgpr14
                                        ; implicit-def: $vgpr1_vgpr2
                                        ; implicit-def: $vgpr0
	s_and_saveexec_b64 s[68:69], vcc
	s_cbranch_execz .LBB120_465
; %bb.388:
	s_getpc_b64 s[4:5]
	s_add_u32 s4, s4, _ZN2at6native6invokeIZZZNS0_21polygamma_kernel_cudaERNS_18TensorIteratorBaseElENKUlvE_clEvENKUlvE2_clEvEUlN3c108BFloat16EE_i15function_traitsIS8_EEENT1_11result_typeERKT_PrKPcPKT0_PKNS6_10ScalarTypeEi@rel32@lo+4
	s_addc_u32 s5, s5, _ZN2at6native6invokeIZZZNS0_21polygamma_kernel_cudaERNS_18TensorIteratorBaseElENKUlvE_clEvENKUlvE2_clEvEUlN3c108BFloat16EE_i15function_traitsIS8_EEENT1_11result_typeERKT_PrKPcPKT0_PKNS6_10ScalarTypeEi@rel32@hi+12
	v_mov_b32_e32 v0, s54
	v_mov_b32_e32 v1, s55
	;; [unrolled: 1-line block ×7, first 2 shown]
	s_swappc_b64 s[30:31], s[4:5]
	v_mul_lo_u32 v1, v22, s52
	v_mov_b32_e32 v2, s49
	s_and_b32 s14, s33, 0xff
	s_cmp_lt_i32 s14, 11
	v_ashrrev_i32_e32 v3, 31, v1
	v_add_co_u32_e32 v1, vcc, s48, v1
	v_addc_co_u32_e32 v2, vcc, v2, v3, vcc
	s_cbranch_scc1 .LBB120_405
; %bb.389:
	s_and_b32 s15, 0xffff, s14
	s_mov_b64 s[8:9], -1
	s_cmp_gt_i32 s15, 25
	s_mov_b64 s[4:5], s[66:67]
	s_cbranch_scc0 .LBB120_423
; %bb.390:
	s_mov_b64 s[6:7], -1
	s_cmp_gt_i32 s15, 28
	s_mov_b64 s[4:5], s[66:67]
	s_cbranch_scc0 .LBB120_407
; %bb.391:
	s_cmp_gt_i32 s15, 43
	s_mov_b64 s[4:5], s[66:67]
	s_cbranch_scc0 .LBB120_402
; %bb.392:
	s_cmp_gt_i32 s15, 45
	s_mov_b64 s[4:5], s[66:67]
	s_cbranch_scc0 .LBB120_396
; %bb.393:
	s_cmp_eq_u32 s15, 46
	s_mov_b64 s[4:5], -1
	s_cbranch_scc0 .LBB120_395
; %bb.394:
	v_and_b32_e32 v3, 0xffff, v0
	global_store_dword v[1:2], v3, off
	s_mov_b64 s[4:5], 0
.LBB120_395:
	s_mov_b64 s[6:7], 0
.LBB120_396:
	s_and_b64 vcc, exec, s[6:7]
	s_cbranch_vccz .LBB120_401
; %bb.397:
	s_cmp_eq_u32 s15, 44
	s_mov_b64 s[4:5], -1
	s_cbranch_scc0 .LBB120_401
; %bb.398:
	v_and_b32_e32 v4, 0xffff, v0
	v_bfe_u32 v3, v4, 7, 8
	s_movk_i32 s4, 0xff
	v_cmp_ne_u32_e32 vcc, s4, v3
	v_mov_b32_e32 v5, 0xff
	s_and_saveexec_b64 s[6:7], vcc
	s_cbranch_execz .LBB120_400
; %bb.399:
	v_lshlrev_b32_e32 v6, 16, v4
	s_mov_b32 s4, 0x3f0000
	v_lshrrev_b32_e32 v5, 7, v4
	v_and_b32_e32 v4, 64, v4
	v_and_or_b32 v3, v6, s4, v3
	v_cmp_ne_u32_e32 vcc, 0, v4
	v_cmp_ne_u32_e64 s[4:5], 0, v3
	s_and_b64 s[4:5], vcc, s[4:5]
	v_cndmask_b32_e64 v3, 0, 1, s[4:5]
	v_add_u32_e32 v5, v5, v3
.LBB120_400:
	s_or_b64 exec, exec, s[6:7]
	s_mov_b64 s[4:5], 0
	global_store_byte v[1:2], v5, off
.LBB120_401:
	s_mov_b64 s[6:7], 0
.LBB120_402:
	s_and_b64 vcc, exec, s[6:7]
	s_cbranch_vccz .LBB120_406
; %bb.403:
	s_cmp_eq_u32 s15, 29
	s_mov_b64 s[4:5], -1
	s_cbranch_scc0 .LBB120_406
; %bb.404:
	v_lshlrev_b32_e32 v3, 16, v0
	v_trunc_f32_e32 v3, v3
	v_mul_f32_e32 v4, 0x2f800000, v3
	v_floor_f32_e32 v5, v4
	v_fmac_f32_e32 v3, 0xcf800000, v5
	v_cvt_u32_f32_e32 v4, v5
	v_cvt_u32_f32_e32 v3, v3
	s_mov_b64 s[4:5], 0
	s_mov_b64 s[6:7], 0
	global_store_dwordx2 v[1:2], v[3:4], off
	s_branch .LBB120_407
.LBB120_405:
	s_mov_b64 s[8:9], 0
	s_mov_b64 s[6:7], -1
	s_mov_b64 s[4:5], s[66:67]
	s_branch .LBB120_464
.LBB120_406:
	s_mov_b64 s[6:7], 0
.LBB120_407:
	s_and_b64 vcc, exec, s[6:7]
	s_cbranch_vccz .LBB120_422
; %bb.408:
	s_cmp_lt_i32 s15, 27
	s_mov_b64 s[6:7], -1
	s_cbranch_scc1 .LBB120_414
; %bb.409:
	s_cmp_gt_i32 s15, 27
	s_cbranch_scc0 .LBB120_411
; %bb.410:
	v_lshlrev_b32_e32 v3, 16, v0
	v_cvt_u32_f32_e32 v3, v3
	s_mov_b64 s[6:7], 0
	global_store_dword v[1:2], v3, off
.LBB120_411:
	s_andn2_b64 vcc, exec, s[6:7]
	s_cbranch_vccnz .LBB120_413
; %bb.412:
	v_lshlrev_b32_e32 v3, 16, v0
	v_cvt_u32_f32_e32 v3, v3
	global_store_short v[1:2], v3, off
.LBB120_413:
	s_mov_b64 s[6:7], 0
.LBB120_414:
	s_andn2_b64 vcc, exec, s[6:7]
	s_cbranch_vccnz .LBB120_422
; %bb.415:
	v_lshlrev_b32_e32 v5, 16, v0
	v_and_b32_e32 v4, 0x7fffffff, v5
	s_mov_b32 s6, 0x43800000
	v_cmp_gt_u32_e32 vcc, s6, v4
	v_mov_b32_e32 v6, 0x80
	s_and_saveexec_b64 s[6:7], vcc
	s_cbranch_execz .LBB120_421
; %bb.416:
	s_mov_b32 s8, 0x3bffffff
	v_and_b32_e32 v3, 0xffff, v0
	v_cmp_lt_u32_e32 vcc, s8, v4
	s_mov_b64 s[8:9], 0
                                        ; implicit-def: $vgpr4
	s_and_saveexec_b64 s[10:11], vcc
	s_xor_b64 s[10:11], exec, s[10:11]
	s_cbranch_execz .LBB120_1007
; %bb.417:
	v_bfe_u32 v4, v3, 4, 1
	s_mov_b32 s12, 0x487ffff
	v_add3_u32 v4, v5, v4, s12
	s_mov_b64 s[8:9], exec
	v_lshrrev_b32_e32 v4, 20, v4
                                        ; implicit-def: $vgpr5
	s_andn2_saveexec_b64 s[10:11], s[10:11]
	s_cbranch_execnz .LBB120_1008
.LBB120_418:
	s_or_b64 exec, exec, s[10:11]
	v_mov_b32_e32 v6, 0
	s_and_saveexec_b64 s[10:11], s[8:9]
.LBB120_419:
	v_lshrrev_b32_e32 v3, 8, v3
	s_movk_i32 s8, 0x80
	v_and_or_b32 v6, v3, s8, v4
.LBB120_420:
	s_or_b64 exec, exec, s[10:11]
.LBB120_421:
	s_or_b64 exec, exec, s[6:7]
	global_store_byte v[1:2], v6, off
.LBB120_422:
	s_mov_b64 s[8:9], 0
.LBB120_423:
	s_mov_b64 s[6:7], 0
	s_and_b64 vcc, exec, s[8:9]
	s_cbranch_vccz .LBB120_463
; %bb.424:
	s_cmp_gt_i32 s15, 22
	s_mov_b64 s[8:9], -1
	s_cbranch_scc0 .LBB120_456
; %bb.425:
	s_cmp_lt_i32 s15, 24
	s_cbranch_scc1 .LBB120_445
; %bb.426:
	s_cmp_gt_i32 s15, 24
	s_cbranch_scc0 .LBB120_434
; %bb.427:
	v_lshlrev_b32_e32 v5, 16, v0
	v_and_b32_e32 v4, 0x7fffffff, v5
	s_mov_b32 s8, 0x47800000
	v_cmp_gt_u32_e32 vcc, s8, v4
	v_mov_b32_e32 v6, 0x80
	s_and_saveexec_b64 s[8:9], vcc
	s_cbranch_execz .LBB120_433
; %bb.428:
	s_mov_b32 s10, 0x37ffffff
	v_and_b32_e32 v3, 0xffff, v0
	v_cmp_lt_u32_e32 vcc, s10, v4
	s_mov_b64 s[10:11], 0
                                        ; implicit-def: $vgpr4
	s_and_saveexec_b64 s[12:13], vcc
	s_xor_b64 s[12:13], exec, s[12:13]
	s_cbranch_execz .LBB120_1011
; %bb.429:
	v_bfe_u32 v4, v3, 5, 1
	s_mov_b32 s16, 0x88fffff
	v_add3_u32 v4, v5, v4, s16
	s_mov_b64 s[10:11], exec
	v_lshrrev_b32_e32 v4, 21, v4
                                        ; implicit-def: $vgpr5
	s_andn2_saveexec_b64 s[12:13], s[12:13]
	s_cbranch_execnz .LBB120_1012
.LBB120_430:
	s_or_b64 exec, exec, s[12:13]
	v_mov_b32_e32 v6, 0
	s_and_saveexec_b64 s[12:13], s[10:11]
.LBB120_431:
	v_lshrrev_b32_e32 v3, 8, v3
	s_movk_i32 s10, 0x80
	v_and_or_b32 v6, v3, s10, v4
.LBB120_432:
	s_or_b64 exec, exec, s[12:13]
.LBB120_433:
	s_or_b64 exec, exec, s[8:9]
	s_mov_b64 s[8:9], 0
	global_store_byte v[1:2], v6, off
.LBB120_434:
	s_and_b64 vcc, exec, s[8:9]
	s_cbranch_vccz .LBB120_444
; %bb.435:
	v_lshlrev_b32_e32 v5, 16, v0
	v_and_b32_e32 v6, 0x7fffffff, v5
	s_mov_b32 s8, 0x43f00000
	v_and_b32_e32 v3, 0xffff, v0
	v_cmp_gt_u32_e32 vcc, s8, v6
                                        ; implicit-def: $vgpr4
	s_and_saveexec_b64 s[8:9], vcc
	s_xor_b64 s[8:9], exec, s[8:9]
	s_cbranch_execz .LBB120_441
; %bb.436:
	s_mov_b32 s10, 0x3c7fffff
	v_cmp_lt_u32_e32 vcc, s10, v6
                                        ; implicit-def: $vgpr4
	s_and_saveexec_b64 s[10:11], vcc
	s_xor_b64 s[10:11], exec, s[10:11]
; %bb.437:
	v_bfe_u32 v4, v3, 4, 1
	s_mov_b32 s12, 0x407ffff
	v_add3_u32 v4, v5, v4, s12
	v_lshrrev_b32_e32 v5, 20, v4
	v_and_b32_e32 v4, 0xff00000, v4
	s_mov_b32 s12, 0x7f00000
	v_mov_b32_e32 v6, 0x7e
	v_cmp_ne_u32_e32 vcc, s12, v4
	v_cndmask_b32_e32 v4, v6, v5, vcc
                                        ; implicit-def: $vgpr5
; %bb.438:
	s_andn2_saveexec_b64 s[10:11], s[10:11]
; %bb.439:
	s_mov_b32 s12, 0x46800000
	v_add_f32_e64 v4, |v5|, s12
; %bb.440:
	s_or_b64 exec, exec, s[10:11]
                                        ; implicit-def: $vgpr6
.LBB120_441:
	s_andn2_saveexec_b64 s[8:9], s[8:9]
; %bb.442:
	s_mov_b32 s10, 0x7f800000
	v_mov_b32_e32 v4, 0x7e
	v_mov_b32_e32 v5, 0x7f
	v_cmp_lt_u32_e32 vcc, s10, v6
	v_cndmask_b32_e32 v4, v4, v5, vcc
; %bb.443:
	s_or_b64 exec, exec, s[8:9]
	v_lshrrev_b32_e32 v3, 8, v3
	s_movk_i32 s8, 0x80
	v_and_or_b32 v3, v3, s8, v4
	global_store_byte v[1:2], v3, off
.LBB120_444:
	s_mov_b64 s[8:9], 0
.LBB120_445:
	s_andn2_b64 vcc, exec, s[8:9]
	s_cbranch_vccnz .LBB120_455
; %bb.446:
	v_lshlrev_b32_e32 v5, 16, v0
	v_and_b32_e32 v6, 0x7fffffff, v5
	s_mov_b32 s8, 0x47800000
	v_and_b32_e32 v3, 0xffff, v0
	v_cmp_gt_u32_e32 vcc, s8, v6
                                        ; implicit-def: $vgpr4
	s_and_saveexec_b64 s[8:9], vcc
	s_xor_b64 s[8:9], exec, s[8:9]
	s_cbranch_execz .LBB120_452
; %bb.447:
	s_mov_b32 s10, 0x387fffff
	v_cmp_lt_u32_e32 vcc, s10, v6
                                        ; implicit-def: $vgpr4
	s_and_saveexec_b64 s[10:11], vcc
	s_xor_b64 s[10:11], exec, s[10:11]
; %bb.448:
	v_bfe_u32 v4, v3, 5, 1
	s_mov_b32 s12, 0x80fffff
	v_add3_u32 v4, v5, v4, s12
	v_lshrrev_b32_e32 v4, 21, v4
                                        ; implicit-def: $vgpr5
; %bb.449:
	s_andn2_saveexec_b64 s[10:11], s[10:11]
; %bb.450:
	s_mov_b32 s12, 0x43000000
	v_add_f32_e64 v4, |v5|, s12
; %bb.451:
	s_or_b64 exec, exec, s[10:11]
                                        ; implicit-def: $vgpr6
.LBB120_452:
	s_andn2_saveexec_b64 s[8:9], s[8:9]
; %bb.453:
	s_mov_b32 s10, 0x7f800000
	v_mov_b32_e32 v4, 0x7c
	v_mov_b32_e32 v5, 0x7f
	v_cmp_lt_u32_e32 vcc, s10, v6
	v_cndmask_b32_e32 v4, v4, v5, vcc
; %bb.454:
	s_or_b64 exec, exec, s[8:9]
	v_lshrrev_b32_e32 v3, 8, v3
	s_movk_i32 s8, 0x80
	v_and_or_b32 v3, v3, s8, v4
	global_store_byte v[1:2], v3, off
.LBB120_455:
	s_mov_b64 s[8:9], 0
.LBB120_456:
	s_andn2_b64 vcc, exec, s[8:9]
	s_mov_b64 s[8:9], 0
	s_cbranch_vccnz .LBB120_464
; %bb.457:
	s_cmp_gt_i32 s15, 14
	s_mov_b64 s[10:11], -1
	s_cbranch_scc0 .LBB120_461
; %bb.458:
	s_cmp_eq_u32 s15, 15
	s_mov_b64 s[4:5], -1
	s_cbranch_scc0 .LBB120_460
; %bb.459:
	global_store_short v[1:2], v0, off
	s_mov_b64 s[4:5], 0
.LBB120_460:
	s_mov_b64 s[10:11], 0
.LBB120_461:
	s_and_b64 vcc, exec, s[10:11]
	s_cbranch_vccz .LBB120_464
; %bb.462:
	s_cmp_lg_u32 s15, 11
	s_cselect_b64 s[10:11], -1, 0
	s_andn2_b64 s[4:5], s[4:5], exec
	s_and_b64 s[10:11], s[10:11], exec
	s_mov_b64 s[8:9], -1
	s_or_b64 s[4:5], s[4:5], s[10:11]
	s_branch .LBB120_464
.LBB120_463:
	s_mov_b64 s[8:9], 0
.LBB120_464:
	s_and_b64 s[10:11], s[6:7], exec
	s_and_b64 s[6:7], s[8:9], exec
	s_andn2_b64 s[8:9], s[66:67], exec
	s_and_b64 s[4:5], s[4:5], exec
	s_or_b64 s[8:9], s[8:9], s[4:5]
.LBB120_465:
	s_or_b64 exec, exec, s[68:69]
	s_and_b64 s[4:5], s[6:7], exec
	s_andn2_b64 s[6:7], s[66:67], exec
	s_and_b64 s[8:9], s[8:9], exec
	s_and_b64 s[10:11], s[10:11], exec
	s_or_b64 s[66:67], s[6:7], s[8:9]
.LBB120_466:
	s_or_b64 exec, exec, s[64:65]
	s_and_b64 s[6:7], s[10:11], exec
	s_andn2_b64 s[8:9], s[60:61], exec
	s_and_b64 s[10:11], s[66:67], exec
	s_and_b64 s[4:5], s[4:5], exec
	s_or_b64 s[60:61], s[8:9], s[10:11]
.LBB120_467:
	s_or_b64 exec, exec, s[62:63]
	s_and_b64 s[62:63], s[4:5], exec
	s_andn2_b64 s[4:5], s[38:39], exec
	s_and_b64 s[8:9], s[60:61], exec
	s_and_b64 s[6:7], s[6:7], exec
	s_or_b64 s[38:39], s[4:5], s[8:9]
	s_or_b64 exec, exec, s[58:59]
	s_mov_b64 s[4:5], 0
	s_and_saveexec_b64 s[8:9], s[38:39]
	s_cbranch_execz .LBB120_134
.LBB120_468:
	s_mov_b64 s[4:5], exec
	s_andn2_b64 s[62:63], s[62:63], exec
	s_trap 2
	s_or_b64 exec, exec, s[8:9]
	s_and_saveexec_b64 s[8:9], s[62:63]
	s_xor_b64 s[8:9], exec, s[8:9]
	s_cbranch_execnz .LBB120_135
.LBB120_469:
	s_or_b64 exec, exec, s[8:9]
	s_and_saveexec_b64 s[8:9], s[6:7]
	s_xor_b64 s[6:7], exec, s[8:9]
	s_cbranch_execz .LBB120_507
.LBB120_470:
	s_sext_i32_i16 s10, s14
	s_cmp_lt_i32 s10, 5
	s_mov_b64 s[8:9], -1
	s_cbranch_scc1 .LBB120_491
; %bb.471:
	s_cmp_lt_i32 s10, 8
	s_cbranch_scc1 .LBB120_481
; %bb.472:
	s_cmp_lt_i32 s10, 9
	s_cbranch_scc1 .LBB120_478
; %bb.473:
	s_cmp_gt_i32 s10, 9
	s_cbranch_scc0 .LBB120_475
; %bb.474:
	v_lshlrev_b32_e32 v3, 16, v0
	v_cvt_f64_f32_e32 v[3:4], v3
	v_mov_b32_e32 v5, 0
	v_mov_b32_e32 v6, v5
	s_mov_b64 s[8:9], 0
	global_store_dwordx4 v[1:2], v[3:6], off
.LBB120_475:
	s_andn2_b64 vcc, exec, s[8:9]
	s_cbranch_vccnz .LBB120_477
; %bb.476:
	v_lshlrev_b32_e32 v3, 16, v0
	v_mov_b32_e32 v4, 0
	global_store_dwordx2 v[1:2], v[3:4], off
.LBB120_477:
	s_mov_b64 s[8:9], 0
.LBB120_478:
	s_andn2_b64 vcc, exec, s[8:9]
	s_cbranch_vccnz .LBB120_480
; %bb.479:
	v_lshlrev_b32_e32 v3, 16, v0
	v_cvt_f16_f32_e32 v3, v3
	global_store_dword v[1:2], v3, off
.LBB120_480:
	s_mov_b64 s[8:9], 0
.LBB120_481:
	s_andn2_b64 vcc, exec, s[8:9]
	s_cbranch_vccnz .LBB120_490
; %bb.482:
	s_sext_i32_i16 s10, s14
	s_cmp_lt_i32 s10, 6
	s_mov_b64 s[8:9], -1
	s_cbranch_scc1 .LBB120_488
; %bb.483:
	s_cmp_gt_i32 s10, 6
	s_cbranch_scc0 .LBB120_485
; %bb.484:
	v_lshlrev_b32_e32 v3, 16, v0
	v_cvt_f64_f32_e32 v[3:4], v3
	s_mov_b64 s[8:9], 0
	global_store_dwordx2 v[1:2], v[3:4], off
.LBB120_485:
	s_andn2_b64 vcc, exec, s[8:9]
	s_cbranch_vccnz .LBB120_487
; %bb.486:
	v_lshlrev_b32_e32 v3, 16, v0
	global_store_dword v[1:2], v3, off
.LBB120_487:
	s_mov_b64 s[8:9], 0
.LBB120_488:
	s_andn2_b64 vcc, exec, s[8:9]
	s_cbranch_vccnz .LBB120_490
; %bb.489:
	v_lshlrev_b32_e32 v3, 16, v0
	v_cvt_f16_f32_e32 v3, v3
	global_store_short v[1:2], v3, off
.LBB120_490:
	s_mov_b64 s[8:9], 0
.LBB120_491:
	s_andn2_b64 vcc, exec, s[8:9]
	s_cbranch_vccnz .LBB120_507
; %bb.492:
	s_sext_i32_i16 s10, s14
	s_cmp_lt_i32 s10, 2
	s_mov_b64 s[8:9], -1
	s_cbranch_scc1 .LBB120_502
; %bb.493:
	s_cmp_lt_i32 s10, 3
	s_cbranch_scc1 .LBB120_499
; %bb.494:
	s_cmp_gt_i32 s10, 3
	s_cbranch_scc0 .LBB120_496
; %bb.495:
	v_lshlrev_b32_e32 v3, 16, v0
	v_trunc_f32_e32 v3, v3
	s_mov_b32 s8, 0x2f800000
	v_mul_f32_e64 v4, |v3|, s8
	v_floor_f32_e32 v4, v4
	s_mov_b32 s8, 0xcf800000
	v_cvt_u32_f32_e32 v5, v4
	v_fma_f32 v4, v4, s8, |v3|
	v_cvt_u32_f32_e32 v4, v4
	v_ashrrev_i32_e32 v6, 31, v3
	v_xor_b32_e32 v5, v5, v6
	s_mov_b64 s[8:9], 0
	v_xor_b32_e32 v3, v4, v6
	v_sub_co_u32_e32 v3, vcc, v3, v6
	v_subb_co_u32_e32 v4, vcc, v5, v6, vcc
	global_store_dwordx2 v[1:2], v[3:4], off
.LBB120_496:
	s_andn2_b64 vcc, exec, s[8:9]
	s_cbranch_vccnz .LBB120_498
; %bb.497:
	v_lshlrev_b32_e32 v3, 16, v0
	v_cvt_i32_f32_e32 v3, v3
	global_store_dword v[1:2], v3, off
.LBB120_498:
	s_mov_b64 s[8:9], 0
.LBB120_499:
	s_andn2_b64 vcc, exec, s[8:9]
	s_cbranch_vccnz .LBB120_501
; %bb.500:
	v_lshlrev_b32_e32 v3, 16, v0
	v_cvt_i32_f32_e32 v3, v3
	global_store_short v[1:2], v3, off
.LBB120_501:
	s_mov_b64 s[8:9], 0
.LBB120_502:
	s_andn2_b64 vcc, exec, s[8:9]
	s_cbranch_vccnz .LBB120_507
; %bb.503:
	s_sext_i32_i16 s10, s14
	s_mov_b64 s[8:9], -1
	s_cmp_gt_i32 s10, 0
	v_lshlrev_b32_e32 v0, 16, v0
	s_cbranch_scc0 .LBB120_505
; %bb.504:
	v_cvt_i32_f32_e32 v3, v0
	s_mov_b64 s[8:9], 0
	global_store_byte v[1:2], v3, off
.LBB120_505:
	s_andn2_b64 vcc, exec, s[8:9]
	s_cbranch_vccnz .LBB120_507
; %bb.506:
	v_trunc_f32_e32 v0, v0
	s_mov_b32 s8, 0x2f800000
	v_mul_f32_e64 v3, |v0|, s8
	v_floor_f32_e32 v3, v3
	s_mov_b32 s8, 0xcf800000
	v_fma_f32 v3, v3, s8, |v0|
	v_cvt_u32_f32_e32 v3, v3
	v_ashrrev_i32_e32 v0, 31, v0
	v_xor_b32_e32 v3, v3, v0
	v_sub_u32_e32 v0, v3, v0
	global_store_byte v[1:2], v0, off
.LBB120_507:
	s_or_b64 exec, exec, s[6:7]
	s_and_b64 s[38:39], s[4:5], exec
                                        ; implicit-def: $vgpr22
                                        ; implicit-def: $vgpr26
.LBB120_508:
	s_or_saveexec_b64 s[36:37], s[36:37]
	s_mov_b64 s[4:5], 0
                                        ; implicit-def: $sgpr16
                                        ; implicit-def: $vgpr1_vgpr2
                                        ; implicit-def: $vgpr0
	s_xor_b64 exec, exec, s[36:37]
	s_cbranch_execz .LBB120_941
; %bb.509:
	s_getpc_b64 s[34:35]
	s_add_u32 s34, s34, _ZN2at6native6invokeIZZZNS0_21polygamma_kernel_cudaERNS_18TensorIteratorBaseElENKUlvE_clEvENKUlvE2_clEvEUlN3c108BFloat16EE_i15function_traitsIS8_EEENT1_11result_typeERKT_PrKPcPKT0_PKNS6_10ScalarTypeEi@rel32@lo+4
	s_addc_u32 s35, s35, _ZN2at6native6invokeIZZZNS0_21polygamma_kernel_cudaERNS_18TensorIteratorBaseElENKUlvE_clEvENKUlvE2_clEvEUlN3c108BFloat16EE_i15function_traitsIS8_EEENT1_11result_typeERKT_PrKPcPKT0_PKNS6_10ScalarTypeEi@rel32@hi+12
	v_mov_b32_e32 v0, s54
	v_mov_b32_e32 v1, s55
	;; [unrolled: 1-line block ×7, first 2 shown]
	v_add_u32_e32 v23, 0x80, v22
	v_add_u32_e32 v27, 0x100, v22
	s_swappc_b64 s[30:31], s[34:35]
	v_mov_b32_e32 v25, v0
	v_mov_b32_e32 v0, s54
	v_mov_b32_e32 v1, s55
	v_mov_b32_e32 v2, s50
	v_mov_b32_e32 v3, s51
	v_mov_b32_e32 v4, s53
	v_mov_b32_e32 v5, s70
	v_mov_b32_e32 v6, v23
	s_swappc_b64 s[30:31], s[34:35]
	v_mov_b32_e32 v24, v0
	v_mov_b32_e32 v0, s54
	v_mov_b32_e32 v1, s55
	v_mov_b32_e32 v2, s50
	v_mov_b32_e32 v3, s51
	v_mov_b32_e32 v4, s53
	v_mov_b32_e32 v5, s70
	v_mov_b32_e32 v6, v27
	;; [unrolled: 9-line block ×3, first 2 shown]
	s_swappc_b64 s[30:31], s[34:35]
	v_mul_lo_u32 v3, s52, v22
	v_mov_b32_e32 v2, s49
	s_and_b32 s16, s33, 0xff
	s_cmp_lt_i32 s16, 11
	v_ashrrev_i32_e32 v4, 31, v3
	v_add_co_u32_e32 v1, vcc, s48, v3
	v_addc_co_u32_e32 v2, vcc, v2, v4, vcc
	s_cbranch_scc1 .LBB120_588
; %bb.510:
	s_and_b32 s14, 0xffff, s16
	s_mov_b64 s[6:7], -1
	s_mov_b64 s[8:9], 0
	s_cmp_gt_i32 s14, 25
	s_mov_b64 s[10:11], 0
	s_mov_b64 s[4:5], 0
	s_cbranch_scc0 .LBB120_543
; %bb.511:
	s_cmp_gt_i32 s14, 28
	s_cbranch_scc0 .LBB120_526
; %bb.512:
	s_cmp_gt_i32 s14, 43
	;; [unrolled: 3-line block ×3, first 2 shown]
	s_cbranch_scc0 .LBB120_516
; %bb.514:
	s_mov_b64 s[4:5], -1
	s_mov_b64 s[6:7], 0
	s_cmp_eq_u32 s14, 46
	s_cbranch_scc0 .LBB120_516
; %bb.515:
	v_and_b32_e32 v4, 0xffff, v25
	global_store_dword v[1:2], v4, off
	s_mov_b64 s[4:5], 0
	s_mov_b64 s[10:11], -1
.LBB120_516:
	s_and_b64 vcc, exec, s[6:7]
	s_cbranch_vccz .LBB120_521
; %bb.517:
	s_cmp_eq_u32 s14, 44
	s_mov_b64 s[4:5], -1
	s_cbranch_scc0 .LBB120_521
; %bb.518:
	v_and_b32_e32 v5, 0xffff, v25
	v_bfe_u32 v4, v5, 7, 8
	s_movk_i32 s4, 0xff
	v_cmp_ne_u32_e32 vcc, s4, v4
	v_mov_b32_e32 v6, 0xff
	s_and_saveexec_b64 s[6:7], vcc
	s_cbranch_execz .LBB120_520
; %bb.519:
	v_lshlrev_b32_e32 v7, 16, v5
	s_mov_b32 s4, 0x3f0000
	v_lshrrev_b32_e32 v6, 7, v5
	v_and_b32_e32 v5, 64, v5
	v_and_or_b32 v4, v7, s4, v4
	v_cmp_ne_u32_e32 vcc, 0, v5
	v_cmp_ne_u32_e64 s[4:5], 0, v4
	s_and_b64 s[4:5], vcc, s[4:5]
	v_cndmask_b32_e64 v4, 0, 1, s[4:5]
	v_add_u32_e32 v6, v6, v4
.LBB120_520:
	s_or_b64 exec, exec, s[6:7]
	s_mov_b64 s[4:5], 0
	s_mov_b64 s[10:11], -1
	global_store_byte v[1:2], v6, off
.LBB120_521:
	s_mov_b64 s[6:7], 0
.LBB120_522:
	s_and_b64 vcc, exec, s[6:7]
	s_cbranch_vccz .LBB120_525
; %bb.523:
	s_cmp_eq_u32 s14, 29
	s_mov_b64 s[4:5], -1
	s_cbranch_scc0 .LBB120_525
; %bb.524:
	v_lshlrev_b32_e32 v4, 16, v25
	v_trunc_f32_e32 v4, v4
	v_mul_f32_e32 v5, 0x2f800000, v4
	v_floor_f32_e32 v6, v5
	v_fmac_f32_e32 v4, 0xcf800000, v6
	v_cvt_u32_f32_e32 v5, v6
	v_cvt_u32_f32_e32 v4, v4
	s_mov_b64 s[4:5], 0
	s_mov_b64 s[10:11], -1
	global_store_dwordx2 v[1:2], v[4:5], off
.LBB120_525:
	s_mov_b64 s[6:7], 0
.LBB120_526:
	s_and_b64 vcc, exec, s[6:7]
	s_cbranch_vccz .LBB120_542
; %bb.527:
	s_cmp_lt_i32 s14, 27
	s_mov_b64 s[6:7], -1
	s_cbranch_scc1 .LBB120_533
; %bb.528:
	s_cmp_gt_i32 s14, 27
	s_cbranch_scc0 .LBB120_530
; %bb.529:
	v_lshlrev_b32_e32 v4, 16, v25
	v_cvt_u32_f32_e32 v4, v4
	s_mov_b64 s[6:7], 0
	global_store_dword v[1:2], v4, off
.LBB120_530:
	s_andn2_b64 vcc, exec, s[6:7]
	s_cbranch_vccnz .LBB120_532
; %bb.531:
	v_lshlrev_b32_e32 v4, 16, v25
	v_cvt_u32_f32_e32 v4, v4
	global_store_short v[1:2], v4, off
.LBB120_532:
	s_mov_b64 s[6:7], 0
.LBB120_533:
	s_andn2_b64 vcc, exec, s[6:7]
	s_cbranch_vccnz .LBB120_541
; %bb.534:
	v_lshlrev_b32_e32 v6, 16, v25
	v_and_b32_e32 v5, 0x7fffffff, v6
	s_mov_b32 s6, 0x43800000
	v_cmp_gt_u32_e32 vcc, s6, v5
	v_mov_b32_e32 v7, 0x80
	s_and_saveexec_b64 s[6:7], vcc
	s_cbranch_execz .LBB120_540
; %bb.535:
	s_mov_b32 s10, 0x3bffffff
	v_and_b32_e32 v4, 0xffff, v25
	v_cmp_lt_u32_e32 vcc, s10, v5
	s_mov_b64 s[10:11], 0
                                        ; implicit-def: $vgpr5
	s_and_saveexec_b64 s[12:13], vcc
	s_xor_b64 s[12:13], exec, s[12:13]
	s_cbranch_execz .LBB120_985
; %bb.536:
	v_bfe_u32 v5, v4, 4, 1
	s_mov_b32 s15, 0x487ffff
	v_add3_u32 v5, v6, v5, s15
	s_mov_b64 s[10:11], exec
	v_lshrrev_b32_e32 v5, 20, v5
                                        ; implicit-def: $vgpr6
	s_andn2_saveexec_b64 s[12:13], s[12:13]
	s_cbranch_execnz .LBB120_986
.LBB120_537:
	s_or_b64 exec, exec, s[12:13]
	v_mov_b32_e32 v7, 0
	s_and_saveexec_b64 s[12:13], s[10:11]
.LBB120_538:
	v_lshrrev_b32_e32 v4, 8, v4
	s_movk_i32 s10, 0x80
	v_and_or_b32 v7, v4, s10, v5
.LBB120_539:
	s_or_b64 exec, exec, s[12:13]
.LBB120_540:
	s_or_b64 exec, exec, s[6:7]
	global_store_byte v[1:2], v7, off
.LBB120_541:
	s_mov_b64 s[10:11], -1
.LBB120_542:
	s_mov_b64 s[6:7], 0
.LBB120_543:
	s_and_b64 vcc, exec, s[6:7]
	s_cbranch_vccz .LBB120_583
; %bb.544:
	s_cmp_gt_i32 s14, 22
	s_mov_b64 s[6:7], -1
	s_cbranch_scc0 .LBB120_576
; %bb.545:
	s_cmp_lt_i32 s14, 24
	s_cbranch_scc1 .LBB120_565
; %bb.546:
	s_cmp_gt_i32 s14, 24
	s_cbranch_scc0 .LBB120_554
; %bb.547:
	v_lshlrev_b32_e32 v6, 16, v25
	v_and_b32_e32 v5, 0x7fffffff, v6
	s_mov_b32 s6, 0x47800000
	v_cmp_gt_u32_e32 vcc, s6, v5
	v_mov_b32_e32 v7, 0x80
	s_and_saveexec_b64 s[6:7], vcc
	s_cbranch_execz .LBB120_553
; %bb.548:
	s_mov_b32 s8, 0x37ffffff
	v_and_b32_e32 v4, 0xffff, v25
	v_cmp_lt_u32_e32 vcc, s8, v5
	s_mov_b64 s[8:9], 0
                                        ; implicit-def: $vgpr5
	s_and_saveexec_b64 s[10:11], vcc
	s_xor_b64 s[10:11], exec, s[10:11]
	s_cbranch_execz .LBB120_988
; %bb.549:
	v_bfe_u32 v5, v4, 5, 1
	s_mov_b32 s12, 0x88fffff
	v_add3_u32 v5, v6, v5, s12
	s_mov_b64 s[8:9], exec
	v_lshrrev_b32_e32 v5, 21, v5
                                        ; implicit-def: $vgpr6
	s_andn2_saveexec_b64 s[10:11], s[10:11]
	s_cbranch_execnz .LBB120_989
.LBB120_550:
	s_or_b64 exec, exec, s[10:11]
	v_mov_b32_e32 v7, 0
	s_and_saveexec_b64 s[10:11], s[8:9]
.LBB120_551:
	v_lshrrev_b32_e32 v4, 8, v4
	s_movk_i32 s8, 0x80
	v_and_or_b32 v7, v4, s8, v5
.LBB120_552:
	s_or_b64 exec, exec, s[10:11]
.LBB120_553:
	s_or_b64 exec, exec, s[6:7]
	s_mov_b64 s[6:7], 0
	global_store_byte v[1:2], v7, off
.LBB120_554:
	s_and_b64 vcc, exec, s[6:7]
	s_cbranch_vccz .LBB120_564
; %bb.555:
	v_lshlrev_b32_e32 v6, 16, v25
	v_and_b32_e32 v7, 0x7fffffff, v6
	s_mov_b32 s6, 0x43f00000
	v_and_b32_e32 v4, 0xffff, v25
	v_cmp_gt_u32_e32 vcc, s6, v7
                                        ; implicit-def: $vgpr5
	s_and_saveexec_b64 s[6:7], vcc
	s_xor_b64 s[6:7], exec, s[6:7]
	s_cbranch_execz .LBB120_561
; %bb.556:
	s_mov_b32 s8, 0x3c7fffff
	v_cmp_lt_u32_e32 vcc, s8, v7
                                        ; implicit-def: $vgpr5
	s_and_saveexec_b64 s[8:9], vcc
	s_xor_b64 s[8:9], exec, s[8:9]
; %bb.557:
	v_bfe_u32 v5, v4, 4, 1
	s_mov_b32 s10, 0x407ffff
	v_add3_u32 v5, v6, v5, s10
	v_lshrrev_b32_e32 v6, 20, v5
	v_and_b32_e32 v5, 0xff00000, v5
	s_mov_b32 s10, 0x7f00000
	v_mov_b32_e32 v7, 0x7e
	v_cmp_ne_u32_e32 vcc, s10, v5
	v_cndmask_b32_e32 v5, v7, v6, vcc
                                        ; implicit-def: $vgpr6
; %bb.558:
	s_andn2_saveexec_b64 s[8:9], s[8:9]
; %bb.559:
	s_mov_b32 s10, 0x46800000
	v_add_f32_e64 v5, |v6|, s10
; %bb.560:
	s_or_b64 exec, exec, s[8:9]
                                        ; implicit-def: $vgpr7
.LBB120_561:
	s_andn2_saveexec_b64 s[6:7], s[6:7]
; %bb.562:
	s_mov_b32 s8, 0x7f800000
	v_mov_b32_e32 v5, 0x7e
	v_mov_b32_e32 v6, 0x7f
	v_cmp_lt_u32_e32 vcc, s8, v7
	v_cndmask_b32_e32 v5, v5, v6, vcc
; %bb.563:
	s_or_b64 exec, exec, s[6:7]
	v_lshrrev_b32_e32 v4, 8, v4
	s_movk_i32 s6, 0x80
	v_and_or_b32 v4, v4, s6, v5
	global_store_byte v[1:2], v4, off
.LBB120_564:
	s_mov_b64 s[6:7], 0
.LBB120_565:
	s_andn2_b64 vcc, exec, s[6:7]
	s_cbranch_vccnz .LBB120_575
; %bb.566:
	v_lshlrev_b32_e32 v6, 16, v25
	v_and_b32_e32 v7, 0x7fffffff, v6
	s_mov_b32 s6, 0x47800000
	v_and_b32_e32 v4, 0xffff, v25
	v_cmp_gt_u32_e32 vcc, s6, v7
                                        ; implicit-def: $vgpr5
	s_and_saveexec_b64 s[6:7], vcc
	s_xor_b64 s[6:7], exec, s[6:7]
	s_cbranch_execz .LBB120_572
; %bb.567:
	s_mov_b32 s8, 0x387fffff
	v_cmp_lt_u32_e32 vcc, s8, v7
                                        ; implicit-def: $vgpr5
	s_and_saveexec_b64 s[8:9], vcc
	s_xor_b64 s[8:9], exec, s[8:9]
; %bb.568:
	v_bfe_u32 v5, v4, 5, 1
	s_mov_b32 s10, 0x80fffff
	v_add3_u32 v5, v6, v5, s10
	v_lshrrev_b32_e32 v5, 21, v5
                                        ; implicit-def: $vgpr6
; %bb.569:
	s_andn2_saveexec_b64 s[8:9], s[8:9]
; %bb.570:
	s_mov_b32 s10, 0x43000000
	v_add_f32_e64 v5, |v6|, s10
; %bb.571:
	s_or_b64 exec, exec, s[8:9]
                                        ; implicit-def: $vgpr7
.LBB120_572:
	s_andn2_saveexec_b64 s[6:7], s[6:7]
; %bb.573:
	s_mov_b32 s8, 0x7f800000
	v_mov_b32_e32 v5, 0x7c
	v_mov_b32_e32 v6, 0x7f
	v_cmp_lt_u32_e32 vcc, s8, v7
	v_cndmask_b32_e32 v5, v5, v6, vcc
; %bb.574:
	s_or_b64 exec, exec, s[6:7]
	v_lshrrev_b32_e32 v4, 8, v4
	s_movk_i32 s6, 0x80
	v_and_or_b32 v4, v4, s6, v5
	global_store_byte v[1:2], v4, off
.LBB120_575:
	s_mov_b64 s[6:7], 0
	s_mov_b64 s[10:11], -1
.LBB120_576:
	s_andn2_b64 vcc, exec, s[6:7]
	s_mov_b64 s[8:9], 0
	s_cbranch_vccnz .LBB120_583
; %bb.577:
	s_cmp_gt_i32 s14, 14
	s_mov_b64 s[6:7], -1
	s_cbranch_scc0 .LBB120_581
; %bb.578:
	s_cmp_eq_u32 s14, 15
	s_mov_b64 s[4:5], -1
	s_cbranch_scc0 .LBB120_580
; %bb.579:
	global_store_short v[1:2], v25, off
	s_mov_b64 s[4:5], 0
	s_mov_b64 s[10:11], -1
.LBB120_580:
	s_mov_b64 s[6:7], 0
.LBB120_581:
	s_and_b64 vcc, exec, s[6:7]
	s_cbranch_vccz .LBB120_583
; %bb.582:
	s_cmp_lg_u32 s14, 11
	s_mov_b64 s[8:9], -1
	s_cselect_b64 s[4:5], -1, 0
.LBB120_583:
	s_and_b64 vcc, exec, s[4:5]
	s_mov_b64 s[6:7], s[38:39]
	s_cbranch_vccnz .LBB120_987
; %bb.584:
	s_andn2_b64 vcc, exec, s[8:9]
	s_cbranch_vccnz .LBB120_586
.LBB120_585:
	v_and_b32_e32 v4, 0x7fff, v25
	v_cmp_ne_u16_e32 vcc, 0, v4
	v_cndmask_b32_e64 v4, 0, 1, vcc
	global_store_byte v[1:2], v4, off
	s_mov_b64 s[10:11], -1
.LBB120_586:
.LBB120_587:
	s_andn2_b64 vcc, exec, s[10:11]
	s_cbranch_vccz .LBB120_627
	s_branch .LBB120_939
.LBB120_588:
	s_mov_b64 s[10:11], 0
	s_mov_b64 s[6:7], s[38:39]
	s_cbranch_execz .LBB120_587
; %bb.589:
	s_and_b32 s8, 0xffff, s16
	s_cmp_lt_i32 s8, 5
	s_mov_b64 s[4:5], -1
	s_cbranch_scc1 .LBB120_610
; %bb.590:
	s_cmp_lt_i32 s8, 8
	s_cbranch_scc1 .LBB120_600
; %bb.591:
	s_cmp_lt_i32 s8, 9
	s_cbranch_scc1 .LBB120_597
; %bb.592:
	s_cmp_gt_i32 s8, 9
	s_cbranch_scc0 .LBB120_594
; %bb.593:
	v_lshlrev_b32_e32 v4, 16, v25
	v_cvt_f64_f32_e32 v[4:5], v4
	v_mov_b32_e32 v6, 0
	v_mov_b32_e32 v7, v6
	s_mov_b64 s[4:5], 0
	global_store_dwordx4 v[1:2], v[4:7], off
.LBB120_594:
	s_andn2_b64 vcc, exec, s[4:5]
	s_cbranch_vccnz .LBB120_596
; %bb.595:
	v_lshlrev_b32_e32 v4, 16, v25
	v_mov_b32_e32 v5, 0
	global_store_dwordx2 v[1:2], v[4:5], off
.LBB120_596:
	s_mov_b64 s[4:5], 0
.LBB120_597:
	s_andn2_b64 vcc, exec, s[4:5]
	s_cbranch_vccnz .LBB120_599
; %bb.598:
	v_lshlrev_b32_e32 v4, 16, v25
	v_cvt_f16_f32_e32 v4, v4
	global_store_dword v[1:2], v4, off
.LBB120_599:
	s_mov_b64 s[4:5], 0
.LBB120_600:
	s_andn2_b64 vcc, exec, s[4:5]
	s_cbranch_vccnz .LBB120_609
; %bb.601:
	s_cmp_lt_i32 s8, 6
	s_mov_b64 s[4:5], -1
	s_cbranch_scc1 .LBB120_607
; %bb.602:
	s_cmp_gt_i32 s8, 6
	s_cbranch_scc0 .LBB120_604
; %bb.603:
	v_lshlrev_b32_e32 v4, 16, v25
	v_cvt_f64_f32_e32 v[4:5], v4
	s_mov_b64 s[4:5], 0
	global_store_dwordx2 v[1:2], v[4:5], off
.LBB120_604:
	s_andn2_b64 vcc, exec, s[4:5]
	s_cbranch_vccnz .LBB120_606
; %bb.605:
	v_lshlrev_b32_e32 v4, 16, v25
	global_store_dword v[1:2], v4, off
.LBB120_606:
	s_mov_b64 s[4:5], 0
.LBB120_607:
	s_andn2_b64 vcc, exec, s[4:5]
	s_cbranch_vccnz .LBB120_609
; %bb.608:
	v_lshlrev_b32_e32 v4, 16, v25
	v_cvt_f16_f32_e32 v4, v4
	global_store_short v[1:2], v4, off
.LBB120_609:
	s_mov_b64 s[4:5], 0
.LBB120_610:
	s_andn2_b64 vcc, exec, s[4:5]
	s_cbranch_vccnz .LBB120_626
; %bb.611:
	s_cmp_lt_i32 s8, 2
	s_mov_b64 s[4:5], -1
	s_cbranch_scc1 .LBB120_621
; %bb.612:
	s_cmp_lt_i32 s8, 3
	s_cbranch_scc1 .LBB120_618
; %bb.613:
	s_cmp_gt_i32 s8, 3
	s_cbranch_scc0 .LBB120_615
; %bb.614:
	v_lshlrev_b32_e32 v4, 16, v25
	v_trunc_f32_e32 v4, v4
	s_mov_b32 s4, 0x2f800000
	v_mul_f32_e64 v5, |v4|, s4
	v_floor_f32_e32 v5, v5
	s_mov_b32 s4, 0xcf800000
	v_cvt_u32_f32_e32 v6, v5
	v_fma_f32 v5, v5, s4, |v4|
	v_cvt_u32_f32_e32 v5, v5
	v_ashrrev_i32_e32 v7, 31, v4
	v_xor_b32_e32 v6, v6, v7
	s_mov_b64 s[4:5], 0
	v_xor_b32_e32 v4, v5, v7
	v_sub_co_u32_e32 v4, vcc, v4, v7
	v_subb_co_u32_e32 v5, vcc, v6, v7, vcc
	global_store_dwordx2 v[1:2], v[4:5], off
.LBB120_615:
	s_andn2_b64 vcc, exec, s[4:5]
	s_cbranch_vccnz .LBB120_617
; %bb.616:
	v_lshlrev_b32_e32 v4, 16, v25
	v_cvt_i32_f32_e32 v4, v4
	global_store_dword v[1:2], v4, off
.LBB120_617:
	s_mov_b64 s[4:5], 0
.LBB120_618:
	s_andn2_b64 vcc, exec, s[4:5]
	s_cbranch_vccnz .LBB120_620
; %bb.619:
	v_lshlrev_b32_e32 v4, 16, v25
	v_cvt_i32_f32_e32 v4, v4
	global_store_short v[1:2], v4, off
.LBB120_620:
	s_mov_b64 s[4:5], 0
.LBB120_621:
	s_andn2_b64 vcc, exec, s[4:5]
	s_cbranch_vccnz .LBB120_626
; %bb.622:
	s_mov_b64 s[4:5], -1
	s_cmp_gt_i32 s8, 0
	v_lshlrev_b32_e32 v4, 16, v25
	s_cbranch_scc0 .LBB120_624
; %bb.623:
	v_cvt_i32_f32_e32 v5, v4
	s_mov_b64 s[4:5], 0
	global_store_byte v[1:2], v5, off
.LBB120_624:
	s_andn2_b64 vcc, exec, s[4:5]
	s_cbranch_vccnz .LBB120_626
; %bb.625:
	v_trunc_f32_e32 v4, v4
	s_mov_b32 s4, 0x2f800000
	v_mul_f32_e64 v5, |v4|, s4
	v_floor_f32_e32 v5, v5
	s_mov_b32 s4, 0xcf800000
	v_fma_f32 v5, v5, s4, |v4|
	v_cvt_u32_f32_e32 v5, v5
	v_ashrrev_i32_e32 v4, 31, v4
	v_xor_b32_e32 v5, v5, v4
	v_sub_u32_e32 v4, v5, v4
	global_store_byte v[1:2], v4, off
.LBB120_626:
.LBB120_627:
	s_lshl_b32 s17, s52, 7
	v_add_u32_e32 v3, s17, v3
	v_ashrrev_i32_e32 v2, 31, v3
	v_mov_b32_e32 v4, s49
	v_add_co_u32_e32 v1, vcc, s48, v3
	s_cmp_lt_i32 s16, 11
	v_addc_co_u32_e32 v2, vcc, v4, v2, vcc
	s_cbranch_scc1 .LBB120_706
; %bb.628:
	s_and_b32 s18, 0xffff, s16
	s_mov_b64 s[12:13], -1
	s_mov_b64 s[8:9], 0
	s_cmp_gt_i32 s18, 25
	s_mov_b64 s[10:11], 0
	s_mov_b64 s[4:5], 0
	s_cbranch_scc0 .LBB120_661
; %bb.629:
	s_cmp_gt_i32 s18, 28
	s_cbranch_scc0 .LBB120_644
; %bb.630:
	s_cmp_gt_i32 s18, 43
	;; [unrolled: 3-line block ×3, first 2 shown]
	s_cbranch_scc0 .LBB120_634
; %bb.632:
	s_mov_b64 s[4:5], -1
	s_mov_b64 s[12:13], 0
	s_cmp_eq_u32 s18, 46
	s_cbranch_scc0 .LBB120_634
; %bb.633:
	v_and_b32_e32 v4, 0xffff, v24
	global_store_dword v[1:2], v4, off
	s_mov_b64 s[4:5], 0
	s_mov_b64 s[10:11], -1
.LBB120_634:
	s_and_b64 vcc, exec, s[12:13]
	s_cbranch_vccz .LBB120_639
; %bb.635:
	s_cmp_eq_u32 s18, 44
	s_mov_b64 s[4:5], -1
	s_cbranch_scc0 .LBB120_639
; %bb.636:
	v_and_b32_e32 v5, 0xffff, v24
	v_bfe_u32 v4, v5, 7, 8
	s_movk_i32 s4, 0xff
	v_cmp_ne_u32_e32 vcc, s4, v4
	v_mov_b32_e32 v6, 0xff
	s_and_saveexec_b64 s[10:11], vcc
	s_cbranch_execz .LBB120_638
; %bb.637:
	v_lshlrev_b32_e32 v7, 16, v5
	s_mov_b32 s4, 0x3f0000
	v_lshrrev_b32_e32 v6, 7, v5
	v_and_b32_e32 v5, 64, v5
	v_and_or_b32 v4, v7, s4, v4
	v_cmp_ne_u32_e32 vcc, 0, v5
	v_cmp_ne_u32_e64 s[4:5], 0, v4
	s_and_b64 s[4:5], vcc, s[4:5]
	v_cndmask_b32_e64 v4, 0, 1, s[4:5]
	v_add_u32_e32 v6, v6, v4
.LBB120_638:
	s_or_b64 exec, exec, s[10:11]
	s_mov_b64 s[4:5], 0
	s_mov_b64 s[10:11], -1
	global_store_byte v[1:2], v6, off
.LBB120_639:
	s_mov_b64 s[12:13], 0
.LBB120_640:
	s_and_b64 vcc, exec, s[12:13]
	s_cbranch_vccz .LBB120_643
; %bb.641:
	s_cmp_eq_u32 s18, 29
	s_mov_b64 s[4:5], -1
	s_cbranch_scc0 .LBB120_643
; %bb.642:
	v_lshlrev_b32_e32 v4, 16, v24
	v_trunc_f32_e32 v4, v4
	v_mul_f32_e32 v5, 0x2f800000, v4
	v_floor_f32_e32 v6, v5
	v_fmac_f32_e32 v4, 0xcf800000, v6
	v_cvt_u32_f32_e32 v5, v6
	v_cvt_u32_f32_e32 v4, v4
	s_mov_b64 s[4:5], 0
	s_mov_b64 s[10:11], -1
	global_store_dwordx2 v[1:2], v[4:5], off
.LBB120_643:
	s_mov_b64 s[12:13], 0
.LBB120_644:
	s_and_b64 vcc, exec, s[12:13]
	s_cbranch_vccz .LBB120_660
; %bb.645:
	s_cmp_lt_i32 s18, 27
	s_mov_b64 s[10:11], -1
	s_cbranch_scc1 .LBB120_651
; %bb.646:
	s_cmp_gt_i32 s18, 27
	s_cbranch_scc0 .LBB120_648
; %bb.647:
	v_lshlrev_b32_e32 v4, 16, v24
	v_cvt_u32_f32_e32 v4, v4
	s_mov_b64 s[10:11], 0
	global_store_dword v[1:2], v4, off
.LBB120_648:
	s_andn2_b64 vcc, exec, s[10:11]
	s_cbranch_vccnz .LBB120_650
; %bb.649:
	v_lshlrev_b32_e32 v4, 16, v24
	v_cvt_u32_f32_e32 v4, v4
	global_store_short v[1:2], v4, off
.LBB120_650:
	s_mov_b64 s[10:11], 0
.LBB120_651:
	s_andn2_b64 vcc, exec, s[10:11]
	s_cbranch_vccnz .LBB120_659
; %bb.652:
	v_lshlrev_b32_e32 v6, 16, v24
	v_and_b32_e32 v5, 0x7fffffff, v6
	s_mov_b32 s10, 0x43800000
	v_cmp_gt_u32_e32 vcc, s10, v5
	v_mov_b32_e32 v7, 0x80
	s_and_saveexec_b64 s[10:11], vcc
	s_cbranch_execz .LBB120_658
; %bb.653:
	s_mov_b32 s12, 0x3bffffff
	v_and_b32_e32 v4, 0xffff, v24
	v_cmp_lt_u32_e32 vcc, s12, v5
	s_mov_b64 s[12:13], 0
                                        ; implicit-def: $vgpr5
	s_and_saveexec_b64 s[14:15], vcc
	s_xor_b64 s[14:15], exec, s[14:15]
	s_cbranch_execz .LBB120_990
; %bb.654:
	v_bfe_u32 v5, v4, 4, 1
	s_mov_b32 s19, 0x487ffff
	v_add3_u32 v5, v6, v5, s19
	s_mov_b64 s[12:13], exec
	v_lshrrev_b32_e32 v5, 20, v5
                                        ; implicit-def: $vgpr6
	s_andn2_saveexec_b64 s[14:15], s[14:15]
	s_cbranch_execnz .LBB120_991
.LBB120_655:
	s_or_b64 exec, exec, s[14:15]
	v_mov_b32_e32 v7, 0
	s_and_saveexec_b64 s[14:15], s[12:13]
.LBB120_656:
	v_lshrrev_b32_e32 v4, 8, v4
	s_movk_i32 s12, 0x80
	v_and_or_b32 v7, v4, s12, v5
.LBB120_657:
	s_or_b64 exec, exec, s[14:15]
.LBB120_658:
	s_or_b64 exec, exec, s[10:11]
	global_store_byte v[1:2], v7, off
.LBB120_659:
	s_mov_b64 s[10:11], -1
.LBB120_660:
	s_mov_b64 s[12:13], 0
.LBB120_661:
	s_and_b64 vcc, exec, s[12:13]
	s_cbranch_vccz .LBB120_701
; %bb.662:
	s_cmp_gt_i32 s18, 22
	s_mov_b64 s[8:9], -1
	s_cbranch_scc0 .LBB120_694
; %bb.663:
	s_cmp_lt_i32 s18, 24
	s_cbranch_scc1 .LBB120_683
; %bb.664:
	s_cmp_gt_i32 s18, 24
	s_cbranch_scc0 .LBB120_672
; %bb.665:
	v_lshlrev_b32_e32 v6, 16, v24
	v_and_b32_e32 v5, 0x7fffffff, v6
	s_mov_b32 s8, 0x47800000
	v_cmp_gt_u32_e32 vcc, s8, v5
	v_mov_b32_e32 v7, 0x80
	s_and_saveexec_b64 s[8:9], vcc
	s_cbranch_execz .LBB120_671
; %bb.666:
	s_mov_b32 s10, 0x37ffffff
	v_and_b32_e32 v4, 0xffff, v24
	v_cmp_lt_u32_e32 vcc, s10, v5
	s_mov_b64 s[10:11], 0
                                        ; implicit-def: $vgpr5
	s_and_saveexec_b64 s[12:13], vcc
	s_xor_b64 s[12:13], exec, s[12:13]
	s_cbranch_execz .LBB120_993
; %bb.667:
	v_bfe_u32 v5, v4, 5, 1
	s_mov_b32 s14, 0x88fffff
	v_add3_u32 v5, v6, v5, s14
	s_mov_b64 s[10:11], exec
	v_lshrrev_b32_e32 v5, 21, v5
                                        ; implicit-def: $vgpr6
	s_andn2_saveexec_b64 s[12:13], s[12:13]
	s_cbranch_execnz .LBB120_994
.LBB120_668:
	s_or_b64 exec, exec, s[12:13]
	v_mov_b32_e32 v7, 0
	s_and_saveexec_b64 s[12:13], s[10:11]
.LBB120_669:
	v_lshrrev_b32_e32 v4, 8, v4
	s_movk_i32 s10, 0x80
	v_and_or_b32 v7, v4, s10, v5
.LBB120_670:
	s_or_b64 exec, exec, s[12:13]
.LBB120_671:
	s_or_b64 exec, exec, s[8:9]
	s_mov_b64 s[8:9], 0
	global_store_byte v[1:2], v7, off
.LBB120_672:
	s_and_b64 vcc, exec, s[8:9]
	s_cbranch_vccz .LBB120_682
; %bb.673:
	v_lshlrev_b32_e32 v6, 16, v24
	v_and_b32_e32 v7, 0x7fffffff, v6
	s_mov_b32 s8, 0x43f00000
	v_and_b32_e32 v4, 0xffff, v24
	v_cmp_gt_u32_e32 vcc, s8, v7
                                        ; implicit-def: $vgpr5
	s_and_saveexec_b64 s[8:9], vcc
	s_xor_b64 s[8:9], exec, s[8:9]
	s_cbranch_execz .LBB120_679
; %bb.674:
	s_mov_b32 s10, 0x3c7fffff
	v_cmp_lt_u32_e32 vcc, s10, v7
                                        ; implicit-def: $vgpr5
	s_and_saveexec_b64 s[10:11], vcc
	s_xor_b64 s[10:11], exec, s[10:11]
; %bb.675:
	v_bfe_u32 v5, v4, 4, 1
	s_mov_b32 s12, 0x407ffff
	v_add3_u32 v5, v6, v5, s12
	v_lshrrev_b32_e32 v6, 20, v5
	v_and_b32_e32 v5, 0xff00000, v5
	s_mov_b32 s12, 0x7f00000
	v_mov_b32_e32 v7, 0x7e
	v_cmp_ne_u32_e32 vcc, s12, v5
	v_cndmask_b32_e32 v5, v7, v6, vcc
                                        ; implicit-def: $vgpr6
; %bb.676:
	s_andn2_saveexec_b64 s[10:11], s[10:11]
; %bb.677:
	s_mov_b32 s12, 0x46800000
	v_add_f32_e64 v5, |v6|, s12
; %bb.678:
	s_or_b64 exec, exec, s[10:11]
                                        ; implicit-def: $vgpr7
.LBB120_679:
	s_andn2_saveexec_b64 s[8:9], s[8:9]
; %bb.680:
	s_mov_b32 s10, 0x7f800000
	v_mov_b32_e32 v5, 0x7e
	v_mov_b32_e32 v6, 0x7f
	v_cmp_lt_u32_e32 vcc, s10, v7
	v_cndmask_b32_e32 v5, v5, v6, vcc
; %bb.681:
	s_or_b64 exec, exec, s[8:9]
	v_lshrrev_b32_e32 v4, 8, v4
	s_movk_i32 s8, 0x80
	v_and_or_b32 v4, v4, s8, v5
	global_store_byte v[1:2], v4, off
.LBB120_682:
	s_mov_b64 s[8:9], 0
.LBB120_683:
	s_andn2_b64 vcc, exec, s[8:9]
	s_cbranch_vccnz .LBB120_693
; %bb.684:
	v_lshlrev_b32_e32 v6, 16, v24
	v_and_b32_e32 v7, 0x7fffffff, v6
	s_mov_b32 s8, 0x47800000
	v_and_b32_e32 v4, 0xffff, v24
	v_cmp_gt_u32_e32 vcc, s8, v7
                                        ; implicit-def: $vgpr5
	s_and_saveexec_b64 s[8:9], vcc
	s_xor_b64 s[8:9], exec, s[8:9]
	s_cbranch_execz .LBB120_690
; %bb.685:
	s_mov_b32 s10, 0x387fffff
	v_cmp_lt_u32_e32 vcc, s10, v7
                                        ; implicit-def: $vgpr5
	s_and_saveexec_b64 s[10:11], vcc
	s_xor_b64 s[10:11], exec, s[10:11]
; %bb.686:
	v_bfe_u32 v5, v4, 5, 1
	s_mov_b32 s12, 0x80fffff
	v_add3_u32 v5, v6, v5, s12
	v_lshrrev_b32_e32 v5, 21, v5
                                        ; implicit-def: $vgpr6
; %bb.687:
	s_andn2_saveexec_b64 s[10:11], s[10:11]
; %bb.688:
	s_mov_b32 s12, 0x43000000
	v_add_f32_e64 v5, |v6|, s12
; %bb.689:
	s_or_b64 exec, exec, s[10:11]
                                        ; implicit-def: $vgpr7
.LBB120_690:
	s_andn2_saveexec_b64 s[8:9], s[8:9]
; %bb.691:
	s_mov_b32 s10, 0x7f800000
	v_mov_b32_e32 v5, 0x7c
	v_mov_b32_e32 v6, 0x7f
	v_cmp_lt_u32_e32 vcc, s10, v7
	v_cndmask_b32_e32 v5, v5, v6, vcc
; %bb.692:
	s_or_b64 exec, exec, s[8:9]
	v_lshrrev_b32_e32 v4, 8, v4
	s_movk_i32 s8, 0x80
	v_and_or_b32 v4, v4, s8, v5
	global_store_byte v[1:2], v4, off
.LBB120_693:
	s_mov_b64 s[8:9], 0
	s_mov_b64 s[10:11], -1
.LBB120_694:
	s_andn2_b64 vcc, exec, s[8:9]
	s_mov_b64 s[8:9], 0
	s_cbranch_vccnz .LBB120_701
; %bb.695:
	s_cmp_gt_i32 s18, 14
	s_mov_b64 s[12:13], -1
	s_cbranch_scc0 .LBB120_699
; %bb.696:
	s_cmp_eq_u32 s18, 15
	s_mov_b64 s[4:5], -1
	s_cbranch_scc0 .LBB120_698
; %bb.697:
	global_store_short v[1:2], v24, off
	s_mov_b64 s[4:5], 0
	s_mov_b64 s[10:11], -1
.LBB120_698:
	s_mov_b64 s[12:13], 0
.LBB120_699:
	s_and_b64 vcc, exec, s[12:13]
	s_cbranch_vccz .LBB120_701
; %bb.700:
	s_cmp_lg_u32 s18, 11
	s_mov_b64 s[8:9], -1
	s_cselect_b64 s[4:5], -1, 0
.LBB120_701:
	s_and_b64 vcc, exec, s[4:5]
	s_cbranch_vccnz .LBB120_992
; %bb.702:
	s_andn2_b64 vcc, exec, s[8:9]
	s_cbranch_vccnz .LBB120_704
.LBB120_703:
	v_and_b32_e32 v4, 0x7fff, v24
	v_cmp_ne_u16_e32 vcc, 0, v4
	v_cndmask_b32_e64 v4, 0, 1, vcc
	s_mov_b64 s[10:11], -1
	global_store_byte v[1:2], v4, off
.LBB120_704:
.LBB120_705:
	s_andn2_b64 vcc, exec, s[10:11]
	s_cbranch_vccz .LBB120_745
	s_branch .LBB120_939
.LBB120_706:
	s_mov_b64 s[10:11], 0
	s_cbranch_execz .LBB120_705
; %bb.707:
	s_and_b32 s8, 0xffff, s16
	s_cmp_lt_i32 s8, 5
	s_mov_b64 s[4:5], -1
	s_cbranch_scc1 .LBB120_728
; %bb.708:
	s_cmp_lt_i32 s8, 8
	s_cbranch_scc1 .LBB120_718
; %bb.709:
	s_cmp_lt_i32 s8, 9
	s_cbranch_scc1 .LBB120_715
; %bb.710:
	s_cmp_gt_i32 s8, 9
	s_cbranch_scc0 .LBB120_712
; %bb.711:
	v_lshlrev_b32_e32 v4, 16, v24
	v_cvt_f64_f32_e32 v[4:5], v4
	v_mov_b32_e32 v6, 0
	v_mov_b32_e32 v7, v6
	s_mov_b64 s[4:5], 0
	global_store_dwordx4 v[1:2], v[4:7], off
.LBB120_712:
	s_andn2_b64 vcc, exec, s[4:5]
	s_cbranch_vccnz .LBB120_714
; %bb.713:
	v_lshlrev_b32_e32 v4, 16, v24
	v_mov_b32_e32 v5, 0
	global_store_dwordx2 v[1:2], v[4:5], off
.LBB120_714:
	s_mov_b64 s[4:5], 0
.LBB120_715:
	s_andn2_b64 vcc, exec, s[4:5]
	s_cbranch_vccnz .LBB120_717
; %bb.716:
	v_lshlrev_b32_e32 v4, 16, v24
	v_cvt_f16_f32_e32 v4, v4
	global_store_dword v[1:2], v4, off
.LBB120_717:
	s_mov_b64 s[4:5], 0
.LBB120_718:
	s_andn2_b64 vcc, exec, s[4:5]
	s_cbranch_vccnz .LBB120_727
; %bb.719:
	s_cmp_lt_i32 s8, 6
	s_mov_b64 s[4:5], -1
	s_cbranch_scc1 .LBB120_725
; %bb.720:
	s_cmp_gt_i32 s8, 6
	s_cbranch_scc0 .LBB120_722
; %bb.721:
	v_lshlrev_b32_e32 v4, 16, v24
	v_cvt_f64_f32_e32 v[4:5], v4
	s_mov_b64 s[4:5], 0
	global_store_dwordx2 v[1:2], v[4:5], off
.LBB120_722:
	s_andn2_b64 vcc, exec, s[4:5]
	s_cbranch_vccnz .LBB120_724
; %bb.723:
	v_lshlrev_b32_e32 v4, 16, v24
	global_store_dword v[1:2], v4, off
.LBB120_724:
	s_mov_b64 s[4:5], 0
.LBB120_725:
	s_andn2_b64 vcc, exec, s[4:5]
	s_cbranch_vccnz .LBB120_727
; %bb.726:
	v_lshlrev_b32_e32 v4, 16, v24
	v_cvt_f16_f32_e32 v4, v4
	global_store_short v[1:2], v4, off
.LBB120_727:
	s_mov_b64 s[4:5], 0
.LBB120_728:
	s_andn2_b64 vcc, exec, s[4:5]
	s_cbranch_vccnz .LBB120_744
; %bb.729:
	s_cmp_lt_i32 s8, 2
	s_mov_b64 s[4:5], -1
	s_cbranch_scc1 .LBB120_739
; %bb.730:
	s_cmp_lt_i32 s8, 3
	s_cbranch_scc1 .LBB120_736
; %bb.731:
	s_cmp_gt_i32 s8, 3
	s_cbranch_scc0 .LBB120_733
; %bb.732:
	v_lshlrev_b32_e32 v4, 16, v24
	v_trunc_f32_e32 v4, v4
	s_mov_b32 s4, 0x2f800000
	v_mul_f32_e64 v5, |v4|, s4
	v_floor_f32_e32 v5, v5
	s_mov_b32 s4, 0xcf800000
	v_cvt_u32_f32_e32 v6, v5
	v_fma_f32 v5, v5, s4, |v4|
	v_cvt_u32_f32_e32 v5, v5
	v_ashrrev_i32_e32 v7, 31, v4
	v_xor_b32_e32 v6, v6, v7
	s_mov_b64 s[4:5], 0
	v_xor_b32_e32 v4, v5, v7
	v_sub_co_u32_e32 v4, vcc, v4, v7
	v_subb_co_u32_e32 v5, vcc, v6, v7, vcc
	global_store_dwordx2 v[1:2], v[4:5], off
.LBB120_733:
	s_andn2_b64 vcc, exec, s[4:5]
	s_cbranch_vccnz .LBB120_735
; %bb.734:
	v_lshlrev_b32_e32 v4, 16, v24
	v_cvt_i32_f32_e32 v4, v4
	global_store_dword v[1:2], v4, off
.LBB120_735:
	s_mov_b64 s[4:5], 0
.LBB120_736:
	s_andn2_b64 vcc, exec, s[4:5]
	s_cbranch_vccnz .LBB120_738
; %bb.737:
	v_lshlrev_b32_e32 v4, 16, v24
	v_cvt_i32_f32_e32 v4, v4
	global_store_short v[1:2], v4, off
.LBB120_738:
	s_mov_b64 s[4:5], 0
.LBB120_739:
	s_andn2_b64 vcc, exec, s[4:5]
	s_cbranch_vccnz .LBB120_744
; %bb.740:
	s_mov_b64 s[4:5], -1
	s_cmp_gt_i32 s8, 0
	v_lshlrev_b32_e32 v4, 16, v24
	s_cbranch_scc0 .LBB120_742
; %bb.741:
	v_cvt_i32_f32_e32 v5, v4
	s_mov_b64 s[4:5], 0
	global_store_byte v[1:2], v5, off
.LBB120_742:
	s_andn2_b64 vcc, exec, s[4:5]
	s_cbranch_vccnz .LBB120_744
; %bb.743:
	v_trunc_f32_e32 v4, v4
	s_mov_b32 s4, 0x2f800000
	v_mul_f32_e64 v5, |v4|, s4
	v_floor_f32_e32 v5, v5
	s_mov_b32 s4, 0xcf800000
	v_fma_f32 v5, v5, s4, |v4|
	v_cvt_u32_f32_e32 v5, v5
	v_ashrrev_i32_e32 v4, 31, v4
	v_xor_b32_e32 v5, v5, v4
	v_sub_u32_e32 v4, v5, v4
	global_store_byte v[1:2], v4, off
.LBB120_744:
.LBB120_745:
	v_add_u32_e32 v3, s17, v3
	v_ashrrev_i32_e32 v2, 31, v3
	v_mov_b32_e32 v4, s49
	v_add_co_u32_e32 v1, vcc, s48, v3
	s_cmp_lt_i32 s16, 11
	v_addc_co_u32_e32 v2, vcc, v4, v2, vcc
	s_cbranch_scc1 .LBB120_900
; %bb.746:
	s_and_b32 s18, 0xffff, s16
	s_mov_b64 s[12:13], -1
	s_mov_b64 s[8:9], 0
	s_cmp_gt_i32 s18, 25
	s_mov_b64 s[10:11], 0
	s_mov_b64 s[4:5], 0
	s_cbranch_scc0 .LBB120_779
; %bb.747:
	s_cmp_gt_i32 s18, 28
	s_cbranch_scc0 .LBB120_762
; %bb.748:
	s_cmp_gt_i32 s18, 43
	;; [unrolled: 3-line block ×3, first 2 shown]
	s_cbranch_scc0 .LBB120_752
; %bb.750:
	s_mov_b64 s[4:5], -1
	s_mov_b64 s[12:13], 0
	s_cmp_eq_u32 s18, 46
	s_cbranch_scc0 .LBB120_752
; %bb.751:
	v_and_b32_e32 v4, 0xffff, v23
	global_store_dword v[1:2], v4, off
	s_mov_b64 s[4:5], 0
	s_mov_b64 s[10:11], -1
.LBB120_752:
	s_and_b64 vcc, exec, s[12:13]
	s_cbranch_vccz .LBB120_757
; %bb.753:
	s_cmp_eq_u32 s18, 44
	s_mov_b64 s[4:5], -1
	s_cbranch_scc0 .LBB120_757
; %bb.754:
	v_and_b32_e32 v5, 0xffff, v23
	v_bfe_u32 v4, v5, 7, 8
	s_movk_i32 s4, 0xff
	v_cmp_ne_u32_e32 vcc, s4, v4
	v_mov_b32_e32 v6, 0xff
	s_and_saveexec_b64 s[10:11], vcc
	s_cbranch_execz .LBB120_756
; %bb.755:
	v_lshlrev_b32_e32 v7, 16, v5
	s_mov_b32 s4, 0x3f0000
	v_lshrrev_b32_e32 v6, 7, v5
	v_and_b32_e32 v5, 64, v5
	v_and_or_b32 v4, v7, s4, v4
	v_cmp_ne_u32_e32 vcc, 0, v5
	v_cmp_ne_u32_e64 s[4:5], 0, v4
	s_and_b64 s[4:5], vcc, s[4:5]
	v_cndmask_b32_e64 v4, 0, 1, s[4:5]
	v_add_u32_e32 v6, v6, v4
.LBB120_756:
	s_or_b64 exec, exec, s[10:11]
	s_mov_b64 s[4:5], 0
	s_mov_b64 s[10:11], -1
	global_store_byte v[1:2], v6, off
.LBB120_757:
	s_mov_b64 s[12:13], 0
.LBB120_758:
	s_and_b64 vcc, exec, s[12:13]
	s_cbranch_vccz .LBB120_761
; %bb.759:
	s_cmp_eq_u32 s18, 29
	s_mov_b64 s[4:5], -1
	s_cbranch_scc0 .LBB120_761
; %bb.760:
	v_lshlrev_b32_e32 v4, 16, v23
	v_trunc_f32_e32 v4, v4
	v_mul_f32_e32 v5, 0x2f800000, v4
	v_floor_f32_e32 v6, v5
	v_fmac_f32_e32 v4, 0xcf800000, v6
	v_cvt_u32_f32_e32 v5, v6
	v_cvt_u32_f32_e32 v4, v4
	s_mov_b64 s[4:5], 0
	s_mov_b64 s[10:11], -1
	global_store_dwordx2 v[1:2], v[4:5], off
.LBB120_761:
	s_mov_b64 s[12:13], 0
.LBB120_762:
	s_and_b64 vcc, exec, s[12:13]
	s_cbranch_vccz .LBB120_778
; %bb.763:
	s_cmp_lt_i32 s18, 27
	s_mov_b64 s[10:11], -1
	s_cbranch_scc1 .LBB120_769
; %bb.764:
	s_cmp_gt_i32 s18, 27
	s_cbranch_scc0 .LBB120_766
; %bb.765:
	v_lshlrev_b32_e32 v4, 16, v23
	v_cvt_u32_f32_e32 v4, v4
	s_mov_b64 s[10:11], 0
	global_store_dword v[1:2], v4, off
.LBB120_766:
	s_andn2_b64 vcc, exec, s[10:11]
	s_cbranch_vccnz .LBB120_768
; %bb.767:
	v_lshlrev_b32_e32 v4, 16, v23
	v_cvt_u32_f32_e32 v4, v4
	global_store_short v[1:2], v4, off
.LBB120_768:
	s_mov_b64 s[10:11], 0
.LBB120_769:
	s_andn2_b64 vcc, exec, s[10:11]
	s_cbranch_vccnz .LBB120_777
; %bb.770:
	v_lshlrev_b32_e32 v6, 16, v23
	v_and_b32_e32 v5, 0x7fffffff, v6
	s_mov_b32 s10, 0x43800000
	v_cmp_gt_u32_e32 vcc, s10, v5
	v_mov_b32_e32 v7, 0x80
	s_and_saveexec_b64 s[10:11], vcc
	s_cbranch_execz .LBB120_776
; %bb.771:
	s_mov_b32 s12, 0x3bffffff
	v_and_b32_e32 v4, 0xffff, v23
	v_cmp_lt_u32_e32 vcc, s12, v5
	s_mov_b64 s[12:13], 0
                                        ; implicit-def: $vgpr5
	s_and_saveexec_b64 s[14:15], vcc
	s_xor_b64 s[14:15], exec, s[14:15]
	s_cbranch_execz .LBB120_995
; %bb.772:
	v_bfe_u32 v5, v4, 4, 1
	s_mov_b32 s19, 0x487ffff
	v_add3_u32 v5, v6, v5, s19
	s_mov_b64 s[12:13], exec
	v_lshrrev_b32_e32 v5, 20, v5
                                        ; implicit-def: $vgpr6
	s_andn2_saveexec_b64 s[14:15], s[14:15]
	s_cbranch_execnz .LBB120_996
.LBB120_773:
	s_or_b64 exec, exec, s[14:15]
	v_mov_b32_e32 v7, 0
	s_and_saveexec_b64 s[14:15], s[12:13]
.LBB120_774:
	v_lshrrev_b32_e32 v4, 8, v4
	s_movk_i32 s12, 0x80
	v_and_or_b32 v7, v4, s12, v5
.LBB120_775:
	s_or_b64 exec, exec, s[14:15]
.LBB120_776:
	s_or_b64 exec, exec, s[10:11]
	global_store_byte v[1:2], v7, off
.LBB120_777:
	s_mov_b64 s[10:11], -1
.LBB120_778:
	s_mov_b64 s[12:13], 0
.LBB120_779:
	s_and_b64 vcc, exec, s[12:13]
	s_cbranch_vccz .LBB120_819
; %bb.780:
	s_cmp_gt_i32 s18, 22
	s_mov_b64 s[8:9], -1
	s_cbranch_scc0 .LBB120_812
; %bb.781:
	s_cmp_lt_i32 s18, 24
	s_cbranch_scc1 .LBB120_801
; %bb.782:
	s_cmp_gt_i32 s18, 24
	s_cbranch_scc0 .LBB120_790
; %bb.783:
	v_lshlrev_b32_e32 v6, 16, v23
	v_and_b32_e32 v5, 0x7fffffff, v6
	s_mov_b32 s8, 0x47800000
	v_cmp_gt_u32_e32 vcc, s8, v5
	v_mov_b32_e32 v7, 0x80
	s_and_saveexec_b64 s[8:9], vcc
	s_cbranch_execz .LBB120_789
; %bb.784:
	s_mov_b32 s10, 0x37ffffff
	v_and_b32_e32 v4, 0xffff, v23
	v_cmp_lt_u32_e32 vcc, s10, v5
	s_mov_b64 s[10:11], 0
                                        ; implicit-def: $vgpr5
	s_and_saveexec_b64 s[12:13], vcc
	s_xor_b64 s[12:13], exec, s[12:13]
	s_cbranch_execz .LBB120_1000
; %bb.785:
	v_bfe_u32 v5, v4, 5, 1
	s_mov_b32 s14, 0x88fffff
	v_add3_u32 v5, v6, v5, s14
	s_mov_b64 s[10:11], exec
	v_lshrrev_b32_e32 v5, 21, v5
                                        ; implicit-def: $vgpr6
	s_andn2_saveexec_b64 s[12:13], s[12:13]
	s_cbranch_execnz .LBB120_1001
.LBB120_786:
	s_or_b64 exec, exec, s[12:13]
	v_mov_b32_e32 v7, 0
	s_and_saveexec_b64 s[12:13], s[10:11]
.LBB120_787:
	v_lshrrev_b32_e32 v4, 8, v4
	s_movk_i32 s10, 0x80
	v_and_or_b32 v7, v4, s10, v5
.LBB120_788:
	s_or_b64 exec, exec, s[12:13]
.LBB120_789:
	s_or_b64 exec, exec, s[8:9]
	s_mov_b64 s[8:9], 0
	global_store_byte v[1:2], v7, off
.LBB120_790:
	s_and_b64 vcc, exec, s[8:9]
	s_cbranch_vccz .LBB120_800
; %bb.791:
	v_lshlrev_b32_e32 v6, 16, v23
	v_and_b32_e32 v7, 0x7fffffff, v6
	s_mov_b32 s8, 0x43f00000
	v_and_b32_e32 v4, 0xffff, v23
	v_cmp_gt_u32_e32 vcc, s8, v7
                                        ; implicit-def: $vgpr5
	s_and_saveexec_b64 s[8:9], vcc
	s_xor_b64 s[8:9], exec, s[8:9]
	s_cbranch_execz .LBB120_797
; %bb.792:
	s_mov_b32 s10, 0x3c7fffff
	v_cmp_lt_u32_e32 vcc, s10, v7
                                        ; implicit-def: $vgpr5
	s_and_saveexec_b64 s[10:11], vcc
	s_xor_b64 s[10:11], exec, s[10:11]
; %bb.793:
	v_bfe_u32 v5, v4, 4, 1
	s_mov_b32 s12, 0x407ffff
	v_add3_u32 v5, v6, v5, s12
	v_lshrrev_b32_e32 v6, 20, v5
	v_and_b32_e32 v5, 0xff00000, v5
	s_mov_b32 s12, 0x7f00000
	v_mov_b32_e32 v7, 0x7e
	v_cmp_ne_u32_e32 vcc, s12, v5
	v_cndmask_b32_e32 v5, v7, v6, vcc
                                        ; implicit-def: $vgpr6
; %bb.794:
	s_andn2_saveexec_b64 s[10:11], s[10:11]
; %bb.795:
	s_mov_b32 s12, 0x46800000
	v_add_f32_e64 v5, |v6|, s12
; %bb.796:
	s_or_b64 exec, exec, s[10:11]
                                        ; implicit-def: $vgpr7
.LBB120_797:
	s_andn2_saveexec_b64 s[8:9], s[8:9]
; %bb.798:
	s_mov_b32 s10, 0x7f800000
	v_mov_b32_e32 v5, 0x7e
	v_mov_b32_e32 v6, 0x7f
	v_cmp_lt_u32_e32 vcc, s10, v7
	v_cndmask_b32_e32 v5, v5, v6, vcc
; %bb.799:
	s_or_b64 exec, exec, s[8:9]
	v_lshrrev_b32_e32 v4, 8, v4
	s_movk_i32 s8, 0x80
	v_and_or_b32 v4, v4, s8, v5
	global_store_byte v[1:2], v4, off
.LBB120_800:
	s_mov_b64 s[8:9], 0
.LBB120_801:
	s_andn2_b64 vcc, exec, s[8:9]
	s_cbranch_vccnz .LBB120_811
; %bb.802:
	v_lshlrev_b32_e32 v6, 16, v23
	v_and_b32_e32 v7, 0x7fffffff, v6
	s_mov_b32 s8, 0x47800000
	v_and_b32_e32 v4, 0xffff, v23
	v_cmp_gt_u32_e32 vcc, s8, v7
                                        ; implicit-def: $vgpr5
	s_and_saveexec_b64 s[8:9], vcc
	s_xor_b64 s[8:9], exec, s[8:9]
	s_cbranch_execz .LBB120_808
; %bb.803:
	s_mov_b32 s10, 0x387fffff
	v_cmp_lt_u32_e32 vcc, s10, v7
                                        ; implicit-def: $vgpr5
	s_and_saveexec_b64 s[10:11], vcc
	s_xor_b64 s[10:11], exec, s[10:11]
; %bb.804:
	v_bfe_u32 v5, v4, 5, 1
	s_mov_b32 s12, 0x80fffff
	v_add3_u32 v5, v6, v5, s12
	v_lshrrev_b32_e32 v5, 21, v5
                                        ; implicit-def: $vgpr6
; %bb.805:
	s_andn2_saveexec_b64 s[10:11], s[10:11]
; %bb.806:
	s_mov_b32 s12, 0x43000000
	v_add_f32_e64 v5, |v6|, s12
; %bb.807:
	s_or_b64 exec, exec, s[10:11]
                                        ; implicit-def: $vgpr7
.LBB120_808:
	s_andn2_saveexec_b64 s[8:9], s[8:9]
; %bb.809:
	s_mov_b32 s10, 0x7f800000
	v_mov_b32_e32 v5, 0x7c
	v_mov_b32_e32 v6, 0x7f
	v_cmp_lt_u32_e32 vcc, s10, v7
	v_cndmask_b32_e32 v5, v5, v6, vcc
; %bb.810:
	s_or_b64 exec, exec, s[8:9]
	v_lshrrev_b32_e32 v4, 8, v4
	s_movk_i32 s8, 0x80
	v_and_or_b32 v4, v4, s8, v5
	global_store_byte v[1:2], v4, off
.LBB120_811:
	s_mov_b64 s[8:9], 0
	s_mov_b64 s[10:11], -1
.LBB120_812:
	s_andn2_b64 vcc, exec, s[8:9]
	s_mov_b64 s[8:9], 0
	s_cbranch_vccnz .LBB120_819
; %bb.813:
	s_cmp_gt_i32 s18, 14
	s_mov_b64 s[12:13], -1
	s_cbranch_scc0 .LBB120_817
; %bb.814:
	s_cmp_eq_u32 s18, 15
	s_mov_b64 s[4:5], -1
	s_cbranch_scc0 .LBB120_816
; %bb.815:
	global_store_short v[1:2], v23, off
	s_mov_b64 s[4:5], 0
	s_mov_b64 s[10:11], -1
.LBB120_816:
	s_mov_b64 s[12:13], 0
.LBB120_817:
	s_and_b64 vcc, exec, s[12:13]
	s_cbranch_vccz .LBB120_819
; %bb.818:
	s_cmp_lg_u32 s18, 11
	s_mov_b64 s[8:9], -1
	s_cselect_b64 s[4:5], -1, 0
.LBB120_819:
	s_and_b64 vcc, exec, s[4:5]
	s_cbranch_vccnz .LBB120_997
; %bb.820:
	s_andn2_b64 vcc, exec, s[8:9]
	s_cbranch_vccnz .LBB120_822
.LBB120_821:
	v_and_b32_e32 v4, 0x7fff, v23
	v_cmp_ne_u16_e32 vcc, 0, v4
	v_cndmask_b32_e64 v4, 0, 1, vcc
	s_mov_b64 s[10:11], -1
	global_store_byte v[1:2], v4, off
.LBB120_822:
.LBB120_823:
	s_andn2_b64 vcc, exec, s[10:11]
	s_cbranch_vccnz .LBB120_939
.LBB120_824:
	v_add_u32_e32 v1, s17, v3
	v_ashrrev_i32_e32 v2, 31, v1
	v_mov_b32_e32 v3, s49
	v_add_co_u32_e32 v1, vcc, s48, v1
	s_cmp_lt_i32 s16, 11
	v_addc_co_u32_e32 v2, vcc, v3, v2, vcc
	s_cbranch_scc1 .LBB120_984
; %bb.825:
	s_and_b32 s17, 0xffff, s16
	s_mov_b64 s[10:11], -1
	s_mov_b64 s[8:9], 0
	s_cmp_gt_i32 s17, 25
	s_mov_b64 s[4:5], 0
	s_cbranch_scc0 .LBB120_858
; %bb.826:
	s_cmp_gt_i32 s17, 28
	s_cbranch_scc0 .LBB120_842
; %bb.827:
	s_cmp_gt_i32 s17, 43
	;; [unrolled: 3-line block ×3, first 2 shown]
	s_cbranch_scc0 .LBB120_832
; %bb.829:
	s_cmp_eq_u32 s17, 46
	s_mov_b64 s[4:5], -1
	s_cbranch_scc0 .LBB120_831
; %bb.830:
	v_and_b32_e32 v3, 0xffff, v0
	global_store_dword v[1:2], v3, off
	s_mov_b64 s[4:5], 0
.LBB120_831:
	s_mov_b64 s[10:11], 0
.LBB120_832:
	s_and_b64 vcc, exec, s[10:11]
	s_cbranch_vccz .LBB120_837
; %bb.833:
	s_cmp_eq_u32 s17, 44
	s_mov_b64 s[4:5], -1
	s_cbranch_scc0 .LBB120_837
; %bb.834:
	v_and_b32_e32 v4, 0xffff, v0
	v_bfe_u32 v3, v4, 7, 8
	s_movk_i32 s4, 0xff
	v_cmp_ne_u32_e32 vcc, s4, v3
	v_mov_b32_e32 v5, 0xff
	s_and_saveexec_b64 s[10:11], vcc
	s_cbranch_execz .LBB120_836
; %bb.835:
	v_lshlrev_b32_e32 v6, 16, v4
	s_mov_b32 s4, 0x3f0000
	v_lshrrev_b32_e32 v5, 7, v4
	v_and_b32_e32 v4, 64, v4
	v_and_or_b32 v3, v6, s4, v3
	v_cmp_ne_u32_e32 vcc, 0, v4
	v_cmp_ne_u32_e64 s[4:5], 0, v3
	s_and_b64 s[4:5], vcc, s[4:5]
	v_cndmask_b32_e64 v3, 0, 1, s[4:5]
	v_add_u32_e32 v5, v5, v3
.LBB120_836:
	s_or_b64 exec, exec, s[10:11]
	s_mov_b64 s[4:5], 0
	global_store_byte v[1:2], v5, off
.LBB120_837:
	s_mov_b64 s[10:11], 0
.LBB120_838:
	s_and_b64 vcc, exec, s[10:11]
	s_cbranch_vccz .LBB120_841
; %bb.839:
	s_cmp_eq_u32 s17, 29
	s_mov_b64 s[4:5], -1
	s_cbranch_scc0 .LBB120_841
; %bb.840:
	v_lshlrev_b32_e32 v3, 16, v0
	v_trunc_f32_e32 v3, v3
	v_mul_f32_e32 v4, 0x2f800000, v3
	v_floor_f32_e32 v5, v4
	v_fmac_f32_e32 v3, 0xcf800000, v5
	v_cvt_u32_f32_e32 v4, v5
	v_cvt_u32_f32_e32 v3, v3
	s_mov_b64 s[4:5], 0
	global_store_dwordx2 v[1:2], v[3:4], off
.LBB120_841:
	s_mov_b64 s[10:11], 0
.LBB120_842:
	s_and_b64 vcc, exec, s[10:11]
	s_cbranch_vccz .LBB120_857
; %bb.843:
	s_cmp_lt_i32 s17, 27
	s_mov_b64 s[10:11], -1
	s_cbranch_scc1 .LBB120_849
; %bb.844:
	s_cmp_gt_i32 s17, 27
	s_cbranch_scc0 .LBB120_846
; %bb.845:
	v_lshlrev_b32_e32 v3, 16, v0
	v_cvt_u32_f32_e32 v3, v3
	s_mov_b64 s[10:11], 0
	global_store_dword v[1:2], v3, off
.LBB120_846:
	s_andn2_b64 vcc, exec, s[10:11]
	s_cbranch_vccnz .LBB120_848
; %bb.847:
	v_lshlrev_b32_e32 v3, 16, v0
	v_cvt_u32_f32_e32 v3, v3
	global_store_short v[1:2], v3, off
.LBB120_848:
	s_mov_b64 s[10:11], 0
.LBB120_849:
	s_andn2_b64 vcc, exec, s[10:11]
	s_cbranch_vccnz .LBB120_857
; %bb.850:
	v_lshlrev_b32_e32 v5, 16, v0
	v_and_b32_e32 v4, 0x7fffffff, v5
	s_mov_b32 s10, 0x43800000
	v_cmp_gt_u32_e32 vcc, s10, v4
	v_mov_b32_e32 v6, 0x80
	s_and_saveexec_b64 s[10:11], vcc
	s_cbranch_execz .LBB120_856
; %bb.851:
	s_mov_b32 s12, 0x3bffffff
	v_and_b32_e32 v3, 0xffff, v0
	v_cmp_lt_u32_e32 vcc, s12, v4
	s_mov_b64 s[12:13], 0
                                        ; implicit-def: $vgpr4
	s_and_saveexec_b64 s[14:15], vcc
	s_xor_b64 s[14:15], exec, s[14:15]
	s_cbranch_execz .LBB120_1002
; %bb.852:
	v_bfe_u32 v4, v3, 4, 1
	s_mov_b32 s18, 0x487ffff
	v_add3_u32 v4, v5, v4, s18
	s_mov_b64 s[12:13], exec
	v_lshrrev_b32_e32 v4, 20, v4
                                        ; implicit-def: $vgpr5
	s_andn2_saveexec_b64 s[14:15], s[14:15]
	s_cbranch_execnz .LBB120_1003
.LBB120_853:
	s_or_b64 exec, exec, s[14:15]
	v_mov_b32_e32 v6, 0
	s_and_saveexec_b64 s[14:15], s[12:13]
.LBB120_854:
	v_lshrrev_b32_e32 v3, 8, v3
	s_movk_i32 s12, 0x80
	v_and_or_b32 v6, v3, s12, v4
.LBB120_855:
	s_or_b64 exec, exec, s[14:15]
.LBB120_856:
	s_or_b64 exec, exec, s[10:11]
	global_store_byte v[1:2], v6, off
.LBB120_857:
	s_mov_b64 s[10:11], 0
.LBB120_858:
	s_and_b64 vcc, exec, s[10:11]
	s_cbranch_vccz .LBB120_898
; %bb.859:
	s_cmp_gt_i32 s17, 22
	s_mov_b64 s[8:9], -1
	s_cbranch_scc0 .LBB120_891
; %bb.860:
	s_cmp_lt_i32 s17, 24
	s_cbranch_scc1 .LBB120_880
; %bb.861:
	s_cmp_gt_i32 s17, 24
	s_cbranch_scc0 .LBB120_869
; %bb.862:
	v_lshlrev_b32_e32 v5, 16, v0
	v_and_b32_e32 v4, 0x7fffffff, v5
	s_mov_b32 s8, 0x47800000
	v_cmp_gt_u32_e32 vcc, s8, v4
	v_mov_b32_e32 v6, 0x80
	s_and_saveexec_b64 s[8:9], vcc
	s_cbranch_execz .LBB120_868
; %bb.863:
	s_mov_b32 s10, 0x37ffffff
	v_and_b32_e32 v3, 0xffff, v0
	v_cmp_lt_u32_e32 vcc, s10, v4
	s_mov_b64 s[10:11], 0
                                        ; implicit-def: $vgpr4
	s_and_saveexec_b64 s[12:13], vcc
	s_xor_b64 s[12:13], exec, s[12:13]
	s_cbranch_execz .LBB120_1009
; %bb.864:
	v_bfe_u32 v4, v3, 5, 1
	s_mov_b32 s14, 0x88fffff
	v_add3_u32 v4, v5, v4, s14
	s_mov_b64 s[10:11], exec
	v_lshrrev_b32_e32 v4, 21, v4
                                        ; implicit-def: $vgpr5
	s_andn2_saveexec_b64 s[12:13], s[12:13]
	s_cbranch_execnz .LBB120_1010
.LBB120_865:
	s_or_b64 exec, exec, s[12:13]
	v_mov_b32_e32 v6, 0
	s_and_saveexec_b64 s[12:13], s[10:11]
.LBB120_866:
	v_lshrrev_b32_e32 v3, 8, v3
	s_movk_i32 s10, 0x80
	v_and_or_b32 v6, v3, s10, v4
.LBB120_867:
	s_or_b64 exec, exec, s[12:13]
.LBB120_868:
	s_or_b64 exec, exec, s[8:9]
	s_mov_b64 s[8:9], 0
	global_store_byte v[1:2], v6, off
.LBB120_869:
	s_and_b64 vcc, exec, s[8:9]
	s_cbranch_vccz .LBB120_879
; %bb.870:
	v_lshlrev_b32_e32 v5, 16, v0
	v_and_b32_e32 v6, 0x7fffffff, v5
	s_mov_b32 s8, 0x43f00000
	v_and_b32_e32 v3, 0xffff, v0
	v_cmp_gt_u32_e32 vcc, s8, v6
                                        ; implicit-def: $vgpr4
	s_and_saveexec_b64 s[8:9], vcc
	s_xor_b64 s[8:9], exec, s[8:9]
	s_cbranch_execz .LBB120_876
; %bb.871:
	s_mov_b32 s10, 0x3c7fffff
	v_cmp_lt_u32_e32 vcc, s10, v6
                                        ; implicit-def: $vgpr4
	s_and_saveexec_b64 s[10:11], vcc
	s_xor_b64 s[10:11], exec, s[10:11]
; %bb.872:
	v_bfe_u32 v4, v3, 4, 1
	s_mov_b32 s12, 0x407ffff
	v_add3_u32 v4, v5, v4, s12
	v_lshrrev_b32_e32 v5, 20, v4
	v_and_b32_e32 v4, 0xff00000, v4
	s_mov_b32 s12, 0x7f00000
	v_mov_b32_e32 v6, 0x7e
	v_cmp_ne_u32_e32 vcc, s12, v4
	v_cndmask_b32_e32 v4, v6, v5, vcc
                                        ; implicit-def: $vgpr5
; %bb.873:
	s_andn2_saveexec_b64 s[10:11], s[10:11]
; %bb.874:
	s_mov_b32 s12, 0x46800000
	v_add_f32_e64 v4, |v5|, s12
; %bb.875:
	s_or_b64 exec, exec, s[10:11]
                                        ; implicit-def: $vgpr6
.LBB120_876:
	s_andn2_saveexec_b64 s[8:9], s[8:9]
; %bb.877:
	s_mov_b32 s10, 0x7f800000
	v_mov_b32_e32 v4, 0x7e
	v_mov_b32_e32 v5, 0x7f
	v_cmp_lt_u32_e32 vcc, s10, v6
	v_cndmask_b32_e32 v4, v4, v5, vcc
; %bb.878:
	s_or_b64 exec, exec, s[8:9]
	v_lshrrev_b32_e32 v3, 8, v3
	s_movk_i32 s8, 0x80
	v_and_or_b32 v3, v3, s8, v4
	global_store_byte v[1:2], v3, off
.LBB120_879:
	s_mov_b64 s[8:9], 0
.LBB120_880:
	s_andn2_b64 vcc, exec, s[8:9]
	s_cbranch_vccnz .LBB120_890
; %bb.881:
	v_lshlrev_b32_e32 v5, 16, v0
	v_and_b32_e32 v6, 0x7fffffff, v5
	s_mov_b32 s8, 0x47800000
	v_and_b32_e32 v3, 0xffff, v0
	v_cmp_gt_u32_e32 vcc, s8, v6
                                        ; implicit-def: $vgpr4
	s_and_saveexec_b64 s[8:9], vcc
	s_xor_b64 s[8:9], exec, s[8:9]
	s_cbranch_execz .LBB120_887
; %bb.882:
	s_mov_b32 s10, 0x387fffff
	v_cmp_lt_u32_e32 vcc, s10, v6
                                        ; implicit-def: $vgpr4
	s_and_saveexec_b64 s[10:11], vcc
	s_xor_b64 s[10:11], exec, s[10:11]
; %bb.883:
	v_bfe_u32 v4, v3, 5, 1
	s_mov_b32 s12, 0x80fffff
	v_add3_u32 v4, v5, v4, s12
	v_lshrrev_b32_e32 v4, 21, v4
                                        ; implicit-def: $vgpr5
; %bb.884:
	s_andn2_saveexec_b64 s[10:11], s[10:11]
; %bb.885:
	s_mov_b32 s12, 0x43000000
	v_add_f32_e64 v4, |v5|, s12
; %bb.886:
	s_or_b64 exec, exec, s[10:11]
                                        ; implicit-def: $vgpr6
.LBB120_887:
	s_andn2_saveexec_b64 s[8:9], s[8:9]
; %bb.888:
	s_mov_b32 s10, 0x7f800000
	v_mov_b32_e32 v4, 0x7c
	v_mov_b32_e32 v5, 0x7f
	v_cmp_lt_u32_e32 vcc, s10, v6
	v_cndmask_b32_e32 v4, v4, v5, vcc
; %bb.889:
	s_or_b64 exec, exec, s[8:9]
	v_lshrrev_b32_e32 v3, 8, v3
	s_movk_i32 s8, 0x80
	v_and_or_b32 v3, v3, s8, v4
	global_store_byte v[1:2], v3, off
.LBB120_890:
	s_mov_b64 s[8:9], 0
.LBB120_891:
	s_andn2_b64 vcc, exec, s[8:9]
	s_mov_b64 s[8:9], 0
	s_cbranch_vccnz .LBB120_898
; %bb.892:
	s_cmp_gt_i32 s17, 14
	s_mov_b64 s[10:11], -1
	s_cbranch_scc0 .LBB120_896
; %bb.893:
	s_cmp_eq_u32 s17, 15
	s_mov_b64 s[4:5], -1
	s_cbranch_scc0 .LBB120_895
; %bb.894:
	global_store_short v[1:2], v0, off
	s_mov_b64 s[4:5], 0
.LBB120_895:
	s_mov_b64 s[10:11], 0
.LBB120_896:
	s_and_b64 vcc, exec, s[10:11]
	s_cbranch_vccz .LBB120_898
; %bb.897:
	s_cmp_lg_u32 s17, 11
	s_mov_b64 s[8:9], -1
	s_cselect_b64 s[4:5], -1, 0
.LBB120_898:
	s_and_b64 vcc, exec, s[4:5]
	s_cbranch_vccnz .LBB120_1004
.LBB120_899:
	s_mov_b64 s[4:5], 0
	s_branch .LBB120_940
.LBB120_900:
	s_mov_b64 s[10:11], 0
	s_cbranch_execz .LBB120_823
; %bb.901:
	s_and_b32 s8, 0xffff, s16
	s_cmp_lt_i32 s8, 5
	s_mov_b64 s[4:5], -1
	s_cbranch_scc1 .LBB120_922
; %bb.902:
	s_cmp_lt_i32 s8, 8
	s_cbranch_scc1 .LBB120_912
; %bb.903:
	s_cmp_lt_i32 s8, 9
	s_cbranch_scc1 .LBB120_909
; %bb.904:
	s_cmp_gt_i32 s8, 9
	s_cbranch_scc0 .LBB120_906
; %bb.905:
	v_lshlrev_b32_e32 v4, 16, v23
	v_cvt_f64_f32_e32 v[4:5], v4
	v_mov_b32_e32 v6, 0
	v_mov_b32_e32 v7, v6
	s_mov_b64 s[4:5], 0
	global_store_dwordx4 v[1:2], v[4:7], off
.LBB120_906:
	s_andn2_b64 vcc, exec, s[4:5]
	s_cbranch_vccnz .LBB120_908
; %bb.907:
	v_lshlrev_b32_e32 v4, 16, v23
	v_mov_b32_e32 v5, 0
	global_store_dwordx2 v[1:2], v[4:5], off
.LBB120_908:
	s_mov_b64 s[4:5], 0
.LBB120_909:
	s_andn2_b64 vcc, exec, s[4:5]
	s_cbranch_vccnz .LBB120_911
; %bb.910:
	v_lshlrev_b32_e32 v4, 16, v23
	v_cvt_f16_f32_e32 v4, v4
	global_store_dword v[1:2], v4, off
.LBB120_911:
	s_mov_b64 s[4:5], 0
.LBB120_912:
	s_andn2_b64 vcc, exec, s[4:5]
	s_cbranch_vccnz .LBB120_921
; %bb.913:
	s_cmp_lt_i32 s8, 6
	s_mov_b64 s[4:5], -1
	s_cbranch_scc1 .LBB120_919
; %bb.914:
	s_cmp_gt_i32 s8, 6
	s_cbranch_scc0 .LBB120_916
; %bb.915:
	v_lshlrev_b32_e32 v4, 16, v23
	v_cvt_f64_f32_e32 v[4:5], v4
	s_mov_b64 s[4:5], 0
	global_store_dwordx2 v[1:2], v[4:5], off
.LBB120_916:
	s_andn2_b64 vcc, exec, s[4:5]
	s_cbranch_vccnz .LBB120_918
; %bb.917:
	v_lshlrev_b32_e32 v4, 16, v23
	global_store_dword v[1:2], v4, off
.LBB120_918:
	s_mov_b64 s[4:5], 0
.LBB120_919:
	s_andn2_b64 vcc, exec, s[4:5]
	s_cbranch_vccnz .LBB120_921
; %bb.920:
	v_lshlrev_b32_e32 v4, 16, v23
	v_cvt_f16_f32_e32 v4, v4
	global_store_short v[1:2], v4, off
.LBB120_921:
	s_mov_b64 s[4:5], 0
.LBB120_922:
	s_andn2_b64 vcc, exec, s[4:5]
	s_cbranch_vccnz .LBB120_938
; %bb.923:
	s_cmp_lt_i32 s8, 2
	s_mov_b64 s[4:5], -1
	s_cbranch_scc1 .LBB120_933
; %bb.924:
	s_cmp_lt_i32 s8, 3
	s_cbranch_scc1 .LBB120_930
; %bb.925:
	s_cmp_gt_i32 s8, 3
	s_cbranch_scc0 .LBB120_927
; %bb.926:
	v_lshlrev_b32_e32 v4, 16, v23
	v_trunc_f32_e32 v4, v4
	s_mov_b32 s4, 0x2f800000
	v_mul_f32_e64 v5, |v4|, s4
	v_floor_f32_e32 v5, v5
	s_mov_b32 s4, 0xcf800000
	v_cvt_u32_f32_e32 v6, v5
	v_fma_f32 v5, v5, s4, |v4|
	v_cvt_u32_f32_e32 v5, v5
	v_ashrrev_i32_e32 v7, 31, v4
	v_xor_b32_e32 v6, v6, v7
	s_mov_b64 s[4:5], 0
	v_xor_b32_e32 v4, v5, v7
	v_sub_co_u32_e32 v4, vcc, v4, v7
	v_subb_co_u32_e32 v5, vcc, v6, v7, vcc
	global_store_dwordx2 v[1:2], v[4:5], off
.LBB120_927:
	s_andn2_b64 vcc, exec, s[4:5]
	s_cbranch_vccnz .LBB120_929
; %bb.928:
	v_lshlrev_b32_e32 v4, 16, v23
	v_cvt_i32_f32_e32 v4, v4
	global_store_dword v[1:2], v4, off
.LBB120_929:
	s_mov_b64 s[4:5], 0
.LBB120_930:
	s_andn2_b64 vcc, exec, s[4:5]
	s_cbranch_vccnz .LBB120_932
; %bb.931:
	v_lshlrev_b32_e32 v4, 16, v23
	v_cvt_i32_f32_e32 v4, v4
	global_store_short v[1:2], v4, off
.LBB120_932:
	s_mov_b64 s[4:5], 0
.LBB120_933:
	s_andn2_b64 vcc, exec, s[4:5]
	s_cbranch_vccnz .LBB120_938
; %bb.934:
	s_mov_b64 s[4:5], -1
	s_cmp_gt_i32 s8, 0
	v_lshlrev_b32_e32 v4, 16, v23
	s_cbranch_scc0 .LBB120_936
; %bb.935:
	v_cvt_i32_f32_e32 v5, v4
	s_mov_b64 s[4:5], 0
	global_store_byte v[1:2], v5, off
.LBB120_936:
	s_andn2_b64 vcc, exec, s[4:5]
	s_cbranch_vccnz .LBB120_938
; %bb.937:
	v_trunc_f32_e32 v4, v4
	s_mov_b32 s4, 0x2f800000
	v_mul_f32_e64 v5, |v4|, s4
	v_floor_f32_e32 v5, v5
	s_mov_b32 s4, 0xcf800000
	v_fma_f32 v5, v5, s4, |v4|
	v_cvt_u32_f32_e32 v5, v5
	v_ashrrev_i32_e32 v4, 31, v4
	v_xor_b32_e32 v5, v5, v4
	v_sub_u32_e32 v4, v5, v4
	global_store_byte v[1:2], v4, off
.LBB120_938:
	s_branch .LBB120_824
.LBB120_939:
	s_mov_b64 s[4:5], 0
	s_mov_b64 s[8:9], 0
                                        ; implicit-def: $sgpr16
                                        ; implicit-def: $vgpr1_vgpr2
.LBB120_940:
	s_and_b64 s[34:35], s[8:9], exec
	s_andn2_b64 s[8:9], s[38:39], exec
	s_and_b64 s[6:7], s[6:7], exec
	s_and_b64 s[4:5], s[4:5], exec
	s_or_b64 s[38:39], s[8:9], s[6:7]
.LBB120_941:
	s_or_b64 exec, exec, s[36:37]
	s_and_saveexec_b64 s[6:7], s[38:39]
	s_cbranch_execz .LBB120_944
; %bb.942:
	; divergent unreachable
	s_or_b64 exec, exec, s[6:7]
	s_and_saveexec_b64 s[6:7], s[34:35]
	s_xor_b64 s[6:7], exec, s[6:7]
	s_cbranch_execnz .LBB120_945
.LBB120_943:
	s_or_b64 exec, exec, s[6:7]
	s_and_saveexec_b64 s[6:7], s[4:5]
	s_cbranch_execnz .LBB120_946
	s_branch .LBB120_983
.LBB120_944:
	s_or_b64 exec, exec, s[6:7]
	s_and_saveexec_b64 s[6:7], s[34:35]
	s_xor_b64 s[6:7], exec, s[6:7]
	s_cbranch_execz .LBB120_943
.LBB120_945:
	v_and_b32_e32 v3, 0x7fff, v0
	v_cmp_ne_u16_e32 vcc, 0, v3
	v_cndmask_b32_e64 v3, 0, 1, vcc
	global_store_byte v[1:2], v3, off
	s_or_b64 exec, exec, s[6:7]
	s_and_saveexec_b64 s[6:7], s[4:5]
	s_cbranch_execz .LBB120_983
.LBB120_946:
	s_sext_i32_i16 s6, s16
	s_cmp_lt_i32 s6, 5
	s_mov_b64 s[4:5], -1
	s_cbranch_scc1 .LBB120_967
; %bb.947:
	s_cmp_lt_i32 s6, 8
	s_cbranch_scc1 .LBB120_957
; %bb.948:
	s_cmp_lt_i32 s6, 9
	s_cbranch_scc1 .LBB120_954
; %bb.949:
	s_cmp_gt_i32 s6, 9
	s_cbranch_scc0 .LBB120_951
; %bb.950:
	v_lshlrev_b32_e32 v3, 16, v0
	v_cvt_f64_f32_e32 v[3:4], v3
	v_mov_b32_e32 v5, 0
	v_mov_b32_e32 v6, v5
	s_mov_b64 s[4:5], 0
	global_store_dwordx4 v[1:2], v[3:6], off
.LBB120_951:
	s_andn2_b64 vcc, exec, s[4:5]
	s_cbranch_vccnz .LBB120_953
; %bb.952:
	v_lshlrev_b32_e32 v3, 16, v0
	v_mov_b32_e32 v4, 0
	global_store_dwordx2 v[1:2], v[3:4], off
.LBB120_953:
	s_mov_b64 s[4:5], 0
.LBB120_954:
	s_andn2_b64 vcc, exec, s[4:5]
	s_cbranch_vccnz .LBB120_956
; %bb.955:
	v_lshlrev_b32_e32 v3, 16, v0
	v_cvt_f16_f32_e32 v3, v3
	global_store_dword v[1:2], v3, off
.LBB120_956:
	s_mov_b64 s[4:5], 0
.LBB120_957:
	s_andn2_b64 vcc, exec, s[4:5]
	s_cbranch_vccnz .LBB120_966
; %bb.958:
	s_sext_i32_i16 s6, s16
	s_cmp_lt_i32 s6, 6
	s_mov_b64 s[4:5], -1
	s_cbranch_scc1 .LBB120_964
; %bb.959:
	s_cmp_gt_i32 s6, 6
	s_cbranch_scc0 .LBB120_961
; %bb.960:
	v_lshlrev_b32_e32 v3, 16, v0
	v_cvt_f64_f32_e32 v[3:4], v3
	s_mov_b64 s[4:5], 0
	global_store_dwordx2 v[1:2], v[3:4], off
.LBB120_961:
	s_andn2_b64 vcc, exec, s[4:5]
	s_cbranch_vccnz .LBB120_963
; %bb.962:
	v_lshlrev_b32_e32 v3, 16, v0
	global_store_dword v[1:2], v3, off
.LBB120_963:
	s_mov_b64 s[4:5], 0
.LBB120_964:
	s_andn2_b64 vcc, exec, s[4:5]
	s_cbranch_vccnz .LBB120_966
; %bb.965:
	v_lshlrev_b32_e32 v3, 16, v0
	v_cvt_f16_f32_e32 v3, v3
	global_store_short v[1:2], v3, off
.LBB120_966:
	s_mov_b64 s[4:5], 0
.LBB120_967:
	s_andn2_b64 vcc, exec, s[4:5]
	s_cbranch_vccnz .LBB120_983
; %bb.968:
	s_sext_i32_i16 s6, s16
	s_cmp_lt_i32 s6, 2
	s_mov_b64 s[4:5], -1
	s_cbranch_scc1 .LBB120_978
; %bb.969:
	s_cmp_lt_i32 s6, 3
	s_cbranch_scc1 .LBB120_975
; %bb.970:
	s_cmp_gt_i32 s6, 3
	s_cbranch_scc0 .LBB120_972
; %bb.971:
	v_lshlrev_b32_e32 v3, 16, v0
	v_trunc_f32_e32 v3, v3
	s_mov_b32 s4, 0x2f800000
	v_mul_f32_e64 v4, |v3|, s4
	v_floor_f32_e32 v4, v4
	s_mov_b32 s4, 0xcf800000
	v_cvt_u32_f32_e32 v5, v4
	v_fma_f32 v4, v4, s4, |v3|
	v_cvt_u32_f32_e32 v4, v4
	v_ashrrev_i32_e32 v6, 31, v3
	v_xor_b32_e32 v5, v5, v6
	s_mov_b64 s[4:5], 0
	v_xor_b32_e32 v3, v4, v6
	v_sub_co_u32_e32 v3, vcc, v3, v6
	v_subb_co_u32_e32 v4, vcc, v5, v6, vcc
	global_store_dwordx2 v[1:2], v[3:4], off
.LBB120_972:
	s_andn2_b64 vcc, exec, s[4:5]
	s_cbranch_vccnz .LBB120_974
; %bb.973:
	v_lshlrev_b32_e32 v3, 16, v0
	v_cvt_i32_f32_e32 v3, v3
	global_store_dword v[1:2], v3, off
.LBB120_974:
	s_mov_b64 s[4:5], 0
.LBB120_975:
	s_andn2_b64 vcc, exec, s[4:5]
	s_cbranch_vccnz .LBB120_977
; %bb.976:
	v_lshlrev_b32_e32 v3, 16, v0
	v_cvt_i32_f32_e32 v3, v3
	global_store_short v[1:2], v3, off
.LBB120_977:
	s_mov_b64 s[4:5], 0
.LBB120_978:
	s_andn2_b64 vcc, exec, s[4:5]
	s_cbranch_vccnz .LBB120_983
; %bb.979:
	s_sext_i32_i16 s6, s16
	s_mov_b64 s[4:5], -1
	s_cmp_gt_i32 s6, 0
	v_lshlrev_b32_e32 v0, 16, v0
	s_cbranch_scc0 .LBB120_981
; %bb.980:
	v_cvt_i32_f32_e32 v3, v0
	s_mov_b64 s[4:5], 0
	global_store_byte v[1:2], v3, off
.LBB120_981:
	s_andn2_b64 vcc, exec, s[4:5]
	s_cbranch_vccnz .LBB120_983
; %bb.982:
	v_trunc_f32_e32 v0, v0
	s_mov_b32 s4, 0x2f800000
	v_mul_f32_e64 v3, |v0|, s4
	v_floor_f32_e32 v3, v3
	s_mov_b32 s4, 0xcf800000
	v_fma_f32 v3, v3, s4, |v0|
	v_cvt_u32_f32_e32 v3, v3
	v_ashrrev_i32_e32 v0, 31, v0
	v_xor_b32_e32 v3, v3, v0
	v_sub_u32_e32 v0, v3, v0
	global_store_byte v[1:2], v0, off
	s_endpgm
.LBB120_983:
	s_endpgm
.LBB120_984:
	s_mov_b64 s[8:9], 0
	s_mov_b64 s[4:5], -1
	s_branch .LBB120_940
.LBB120_985:
	s_andn2_saveexec_b64 s[12:13], s[12:13]
	s_cbranch_execz .LBB120_537
.LBB120_986:
	s_mov_b32 s15, 0x46000000
	v_add_f32_e64 v5, |v6|, s15
	v_and_b32_e32 v5, 0xff, v5
	v_cmp_ne_u32_e32 vcc, 0, v5
	s_andn2_b64 s[10:11], s[10:11], exec
	s_and_b64 s[18:19], vcc, exec
	s_or_b64 s[10:11], s[10:11], s[18:19]
	s_or_b64 exec, exec, s[12:13]
	v_mov_b32_e32 v7, 0
	s_and_saveexec_b64 s[12:13], s[10:11]
	s_cbranch_execnz .LBB120_538
	s_branch .LBB120_539
.LBB120_987:
	s_or_b64 s[6:7], s[38:39], exec
	s_trap 2
	s_cbranch_execz .LBB120_585
	s_branch .LBB120_586
.LBB120_988:
	s_andn2_saveexec_b64 s[10:11], s[10:11]
	s_cbranch_execz .LBB120_550
.LBB120_989:
	s_mov_b32 s12, 0x42800000
	v_add_f32_e64 v5, |v6|, s12
	v_and_b32_e32 v5, 0xff, v5
	v_cmp_ne_u32_e32 vcc, 0, v5
	s_andn2_b64 s[8:9], s[8:9], exec
	s_and_b64 s[12:13], vcc, exec
	s_or_b64 s[8:9], s[8:9], s[12:13]
	s_or_b64 exec, exec, s[10:11]
	v_mov_b32_e32 v7, 0
	s_and_saveexec_b64 s[10:11], s[8:9]
	s_cbranch_execnz .LBB120_551
	s_branch .LBB120_552
.LBB120_990:
	s_andn2_saveexec_b64 s[14:15], s[14:15]
	s_cbranch_execz .LBB120_655
.LBB120_991:
	s_mov_b32 s19, 0x46000000
	v_add_f32_e64 v5, |v6|, s19
	v_and_b32_e32 v5, 0xff, v5
	v_cmp_ne_u32_e32 vcc, 0, v5
	s_andn2_b64 s[12:13], s[12:13], exec
	s_and_b64 s[20:21], vcc, exec
	s_or_b64 s[12:13], s[12:13], s[20:21]
	s_or_b64 exec, exec, s[14:15]
	v_mov_b32_e32 v7, 0
	s_and_saveexec_b64 s[14:15], s[12:13]
	s_cbranch_execnz .LBB120_656
	s_branch .LBB120_657
.LBB120_992:
	s_trap 2
	s_or_b64 s[6:7], s[6:7], exec
	s_cbranch_execz .LBB120_703
	s_branch .LBB120_704
.LBB120_993:
	s_andn2_saveexec_b64 s[12:13], s[12:13]
	s_cbranch_execz .LBB120_668
.LBB120_994:
	s_mov_b32 s14, 0x42800000
	v_add_f32_e64 v5, |v6|, s14
	v_and_b32_e32 v5, 0xff, v5
	v_cmp_ne_u32_e32 vcc, 0, v5
	s_andn2_b64 s[10:11], s[10:11], exec
	s_and_b64 s[14:15], vcc, exec
	s_or_b64 s[10:11], s[10:11], s[14:15]
	s_or_b64 exec, exec, s[12:13]
	v_mov_b32_e32 v7, 0
	s_and_saveexec_b64 s[12:13], s[10:11]
	s_cbranch_execnz .LBB120_669
	s_branch .LBB120_670
.LBB120_995:
	s_andn2_saveexec_b64 s[14:15], s[14:15]
	s_cbranch_execz .LBB120_773
.LBB120_996:
	s_mov_b32 s19, 0x46000000
	v_add_f32_e64 v5, |v6|, s19
	v_and_b32_e32 v5, 0xff, v5
	v_cmp_ne_u32_e32 vcc, 0, v5
	s_andn2_b64 s[12:13], s[12:13], exec
	s_and_b64 s[20:21], vcc, exec
	s_or_b64 s[12:13], s[12:13], s[20:21]
	s_or_b64 exec, exec, s[14:15]
	v_mov_b32_e32 v7, 0
	s_and_saveexec_b64 s[14:15], s[12:13]
	s_cbranch_execnz .LBB120_774
	s_branch .LBB120_775
.LBB120_997:
	s_trap 2
	s_or_b64 s[6:7], s[6:7], exec
	s_cbranch_execz .LBB120_821
	s_branch .LBB120_822
.LBB120_998:
	s_andn2_saveexec_b64 s[10:11], s[10:11]
	s_cbranch_execz .LBB120_295
.LBB120_999:
	s_mov_b32 s14, 0x46000000
	v_add_f32_e64 v4, |v5|, s14
	v_and_b32_e32 v4, 0xff, v4
	v_cmp_ne_u32_e32 vcc, 0, v4
	s_andn2_b64 s[8:9], s[8:9], exec
	s_and_b64 s[14:15], vcc, exec
	s_or_b64 s[8:9], s[8:9], s[14:15]
	s_or_b64 exec, exec, s[10:11]
	v_mov_b32_e32 v6, 0
	s_and_saveexec_b64 s[10:11], s[8:9]
	s_cbranch_execnz .LBB120_296
	s_branch .LBB120_297
.LBB120_1000:
	s_andn2_saveexec_b64 s[12:13], s[12:13]
	s_cbranch_execz .LBB120_786
.LBB120_1001:
	s_mov_b32 s14, 0x42800000
	v_add_f32_e64 v5, |v6|, s14
	v_and_b32_e32 v5, 0xff, v5
	v_cmp_ne_u32_e32 vcc, 0, v5
	s_andn2_b64 s[10:11], s[10:11], exec
	s_and_b64 s[14:15], vcc, exec
	s_or_b64 s[10:11], s[10:11], s[14:15]
	s_or_b64 exec, exec, s[12:13]
	v_mov_b32_e32 v7, 0
	s_and_saveexec_b64 s[12:13], s[10:11]
	s_cbranch_execnz .LBB120_787
	s_branch .LBB120_788
.LBB120_1002:
	s_andn2_saveexec_b64 s[14:15], s[14:15]
	s_cbranch_execz .LBB120_853
.LBB120_1003:
	s_mov_b32 s18, 0x46000000
	v_add_f32_e64 v4, |v5|, s18
	v_and_b32_e32 v4, 0xff, v4
	v_cmp_ne_u32_e32 vcc, 0, v4
	s_andn2_b64 s[12:13], s[12:13], exec
	s_and_b64 s[18:19], vcc, exec
	s_or_b64 s[12:13], s[12:13], s[18:19]
	s_or_b64 exec, exec, s[14:15]
	v_mov_b32_e32 v6, 0
	s_and_saveexec_b64 s[14:15], s[12:13]
	s_cbranch_execnz .LBB120_854
	s_branch .LBB120_855
.LBB120_1004:
	s_mov_b64 s[8:9], 0
	s_or_b64 s[6:7], s[6:7], exec
	s_trap 2
	s_branch .LBB120_899
.LBB120_1005:
	s_andn2_saveexec_b64 s[10:11], s[10:11]
	s_cbranch_execz .LBB120_308
.LBB120_1006:
	s_mov_b32 s14, 0x42800000
	v_add_f32_e64 v4, |v5|, s14
	v_and_b32_e32 v4, 0xff, v4
	v_cmp_ne_u32_e32 vcc, 0, v4
	s_andn2_b64 s[8:9], s[8:9], exec
	s_and_b64 s[14:15], vcc, exec
	s_or_b64 s[8:9], s[8:9], s[14:15]
	s_or_b64 exec, exec, s[10:11]
	v_mov_b32_e32 v6, 0
	s_and_saveexec_b64 s[10:11], s[8:9]
	s_cbranch_execnz .LBB120_309
	s_branch .LBB120_310
.LBB120_1007:
	s_andn2_saveexec_b64 s[10:11], s[10:11]
	s_cbranch_execz .LBB120_418
.LBB120_1008:
	s_mov_b32 s12, 0x46000000
	v_add_f32_e64 v4, |v5|, s12
	v_and_b32_e32 v4, 0xff, v4
	v_cmp_ne_u32_e32 vcc, 0, v4
	s_andn2_b64 s[8:9], s[8:9], exec
	s_and_b64 s[12:13], vcc, exec
	s_or_b64 s[8:9], s[8:9], s[12:13]
	s_or_b64 exec, exec, s[10:11]
	v_mov_b32_e32 v6, 0
	s_and_saveexec_b64 s[10:11], s[8:9]
	s_cbranch_execnz .LBB120_419
	s_branch .LBB120_420
.LBB120_1009:
	s_andn2_saveexec_b64 s[12:13], s[12:13]
	s_cbranch_execz .LBB120_865
.LBB120_1010:
	s_mov_b32 s14, 0x42800000
	v_add_f32_e64 v4, |v5|, s14
	v_and_b32_e32 v4, 0xff, v4
	v_cmp_ne_u32_e32 vcc, 0, v4
	s_andn2_b64 s[10:11], s[10:11], exec
	s_and_b64 s[14:15], vcc, exec
	s_or_b64 s[10:11], s[10:11], s[14:15]
	s_or_b64 exec, exec, s[12:13]
	v_mov_b32_e32 v6, 0
	s_and_saveexec_b64 s[12:13], s[10:11]
	s_cbranch_execnz .LBB120_866
	s_branch .LBB120_867
.LBB120_1011:
	s_andn2_saveexec_b64 s[12:13], s[12:13]
	s_cbranch_execz .LBB120_430
.LBB120_1012:
	s_mov_b32 s16, 0x42800000
	v_add_f32_e64 v4, |v5|, s16
	v_and_b32_e32 v4, 0xff, v4
	v_cmp_ne_u32_e32 vcc, 0, v4
	s_andn2_b64 s[10:11], s[10:11], exec
	s_and_b64 s[16:17], vcc, exec
	s_or_b64 s[10:11], s[10:11], s[16:17]
	s_or_b64 exec, exec, s[12:13]
	v_mov_b32_e32 v6, 0
	s_and_saveexec_b64 s[12:13], s[10:11]
	s_cbranch_execnz .LBB120_431
	s_branch .LBB120_432
	.section	.rodata,"a",@progbits
	.p2align	6, 0x0
	.amdhsa_kernel _ZN2at6native32elementwise_kernel_manual_unrollILi128ELi4EZNS0_15gpu_kernel_implIZZZNS0_21polygamma_kernel_cudaERNS_18TensorIteratorBaseElENKUlvE_clEvENKUlvE2_clEvEUlN3c108BFloat16EE_EEvS4_RKT_EUlibE_EEviT1_
		.amdhsa_group_segment_fixed_size 0
		.amdhsa_private_segment_fixed_size 0
		.amdhsa_kernarg_size 48
		.amdhsa_user_sgpr_count 6
		.amdhsa_user_sgpr_private_segment_buffer 1
		.amdhsa_user_sgpr_dispatch_ptr 0
		.amdhsa_user_sgpr_queue_ptr 0
		.amdhsa_user_sgpr_kernarg_segment_ptr 1
		.amdhsa_user_sgpr_dispatch_id 0
		.amdhsa_user_sgpr_flat_scratch_init 0
		.amdhsa_user_sgpr_private_segment_size 0
		.amdhsa_uses_dynamic_stack 0
		.amdhsa_system_sgpr_private_segment_wavefront_offset 0
		.amdhsa_system_sgpr_workgroup_id_x 1
		.amdhsa_system_sgpr_workgroup_id_y 0
		.amdhsa_system_sgpr_workgroup_id_z 0
		.amdhsa_system_sgpr_workgroup_info 0
		.amdhsa_system_vgpr_workitem_id 0
		.amdhsa_next_free_vgpr 28
		.amdhsa_next_free_sgpr 71
		.amdhsa_reserve_vcc 1
		.amdhsa_reserve_flat_scratch 0
		.amdhsa_float_round_mode_32 0
		.amdhsa_float_round_mode_16_64 0
		.amdhsa_float_denorm_mode_32 3
		.amdhsa_float_denorm_mode_16_64 3
		.amdhsa_dx10_clamp 1
		.amdhsa_ieee_mode 1
		.amdhsa_fp16_overflow 0
		.amdhsa_exception_fp_ieee_invalid_op 0
		.amdhsa_exception_fp_denorm_src 0
		.amdhsa_exception_fp_ieee_div_zero 0
		.amdhsa_exception_fp_ieee_overflow 0
		.amdhsa_exception_fp_ieee_underflow 0
		.amdhsa_exception_fp_ieee_inexact 0
		.amdhsa_exception_int_div_zero 0
	.end_amdhsa_kernel
	.section	.text._ZN2at6native32elementwise_kernel_manual_unrollILi128ELi4EZNS0_15gpu_kernel_implIZZZNS0_21polygamma_kernel_cudaERNS_18TensorIteratorBaseElENKUlvE_clEvENKUlvE2_clEvEUlN3c108BFloat16EE_EEvS4_RKT_EUlibE_EEviT1_,"axG",@progbits,_ZN2at6native32elementwise_kernel_manual_unrollILi128ELi4EZNS0_15gpu_kernel_implIZZZNS0_21polygamma_kernel_cudaERNS_18TensorIteratorBaseElENKUlvE_clEvENKUlvE2_clEvEUlN3c108BFloat16EE_EEvS4_RKT_EUlibE_EEviT1_,comdat
.Lfunc_end120:
	.size	_ZN2at6native32elementwise_kernel_manual_unrollILi128ELi4EZNS0_15gpu_kernel_implIZZZNS0_21polygamma_kernel_cudaERNS_18TensorIteratorBaseElENKUlvE_clEvENKUlvE2_clEvEUlN3c108BFloat16EE_EEvS4_RKT_EUlibE_EEviT1_, .Lfunc_end120-_ZN2at6native32elementwise_kernel_manual_unrollILi128ELi4EZNS0_15gpu_kernel_implIZZZNS0_21polygamma_kernel_cudaERNS_18TensorIteratorBaseElENKUlvE_clEvENKUlvE2_clEvEUlN3c108BFloat16EE_EEvS4_RKT_EUlibE_EEviT1_
                                        ; -- End function
	.set _ZN2at6native32elementwise_kernel_manual_unrollILi128ELi4EZNS0_15gpu_kernel_implIZZZNS0_21polygamma_kernel_cudaERNS_18TensorIteratorBaseElENKUlvE_clEvENKUlvE2_clEvEUlN3c108BFloat16EE_EEvS4_RKT_EUlibE_EEviT1_.num_vgpr, max(28, .L_ZN2at6native6invokeIZZZNS0_21polygamma_kernel_cudaERNS_18TensorIteratorBaseElENKUlvE_clEvENKUlvE2_clEvEUlN3c108BFloat16EE_i15function_traitsIS8_EEENT1_11result_typeERKT_PrKPcPKT0_PKNS6_10ScalarTypeEi.num_vgpr)
	.set _ZN2at6native32elementwise_kernel_manual_unrollILi128ELi4EZNS0_15gpu_kernel_implIZZZNS0_21polygamma_kernel_cudaERNS_18TensorIteratorBaseElENKUlvE_clEvENKUlvE2_clEvEUlN3c108BFloat16EE_EEvS4_RKT_EUlibE_EEviT1_.num_agpr, max(0, .L_ZN2at6native6invokeIZZZNS0_21polygamma_kernel_cudaERNS_18TensorIteratorBaseElENKUlvE_clEvENKUlvE2_clEvEUlN3c108BFloat16EE_i15function_traitsIS8_EEENT1_11result_typeERKT_PrKPcPKT0_PKNS6_10ScalarTypeEi.num_agpr)
	.set _ZN2at6native32elementwise_kernel_manual_unrollILi128ELi4EZNS0_15gpu_kernel_implIZZZNS0_21polygamma_kernel_cudaERNS_18TensorIteratorBaseElENKUlvE_clEvENKUlvE2_clEvEUlN3c108BFloat16EE_EEvS4_RKT_EUlibE_EEviT1_.numbered_sgpr, max(71, .L_ZN2at6native6invokeIZZZNS0_21polygamma_kernel_cudaERNS_18TensorIteratorBaseElENKUlvE_clEvENKUlvE2_clEvEUlN3c108BFloat16EE_i15function_traitsIS8_EEENT1_11result_typeERKT_PrKPcPKT0_PKNS6_10ScalarTypeEi.numbered_sgpr)
	.set _ZN2at6native32elementwise_kernel_manual_unrollILi128ELi4EZNS0_15gpu_kernel_implIZZZNS0_21polygamma_kernel_cudaERNS_18TensorIteratorBaseElENKUlvE_clEvENKUlvE2_clEvEUlN3c108BFloat16EE_EEvS4_RKT_EUlibE_EEviT1_.num_named_barrier, max(0, .L_ZN2at6native6invokeIZZZNS0_21polygamma_kernel_cudaERNS_18TensorIteratorBaseElENKUlvE_clEvENKUlvE2_clEvEUlN3c108BFloat16EE_i15function_traitsIS8_EEENT1_11result_typeERKT_PrKPcPKT0_PKNS6_10ScalarTypeEi.num_named_barrier)
	.set _ZN2at6native32elementwise_kernel_manual_unrollILi128ELi4EZNS0_15gpu_kernel_implIZZZNS0_21polygamma_kernel_cudaERNS_18TensorIteratorBaseElENKUlvE_clEvENKUlvE2_clEvEUlN3c108BFloat16EE_EEvS4_RKT_EUlibE_EEviT1_.private_seg_size, 0+max(.L_ZN2at6native6invokeIZZZNS0_21polygamma_kernel_cudaERNS_18TensorIteratorBaseElENKUlvE_clEvENKUlvE2_clEvEUlN3c108BFloat16EE_i15function_traitsIS8_EEENT1_11result_typeERKT_PrKPcPKT0_PKNS6_10ScalarTypeEi.private_seg_size)
	.set _ZN2at6native32elementwise_kernel_manual_unrollILi128ELi4EZNS0_15gpu_kernel_implIZZZNS0_21polygamma_kernel_cudaERNS_18TensorIteratorBaseElENKUlvE_clEvENKUlvE2_clEvEUlN3c108BFloat16EE_EEvS4_RKT_EUlibE_EEviT1_.uses_vcc, or(1, .L_ZN2at6native6invokeIZZZNS0_21polygamma_kernel_cudaERNS_18TensorIteratorBaseElENKUlvE_clEvENKUlvE2_clEvEUlN3c108BFloat16EE_i15function_traitsIS8_EEENT1_11result_typeERKT_PrKPcPKT0_PKNS6_10ScalarTypeEi.uses_vcc)
	.set _ZN2at6native32elementwise_kernel_manual_unrollILi128ELi4EZNS0_15gpu_kernel_implIZZZNS0_21polygamma_kernel_cudaERNS_18TensorIteratorBaseElENKUlvE_clEvENKUlvE2_clEvEUlN3c108BFloat16EE_EEvS4_RKT_EUlibE_EEviT1_.uses_flat_scratch, or(0, .L_ZN2at6native6invokeIZZZNS0_21polygamma_kernel_cudaERNS_18TensorIteratorBaseElENKUlvE_clEvENKUlvE2_clEvEUlN3c108BFloat16EE_i15function_traitsIS8_EEENT1_11result_typeERKT_PrKPcPKT0_PKNS6_10ScalarTypeEi.uses_flat_scratch)
	.set _ZN2at6native32elementwise_kernel_manual_unrollILi128ELi4EZNS0_15gpu_kernel_implIZZZNS0_21polygamma_kernel_cudaERNS_18TensorIteratorBaseElENKUlvE_clEvENKUlvE2_clEvEUlN3c108BFloat16EE_EEvS4_RKT_EUlibE_EEviT1_.has_dyn_sized_stack, or(0, .L_ZN2at6native6invokeIZZZNS0_21polygamma_kernel_cudaERNS_18TensorIteratorBaseElENKUlvE_clEvENKUlvE2_clEvEUlN3c108BFloat16EE_i15function_traitsIS8_EEENT1_11result_typeERKT_PrKPcPKT0_PKNS6_10ScalarTypeEi.has_dyn_sized_stack)
	.set _ZN2at6native32elementwise_kernel_manual_unrollILi128ELi4EZNS0_15gpu_kernel_implIZZZNS0_21polygamma_kernel_cudaERNS_18TensorIteratorBaseElENKUlvE_clEvENKUlvE2_clEvEUlN3c108BFloat16EE_EEvS4_RKT_EUlibE_EEviT1_.has_recursion, or(0, .L_ZN2at6native6invokeIZZZNS0_21polygamma_kernel_cudaERNS_18TensorIteratorBaseElENKUlvE_clEvENKUlvE2_clEvEUlN3c108BFloat16EE_i15function_traitsIS8_EEENT1_11result_typeERKT_PrKPcPKT0_PKNS6_10ScalarTypeEi.has_recursion)
	.set _ZN2at6native32elementwise_kernel_manual_unrollILi128ELi4EZNS0_15gpu_kernel_implIZZZNS0_21polygamma_kernel_cudaERNS_18TensorIteratorBaseElENKUlvE_clEvENKUlvE2_clEvEUlN3c108BFloat16EE_EEvS4_RKT_EUlibE_EEviT1_.has_indirect_call, or(0, .L_ZN2at6native6invokeIZZZNS0_21polygamma_kernel_cudaERNS_18TensorIteratorBaseElENKUlvE_clEvENKUlvE2_clEvEUlN3c108BFloat16EE_i15function_traitsIS8_EEENT1_11result_typeERKT_PrKPcPKT0_PKNS6_10ScalarTypeEi.has_indirect_call)
	.section	.AMDGPU.csdata,"",@progbits
; Kernel info:
; codeLenInByte = 17384
; TotalNumSgprs: 75
; NumVgprs: 28
; ScratchSize: 0
; MemoryBound: 0
; FloatMode: 240
; IeeeMode: 1
; LDSByteSize: 0 bytes/workgroup (compile time only)
; SGPRBlocks: 9
; VGPRBlocks: 6
; NumSGPRsForWavesPerEU: 75
; NumVGPRsForWavesPerEU: 28
; Occupancy: 9
; WaveLimiterHint : 0
; COMPUTE_PGM_RSRC2:SCRATCH_EN: 0
; COMPUTE_PGM_RSRC2:USER_SGPR: 6
; COMPUTE_PGM_RSRC2:TRAP_HANDLER: 0
; COMPUTE_PGM_RSRC2:TGID_X_EN: 1
; COMPUTE_PGM_RSRC2:TGID_Y_EN: 0
; COMPUTE_PGM_RSRC2:TGID_Z_EN: 0
; COMPUTE_PGM_RSRC2:TIDIG_COMP_CNT: 0
	.text
	.p2align	2                               ; -- Begin function _ZN2at6native6invokeIZZZNS0_21polygamma_kernel_cudaERNS_18TensorIteratorBaseElENKUlvE_clEvENKUlvE2_clEvEUlN3c108BFloat16EE_j15function_traitsIS8_EEENT1_11result_typeERKT_PrKPcPKT0_PKNS6_10ScalarTypeEi
	.type	_ZN2at6native6invokeIZZZNS0_21polygamma_kernel_cudaERNS_18TensorIteratorBaseElENKUlvE_clEvENKUlvE2_clEvEUlN3c108BFloat16EE_j15function_traitsIS8_EEENT1_11result_typeERKT_PrKPcPKT0_PKNS6_10ScalarTypeEi,@function
_ZN2at6native6invokeIZZZNS0_21polygamma_kernel_cudaERNS_18TensorIteratorBaseElENKUlvE_clEvENKUlvE2_clEvEUlN3c108BFloat16EE_j15function_traitsIS8_EEENT1_11result_typeERKT_PrKPcPKT0_PKNS6_10ScalarTypeEi: ; @_ZN2at6native6invokeIZZZNS0_21polygamma_kernel_cudaERNS_18TensorIteratorBaseElENKUlvE_clEvENKUlvE2_clEvEUlN3c108BFloat16EE_j15function_traitsIS8_EEENT1_11result_typeERKT_PrKPcPKT0_PKNS6_10ScalarTypeEi
; %bb.0:
	s_waitcnt vmcnt(0) expcnt(0) lgkmcnt(0)
	v_add_co_u32_e32 v1, vcc, v2, v4
	v_addc_co_u32_e32 v2, vcc, 0, v3, vcc
	v_mov_b32_e32 v3, 10
	v_cmp_gt_i16_sdwa s[4:5], v5, v3 src0_sel:BYTE_0 src1_sel:DWORD
	s_mov_b64 s[6:7], 0
                                        ; implicit-def: $vgpr3
	s_and_saveexec_b64 s[8:9], s[4:5]
	s_xor_b64 s[4:5], exec, s[8:9]
	s_cbranch_execnz .LBB121_4
; %bb.1:
	s_andn2_saveexec_b64 s[4:5], s[4:5]
	s_cbranch_execnz .LBB121_10
.LBB121_2:
	s_or_b64 exec, exec, s[4:5]
                                        ; implicit-def: $vgpr1
	s_and_saveexec_b64 s[12:13], s[6:7]
	s_cbranch_execnz .LBB121_51
.LBB121_3:
	s_or_b64 exec, exec, s[12:13]
	v_mov_b32_e32 v0, v1
	s_waitcnt vmcnt(0) lgkmcnt(0)
	s_setpc_b64 s[30:31]
.LBB121_4:
	v_mov_b32_e32 v3, 25
	v_cmp_gt_i16_sdwa s[10:11], v5, v3 src0_sel:BYTE_0 src1_sel:DWORD
	s_mov_b64 s[12:13], 0
	s_mov_b64 s[8:9], 0
                                        ; implicit-def: $vgpr3
	s_and_saveexec_b64 s[14:15], s[10:11]
	s_xor_b64 s[10:11], exec, s[14:15]
	s_cbranch_execnz .LBB121_100
; %bb.5:
	s_andn2_saveexec_b64 s[10:11], s[10:11]
	s_cbranch_execnz .LBB121_131
.LBB121_6:
	s_or_b64 exec, exec, s[10:11]
	s_and_saveexec_b64 s[10:11], s[12:13]
	s_cbranch_execnz .LBB121_154
.LBB121_7:
	s_or_b64 exec, exec, s[10:11]
	s_and_saveexec_b64 s[10:11], s[6:7]
	s_xor_b64 s[6:7], exec, s[10:11]
	s_cbranch_execz .LBB121_9
.LBB121_8:
	flat_load_ubyte v1, v[1:2]
	s_or_b64 s[8:9], s[8:9], exec
	s_waitcnt vmcnt(0) lgkmcnt(0)
	v_cmp_ne_u16_e32 vcc, 0, v1
	v_cndmask_b32_e64 v1, 0, 1.0, vcc
	v_lshrrev_b32_e32 v3, 16, v1
.LBB121_9:
	s_or_b64 exec, exec, s[6:7]
	s_and_b64 s[6:7], s[8:9], exec
                                        ; implicit-def: $vgpr5
                                        ; implicit-def: $vgpr1_vgpr2
	s_andn2_saveexec_b64 s[4:5], s[4:5]
	s_cbranch_execz .LBB121_2
.LBB121_10:
	s_waitcnt vmcnt(0) lgkmcnt(0)
	v_mov_b32_e32 v3, 4
	v_cmp_gt_i16_sdwa s[8:9], v5, v3 src0_sel:BYTE_0 src1_sel:DWORD
                                        ; implicit-def: $vgpr3
	s_and_saveexec_b64 s[10:11], s[8:9]
	s_xor_b64 s[8:9], exec, s[10:11]
	s_cbranch_execz .LBB121_32
; %bb.11:
	v_mov_b32_e32 v3, 7
	v_cmp_gt_i16_sdwa s[10:11], v5, v3 src0_sel:BYTE_0 src1_sel:DWORD
                                        ; implicit-def: $vgpr3
	s_and_saveexec_b64 s[12:13], s[10:11]
	s_xor_b64 s[10:11], exec, s[12:13]
	s_cbranch_execz .LBB121_21
; %bb.12:
	;; [unrolled: 7-line block ×4, first 2 shown]
	flat_load_dwordx2 v[1:2], v[1:2]
	s_movk_i32 s16, 0x7fff
	s_waitcnt vmcnt(0) lgkmcnt(0)
	v_cvt_f32_f64_e32 v1, v[1:2]
	v_mov_b32_e32 v2, 0x7fc0
	v_bfe_u32 v3, v1, 16, 1
	v_cmp_o_f32_e32 vcc, v1, v1
	v_add3_u32 v1, v1, v3, s16
	v_cndmask_b32_sdwa v3, v2, v1, vcc dst_sel:DWORD dst_unused:UNUSED_PAD src0_sel:DWORD src1_sel:WORD_1
                                        ; implicit-def: $vgpr1_vgpr2
.LBB121_15:
	s_andn2_saveexec_b64 s[14:15], s[14:15]
	s_cbranch_execz .LBB121_17
; %bb.16:
	flat_load_dword v1, v[1:2]
	s_movk_i32 s16, 0x7fff
	v_mov_b32_e32 v2, 0x7fc0
	s_waitcnt vmcnt(0) lgkmcnt(0)
	v_bfe_u32 v3, v1, 16, 1
	v_cmp_o_f32_e32 vcc, v1, v1
	v_add3_u32 v1, v1, v3, s16
	v_cndmask_b32_sdwa v3, v2, v1, vcc dst_sel:DWORD dst_unused:UNUSED_PAD src0_sel:DWORD src1_sel:WORD_1
.LBB121_17:
	s_or_b64 exec, exec, s[14:15]
                                        ; implicit-def: $vgpr1_vgpr2
.LBB121_18:
	s_andn2_saveexec_b64 s[12:13], s[12:13]
	s_cbranch_execz .LBB121_20
; %bb.19:
	flat_load_dword v1, v[1:2]
	s_movk_i32 s14, 0x7fff
	v_mov_b32_e32 v3, 0x7fc0
	s_waitcnt vmcnt(0) lgkmcnt(0)
	v_cvt_f32_f16_e32 v2, v1
	v_cmp_o_f16_e32 vcc, v1, v1
	v_bfe_u32 v1, v2, 16, 1
	v_add3_u32 v1, v2, v1, s14
	v_cndmask_b32_sdwa v3, v3, v1, vcc dst_sel:DWORD dst_unused:UNUSED_PAD src0_sel:DWORD src1_sel:WORD_1
.LBB121_20:
	s_or_b64 exec, exec, s[12:13]
                                        ; implicit-def: $vgpr1_vgpr2
                                        ; implicit-def: $vgpr5
.LBB121_21:
	s_andn2_saveexec_b64 s[10:11], s[10:11]
	s_cbranch_execz .LBB121_31
; %bb.22:
	v_mov_b32_e32 v3, 5
	v_cmp_gt_i16_sdwa s[12:13], v5, v3 src0_sel:BYTE_0 src1_sel:DWORD
                                        ; implicit-def: $vgpr3
	s_and_saveexec_b64 s[14:15], s[12:13]
	s_xor_b64 s[12:13], exec, s[14:15]
	s_cbranch_execz .LBB121_28
; %bb.23:
	v_mov_b32_e32 v3, 6
	v_cmp_gt_i16_sdwa s[14:15], v5, v3 src0_sel:BYTE_0 src1_sel:DWORD
                                        ; implicit-def: $vgpr3
	s_and_saveexec_b64 s[16:17], s[14:15]
	s_xor_b64 s[14:15], exec, s[16:17]
	s_cbranch_execz .LBB121_25
; %bb.24:
	flat_load_dwordx2 v[1:2], v[1:2]
	s_movk_i32 s16, 0x7fff
	s_waitcnt vmcnt(0) lgkmcnt(0)
	v_cvt_f32_f64_e32 v1, v[1:2]
	v_mov_b32_e32 v2, 0x7fc0
	v_bfe_u32 v3, v1, 16, 1
	v_cmp_o_f32_e32 vcc, v1, v1
	v_add3_u32 v1, v1, v3, s16
	v_cndmask_b32_sdwa v3, v2, v1, vcc dst_sel:DWORD dst_unused:UNUSED_PAD src0_sel:DWORD src1_sel:WORD_1
                                        ; implicit-def: $vgpr1_vgpr2
.LBB121_25:
	s_andn2_saveexec_b64 s[14:15], s[14:15]
	s_cbranch_execz .LBB121_27
; %bb.26:
	flat_load_dword v1, v[1:2]
	s_movk_i32 s16, 0x7fff
	v_mov_b32_e32 v2, 0x7fc0
	s_waitcnt vmcnt(0) lgkmcnt(0)
	v_bfe_u32 v3, v1, 16, 1
	v_cmp_o_f32_e32 vcc, v1, v1
	v_add3_u32 v1, v1, v3, s16
	v_cndmask_b32_sdwa v3, v2, v1, vcc dst_sel:DWORD dst_unused:UNUSED_PAD src0_sel:DWORD src1_sel:WORD_1
.LBB121_27:
	s_or_b64 exec, exec, s[14:15]
                                        ; implicit-def: $vgpr1_vgpr2
.LBB121_28:
	s_andn2_saveexec_b64 s[12:13], s[12:13]
	s_cbranch_execz .LBB121_30
; %bb.29:
	flat_load_ushort v1, v[1:2]
	s_movk_i32 s14, 0x7fff
	v_mov_b32_e32 v3, 0x7fc0
	s_waitcnt vmcnt(0) lgkmcnt(0)
	v_cvt_f32_f16_e32 v2, v1
	v_cmp_o_f16_e32 vcc, v1, v1
	v_bfe_u32 v1, v2, 16, 1
	v_add3_u32 v1, v2, v1, s14
	v_cndmask_b32_sdwa v3, v3, v1, vcc dst_sel:DWORD dst_unused:UNUSED_PAD src0_sel:DWORD src1_sel:WORD_1
.LBB121_30:
	s_or_b64 exec, exec, s[12:13]
.LBB121_31:
	s_or_b64 exec, exec, s[10:11]
                                        ; implicit-def: $vgpr5
                                        ; implicit-def: $vgpr1_vgpr2
.LBB121_32:
	s_andn2_saveexec_b64 s[8:9], s[8:9]
	s_cbranch_execz .LBB121_50
; %bb.33:
	v_mov_b32_e32 v3, 1
	v_cmp_gt_i16_sdwa s[10:11], v5, v3 src0_sel:BYTE_0 src1_sel:DWORD
                                        ; implicit-def: $vgpr3
	s_and_saveexec_b64 s[12:13], s[10:11]
	s_xor_b64 s[10:11], exec, s[12:13]
	s_cbranch_execz .LBB121_43
; %bb.34:
	v_mov_b32_e32 v3, 2
	v_cmp_gt_i16_sdwa s[12:13], v5, v3 src0_sel:BYTE_0 src1_sel:DWORD
                                        ; implicit-def: $vgpr3
	s_and_saveexec_b64 s[14:15], s[12:13]
	s_xor_b64 s[12:13], exec, s[14:15]
	;; [unrolled: 7-line block ×3, first 2 shown]
	s_cbranch_execz .LBB121_37
; %bb.36:
	flat_load_dwordx2 v[1:2], v[1:2]
	s_movk_i32 s16, 0x7fff
	s_waitcnt vmcnt(0) lgkmcnt(0)
	v_xor_b32_e32 v4, v1, v2
	v_ffbh_i32_e32 v3, v2
	v_ashrrev_i32_e32 v4, 31, v4
	v_add_u32_e32 v3, -1, v3
	v_add_u32_e32 v4, 32, v4
	v_min_u32_e32 v3, v3, v4
	v_lshlrev_b64 v[1:2], v3, v[1:2]
	v_min_u32_e32 v1, 1, v1
	v_or_b32_e32 v1, v2, v1
	v_cvt_f32_i32_e32 v1, v1
	v_sub_u32_e32 v2, 32, v3
	v_ldexp_f32 v1, v1, v2
	v_bfe_u32 v2, v1, 16, 1
	v_add3_u32 v1, v1, v2, s16
	v_lshrrev_b32_e32 v3, 16, v1
                                        ; implicit-def: $vgpr1_vgpr2
.LBB121_37:
	s_andn2_saveexec_b64 s[14:15], s[14:15]
	s_cbranch_execz .LBB121_39
; %bb.38:
	flat_load_dword v1, v[1:2]
	s_movk_i32 s16, 0x7fff
	s_waitcnt vmcnt(0) lgkmcnt(0)
	v_cvt_f32_i32_e32 v1, v1
	v_bfe_u32 v2, v1, 16, 1
	v_add3_u32 v1, v1, v2, s16
	v_lshrrev_b32_e32 v3, 16, v1
.LBB121_39:
	s_or_b64 exec, exec, s[14:15]
                                        ; implicit-def: $vgpr1_vgpr2
.LBB121_40:
	s_andn2_saveexec_b64 s[12:13], s[12:13]
	s_cbranch_execz .LBB121_42
; %bb.41:
	flat_load_sshort v1, v[1:2]
	s_movk_i32 s14, 0x7fff
	s_waitcnt vmcnt(0) lgkmcnt(0)
	v_cvt_f32_i32_e32 v1, v1
	v_bfe_u32 v2, v1, 16, 1
	v_add3_u32 v1, v1, v2, s14
	v_lshrrev_b32_e32 v3, 16, v1
.LBB121_42:
	s_or_b64 exec, exec, s[12:13]
                                        ; implicit-def: $vgpr1_vgpr2
                                        ; implicit-def: $vgpr5
.LBB121_43:
	s_andn2_saveexec_b64 s[10:11], s[10:11]
	s_cbranch_execz .LBB121_49
; %bb.44:
	v_mov_b32_e32 v3, 0
	v_cmp_gt_i16_sdwa s[12:13], v5, v3 src0_sel:BYTE_0 src1_sel:DWORD
                                        ; implicit-def: $vgpr3
	s_and_saveexec_b64 s[14:15], s[12:13]
	s_xor_b64 s[12:13], exec, s[14:15]
	s_cbranch_execz .LBB121_46
; %bb.45:
	flat_load_sbyte v1, v[1:2]
	s_movk_i32 s14, 0x7fff
	s_waitcnt vmcnt(0) lgkmcnt(0)
	v_cvt_f32_i32_e32 v1, v1
	v_bfe_u32 v2, v1, 16, 1
	v_add3_u32 v1, v1, v2, s14
	v_lshrrev_b32_e32 v3, 16, v1
                                        ; implicit-def: $vgpr1_vgpr2
.LBB121_46:
	s_andn2_saveexec_b64 s[12:13], s[12:13]
	s_cbranch_execz .LBB121_48
; %bb.47:
	flat_load_ubyte v1, v[1:2]
	s_movk_i32 s14, 0x7fff
	s_waitcnt vmcnt(0) lgkmcnt(0)
	v_cvt_f32_ubyte0_e32 v1, v1
	v_bfe_u32 v2, v1, 16, 1
	v_add3_u32 v1, v1, v2, s14
	v_lshrrev_b32_e32 v3, 16, v1
.LBB121_48:
	s_or_b64 exec, exec, s[12:13]
.LBB121_49:
	s_or_b64 exec, exec, s[10:11]
.LBB121_50:
	s_or_b64 exec, exec, s[8:9]
	s_or_b64 s[6:7], s[6:7], exec
	s_or_b64 exec, exec, s[4:5]
                                        ; implicit-def: $vgpr1
	s_and_saveexec_b64 s[12:13], s[6:7]
	s_cbranch_execz .LBB121_3
.LBB121_51:
	v_cvt_f32_i32_e32 v1, v0
	s_movk_i32 s4, 0x7fff
	v_mov_b32_e32 v2, 0x7fc00000
	v_bfe_u32 v4, v1, 16, 1
	v_add3_u32 v1, v1, v4, s4
	v_and_b32_e32 v1, 0xffff0000, v1
	v_add_f32_e32 v1, 1.0, v1
	v_bfe_u32 v4, v1, 16, 1
	v_add3_u32 v4, v1, v4, s4
	v_and_b32_e32 v4, 0xffff0000, v4
	v_cmp_o_f32_e32 vcc, v1, v1
	v_cndmask_b32_e32 v1, v2, v4, vcc
	s_mov_b32 s4, 0x3c800000
	v_and_b32_e32 v4, 0x7fffffff, v1
	v_cmp_nlt_f32_e64 s[4:5], |v1|, s4
                                        ; implicit-def: $vgpr2
	s_and_saveexec_b64 s[6:7], s[4:5]
	s_xor_b64 s[6:7], exec, s[6:7]
	s_cbranch_execz .LBB121_81
; %bb.52:
	v_cmp_nlt_f32_e64 s[4:5], |v1|, 2.0
                                        ; implicit-def: $vgpr2
	s_and_saveexec_b64 s[8:9], s[4:5]
	s_xor_b64 s[8:9], exec, s[8:9]
	s_cbranch_execz .LBB121_62
; %bb.53:
	s_mov_b32 s4, 0x41000000
	v_cmp_nlt_f32_e64 s[4:5], |v1|, s4
                                        ; implicit-def: $vgpr2
	s_and_saveexec_b64 s[10:11], s[4:5]
	s_xor_b64 s[10:11], exec, s[10:11]
	s_cbranch_execz .LBB121_59
; %bb.54:
	s_mov_b32 s4, 0x5c800000
	v_cmp_nlt_f32_e64 s[4:5], |v1|, s4
                                        ; implicit-def: $vgpr2
	s_and_saveexec_b64 s[14:15], s[4:5]
	s_xor_b64 s[14:15], exec, s[14:15]
	s_cbranch_execz .LBB121_56
; %bb.55:
	s_mov_b32 s4, 0x800000
	v_cmp_lt_f32_e64 vcc, |v1|, s4
	v_cndmask_b32_e64 v2, 0, 32, vcc
	v_ldexp_f32 v2, |v1|, v2
	v_log_f32_e32 v2, v2
	s_mov_b32 s4, 0x3f317217
	s_mov_b32 s5, 0x7f800000
	v_mul_f32_e32 v5, 0x3f317217, v2
	v_fma_f32 v6, v2, s4, -v5
	v_fmac_f32_e32 v6, 0x3377d1cf, v2
	v_add_f32_e32 v5, v5, v6
	v_cmp_lt_f32_e64 s[4:5], |v2|, s5
	v_cndmask_b32_e64 v2, v2, v5, s[4:5]
	v_mov_b32_e32 v5, 0x41b17218
	v_cndmask_b32_e32 v5, 0, v5, vcc
	v_sub_f32_e32 v2, v2, v5
	v_fma_f32 v2, |v1|, v2, -|v1|
.LBB121_56:
	s_andn2_saveexec_b64 s[14:15], s[14:15]
	s_cbranch_execz .LBB121_58
; %bb.57:
	v_rcp_f32_e64 v5, |v1|
	v_mov_b32_e32 v2, 0x3a5b3dd2
	v_mov_b32_e32 v6, 0xba1c065c
	;; [unrolled: 1-line block ×3, first 2 shown]
	v_mul_f32_e32 v8, v5, v5
	v_fmac_f32_e32 v2, 0xbad5c4e8, v8
	v_fmac_f32_e32 v6, v8, v2
	s_mov_b32 s4, 0x800000
	v_fmac_f32_e32 v7, v8, v6
	v_mov_b32_e32 v2, 0xbb360b61
	v_cmp_lt_f32_e64 vcc, |v1|, s4
	v_fmac_f32_e32 v2, v8, v7
	v_cndmask_b32_e64 v7, 0, 32, vcc
	v_ldexp_f32 v7, |v1|, v7
	v_log_f32_e32 v7, v7
	v_mov_b32_e32 v6, 0x3daaaaab
	v_fmac_f32_e32 v6, v8, v2
	v_mov_b32_e32 v2, 0x3ed67f1d
	v_fmac_f32_e32 v2, v5, v6
	s_mov_b32 s4, 0x3f317217
	v_mul_f32_e32 v6, 0x3f317217, v7
	v_fma_f32 v8, v7, s4, -v6
	v_fmac_f32_e32 v8, 0x3377d1cf, v7
	s_mov_b32 s4, 0x7f800000
	v_add_f32_e32 v6, v6, v8
	v_cmp_lt_f32_e64 s[4:5], |v7|, s4
	v_cndmask_b32_e64 v6, v7, v6, s[4:5]
	v_mov_b32_e32 v7, 0x41b17218
	v_cndmask_b32_e32 v7, 0, v7, vcc
	v_sub_f32_e32 v6, v6, v7
	v_add_f32_e64 v5, |v1|, -0.5
	v_add_f32_e32 v6, -1.0, v6
	v_fmac_f32_e32 v2, v5, v6
.LBB121_58:
	s_or_b64 exec, exec, s[14:15]
.LBB121_59:
	s_andn2_saveexec_b64 s[10:11], s[10:11]
	s_cbranch_execz .LBB121_61
; %bb.60:
	v_cvt_i32_f32_e32 v2, v4
	v_mov_b32_e32 v5, 0x3af135b4
	v_mov_b32_e32 v6, 0x3cda40e4
	;; [unrolled: 1-line block ×3, first 2 shown]
	v_cvt_f32_i32_e32 v8, v2
	v_mov_b32_e32 v9, 0x3ea6cc7a
	v_mov_b32_e32 v10, 0x3e5c245a
	v_cmp_lt_i32_e32 vcc, 2, v2
	v_sub_f32_e64 v8, |v1|, v8
	v_fmac_f32_e32 v5, 0x3805ff67, v8
	v_fmac_f32_e32 v6, v8, v5
	;; [unrolled: 1-line block ×3, first 2 shown]
	v_mov_b32_e32 v6, 0x3a4beed6
	v_fmac_f32_e32 v9, v8, v7
	v_fmac_f32_e32 v6, 0x36f5d7bd, v8
	v_mov_b32_e32 v7, 0x3c98bf54
	v_fmac_f32_e32 v7, v8, v6
	v_mov_b32_e32 v6, 0x3e300f6e
	v_fmac_f32_e32 v6, v8, v7
	v_mov_b32_e32 v7, 0x3f38d0c5
	v_fmac_f32_e32 v7, v8, v6
	v_mov_b32_e32 v6, 0x3fb22d3b
	v_fmac_f32_e32 v6, v8, v7
	v_add_f32_e32 v7, 2.0, v8
	v_mov_b32_e32 v11, 0xbd9e233f
	v_fmac_f32_e32 v10, v8, v9
	v_add_f32_e32 v9, 0x40400000, v8
	v_cndmask_b32_e32 v7, 1.0, v7, vcc
	v_cmp_lt_i32_e32 vcc, 3, v2
	v_fmac_f32_e32 v11, v8, v10
	v_add_f32_e32 v10, 4.0, v8
	v_cndmask_b32_e32 v9, 1.0, v9, vcc
	v_cmp_lt_i32_e32 vcc, 4, v2
	v_mul_f32_e32 v5, v8, v11
	v_add_f32_e32 v11, 0x40a00000, v8
	v_mul_f32_e32 v7, v7, v9
	v_cndmask_b32_e32 v9, 1.0, v10, vcc
	v_cmp_lt_i32_e32 vcc, 5, v2
	v_add_f32_e32 v12, 0x40c00000, v8
	v_mul_f32_e32 v7, v9, v7
	v_cndmask_b32_e32 v9, 1.0, v11, vcc
	v_cmp_lt_i32_e32 vcc, 6, v2
	v_mul_f32_e32 v7, v9, v7
	v_cndmask_b32_e32 v2, 1.0, v12, vcc
	v_mul_f32_e32 v2, v2, v7
	s_mov_b32 s4, 0x800000
	v_cmp_gt_f32_e32 vcc, s4, v2
	v_cndmask_b32_e64 v7, 0, 32, vcc
	v_fma_f32 v6, v8, v6, 1.0
	v_ldexp_f32 v2, v2, v7
	v_rcp_f32_e32 v6, v6
	v_log_f32_e32 v2, v2
	s_mov_b32 s4, 0x3f317217
	v_mul_f32_e32 v5, v5, v6
	v_mul_f32_e32 v6, 0x3f317217, v2
	v_fma_f32 v7, v2, s4, -v6
	v_fmac_f32_e32 v7, 0x3377d1cf, v2
	s_mov_b32 s4, 0x7f800000
	v_add_f32_e32 v6, v6, v7
	v_cmp_lt_f32_e64 s[4:5], |v2|, s4
	v_cndmask_b32_e64 v2, v2, v6, s[4:5]
	v_mov_b32_e32 v6, 0x41b17218
	v_cndmask_b32_e32 v6, 0, v6, vcc
	v_fmac_f32_e32 v5, 0.5, v8
	v_sub_f32_e32 v2, v2, v6
	v_add_f32_e32 v2, v2, v5
.LBB121_61:
	s_or_b64 exec, exec, s[10:11]
.LBB121_62:
	s_andn2_saveexec_b64 s[8:9], s[8:9]
	s_cbranch_execz .LBB121_80
; %bb.63:
	s_mov_b32 s4, 0x3f666666
	v_cmp_le_f32_e64 s[4:5], |v1|, s4
                                        ; implicit-def: $vgpr2
                                        ; implicit-def: $vgpr6
                                        ; implicit-def: $vgpr5
	s_and_saveexec_b64 s[10:11], s[4:5]
	s_xor_b64 s[10:11], exec, s[10:11]
	s_cbranch_execz .LBB121_65
; %bb.64:
	s_mov_b32 s4, 0x800000
	v_cmp_lt_f32_e64 vcc, |v1|, s4
	v_cndmask_b32_e64 v2, 0, 32, vcc
	v_ldexp_f32 v2, |v1|, v2
	v_log_f32_e32 v2, v2
	s_mov_b32 s4, 0x3f317217
	s_mov_b32 s5, 0x7f800000
	v_mul_f32_e32 v5, 0x3f317217, v2
	v_fma_f32 v6, v2, s4, -v5
	v_fmac_f32_e32 v6, 0x3377d1cf, v2
	v_add_f32_e32 v5, v5, v6
	v_cmp_lt_f32_e64 s[4:5], |v2|, s5
	v_cndmask_b32_e64 v2, v2, v5, s[4:5]
	v_mov_b32_e32 v5, 0x41b17218
	v_cndmask_b32_e32 v5, 0, v5, vcc
	s_mov_b32 s4, 0x3f3b4a23
	s_mov_b32 s5, 0xbeec5b0c
	v_sub_f32_e32 v2, v2, v5
	v_sub_f32_e64 v5, 1.0, |v1|
	v_add_f32_e64 v6, |v1|, s5
	v_cmp_lt_f32_e64 vcc, |v1|, s4
	s_mov_b32 s4, 0x3e6d3309
	v_cndmask_b32_e32 v5, v5, v6, vcc
	v_cndmask_b32_e64 v6, 0, 1, vcc
	v_cmp_lt_f32_e64 s[4:5], |v1|, s4
	v_xor_b32_e32 v2, 0x80000000, v2
	v_cndmask_b32_e64 v5, v5, |v1|, s[4:5]
	v_cndmask_b32_e64 v6, v6, 2, s[4:5]
.LBB121_65:
	s_andn2_saveexec_b64 s[4:5], s[10:11]
	s_cbranch_execz .LBB121_67
; %bb.66:
	s_mov_b32 s10, 0x3fdda512
	s_mov_b32 s11, 0xbfbb16c3
	v_sub_f32_e64 v2, 2.0, |v1|
	v_add_f32_e64 v5, |v1|, s11
	v_cmp_lt_f32_e64 vcc, |v1|, s10
	v_cndmask_b32_e32 v5, v2, v5, vcc
	v_cndmask_b32_e64 v2, v2, 1.0, vcc
	v_cvt_i32_f32_e32 v2, v2
	s_mov_b32 s10, 0x3f9d70a4
	v_add_f32_e64 v6, |v1|, -1.0
	v_cmp_lt_f32_e64 vcc, |v1|, s10
	v_cndmask_b32_e32 v5, v5, v6, vcc
	v_cndmask_b32_e64 v6, v2, 2, vcc
	v_mov_b32_e32 v2, 0
.LBB121_67:
	s_or_b64 exec, exec, s[4:5]
	v_cmp_lt_i32_e32 vcc, 0, v6
	s_and_saveexec_b64 s[4:5], vcc
	s_xor_b64 s[4:5], exec, s[4:5]
	s_cbranch_execz .LBB121_75
; %bb.68:
	v_cmp_lt_i32_e32 vcc, 1, v6
	s_and_saveexec_b64 s[10:11], vcc
	s_xor_b64 s[10:11], exec, s[10:11]
	s_cbranch_execz .LBB121_72
; %bb.69:
	v_cmp_eq_u32_e32 vcc, 2, v6
	s_and_saveexec_b64 s[14:15], vcc
	s_cbranch_execz .LBB121_71
; %bb.70:
	v_mov_b32_e32 v6, 0x3e6a7578
	v_fmac_f32_e32 v6, 0x3c5b3c5e, v5
	v_mov_b32_e32 v7, 0x3f7a4bb2
	v_fmac_f32_e32 v7, v5, v6
	;; [unrolled: 2-line block ×8, first 2 shown]
	v_fma_f32 v6, v5, v8, 1.0
	v_rcp_f32_e32 v6, v6
	v_mov_b32_e32 v8, 0xbd9e233f
	v_fmac_f32_e32 v8, v5, v7
	v_mul_f32_e32 v7, v5, v8
	v_mul_f32_e32 v6, v7, v6
	v_fmac_f32_e32 v6, -0.5, v5
	v_add_f32_e32 v2, v2, v6
.LBB121_71:
	s_or_b64 exec, exec, s[14:15]
                                        ; implicit-def: $vgpr5
.LBB121_72:
	s_andn2_saveexec_b64 s[10:11], s[10:11]
	s_cbranch_execz .LBB121_74
; %bb.73:
	v_mul_f32_e32 v6, v5, v5
	v_mul_f32_e32 v7, v5, v6
	v_mov_b32_e32 v8, 0xbab7f476
	v_fmac_f32_e32 v8, 0x39a57b6b, v7
	v_mov_b32_e32 v9, 0x3bc7e707
	v_fmac_f32_e32 v9, v7, v8
	;; [unrolled: 2-line block ×12, first 2 shown]
	v_fmac_f32_e32 v10, v5, v11
	s_mov_b32 s14, 0xa2863e55
	v_fma_f32 v5, v7, -v10, s14
	v_fma_f32 v5, v6, v9, -v5
	v_add_f32_e32 v5, 0xbdf8cdce, v5
	v_add_f32_e32 v2, v2, v5
.LBB121_74:
	s_or_b64 exec, exec, s[10:11]
                                        ; implicit-def: $vgpr6
                                        ; implicit-def: $vgpr5
.LBB121_75:
	s_andn2_saveexec_b64 s[4:5], s[4:5]
	s_cbranch_execz .LBB121_79
; %bb.76:
	v_cmp_eq_u32_e32 vcc, 0, v6
	s_and_saveexec_b64 s[10:11], vcc
	s_cbranch_execz .LBB121_78
; %bb.77:
	v_mul_f32_e32 v6, v5, v5
	v_mov_b32_e32 v7, 0x39679767
	v_fmac_f32_e32 v7, 0x37d383a2, v6
	v_mov_b32_e32 v8, 0x3a9c54a1
	v_fmac_f32_e32 v8, v6, v7
	;; [unrolled: 2-line block ×10, first 2 shown]
	v_mul_f32_e32 v6, v6, v8
	v_fmac_f32_e32 v6, v5, v7
	v_fmac_f32_e32 v6, -0.5, v5
	v_add_f32_e32 v2, v2, v6
.LBB121_78:
	s_or_b64 exec, exec, s[10:11]
.LBB121_79:
	s_or_b64 exec, exec, s[4:5]
.LBB121_80:
	s_or_b64 exec, exec, s[8:9]
.LBB121_81:
	s_andn2_saveexec_b64 s[6:7], s[6:7]
	s_cbranch_execz .LBB121_83
; %bb.82:
	s_mov_b32 s4, 0x3e8a8991
	v_mov_b32_e32 v2, 0xbecd26ab
	v_fma_f32 v2, |v1|, s4, v2
	s_mov_b32 s4, 0x3f528d33
	v_fma_f32 v2, |v1|, v2, s4
	s_mov_b32 s4, 0x800000
	v_cmp_lt_f32_e64 vcc, |v1|, s4
	v_cndmask_b32_e64 v5, 0, 32, vcc
	v_ldexp_f32 v5, |v1|, v5
	v_log_f32_e32 v5, v5
	s_mov_b32 s4, 0xbf13c468
	v_fma_f32 v2, |v1|, v2, s4
	s_mov_b32 s4, 0x3f317217
	v_mul_f32_e32 v6, 0x3f317217, v5
	v_fma_f32 v7, v5, s4, -v6
	v_fmac_f32_e32 v7, 0x3377d1cf, v5
	s_mov_b32 s4, 0x7f800000
	v_add_f32_e32 v6, v6, v7
	v_cmp_lt_f32_e64 s[4:5], |v5|, s4
	v_cndmask_b32_e64 v5, v5, v6, s[4:5]
	v_mov_b32_e32 v6, 0x41b17218
	v_cndmask_b32_e32 v6, 0, v6, vcc
	v_sub_f32_e32 v5, v5, v6
	v_fma_f32 v2, |v1|, v2, -v5
.LBB121_83:
	s_or_b64 exec, exec, s[6:7]
	v_cmp_le_f32_e64 s[4:5], 0, v1
	v_cmp_nle_f32_e32 vcc, 0, v1
	s_and_saveexec_b64 s[6:7], vcc
	s_xor_b64 s[8:9], exec, s[6:7]
	s_cbranch_execz .LBB121_87
; %bb.84:
	s_mov_b32 s6, 0x4b000000
	s_mov_b32 s10, 0x35000000
	v_cmp_lt_f32_e64 s[6:7], |v1|, s6
	v_cmp_gt_f32_e64 s[10:11], |v1|, s10
	s_and_b64 s[6:7], s[6:7], s[10:11]
	s_and_saveexec_b64 s[10:11], s[6:7]
	s_cbranch_execz .LBB121_86
; %bb.85:
	v_mul_f32_e64 v5, |v1|, 0.5
	v_floor_f32_e32 v6, v5
	v_sub_f32_e32 v6, v5, v6
	v_min_f32_e32 v6, 0x3f7fffff, v6
	s_mov_b32 s14, 0x7f800000
	v_add_f32_e32 v6, v6, v6
	v_cmp_neq_f32_e32 vcc, s14, v5
	v_cndmask_b32_e32 v5, 0, v6, vcc
	v_cmp_gt_f32_e64 s[6:7], |v1|, 1.0
	v_cndmask_b32_e64 v5, |v1|, v5, s[6:7]
	v_add_f32_e32 v6, v5, v5
	v_rndne_f32_e32 v6, v6
	v_fmac_f32_e32 v5, -0.5, v6
	v_mul_f32_e32 v7, v5, v5
	v_mov_b32_e32 v8, 0xbf1f24be
	v_fmac_f32_e32 v8, 0x3e75aa41, v7
	v_mov_b32_e32 v9, 0x40234736
	v_fmac_f32_e32 v9, v7, v8
	;; [unrolled: 2-line block ×3, first 2 shown]
	v_mul_f32_e32 v9, v5, v7
	v_mul_f32_e32 v8, v9, v8
	v_fmac_f32_e32 v8, 0x40490fdb, v5
	v_mov_b32_e32 v5, 0x3e642e9d
	v_cvt_i32_f32_e32 v6, v6
	v_fmac_f32_e32 v5, 0x3d4be544, v7
	v_mov_b32_e32 v9, 0xbfaad1da
	v_fmac_f32_e32 v9, v7, v5
	v_mov_b32_e32 v5, 0x4081e0d3
	;; [unrolled: 2-line block ×3, first 2 shown]
	v_fmac_f32_e32 v9, v7, v5
	v_fma_f32 v5, v7, v9, 1.0
	v_and_b32_e32 v7, 1, v6
	v_cmp_eq_u32_e32 vcc, 0, v7
	v_lshlrev_b32_e32 v6, 30, v6
	s_brev_b32 s6, 1
	v_cndmask_b32_e32 v5, v5, v8, vcc
	v_and_or_b32 v4, v6, s6, v4
	v_xor_b32_e32 v4, v4, v5
	v_xor_b32_e32 v4, v4, v1
	v_mul_f32_e32 v4, v1, v4
	v_frexp_mant_f32_e64 v5, |v4|
	v_rcp_f32_e32 v5, v5
	v_frexp_exp_i32_f32_e32 v4, v4
	v_sub_u32_e32 v4, 2, v4
	s_mov_b32 s6, 0x800000
	v_mul_f32_e32 v5, 0x3f490fdb, v5
	v_ldexp_f32 v4, v5, v4
	v_cmp_gt_f32_e32 vcc, s6, v4
	v_cndmask_b32_e64 v5, 0, 32, vcc
	v_ldexp_f32 v4, v4, v5
	v_log_f32_e32 v4, v4
	s_mov_b32 s6, 0x3f317217
	v_mul_f32_e32 v5, 0x3f317217, v4
	v_fma_f32 v6, v4, s6, -v5
	v_fmac_f32_e32 v6, 0x3377d1cf, v4
	v_add_f32_e32 v5, v5, v6
	v_cmp_lt_f32_e64 s[6:7], |v4|, s14
	v_cndmask_b32_e64 v4, v4, v5, s[6:7]
	v_mov_b32_e32 v5, 0x41b17218
	v_cndmask_b32_e32 v5, 0, v5, vcc
	v_sub_f32_e32 v4, v4, v5
	v_sub_f32_e32 v2, v4, v2
	v_floor_f32_e32 v4, v1
	v_sub_f32_e32 v4, v1, v4
	v_min_f32_e32 v4, 0x3f7fffff, v4
	v_mov_b32_e32 v5, 0x7f800000
	v_cmp_neq_f32_e32 vcc, 0, v4
	v_cndmask_b32_e32 v2, v5, v2, vcc
.LBB121_86:
	s_or_b64 exec, exec, s[10:11]
.LBB121_87:
	s_andn2_saveexec_b64 s[8:9], s[8:9]
; %bb.88:
	v_cmp_eq_f32_e32 vcc, 1.0, v1
	v_cmp_eq_f32_e64 s[6:7], 2.0, v1
	s_or_b64 s[6:7], vcc, s[6:7]
	v_cndmask_b32_e64 v2, v2, 0, s[6:7]
; %bb.89:
	s_or_b64 exec, exec, s[8:9]
	v_add_u32_e32 v4, 1, v0
	v_cvt_f32_i32_e32 v5, v4
	s_movk_i32 s44, 0x7fff
	v_mov_b32_e32 v4, 0x7f800000
	v_mov_b32_e32 v8, 0x7f800000
	v_bfe_u32 v6, v5, 16, 1
	v_add3_u32 v5, v5, v6, s44
	v_and_b32_e32 v5, 0xffff0000, v5
	v_cmp_neq_f32_e32 vcc, 1.0, v5
	s_and_saveexec_b64 s[14:15], vcc
	s_cbranch_execz .LBB121_176
; %bb.90:
	v_cmp_ngt_f32_e32 vcc, 1.0, v5
	v_mov_b32_e32 v8, 0x7fc00000
	s_and_saveexec_b64 s[16:17], vcc
	s_cbranch_execz .LBB121_175
; %bb.91:
	s_waitcnt vmcnt(0) lgkmcnt(0)
	v_lshlrev_b32_e32 v3, 16, v3
	v_cmp_ge_f32_e32 vcc, 0, v3
	s_mov_b64 s[8:9], -1
                                        ; implicit-def: $vgpr8
	s_and_saveexec_b64 s[6:7], vcc
	s_cbranch_execz .LBB121_95
; %bb.92:
	v_floor_f32_e32 v6, v3
	v_cmp_neq_f32_e32 vcc, v6, v3
	s_mov_b64 s[8:9], 0
	v_mov_b32_e32 v8, 0x7f800000
	s_and_saveexec_b64 s[10:11], vcc
; %bb.93:
	v_floor_f32_e32 v6, v5
	v_cmp_eq_f32_e32 vcc, v6, v5
	v_mov_b32_e32 v8, 0x7fc00000
	s_and_b64 s[8:9], vcc, exec
; %bb.94:
	s_or_b64 exec, exec, s[10:11]
	s_orn2_b64 s[8:9], s[8:9], exec
.LBB121_95:
	s_or_b64 exec, exec, s[6:7]
	s_and_saveexec_b64 s[18:19], s[8:9]
	s_cbranch_execz .LBB121_174
; %bb.96:
	v_xor_b32_e32 v6, 0x80000000, v5
	v_bfe_u32 v7, v6, 16, 1
	s_movk_i32 s6, 0x7fff
	v_add3_u32 v6, v6, v7, s6
	v_and_b32_e32 v6, 0xffff0000, v6
	v_mov_b32_e32 v7, 0x7fc00000
	v_cmp_o_f32_e32 vcc, v5, v5
	v_cndmask_b32_e32 v8, v7, v6, vcc
	v_cmp_neq_f32_e32 vcc, 1.0, v3
	v_cndmask_b32_e32 v6, 1.0, v8, vcc
	v_cmp_neq_f32_e32 vcc, 0, v6
	v_cndmask_b32_e32 v12, 1.0, v3, vcc
	v_frexp_mant_f32_e64 v9, |v12|
	s_mov_b32 s28, 0x3f2aaaab
	v_cmp_gt_f32_e32 vcc, s28, v9
	v_cndmask_b32_e64 v10, 1.0, 2.0, vcc
	v_mul_f32_e32 v9, v9, v10
	v_add_f32_e32 v10, 1.0, v9
	v_rcp_f32_e32 v11, v10
	v_add_f32_e32 v13, -1.0, v9
	v_add_f32_e32 v14, -1.0, v10
	v_sub_f32_e32 v9, v9, v14
	v_mul_f32_e32 v14, v13, v11
	v_mul_f32_e32 v15, v10, v14
	v_fma_f32 v10, v14, v10, -v15
	v_fmac_f32_e32 v10, v14, v9
	v_add_f32_e32 v9, v15, v10
	v_sub_f32_e32 v16, v13, v9
	v_sub_f32_e32 v15, v9, v15
	;; [unrolled: 1-line block ×5, first 2 shown]
	v_add_f32_e32 v9, v10, v9
	v_add_f32_e32 v9, v16, v9
	v_mul_f32_e32 v9, v11, v9
	v_add_f32_e32 v13, v14, v9
	v_sub_f32_e32 v10, v13, v14
	v_sub_f32_e32 v14, v9, v10
	v_mul_f32_e32 v10, v13, v13
	v_fma_f32 v11, v13, v13, -v10
	v_add_f32_e32 v9, v14, v14
	v_fmac_f32_e32 v11, v13, v9
	v_add_f32_e32 v15, v10, v11
	v_sub_f32_e32 v10, v15, v10
	v_sub_f32_e32 v10, v11, v10
	v_mul_f32_e32 v11, v13, v15
	v_fma_f32 v17, v15, v13, -v11
	v_fmac_f32_e32 v17, v15, v14
	v_mov_b32_e32 v16, 0x3e91f4c4
	v_fmac_f32_e32 v17, v10, v13
	v_fmac_f32_e32 v16, 0x3e76c4e1, v15
	v_mov_b32_e32 v9, 0x3ecccdef
	v_add_f32_e32 v18, v11, v17
	v_fma_f32 v16, v15, v16, v9
	v_sub_f32_e32 v11, v18, v11
	v_sub_f32_e32 v17, v17, v11
	v_mul_f32_e32 v11, v15, v16
	v_fma_f32 v15, v15, v16, -v11
	v_fmac_f32_e32 v15, v10, v16
	v_add_f32_e32 v16, v11, v15
	v_sub_f32_e32 v10, v16, v11
	v_sub_f32_e32 v15, v15, v10
	v_cvt_f64_f32_e64 v[10:11], |v12|
	v_add_f32_e32 v19, 0x3f2aaaaa, v16
	v_add_f32_e32 v20, 0xbf2aaaaa, v19
	;; [unrolled: 1-line block ×3, first 2 shown]
	v_frexp_exp_i32_f64_e32 v10, v[10:11]
	v_sub_f32_e32 v16, v16, v20
	v_add_f32_e32 v11, v15, v16
	v_add_f32_e32 v15, v19, v11
	v_sub_f32_e32 v16, v19, v15
	v_add_f32_e32 v11, v11, v16
	v_mul_f32_e32 v16, v18, v15
	v_fma_f32 v19, v18, v15, -v16
	v_subbrev_co_u32_e32 v10, vcc, 0, v10, vcc
	v_cvt_f32_i32_e32 v10, v10
	v_fmac_f32_e32 v19, v18, v11
	s_mov_b32 s40, 0x3f317218
	v_fmac_f32_e32 v19, v17, v15
	v_mul_f32_e32 v11, 0x3f317218, v10
	v_fma_f32 v15, v10, s40, -v11
	v_fmac_f32_e32 v15, 0xb102e308, v10
	v_ldexp_f32 v10, v14, 1
	v_add_f32_e32 v14, v11, v15
	v_sub_f32_e32 v11, v14, v11
	v_ldexp_f32 v13, v13, 1
	v_sub_f32_e32 v11, v15, v11
	v_add_f32_e32 v15, v16, v19
	v_sub_f32_e32 v16, v15, v16
	v_add_f32_e32 v17, v13, v15
	v_sub_f32_e32 v16, v19, v16
	v_sub_f32_e32 v13, v17, v13
	;; [unrolled: 1-line block ×3, first 2 shown]
	v_add_f32_e32 v10, v10, v16
	v_add_f32_e32 v10, v10, v13
	;; [unrolled: 1-line block ×3, first 2 shown]
	v_sub_f32_e32 v15, v13, v17
	v_sub_f32_e32 v10, v10, v15
	v_add_f32_e32 v15, v14, v13
	v_sub_f32_e32 v16, v15, v14
	v_sub_f32_e32 v17, v15, v16
	;; [unrolled: 1-line block ×4, first 2 shown]
	v_add_f32_e32 v13, v13, v14
	v_add_f32_e32 v14, v11, v10
	v_sub_f32_e32 v16, v14, v11
	v_sub_f32_e32 v17, v14, v16
	;; [unrolled: 1-line block ×4, first 2 shown]
	v_add_f32_e32 v10, v10, v11
	v_add_f32_e32 v11, v14, v13
	;; [unrolled: 1-line block ×3, first 2 shown]
	v_sub_f32_e32 v14, v13, v15
	v_sub_f32_e32 v11, v11, v14
	v_add_f32_e32 v10, v10, v11
	v_add_f32_e32 v11, v13, v10
	v_sub_f32_e32 v13, v11, v13
	v_sub_f32_e32 v10, v10, v13
	v_mul_f32_e32 v13, v6, v11
	v_fma_f32 v11, v6, v11, -v13
	v_fmac_f32_e32 v11, v6, v10
	s_movk_i32 s41, 0x204
	v_add_f32_e32 v10, v13, v11
	v_cmp_class_f32_e64 vcc, v13, s41
	v_sub_f32_e32 v14, v10, v13
	v_cndmask_b32_e32 v13, v10, v13, vcc
	s_mov_b32 s43, 0x42b17218
	v_mov_b32_e32 v10, 0x37000000
	v_cmp_eq_f32_e32 vcc, s43, v13
	v_sub_f32_e32 v11, v11, v14
	v_cndmask_b32_e32 v14, 0, v10, vcc
	v_sub_f32_e32 v15, v13, v14
	s_mov_b32 s45, 0x3fb8aa3b
	v_mul_f32_e32 v16, 0x3fb8aa3b, v15
	v_fma_f32 v17, v15, s45, -v16
	v_rndne_f32_e32 v18, v16
	v_fmac_f32_e32 v17, 0x32a5705f, v15
	v_sub_f32_e32 v16, v16, v18
	v_add_f32_e32 v16, v16, v17
	v_exp_f32_e32 v16, v16
	v_cvt_i32_f32_e32 v17, v18
	s_mov_b32 s42, 0x7f800000
	v_cmp_neq_f32_e64 vcc, |v13|, s42
	v_cndmask_b32_e32 v11, 0, v11, vcc
	s_mov_b32 s46, 0xc2ce8ed0
	v_add_f32_e32 v13, v14, v11
	v_ldexp_f32 v11, v16, v17
	v_cmp_ngt_f32_e32 vcc, s46, v15
	v_cndmask_b32_e32 v14, 0, v11, vcc
	v_mov_b32_e32 v11, 0x7f800000
	v_cmp_nlt_f32_e32 vcc, s43, v15
	v_cndmask_b32_e32 v14, v11, v14, vcc
	v_fma_f32 v13, v14, v13, v14
	v_cmp_class_f32_e64 vcc, v14, s41
	v_cndmask_b32_e32 v13, v13, v14, vcc
	v_trunc_f32_e32 v14, v6
	v_cmp_eq_f32_e32 vcc, v14, v6
	v_mul_f32_e32 v14, 0.5, v6
	v_trunc_f32_e32 v15, v14
	v_cmp_neq_f32_e64 s[6:7], v15, v14
	s_and_b64 s[6:7], vcc, s[6:7]
	v_cndmask_b32_e64 v14, 1.0, v12, s[6:7]
	s_brev_b32 s47, -2
	v_bfi_b32 v13, s47, v13, v14
	v_cmp_neq_f32_e64 s[8:9], v6, |v6|
	v_cmp_lt_f32_e64 s[10:11], |v12|, 1.0
	v_cndmask_b32_e32 v14, v7, v13, vcc
	v_cmp_gt_f32_e32 vcc, 0, v12
	s_xor_b64 s[8:9], s[8:9], s[10:11]
	v_cndmask_b32_e32 v13, v13, v14, vcc
	v_cndmask_b32_e64 v14, v11, 0, s[8:9]
	v_cmp_neq_f32_e64 vcc, |v12|, 1.0
	v_cndmask_b32_e32 v14, 1.0, v14, vcc
	v_cmp_class_f32_e64 vcc, v6, s41
	v_cndmask_b32_e32 v13, v13, v14, vcc
	v_cmp_eq_f32_e32 vcc, 0, v12
	v_cmp_gt_f32_e64 s[8:9], 0, v6
	s_xor_b64 s[8:9], s[8:9], vcc
	v_cmp_class_f32_e64 s[10:11], v12, s41
	v_cndmask_b32_e64 v14, v11, 0, s[8:9]
	v_cndmask_b32_e64 v15, 0, v12, s[6:7]
	v_bfi_b32 v14, s47, v14, v15
	s_or_b64 vcc, vcc, s[10:11]
	v_cndmask_b32_e32 v13, v13, v14, vcc
	v_cmp_o_f32_e32 vcc, v12, v6
	s_mov_b32 s29, 0
	v_cndmask_b32_e32 v6, v7, v13, vcc
	s_mov_b64 s[20:21], 0
	s_mov_b32 s56, 0x41100000
                                        ; implicit-def: $sgpr22_sgpr23
                                        ; implicit-def: $sgpr26_sgpr27
                                        ; implicit-def: $sgpr24_sgpr25
	s_branch .LBB121_98
.LBB121_97:                             ;   in Loop: Header=BB121_98 Depth=1
	s_or_b64 exec, exec, s[6:7]
	s_and_b64 s[6:7], exec, s[26:27]
	s_or_b64 s[20:21], s[6:7], s[20:21]
	s_andn2_b64 s[6:7], s[22:23], exec
	s_and_b64 s[8:9], s[24:25], exec
	s_or_b64 s[22:23], s[6:7], s[8:9]
	s_andn2_b64 exec, exec, s[20:21]
	s_cbranch_execz .LBB121_155
.LBB121_98:                             ; =>This Inner Loop Header: Depth=1
	v_add_f32_e32 v3, 1.0, v3
	v_cmp_neq_f32_e32 vcc, 1.0, v3
	v_cndmask_b32_e32 v12, 1.0, v8, vcc
	v_cmp_neq_f32_e32 vcc, 0, v12
	v_cndmask_b32_e32 v13, 1.0, v3, vcc
	v_frexp_mant_f32_e64 v14, |v13|
	v_cmp_gt_f32_e32 vcc, s28, v14
	v_cndmask_b32_e64 v15, 1.0, 2.0, vcc
	v_mul_f32_e32 v14, v14, v15
	v_add_f32_e32 v16, 1.0, v14
	v_add_f32_e32 v17, -1.0, v16
	v_add_f32_e32 v15, -1.0, v14
	v_sub_f32_e32 v14, v14, v17
	v_rcp_f32_e32 v17, v16
	v_cmp_gt_f32_e64 s[8:9], 0, v13
	v_cmp_lt_f32_e64 s[10:11], |v13|, 1.0
	s_or_b64 s[24:25], s[24:25], exec
	v_mul_f32_e32 v18, v15, v17
	v_mul_f32_e32 v19, v16, v18
	v_fma_f32 v16, v18, v16, -v19
	v_fmac_f32_e32 v16, v18, v14
	v_add_f32_e32 v14, v19, v16
	v_sub_f32_e32 v20, v15, v14
	v_sub_f32_e32 v19, v14, v19
	;; [unrolled: 1-line block ×5, first 2 shown]
	v_add_f32_e32 v14, v15, v14
	v_add_f32_e32 v14, v20, v14
	v_mul_f32_e32 v14, v17, v14
	v_add_f32_e32 v16, v18, v14
	v_sub_f32_e32 v15, v16, v18
	v_sub_f32_e32 v17, v14, v15
	v_mul_f32_e32 v14, v16, v16
	v_fma_f32 v15, v16, v16, -v14
	v_add_f32_e32 v18, v17, v17
	v_fmac_f32_e32 v15, v16, v18
	v_add_f32_e32 v18, v14, v15
	v_sub_f32_e32 v14, v18, v14
	v_sub_f32_e32 v14, v15, v14
	v_mul_f32_e32 v15, v16, v18
	v_fma_f32 v20, v18, v16, -v15
	v_fmac_f32_e32 v20, v18, v17
	v_mov_b32_e32 v19, 0x3e91f4c4
	v_fmac_f32_e32 v20, v14, v16
	v_fmac_f32_e32 v19, 0x3e76c4e1, v18
	v_add_f32_e32 v21, v15, v20
	v_fma_f32 v19, v18, v19, v9
	v_sub_f32_e32 v15, v21, v15
	v_sub_f32_e32 v15, v20, v15
	v_mul_f32_e32 v20, v18, v19
	v_fma_f32 v18, v18, v19, -v20
	v_fmac_f32_e32 v18, v14, v19
	v_add_f32_e32 v14, v20, v18
	v_add_f32_e32 v19, 0x3f2aaaaa, v14
	v_sub_f32_e32 v20, v14, v20
	v_sub_f32_e32 v18, v18, v20
	v_add_f32_e32 v20, 0xbf2aaaaa, v19
	v_add_f32_e32 v18, 0x31739010, v18
	v_sub_f32_e32 v14, v14, v20
	v_add_f32_e32 v14, v18, v14
	v_add_f32_e32 v18, v19, v14
	v_sub_f32_e32 v19, v19, v18
	v_add_f32_e32 v14, v14, v19
	v_mul_f32_e32 v19, v21, v18
	v_fma_f32 v20, v21, v18, -v19
	v_fmac_f32_e32 v20, v21, v14
	v_fmac_f32_e32 v20, v15, v18
	v_cvt_f64_f32_e64 v[14:15], |v13|
	v_ldexp_f32 v16, v16, 1
	s_or_b64 s[26:27], s[26:27], exec
	v_frexp_exp_i32_f64_e32 v14, v[14:15]
	v_subbrev_co_u32_e32 v14, vcc, 0, v14, vcc
	v_cvt_f32_i32_e32 v14, v14
	v_mul_f32_e32 v15, 0x3f317218, v14
	v_fma_f32 v18, v14, s40, -v15
	v_fmac_f32_e32 v18, 0xb102e308, v14
	v_ldexp_f32 v14, v17, 1
	v_add_f32_e32 v17, v15, v18
	v_sub_f32_e32 v15, v17, v15
	v_sub_f32_e32 v15, v18, v15
	v_add_f32_e32 v18, v19, v20
	v_sub_f32_e32 v19, v18, v19
	v_sub_f32_e32 v19, v20, v19
	;; [unrolled: 3-line block ×3, first 2 shown]
	v_add_f32_e32 v14, v14, v19
	v_add_f32_e32 v14, v14, v16
	;; [unrolled: 1-line block ×3, first 2 shown]
	v_sub_f32_e32 v18, v16, v20
	v_sub_f32_e32 v14, v14, v18
	v_add_f32_e32 v18, v17, v16
	v_sub_f32_e32 v19, v18, v17
	v_sub_f32_e32 v20, v18, v19
	;; [unrolled: 1-line block ×4, first 2 shown]
	v_add_f32_e32 v16, v16, v17
	v_add_f32_e32 v17, v15, v14
	v_sub_f32_e32 v19, v17, v15
	v_sub_f32_e32 v20, v17, v19
	;; [unrolled: 1-line block ×4, first 2 shown]
	v_add_f32_e32 v14, v14, v15
	v_add_f32_e32 v15, v17, v16
	;; [unrolled: 1-line block ×3, first 2 shown]
	v_sub_f32_e32 v17, v16, v18
	v_sub_f32_e32 v15, v15, v17
	v_add_f32_e32 v14, v14, v15
	v_add_f32_e32 v15, v16, v14
	v_sub_f32_e32 v16, v15, v16
	v_sub_f32_e32 v14, v14, v16
	v_mul_f32_e32 v16, v12, v15
	v_fma_f32 v15, v12, v15, -v16
	v_fmac_f32_e32 v15, v12, v14
	v_add_f32_e32 v14, v16, v15
	v_cmp_class_f32_e64 vcc, v16, s41
	v_sub_f32_e32 v17, v14, v16
	v_cndmask_b32_e32 v14, v14, v16, vcc
	v_sub_f32_e32 v15, v15, v17
	v_cmp_neq_f32_e64 vcc, |v14|, s42
	v_cndmask_b32_e32 v15, 0, v15, vcc
	v_cmp_eq_f32_e32 vcc, s43, v14
	v_cndmask_b32_e32 v16, 0, v10, vcc
	v_sub_f32_e32 v14, v14, v16
	v_add_f32_e32 v15, v16, v15
	v_mul_f32_e32 v16, 0x3fb8aa3b, v14
	v_fma_f32 v17, v14, s45, -v16
	v_rndne_f32_e32 v18, v16
	v_fmac_f32_e32 v17, 0x32a5705f, v14
	v_sub_f32_e32 v16, v16, v18
	v_add_f32_e32 v16, v16, v17
	v_exp_f32_e32 v16, v16
	v_cvt_i32_f32_e32 v17, v18
	v_cmp_ngt_f32_e32 vcc, s46, v14
	v_ldexp_f32 v16, v16, v17
	v_cndmask_b32_e32 v16, 0, v16, vcc
	v_cmp_nlt_f32_e32 vcc, s43, v14
	v_cndmask_b32_e32 v14, v11, v16, vcc
	v_fma_f32 v15, v14, v15, v14
	v_cmp_class_f32_e64 vcc, v14, s41
	v_cndmask_b32_e32 v14, v15, v14, vcc
	v_trunc_f32_e32 v15, v12
	v_cmp_eq_f32_e32 vcc, v15, v12
	v_mul_f32_e32 v15, 0.5, v12
	v_trunc_f32_e32 v16, v15
	v_cmp_neq_f32_e64 s[6:7], v16, v15
	s_and_b64 s[6:7], vcc, s[6:7]
	v_cndmask_b32_e64 v15, 1.0, v13, s[6:7]
	v_bfi_b32 v14, s47, v14, v15
	v_cndmask_b32_e32 v15, v7, v14, vcc
	v_cndmask_b32_e64 v14, v14, v15, s[8:9]
	v_cmp_neq_f32_e64 s[8:9], v12, |v12|
	s_xor_b64 s[8:9], s[8:9], s[10:11]
	v_cndmask_b32_e64 v15, v11, 0, s[8:9]
	v_cmp_neq_f32_e64 s[8:9], |v13|, 1.0
	v_cmp_class_f32_e64 vcc, v12, s41
	v_cndmask_b32_e64 v15, 1.0, v15, s[8:9]
	v_cndmask_b32_e32 v14, v14, v15, vcc
	v_cmp_eq_f32_e32 vcc, 0, v13
	v_cmp_gt_f32_e64 s[10:11], 0, v12
	s_xor_b64 s[10:11], s[10:11], vcc
	v_cmp_class_f32_e64 s[8:9], v13, s41
	v_cndmask_b32_e64 v15, v11, 0, s[10:11]
	v_cndmask_b32_e64 v16, 0, v13, s[6:7]
	s_or_b64 s[8:9], vcc, s[8:9]
	v_bfi_b32 v15, s47, v15, v16
	v_cndmask_b32_e64 v14, v14, v15, s[8:9]
	v_cmp_o_f32_e32 vcc, v13, v12
	v_cndmask_b32_e32 v12, v7, v14, vcc
	v_add_f32_e32 v6, v6, v12
	v_mul_f32_e32 v13, 0xa5000000, v6
	v_cmp_nlt_f32_e32 vcc, v13, v12
	v_mul_f32_e32 v13, 0x25000000, v6
	v_cmp_nlt_f32_e64 s[6:7], v12, v13
	s_or_b64 s[8:9], vcc, s[6:7]
	s_and_saveexec_b64 s[6:7], s[8:9]
	s_cbranch_execz .LBB121_97
; %bb.99:                               ;   in Loop: Header=BB121_98 Depth=1
	s_add_i32 s57, s29, 1
	s_cmp_gt_u32 s29, 7
	s_cselect_b64 s[8:9], -1, 0
	v_cmp_nge_f32_e32 vcc, s56, v3
	s_and_b64 s[8:9], s[8:9], vcc
	s_andn2_b64 s[10:11], s[26:27], exec
	s_and_b64 s[8:9], s[8:9], exec
	s_andn2_b64 s[24:25], s[24:25], exec
	s_or_b64 s[26:27], s[10:11], s[8:9]
	s_mov_b32 s29, s57
	s_branch .LBB121_97
.LBB121_100:
	v_mov_b32_e32 v3, 28
	v_cmp_gt_i16_sdwa s[8:9], v5, v3 src0_sel:BYTE_0 src1_sel:DWORD
	s_mov_b64 s[14:15], 0
                                        ; implicit-def: $vgpr3
	s_and_saveexec_b64 s[16:17], s[8:9]
	s_xor_b64 s[8:9], exec, s[16:17]
	s_cbranch_execz .LBB121_116
; %bb.101:
	v_mov_b32_e32 v3, 43
	v_cmp_gt_i16_sdwa s[12:13], v5, v3 src0_sel:BYTE_0 src1_sel:DWORD
	s_mov_b64 s[16:17], 0
	s_mov_b64 s[18:19], 0
                                        ; implicit-def: $vgpr3
	s_and_saveexec_b64 s[14:15], s[12:13]
	s_xor_b64 s[12:13], exec, s[14:15]
	s_cbranch_execz .LBB121_111
; %bb.102:
	v_mov_b32_e32 v3, 45
	v_cmp_gt_i16_sdwa s[18:19], v5, v3 src0_sel:BYTE_0 src1_sel:DWORD
	s_mov_b64 s[14:15], 0
                                        ; implicit-def: $vgpr3
	s_and_saveexec_b64 s[20:21], s[18:19]
	s_xor_b64 s[18:19], exec, s[20:21]
	s_cbranch_execz .LBB121_106
; %bb.103:
	v_mov_b32_e32 v3, 46
	v_cmp_eq_u16_sdwa s[22:23], v5, v3 src0_sel:BYTE_0 src1_sel:DWORD
	s_mov_b64 s[20:21], -1
                                        ; implicit-def: $vgpr3
	s_and_saveexec_b64 s[16:17], s[22:23]
	s_cbranch_execz .LBB121_105
; %bb.104:
	flat_load_dword v3, v[1:2]
	s_mov_b64 s[14:15], exec
	s_xor_b64 s[20:21], exec, -1
.LBB121_105:
	s_or_b64 exec, exec, s[16:17]
	s_and_b64 s[16:17], s[14:15], exec
	s_and_b64 s[14:15], s[20:21], exec
                                        ; implicit-def: $vgpr5
.LBB121_106:
	s_andn2_saveexec_b64 s[18:19], s[18:19]
	s_cbranch_execz .LBB121_110
; %bb.107:
	s_waitcnt vmcnt(0) lgkmcnt(0)
	v_mov_b32_e32 v3, 44
	v_cmp_eq_u16_sdwa s[26:27], v5, v3 src0_sel:BYTE_0 src1_sel:DWORD
	s_mov_b64 s[24:25], -1
	s_mov_b64 s[22:23], s[16:17]
                                        ; implicit-def: $vgpr3
	s_and_saveexec_b64 s[20:21], s[26:27]
	s_cbranch_execz .LBB121_109
; %bb.108:
	flat_load_ubyte v3, v[1:2]
	s_movk_i32 s24, 0xff
	v_mov_b32_e32 v4, 0x7f800001
	v_mov_b32_e32 v5, 0x400000
	;; [unrolled: 1-line block ×3, first 2 shown]
	s_or_b64 s[22:23], s[16:17], exec
	s_waitcnt vmcnt(0) lgkmcnt(0)
	v_lshlrev_b32_e32 v7, 23, v3
	v_cmp_ne_u32_e32 vcc, s24, v3
	v_cndmask_b32_e32 v4, v4, v7, vcc
	v_cmp_ne_u32_e32 vcc, 0, v3
	v_cndmask_b32_e32 v3, v5, v4, vcc
	v_add_u32_e32 v4, 0x7fff, v3
	v_cmp_o_f32_e32 vcc, v3, v3
	v_cndmask_b32_sdwa v3, v6, v4, vcc dst_sel:DWORD dst_unused:UNUSED_PAD src0_sel:DWORD src1_sel:WORD_1
	s_xor_b64 s[24:25], exec, -1
.LBB121_109:
	s_or_b64 exec, exec, s[20:21]
	s_andn2_b64 s[16:17], s[16:17], exec
	s_and_b64 s[20:21], s[22:23], exec
	s_or_b64 s[16:17], s[16:17], s[20:21]
	s_andn2_b64 s[14:15], s[14:15], exec
	s_and_b64 s[20:21], s[24:25], exec
	s_or_b64 s[14:15], s[14:15], s[20:21]
.LBB121_110:
	s_or_b64 exec, exec, s[18:19]
	s_and_b64 s[18:19], s[16:17], exec
	s_and_b64 s[16:17], s[14:15], exec
                                        ; implicit-def: $vgpr5
.LBB121_111:
	s_andn2_saveexec_b64 s[12:13], s[12:13]
	s_cbranch_execz .LBB121_115
; %bb.112:
	s_waitcnt vmcnt(0) lgkmcnt(0)
	v_mov_b32_e32 v3, 29
	v_cmp_eq_u16_sdwa s[24:25], v5, v3 src0_sel:BYTE_0 src1_sel:DWORD
	s_mov_b64 s[22:23], -1
	s_mov_b64 s[20:21], s[18:19]
                                        ; implicit-def: $vgpr3
	s_and_saveexec_b64 s[14:15], s[24:25]
	s_cbranch_execz .LBB121_114
; %bb.113:
	flat_load_dwordx2 v[3:4], v[1:2]
	s_movk_i32 s22, 0x7fff
	s_or_b64 s[20:21], s[18:19], exec
	s_waitcnt vmcnt(0) lgkmcnt(0)
	v_ffbh_u32_e32 v5, v4
	v_min_u32_e32 v5, 32, v5
	v_lshlrev_b64 v[3:4], v5, v[3:4]
	v_min_u32_e32 v3, 1, v3
	v_or_b32_e32 v3, v4, v3
	v_cvt_f32_u32_e32 v3, v3
	v_sub_u32_e32 v4, 32, v5
	v_ldexp_f32 v3, v3, v4
	v_bfe_u32 v4, v3, 16, 1
	v_add3_u32 v3, v3, v4, s22
	v_lshrrev_b32_e32 v3, 16, v3
	s_xor_b64 s[22:23], exec, -1
.LBB121_114:
	s_or_b64 exec, exec, s[14:15]
	s_andn2_b64 s[14:15], s[18:19], exec
	s_and_b64 s[18:19], s[20:21], exec
	s_or_b64 s[18:19], s[14:15], s[18:19]
	s_andn2_b64 s[14:15], s[16:17], exec
	s_and_b64 s[16:17], s[22:23], exec
	s_or_b64 s[16:17], s[14:15], s[16:17]
.LBB121_115:
	s_or_b64 exec, exec, s[12:13]
	s_and_b64 s[14:15], s[18:19], exec
	s_and_b64 s[12:13], s[16:17], exec
                                        ; implicit-def: $vgpr5
.LBB121_116:
	s_andn2_saveexec_b64 s[8:9], s[8:9]
	s_cbranch_execz .LBB121_130
; %bb.117:
	s_waitcnt vmcnt(0) lgkmcnt(0)
	v_mov_b32_e32 v3, 26
	v_cmp_gt_i16_sdwa s[16:17], v5, v3 src0_sel:BYTE_0 src1_sel:DWORD
                                        ; implicit-def: $vgpr3
	s_and_saveexec_b64 s[18:19], s[16:17]
	s_xor_b64 s[16:17], exec, s[18:19]
	s_cbranch_execz .LBB121_123
; %bb.118:
	v_mov_b32_e32 v3, 27
	v_cmp_gt_i16_sdwa s[18:19], v5, v3 src0_sel:BYTE_0 src1_sel:DWORD
                                        ; implicit-def: $vgpr3
	s_and_saveexec_b64 s[20:21], s[18:19]
	s_xor_b64 s[18:19], exec, s[20:21]
	s_cbranch_execz .LBB121_120
; %bb.119:
	flat_load_dword v3, v[1:2]
	s_movk_i32 s20, 0x7fff
	s_waitcnt vmcnt(0) lgkmcnt(0)
	v_cvt_f32_u32_e32 v3, v3
	v_bfe_u32 v4, v3, 16, 1
	v_add3_u32 v3, v3, v4, s20
	v_lshrrev_b32_e32 v3, 16, v3
.LBB121_120:
	s_andn2_saveexec_b64 s[18:19], s[18:19]
	s_cbranch_execz .LBB121_122
; %bb.121:
	flat_load_ushort v3, v[1:2]
	s_movk_i32 s20, 0x7fff
	s_waitcnt vmcnt(0) lgkmcnt(0)
	v_cvt_f32_u32_e32 v3, v3
	v_bfe_u32 v4, v3, 16, 1
	v_add3_u32 v3, v3, v4, s20
	v_lshrrev_b32_e32 v3, 16, v3
.LBB121_122:
	s_or_b64 exec, exec, s[18:19]
.LBB121_123:
	s_andn2_saveexec_b64 s[16:17], s[16:17]
	s_cbranch_execz .LBB121_129
; %bb.124:
	flat_load_ubyte v3, v[1:2]
	s_movk_i32 s18, 0x7f
	s_waitcnt vmcnt(0) lgkmcnt(0)
	v_cmp_lt_i16_e32 vcc, s18, v3
	s_mov_b64 s[18:19], 0
	s_and_saveexec_b64 s[20:21], vcc
	s_xor_b64 s[20:21], exec, s[20:21]
	s_cbranch_execnz .LBB121_162
; %bb.125:
	s_or_saveexec_b64 s[20:21], s[20:21]
	v_mov_b32_e32 v4, 0x7f800001
	s_xor_b64 exec, exec, s[20:21]
	s_cbranch_execnz .LBB121_165
.LBB121_126:
	s_or_b64 exec, exec, s[20:21]
	s_and_saveexec_b64 s[20:21], s[18:19]
	s_cbranch_execz .LBB121_128
.LBB121_127:
	v_lshlrev_b32_e32 v4, 24, v3
	v_and_b32_e32 v3, 0xffff, v3
	v_and_b32_e32 v5, 7, v3
	v_ffbh_u32_e32 v7, v5
	v_min_u32_e32 v7, 32, v7
	v_subrev_u32_e32 v8, 28, v7
	v_bfe_u32 v6, v3, 3, 4
	v_lshlrev_b32_e32 v3, v8, v3
	v_sub_u32_e32 v7, 29, v7
	v_and_b32_e32 v3, 7, v3
	v_cmp_eq_u32_e32 vcc, 0, v6
	v_cndmask_b32_e32 v6, v6, v7, vcc
	v_cndmask_b32_e32 v3, v5, v3, vcc
	v_mov_b32_e32 v5, 0x3b800000
	v_lshlrev_b32_e32 v3, 20, v3
	v_and_b32_e32 v4, 0x80000000, v4
	v_lshl_add_u32 v5, v6, 23, v5
	v_or3_b32 v4, v4, v5, v3
.LBB121_128:
	s_or_b64 exec, exec, s[20:21]
	v_bfe_u32 v3, v4, 16, 1
	s_movk_i32 s18, 0x7fff
	v_add3_u32 v3, v4, v3, s18
	v_cmp_o_f32_e32 vcc, v4, v4
	v_mov_b32_e32 v4, 0x7fc0
	v_cndmask_b32_sdwa v3, v4, v3, vcc dst_sel:DWORD dst_unused:UNUSED_PAD src0_sel:DWORD src1_sel:WORD_1
.LBB121_129:
	s_or_b64 exec, exec, s[16:17]
	s_or_b64 s[14:15], s[14:15], exec
.LBB121_130:
	s_or_b64 exec, exec, s[8:9]
	s_and_b64 s[8:9], s[14:15], exec
	s_and_b64 s[12:13], s[12:13], exec
                                        ; implicit-def: $vgpr5
	s_andn2_saveexec_b64 s[10:11], s[10:11]
	s_cbranch_execz .LBB121_6
.LBB121_131:
	s_waitcnt vmcnt(0) lgkmcnt(0)
	v_mov_b32_e32 v3, 22
	v_cmp_gt_i16_sdwa s[6:7], v5, v3 src0_sel:BYTE_0 src1_sel:DWORD
	s_mov_b64 s[14:15], s[8:9]
                                        ; implicit-def: $vgpr3
	s_and_saveexec_b64 s[16:17], s[6:7]
	s_xor_b64 s[6:7], exec, s[16:17]
	s_cbranch_execz .LBB121_145
; %bb.132:
	v_mov_b32_e32 v3, 23
	v_cmp_gt_i16_sdwa s[14:15], v5, v3 src0_sel:BYTE_0 src1_sel:DWORD
                                        ; implicit-def: $vgpr3
	s_and_saveexec_b64 s[16:17], s[14:15]
	s_xor_b64 s[14:15], exec, s[16:17]
	s_cbranch_execz .LBB121_142
; %bb.133:
	v_mov_b32_e32 v3, 24
	v_cmp_gt_i16_sdwa s[16:17], v5, v3 src0_sel:BYTE_0 src1_sel:DWORD
                                        ; implicit-def: $vgpr3
	s_and_saveexec_b64 s[18:19], s[16:17]
	s_xor_b64 s[16:17], exec, s[18:19]
	s_cbranch_execz .LBB121_139
; %bb.134:
	flat_load_ubyte v3, v[1:2]
	s_movk_i32 s18, 0x7f
	s_waitcnt vmcnt(0) lgkmcnt(0)
	v_cmp_lt_i16_e32 vcc, s18, v3
	s_mov_b64 s[18:19], 0
	s_and_saveexec_b64 s[20:21], vcc
	s_xor_b64 s[20:21], exec, s[20:21]
	s_cbranch_execnz .LBB121_177
; %bb.135:
	s_or_saveexec_b64 s[20:21], s[20:21]
	v_mov_b32_e32 v4, 0x7f800001
	s_xor_b64 exec, exec, s[20:21]
	s_cbranch_execnz .LBB121_180
.LBB121_136:
	s_or_b64 exec, exec, s[20:21]
	s_and_saveexec_b64 s[20:21], s[18:19]
	s_cbranch_execz .LBB121_138
.LBB121_137:
	v_lshlrev_b32_e32 v4, 24, v3
	v_and_b32_e32 v3, 0xffff, v3
	v_and_b32_e32 v5, 3, v3
	v_ffbh_u32_e32 v7, v5
	v_min_u32_e32 v7, 32, v7
	v_subrev_u32_e32 v8, 29, v7
	v_bfe_u32 v6, v3, 2, 5
	v_lshlrev_b32_e32 v3, v8, v3
	v_sub_u32_e32 v7, 30, v7
	v_and_b32_e32 v3, 3, v3
	v_cmp_eq_u32_e32 vcc, 0, v6
	v_cndmask_b32_e32 v6, v6, v7, vcc
	v_cndmask_b32_e32 v3, v5, v3, vcc
	v_mov_b32_e32 v5, 0x37800000
	v_lshlrev_b32_e32 v3, 21, v3
	v_and_b32_e32 v4, 0x80000000, v4
	v_lshl_add_u32 v5, v6, 23, v5
	v_or3_b32 v4, v4, v5, v3
.LBB121_138:
	s_or_b64 exec, exec, s[20:21]
	v_bfe_u32 v3, v4, 16, 1
	s_movk_i32 s18, 0x7fff
	v_add3_u32 v3, v4, v3, s18
	v_cmp_o_f32_e32 vcc, v4, v4
	v_mov_b32_e32 v4, 0x7fc0
	v_cndmask_b32_sdwa v3, v4, v3, vcc dst_sel:DWORD dst_unused:UNUSED_PAD src0_sel:DWORD src1_sel:WORD_1
.LBB121_139:
	s_andn2_saveexec_b64 s[16:17], s[16:17]
	s_cbranch_execz .LBB121_141
; %bb.140:
	flat_load_ubyte v3, v[1:2]
	s_mov_b32 s18, 0x7f800000
	s_brev_b32 s19, 1
	s_movk_i32 s20, 0x7fff
	s_waitcnt vmcnt(0) lgkmcnt(0)
	v_lshlrev_b32_e32 v3, 24, v3
	v_and_b32_e32 v4, 0x7f000000, v3
	v_ffbh_u32_e32 v5, v4
	v_min_u32_e32 v5, 32, v5
	v_sub_u32_e64 v5, v5, 4 clamp
	v_lshlrev_b32_e32 v7, v5, v4
	v_lshlrev_b32_e32 v5, 23, v5
	v_lshrrev_b32_e32 v7, 4, v7
	v_add_u32_e32 v6, 0x1000000, v4
	v_sub_u32_e32 v5, v7, v5
	v_ashrrev_i32_e32 v6, 8, v6
	v_add_u32_e32 v5, 0x3c000000, v5
	v_and_or_b32 v5, v6, s18, v5
	v_cmp_ne_u32_e32 vcc, 0, v4
	v_cndmask_b32_e32 v4, 0, v5, vcc
	v_and_or_b32 v3, v3, s19, v4
	v_bfe_u32 v4, v4, 16, 1
	v_add3_u32 v4, v3, v4, s20
	v_cmp_o_f32_e32 vcc, v3, v3
	v_mov_b32_e32 v3, 0x7fc0
	v_cndmask_b32_sdwa v3, v3, v4, vcc dst_sel:DWORD dst_unused:UNUSED_PAD src0_sel:DWORD src1_sel:WORD_1
.LBB121_141:
	s_or_b64 exec, exec, s[16:17]
.LBB121_142:
	s_andn2_saveexec_b64 s[14:15], s[14:15]
	s_cbranch_execz .LBB121_144
; %bb.143:
	flat_load_ubyte v3, v[1:2]
	s_movk_i32 s16, 0x7f00
	s_brev_b32 s17, 16
	s_brev_b32 s18, 1
	s_movk_i32 s19, 0x7fff
	s_waitcnt vmcnt(0) lgkmcnt(0)
	v_lshlrev_b16_e32 v4, 8, v3
	v_lshlrev_b32_e32 v3, 25, v3
	v_lshrrev_b32_e32 v5, 4, v3
	v_and_or_b32 v6, v4, s16, 0.5
	v_or_b32_e32 v5, 0x70000000, v5
	v_add_f32_e32 v6, -0.5, v6
	v_mul_f32_e32 v5, 0x7800000, v5
	v_cmp_gt_u32_e32 vcc, s17, v3
	v_bfe_i32 v4, v4, 0, 16
	v_cndmask_b32_e32 v3, v5, v6, vcc
	v_and_or_b32 v4, v4, s18, v3
	v_bfe_u32 v3, v3, 16, 1
	v_add3_u32 v3, v4, v3, s19
	v_cmp_o_f32_e32 vcc, v4, v4
	v_mov_b32_e32 v4, 0x7fc0
	v_cndmask_b32_sdwa v3, v4, v3, vcc dst_sel:DWORD dst_unused:UNUSED_PAD src0_sel:DWORD src1_sel:WORD_1
.LBB121_144:
	s_or_b64 exec, exec, s[14:15]
	s_or_b64 s[14:15], s[8:9], exec
                                        ; implicit-def: $vgpr5
.LBB121_145:
	s_or_saveexec_b64 s[6:7], s[6:7]
	s_mov_b64 s[18:19], 0
	s_mov_b64 s[16:17], s[12:13]
	s_xor_b64 exec, exec, s[6:7]
	s_cbranch_execz .LBB121_153
; %bb.146:
	v_mov_b32_e32 v3, 14
	v_cmp_gt_i16_sdwa s[20:21], v5, v3 src0_sel:BYTE_0 src1_sel:DWORD
	s_mov_b64 s[16:17], s[12:13]
	s_mov_b64 s[18:19], s[14:15]
                                        ; implicit-def: $vgpr3
	s_and_saveexec_b64 s[22:23], s[20:21]
	s_xor_b64 s[20:21], exec, s[22:23]
	s_cbranch_execz .LBB121_150
; %bb.147:
	v_mov_b32_e32 v3, 15
	v_cmp_eq_u16_sdwa s[24:25], v5, v3 src0_sel:BYTE_0 src1_sel:DWORD
	s_mov_b64 s[16:17], -1
	s_mov_b64 s[18:19], s[14:15]
                                        ; implicit-def: $vgpr3
	s_and_saveexec_b64 s[22:23], s[24:25]
	s_cbranch_execz .LBB121_149
; %bb.148:
	flat_load_ushort v3, v[1:2]
	s_or_b64 s[18:19], s[14:15], exec
	s_xor_b64 s[16:17], exec, -1
.LBB121_149:
	s_or_b64 exec, exec, s[22:23]
	s_andn2_b64 s[22:23], s[14:15], exec
	s_and_b64 s[18:19], s[18:19], exec
	s_or_b64 s[18:19], s[22:23], s[18:19]
	s_andn2_b64 s[22:23], s[12:13], exec
	s_and_b64 s[16:17], s[16:17], exec
	s_or_b64 s[16:17], s[22:23], s[16:17]
                                        ; implicit-def: $vgpr5
.LBB121_150:
	s_or_saveexec_b64 s[20:21], s[20:21]
	s_mov_b64 s[22:23], 0
	s_xor_b64 exec, exec, s[20:21]
; %bb.151:
	v_mov_b32_e32 v4, 11
	v_cmp_ne_u16_sdwa s[24:25], v5, v4 src0_sel:BYTE_0 src1_sel:DWORD
	s_andn2_b64 s[16:17], s[16:17], exec
	s_and_b64 s[24:25], s[24:25], exec
	s_mov_b64 s[22:23], exec
	s_or_b64 s[16:17], s[16:17], s[24:25]
; %bb.152:
	s_or_b64 exec, exec, s[20:21]
	s_andn2_b64 s[14:15], s[14:15], exec
	s_and_b64 s[18:19], s[18:19], exec
	s_andn2_b64 s[20:21], s[12:13], exec
	s_and_b64 s[16:17], s[16:17], exec
	s_or_b64 s[14:15], s[14:15], s[18:19]
	s_and_b64 s[18:19], s[22:23], exec
	s_or_b64 s[16:17], s[20:21], s[16:17]
.LBB121_153:
	s_or_b64 exec, exec, s[6:7]
	s_andn2_b64 s[6:7], s[8:9], exec
	s_and_b64 s[8:9], s[14:15], exec
	s_andn2_b64 s[12:13], s[12:13], exec
	s_and_b64 s[14:15], s[16:17], exec
	s_or_b64 s[8:9], s[6:7], s[8:9]
	s_and_b64 s[6:7], s[18:19], exec
	s_or_b64 s[12:13], s[12:13], s[14:15]
	s_or_b64 exec, exec, s[10:11]
	s_and_saveexec_b64 s[10:11], s[12:13]
	s_cbranch_execz .LBB121_7
.LBB121_154:
	s_trap 2
	; divergent unreachable
	s_andn2_b64 s[6:7], s[6:7], exec
	s_or_b64 exec, exec, s[10:11]
	s_and_saveexec_b64 s[10:11], s[6:7]
	s_xor_b64 s[6:7], exec, s[10:11]
	s_cbranch_execnz .LBB121_8
	s_branch .LBB121_9
.LBB121_155:
	s_or_b64 exec, exec, s[20:21]
	s_xor_b64 s[6:7], s[22:23], -1
                                        ; implicit-def: $vgpr8
	s_and_saveexec_b64 s[8:9], s[6:7]
	s_xor_b64 s[6:7], exec, s[8:9]
	s_cbranch_execz .LBB121_171
; %bb.156:
	v_mul_f32_e32 v7, v3, v12
	v_add_f32_e32 v10, -1.0, v5
	v_div_scale_f32 v8, s[8:9], v10, v10, v7
	v_div_scale_f32 v9, vcc, v7, v10, v7
	s_mov_b64 s[8:9], 0
	s_mov_b32 s45, 0x25000000
	s_mov_b64 s[24:25], 0
                                        ; implicit-def: $sgpr10_sgpr11
                                        ; implicit-def: $sgpr20_sgpr21
                                        ; implicit-def: $sgpr22_sgpr23
	v_rcp_f32_e32 v11, v8
	v_fma_f32 v13, -v8, v11, 1.0
	v_fmac_f32_e32 v11, v13, v11
	v_mul_f32_e32 v13, v9, v11
	v_fma_f32 v14, -v8, v13, v9
	v_fmac_f32_e32 v13, v14, v11
	v_fma_f32 v8, -v8, v13, v9
	v_div_fmas_f32 v11, v8, v11, v13
	v_mov_b32_e32 v9, 1.0
	v_mov_b32_e32 v8, 0
	v_div_fixup_f32 v7, v11, v10, v7
	v_add_f32_e32 v7, v6, v7
	v_fmac_f32_e32 v7, -0.5, v12
	s_branch .LBB121_159
.LBB121_157:                            ;   in Loop: Header=BB121_159 Depth=1
	s_or_b64 exec, exec, s[28:29]
	s_andn2_b64 s[22:23], s[22:23], exec
	s_and_b64 s[28:29], s[42:43], exec
	s_or_b64 s[22:23], s[22:23], s[28:29]
	s_andn2_b64 s[20:21], s[20:21], exec
	s_and_b64 s[28:29], s[40:41], exec
	s_or_b64 s[20:21], s[20:21], s[28:29]
.LBB121_158:                            ;   in Loop: Header=BB121_159 Depth=1
	s_or_b64 exec, exec, s[26:27]
	s_and_b64 s[26:27], exec, s[20:21]
	s_or_b64 s[8:9], s[26:27], s[8:9]
	s_andn2_b64 s[10:11], s[10:11], exec
	s_and_b64 s[26:27], s[22:23], exec
	s_or_b64 s[10:11], s[10:11], s[26:27]
	s_andn2_b64 exec, exec, s[8:9]
	s_cbranch_execz .LBB121_166
.LBB121_159:                            ; =>This Inner Loop Header: Depth=1
	v_div_scale_f32 v10, s[26:27], v3, v3, v12
	v_div_scale_f32 v11, vcc, v12, v3, v12
	s_getpc_b64 s[26:27]
	s_add_u32 s26, s26, _ZZ4zetaIN3c108BFloat16ELb1EET_S2_S2_E1A@rel32@lo+4
	s_addc_u32 s27, s27, _ZZ4zetaIN3c108BFloat16ELb1EET_S2_S2_E1A@rel32@hi+12
	s_add_u32 s26, s26, s24
	s_addc_u32 s27, s27, s25
	s_load_dword s28, s[26:27], 0x0
	s_or_b64 s[22:23], s[22:23], exec
	s_or_b64 s[20:21], s[20:21], exec
	v_rcp_f32_e32 v13, v10
	v_fma_f32 v14, -v10, v13, 1.0
	v_fmac_f32_e32 v13, v14, v13
	v_mul_f32_e32 v14, v11, v13
	v_fma_f32 v15, -v10, v14, v11
	v_fmac_f32_e32 v14, v15, v13
	v_fma_f32 v10, -v10, v14, v11
	v_div_fmas_f32 v11, v10, v13, v14
	v_add_f32_e32 v10, v8, v5
	v_mul_f32_e32 v10, v9, v10
	v_div_fixup_f32 v11, v11, v3, v12
	v_mul_f32_e32 v9, v11, v10
	s_waitcnt lgkmcnt(0)
	v_div_scale_f32 v12, s[26:27], s28, s28, v9
	v_div_scale_f32 v13, vcc, v9, s28, v9
	v_rcp_f32_e32 v14, v12
	v_fma_f32 v15, -v12, v14, 1.0
	v_fmac_f32_e32 v14, v15, v14
	v_mul_f32_e32 v15, v13, v14
	v_fma_f32 v16, -v12, v15, v13
	v_fmac_f32_e32 v15, v16, v14
	v_fma_f32 v12, -v12, v15, v13
	v_div_fmas_f32 v12, v12, v14, v15
	v_div_fixup_f32 v9, v12, s28, v9
	v_add_f32_e32 v7, v7, v9
	v_div_scale_f32 v12, s[26:27], v7, v7, v9
	v_div_scale_f32 v13, vcc, v9, v7, v9
	v_rcp_f32_e32 v14, v12
	v_fma_f32 v15, -v12, v14, 1.0
	v_fmac_f32_e32 v14, v15, v14
	v_mul_f32_e32 v15, v13, v14
	v_fma_f32 v16, -v12, v15, v13
	v_fmac_f32_e32 v15, v16, v14
	v_fma_f32 v12, -v12, v15, v13
	v_div_fmas_f32 v12, v12, v14, v15
	v_div_fixup_f32 v9, v12, v7, v9
	v_cmp_nlt_f32_e64 s[28:29], |v9|, s45
                                        ; implicit-def: $vgpr12
                                        ; implicit-def: $vgpr9
	s_and_saveexec_b64 s[26:27], s[28:29]
	s_cbranch_execz .LBB121_158
; %bb.160:                              ;   in Loop: Header=BB121_159 Depth=1
	v_div_scale_f32 v9, s[28:29], v3, v3, v11
	v_div_scale_f32 v12, vcc, v11, v3, v11
	v_add_f32_e32 v8, 1.0, v8
	s_mov_b64 s[42:43], -1
	v_rcp_f32_e32 v13, v9
	v_fma_f32 v14, -v9, v13, 1.0
	v_fmac_f32_e32 v13, v14, v13
	v_mul_f32_e32 v14, v12, v13
	v_fma_f32 v15, -v9, v14, v12
	v_fmac_f32_e32 v14, v15, v13
	v_fma_f32 v9, -v9, v14, v12
	v_div_fmas_f32 v9, v9, v13, v14
	v_div_fixup_f32 v9, v9, v3, v11
	v_div_scale_f32 v11, s[28:29], v3, v3, v9
	v_div_scale_f32 v12, vcc, v9, v3, v9
	s_getpc_b64 s[28:29]
	s_add_u32 s28, s28, _ZZ4zetaIN3c108BFloat16ELb1EET_S2_S2_E1A@rel32@lo+8
	s_addc_u32 s29, s29, _ZZ4zetaIN3c108BFloat16ELb1EET_S2_S2_E1A@rel32@hi+16
	s_add_u32 s28, s28, s24
	s_addc_u32 s29, s29, s25
	s_load_dword s40, s[28:29], 0x0
	v_rcp_f32_e32 v13, v11
	v_fma_f32 v14, -v11, v13, 1.0
	v_fmac_f32_e32 v13, v14, v13
	v_mul_f32_e32 v14, v12, v13
	v_fma_f32 v15, -v11, v14, v12
	v_fmac_f32_e32 v14, v15, v13
	v_fma_f32 v11, -v11, v14, v12
	v_div_fmas_f32 v12, v11, v13, v14
	v_add_f32_e32 v13, v8, v5
	v_add_f32_e32 v11, 1.0, v8
	v_mul_f32_e32 v8, v13, v10
	v_add_f32_e32 v10, v11, v5
	v_mul_f32_e32 v13, v8, v10
	v_div_fixup_f32 v10, v12, v3, v9
	v_mul_f32_e32 v8, v10, v13
	s_waitcnt lgkmcnt(0)
	v_div_scale_f32 v9, s[28:29], s40, s40, v8
	v_div_scale_f32 v12, vcc, v8, s40, v8
	v_rcp_f32_e32 v14, v9
	v_fma_f32 v15, -v9, v14, 1.0
	v_fmac_f32_e32 v14, v15, v14
	v_mul_f32_e32 v15, v12, v14
	v_fma_f32 v16, -v9, v15, v12
	v_fmac_f32_e32 v15, v16, v14
	v_fma_f32 v9, -v9, v15, v12
	v_div_fmas_f32 v9, v9, v14, v15
	v_div_fixup_f32 v8, v9, s40, v8
	v_add_f32_e32 v7, v7, v8
	v_div_scale_f32 v9, s[28:29], v7, v7, v8
	v_div_scale_f32 v12, vcc, v8, v7, v8
	s_mov_b64 s[40:41], -1
	v_rcp_f32_e32 v14, v9
	v_fma_f32 v15, -v9, v14, 1.0
	v_fmac_f32_e32 v14, v15, v14
	v_mul_f32_e32 v15, v12, v14
	v_fma_f32 v16, -v9, v15, v12
	v_fmac_f32_e32 v15, v16, v14
	v_fma_f32 v9, -v9, v15, v12
	v_div_fmas_f32 v9, v9, v14, v15
                                        ; implicit-def: $vgpr12
	v_div_fixup_f32 v8, v9, v7, v8
	v_cmp_nlt_f32_e64 s[46:47], |v8|, s45
                                        ; implicit-def: $vgpr8
                                        ; implicit-def: $vgpr9
	s_and_saveexec_b64 s[28:29], s[46:47]
	s_cbranch_execz .LBB121_157
; %bb.161:                              ;   in Loop: Header=BB121_159 Depth=1
	v_div_scale_f32 v8, s[40:41], v3, v3, v10
	v_div_scale_f32 v9, vcc, v10, v3, v10
	s_add_u32 s24, s24, 8
	s_addc_u32 s25, s25, 0
	s_cmp_eq_u32 s24, 48
	s_cselect_b64 s[40:41], -1, 0
	s_xor_b64 s[42:43], exec, -1
	s_orn2_b64 s[40:41], s[40:41], exec
	v_rcp_f32_e32 v12, v8
	v_fma_f32 v14, -v8, v12, 1.0
	v_fmac_f32_e32 v12, v14, v12
	v_mul_f32_e32 v14, v9, v12
	v_fma_f32 v15, -v8, v14, v9
	v_fmac_f32_e32 v14, v15, v12
	v_fma_f32 v8, -v8, v14, v9
	v_div_fmas_f32 v12, v8, v12, v14
	v_add_f32_e32 v8, 1.0, v11
	v_add_f32_e32 v9, v8, v5
	v_add_f32_e32 v8, 1.0, v8
	v_mul_f32_e32 v9, v9, v13
	v_div_fixup_f32 v12, v12, v3, v10
	s_branch .LBB121_157
.LBB121_162:
	s_movk_i32 s18, 0x80
	v_cmp_eq_u16_e32 vcc, s18, v3
	s_mov_b64 s[18:19], -1
	s_and_saveexec_b64 s[22:23], vcc
; %bb.163:
	s_xor_b64 s[18:19], exec, -1
; %bb.164:
	s_or_b64 exec, exec, s[22:23]
	s_and_b64 s[18:19], s[18:19], exec
	s_or_saveexec_b64 s[20:21], s[20:21]
	v_mov_b32_e32 v4, 0x7f800001
	s_xor_b64 exec, exec, s[20:21]
	s_cbranch_execz .LBB121_126
.LBB121_165:
	v_cmp_ne_u16_e32 vcc, 0, v3
	s_andn2_b64 s[18:19], s[18:19], exec
	s_and_b64 s[22:23], vcc, exec
	v_mov_b32_e32 v4, 0
	s_or_b64 s[18:19], s[18:19], s[22:23]
	s_or_b64 exec, exec, s[20:21]
	s_and_saveexec_b64 s[20:21], s[18:19]
	s_cbranch_execnz .LBB121_127
	s_branch .LBB121_128
.LBB121_166:
	s_or_b64 exec, exec, s[8:9]
	s_xor_b64 s[8:9], s[10:11], -1
                                        ; implicit-def: $vgpr8
	s_and_saveexec_b64 s[10:11], s[8:9]
	s_xor_b64 s[8:9], exec, s[10:11]
; %bb.167:
	v_bfe_u32 v3, v7, 16, 1
	s_movk_i32 s10, 0x7fff
	v_add3_u32 v3, v7, v3, s10
	v_and_b32_e32 v3, 0xffff0000, v3
	v_mov_b32_e32 v5, 0x7fc00000
	v_cmp_o_f32_e32 vcc, v7, v7
	v_cndmask_b32_e32 v8, v5, v3, vcc
; %bb.168:
	s_andn2_saveexec_b64 s[8:9], s[8:9]
; %bb.169:
	v_bfe_u32 v3, v7, 16, 1
	s_movk_i32 s10, 0x7fff
	v_add3_u32 v3, v7, v3, s10
	v_and_b32_e32 v3, 0xffff0000, v3
	v_mov_b32_e32 v5, 0x7fc00000
	v_cmp_o_f32_e32 vcc, v7, v7
	v_cndmask_b32_e32 v8, v5, v3, vcc
; %bb.170:
	s_or_b64 exec, exec, s[8:9]
.LBB121_171:
	s_andn2_saveexec_b64 s[6:7], s[6:7]
; %bb.172:
	v_bfe_u32 v3, v6, 16, 1
	s_movk_i32 s8, 0x7fff
	v_add3_u32 v3, v6, v3, s8
	v_and_b32_e32 v3, 0xffff0000, v3
	v_mov_b32_e32 v5, 0x7fc00000
	v_cmp_o_f32_e32 vcc, v6, v6
	v_cndmask_b32_e32 v8, v5, v3, vcc
; %bb.173:
	s_or_b64 exec, exec, s[6:7]
.LBB121_174:
	s_or_b64 exec, exec, s[18:19]
.LBB121_175:
	s_or_b64 exec, exec, s[16:17]
.LBB121_176:
	s_or_b64 exec, exec, s[14:15]
	s_mov_b32 s6, 0x4b000000
	v_cmp_lt_f32_e64 s[6:7], |v1|, s6
	s_waitcnt vmcnt(0) lgkmcnt(0)
	v_mov_b32_e32 v3, 0x264
	s_or_b64 vcc, s[4:5], s[6:7]
	v_cndmask_b32_e32 v2, v4, v2, vcc
	v_cmp_class_f32_e32 vcc, v1, v3
	v_cndmask_b32_e32 v2, v2, v4, vcc
	v_cmp_u_f32_e32 vcc, v1, v1
	v_cndmask_b32_e32 v1, v2, v1, vcc
	s_mov_b32 s4, 0x3fb8aa3b
	v_mul_f32_e32 v2, 0x3fb8aa3b, v1
	v_fma_f32 v3, v1, s4, -v2
	v_rndne_f32_e32 v5, v2
	v_fmac_f32_e32 v3, 0x32a5705f, v1
	v_sub_f32_e32 v2, v2, v5
	v_add_f32_e32 v2, v2, v3
	v_exp_f32_e32 v2, v2
	v_cvt_i32_f32_e32 v3, v5
	s_mov_b32 s4, 0xc2ce8ed0
	v_cmp_ngt_f32_e32 vcc, s4, v1
	s_mov_b32 s4, 0x42b17218
	v_ldexp_f32 v2, v2, v3
	v_cndmask_b32_e32 v2, 0, v2, vcc
	v_cmp_nlt_f32_e32 vcc, s4, v1
	v_and_b32_e32 v0, 1, v0
	v_cndmask_b32_e32 v1, v4, v2, vcc
	v_cmp_eq_u32_e32 vcc, 0, v0
	v_cndmask_b32_e64 v0, 1.0, -1.0, vcc
	v_mul_f32_e32 v0, v1, v0
	v_mul_f32_e32 v0, v0, v8
	v_bfe_u32 v1, v0, 16, 1
	v_add3_u32 v1, v0, v1, s44
	v_cmp_o_f32_e32 vcc, v0, v0
	v_mov_b32_e32 v0, 0x7fc0
	v_cndmask_b32_sdwa v1, v0, v1, vcc dst_sel:DWORD dst_unused:UNUSED_PAD src0_sel:DWORD src1_sel:WORD_1
	s_or_b64 exec, exec, s[12:13]
	v_mov_b32_e32 v0, v1
	s_setpc_b64 s[30:31]
.LBB121_177:
	s_movk_i32 s18, 0x80
	v_cmp_eq_u16_e32 vcc, s18, v3
	s_mov_b64 s[18:19], -1
	s_and_saveexec_b64 s[22:23], vcc
; %bb.178:
	s_xor_b64 s[18:19], exec, -1
; %bb.179:
	s_or_b64 exec, exec, s[22:23]
	s_and_b64 s[18:19], s[18:19], exec
	s_or_saveexec_b64 s[20:21], s[20:21]
	v_mov_b32_e32 v4, 0x7f800001
	s_xor_b64 exec, exec, s[20:21]
	s_cbranch_execz .LBB121_136
.LBB121_180:
	v_cmp_ne_u16_e32 vcc, 0, v3
	s_andn2_b64 s[18:19], s[18:19], exec
	s_and_b64 s[22:23], vcc, exec
	v_mov_b32_e32 v4, 0
	s_or_b64 s[18:19], s[18:19], s[22:23]
	s_or_b64 exec, exec, s[20:21]
	s_and_saveexec_b64 s[20:21], s[18:19]
	s_cbranch_execnz .LBB121_137
	s_branch .LBB121_138
.Lfunc_end121:
	.size	_ZN2at6native6invokeIZZZNS0_21polygamma_kernel_cudaERNS_18TensorIteratorBaseElENKUlvE_clEvENKUlvE2_clEvEUlN3c108BFloat16EE_j15function_traitsIS8_EEENT1_11result_typeERKT_PrKPcPKT0_PKNS6_10ScalarTypeEi, .Lfunc_end121-_ZN2at6native6invokeIZZZNS0_21polygamma_kernel_cudaERNS_18TensorIteratorBaseElENKUlvE_clEvENKUlvE2_clEvEUlN3c108BFloat16EE_j15function_traitsIS8_EEENT1_11result_typeERKT_PrKPcPKT0_PKNS6_10ScalarTypeEi
                                        ; -- End function
	.set .L_ZN2at6native6invokeIZZZNS0_21polygamma_kernel_cudaERNS_18TensorIteratorBaseElENKUlvE_clEvENKUlvE2_clEvEUlN3c108BFloat16EE_j15function_traitsIS8_EEENT1_11result_typeERKT_PrKPcPKT0_PKNS6_10ScalarTypeEi.num_vgpr, 22
	.set .L_ZN2at6native6invokeIZZZNS0_21polygamma_kernel_cudaERNS_18TensorIteratorBaseElENKUlvE_clEvENKUlvE2_clEvEUlN3c108BFloat16EE_j15function_traitsIS8_EEENT1_11result_typeERKT_PrKPcPKT0_PKNS6_10ScalarTypeEi.num_agpr, 0
	.set .L_ZN2at6native6invokeIZZZNS0_21polygamma_kernel_cudaERNS_18TensorIteratorBaseElENKUlvE_clEvENKUlvE2_clEvEUlN3c108BFloat16EE_j15function_traitsIS8_EEENT1_11result_typeERKT_PrKPcPKT0_PKNS6_10ScalarTypeEi.numbered_sgpr, 58
	.set .L_ZN2at6native6invokeIZZZNS0_21polygamma_kernel_cudaERNS_18TensorIteratorBaseElENKUlvE_clEvENKUlvE2_clEvEUlN3c108BFloat16EE_j15function_traitsIS8_EEENT1_11result_typeERKT_PrKPcPKT0_PKNS6_10ScalarTypeEi.num_named_barrier, 0
	.set .L_ZN2at6native6invokeIZZZNS0_21polygamma_kernel_cudaERNS_18TensorIteratorBaseElENKUlvE_clEvENKUlvE2_clEvEUlN3c108BFloat16EE_j15function_traitsIS8_EEENT1_11result_typeERKT_PrKPcPKT0_PKNS6_10ScalarTypeEi.private_seg_size, 0
	.set .L_ZN2at6native6invokeIZZZNS0_21polygamma_kernel_cudaERNS_18TensorIteratorBaseElENKUlvE_clEvENKUlvE2_clEvEUlN3c108BFloat16EE_j15function_traitsIS8_EEENT1_11result_typeERKT_PrKPcPKT0_PKNS6_10ScalarTypeEi.uses_vcc, 1
	.set .L_ZN2at6native6invokeIZZZNS0_21polygamma_kernel_cudaERNS_18TensorIteratorBaseElENKUlvE_clEvENKUlvE2_clEvEUlN3c108BFloat16EE_j15function_traitsIS8_EEENT1_11result_typeERKT_PrKPcPKT0_PKNS6_10ScalarTypeEi.uses_flat_scratch, 0
	.set .L_ZN2at6native6invokeIZZZNS0_21polygamma_kernel_cudaERNS_18TensorIteratorBaseElENKUlvE_clEvENKUlvE2_clEvEUlN3c108BFloat16EE_j15function_traitsIS8_EEENT1_11result_typeERKT_PrKPcPKT0_PKNS6_10ScalarTypeEi.has_dyn_sized_stack, 0
	.set .L_ZN2at6native6invokeIZZZNS0_21polygamma_kernel_cudaERNS_18TensorIteratorBaseElENKUlvE_clEvENKUlvE2_clEvEUlN3c108BFloat16EE_j15function_traitsIS8_EEENT1_11result_typeERKT_PrKPcPKT0_PKNS6_10ScalarTypeEi.has_recursion, 0
	.set .L_ZN2at6native6invokeIZZZNS0_21polygamma_kernel_cudaERNS_18TensorIteratorBaseElENKUlvE_clEvENKUlvE2_clEvEUlN3c108BFloat16EE_j15function_traitsIS8_EEENT1_11result_typeERKT_PrKPcPKT0_PKNS6_10ScalarTypeEi.has_indirect_call, 0
	.section	.AMDGPU.csdata,"",@progbits
; Function info:
; codeLenInByte = 9136
; TotalNumSgprs: 62
; NumVgprs: 22
; ScratchSize: 0
; MemoryBound: 0
	.section	.text._ZN2at6native32elementwise_kernel_manual_unrollILi128ELi4EZNS0_15gpu_kernel_implIZZZNS0_21polygamma_kernel_cudaERNS_18TensorIteratorBaseElENKUlvE_clEvENKUlvE2_clEvEUlN3c108BFloat16EE_EEvS4_RKT_EUlibE0_EEviT1_,"axG",@progbits,_ZN2at6native32elementwise_kernel_manual_unrollILi128ELi4EZNS0_15gpu_kernel_implIZZZNS0_21polygamma_kernel_cudaERNS_18TensorIteratorBaseElENKUlvE_clEvENKUlvE2_clEvEUlN3c108BFloat16EE_EEvS4_RKT_EUlibE0_EEviT1_,comdat
	.globl	_ZN2at6native32elementwise_kernel_manual_unrollILi128ELi4EZNS0_15gpu_kernel_implIZZZNS0_21polygamma_kernel_cudaERNS_18TensorIteratorBaseElENKUlvE_clEvENKUlvE2_clEvEUlN3c108BFloat16EE_EEvS4_RKT_EUlibE0_EEviT1_ ; -- Begin function _ZN2at6native32elementwise_kernel_manual_unrollILi128ELi4EZNS0_15gpu_kernel_implIZZZNS0_21polygamma_kernel_cudaERNS_18TensorIteratorBaseElENKUlvE_clEvENKUlvE2_clEvEUlN3c108BFloat16EE_EEvS4_RKT_EUlibE0_EEviT1_
	.p2align	8
	.type	_ZN2at6native32elementwise_kernel_manual_unrollILi128ELi4EZNS0_15gpu_kernel_implIZZZNS0_21polygamma_kernel_cudaERNS_18TensorIteratorBaseElENKUlvE_clEvENKUlvE2_clEvEUlN3c108BFloat16EE_EEvS4_RKT_EUlibE0_EEviT1_,@function
_ZN2at6native32elementwise_kernel_manual_unrollILi128ELi4EZNS0_15gpu_kernel_implIZZZNS0_21polygamma_kernel_cudaERNS_18TensorIteratorBaseElENKUlvE_clEvENKUlvE2_clEvEUlN3c108BFloat16EE_EEvS4_RKT_EUlibE0_EEviT1_: ; @_ZN2at6native32elementwise_kernel_manual_unrollILi128ELi4EZNS0_15gpu_kernel_implIZZZNS0_21polygamma_kernel_cudaERNS_18TensorIteratorBaseElENKUlvE_clEvENKUlvE2_clEvEUlN3c108BFloat16EE_EEvS4_RKT_EUlibE0_EEviT1_
; %bb.0:
	s_load_dword s88, s[4:5], 0x0
	s_load_dword s33, s[4:5], 0x8
	s_add_u32 s0, s0, s7
	s_addc_u32 s1, s1, 0
	s_mov_b64 s[34:35], s[4:5]
	s_add_u32 s58, s34, 8
	s_addc_u32 s59, s35, 0
	v_lshl_or_b32 v24, s6, 9, v0
	s_waitcnt lgkmcnt(0)
	s_add_i32 s90, s33, -1
	v_or_b32_e32 v3, 0x180, v24
	s_cmp_gt_u32 s90, 1
	v_cmp_le_i32_e32 vcc, s88, v3
	s_cselect_b64 s[62:63], -1, 0
	s_mov_b64 s[60:61], 0
	s_mov_b64 s[48:49], 0
	s_mov_b32 s32, 0
	s_and_saveexec_b64 s[4:5], vcc
	s_xor_b64 s[64:65], exec, s[4:5]
	s_cbranch_execz .LBB122_566
; %bb.1:
	s_load_dwordx4 s[48:51], s[58:59], 0x4
	s_load_dwordx2 s[68:69], s[58:59], 0x14
	s_load_dwordx2 s[66:67], s[58:59], 0x158
	s_load_dword s91, s[58:59], 0x160
	s_cmp_lg_u32 s33, 0
	s_load_dwordx4 s[52:55], s[58:59], 0xc4
	s_load_dwordx4 s[36:39], s[58:59], 0x148
	s_cselect_b64 s[74:75], -1, 0
	s_add_u32 s72, s58, 0xc4
	s_addc_u32 s73, s59, 0
	s_min_u32 s93, s90, 15
	s_cmp_gt_u32 s33, 1
	s_cselect_b64 s[70:71], -1, 0
	s_waitcnt lgkmcnt(0)
	s_bfe_u32 s92, s91, 0x80008
	v_cmp_gt_i32_e32 vcc, s88, v24
	s_mov_b64 s[4:5], -1
	s_mov_b64 s[82:83], 0
	s_mov_b64 s[76:77], 0
	s_and_saveexec_b64 s[78:79], vcc
	s_cbranch_execz .LBB122_138
; %bb.2:
	s_andn2_b64 vcc, exec, s[62:63]
	s_cbranch_vccnz .LBB122_7
; %bb.3:
	s_andn2_b64 vcc, exec, s[74:75]
	s_cbranch_vccnz .LBB122_8
; %bb.4:
	s_add_i32 s29, s93, 1
	s_cmp_eq_u32 s90, 2
	s_cbranch_scc1 .LBB122_9
; %bb.5:
	s_and_b32 s28, s29, 28
	v_mov_b32_e32 v4, 0
	s_mov_b32 s30, 0
	s_mov_b64 s[24:25], s[58:59]
	s_mov_b64 s[26:27], s[72:73]
	v_mov_b32_e32 v22, 0
	v_mov_b32_e32 v0, v24
.LBB122_6:                              ; =>This Inner Loop Header: Depth=1
	s_load_dwordx8 s[12:19], s[24:25], 0x4
	s_load_dwordx4 s[20:23], s[24:25], 0x24
	s_load_dwordx8 s[4:11], s[26:27], 0x0
	s_add_u32 s24, s24, 48
	s_addc_u32 s25, s25, 0
	s_waitcnt lgkmcnt(0)
	v_mul_hi_u32 v1, s13, v0
	s_add_i32 s30, s30, 4
	s_add_u32 s26, s26, 32
	s_addc_u32 s27, s27, 0
	v_add_u32_e32 v1, v0, v1
	v_lshrrev_b32_e32 v1, s14, v1
	v_mul_lo_u32 v2, v1, s12
	v_mul_hi_u32 v3, s16, v1
	s_cmp_lg_u32 s28, s30
	v_sub_u32_e32 v0, v0, v2
	v_add_u32_e32 v2, v1, v3
	v_mul_lo_u32 v3, v0, s4
	v_mul_lo_u32 v5, v0, s5
	v_lshrrev_b32_e32 v0, s17, v2
	v_mul_lo_u32 v2, v0, s15
	v_mul_hi_u32 v6, s19, v0
	v_sub_u32_e32 v1, v1, v2
	v_add_u32_e32 v2, v0, v6
	v_lshrrev_b32_e32 v2, s20, v2
	v_mul_hi_u32 v7, s22, v2
	v_mul_lo_u32 v8, v2, s18
	v_mul_lo_u32 v6, v1, s6
	;; [unrolled: 1-line block ×3, first 2 shown]
	v_sub_u32_e32 v8, v0, v8
	v_add_u32_e32 v0, v2, v7
	v_lshrrev_b32_e32 v0, s23, v0
	v_mul_lo_u32 v7, v0, s21
	v_mul_lo_u32 v9, v8, s8
	;; [unrolled: 1-line block ×3, first 2 shown]
	v_add3_u32 v3, v3, v22, v6
	v_sub_u32_e32 v2, v2, v7
	v_mul_lo_u32 v7, v2, s10
	v_mul_lo_u32 v2, v2, s11
	v_add3_u32 v1, v5, v4, v1
	v_add3_u32 v22, v9, v3, v7
	;; [unrolled: 1-line block ×3, first 2 shown]
	s_cbranch_scc1 .LBB122_6
	s_branch .LBB122_10
.LBB122_7:
                                        ; implicit-def: $vgpr22
                                        ; implicit-def: $vgpr4
	s_andn2_b64 vcc, exec, s[4:5]
	s_cbranch_vccz .LBB122_14
	s_branch .LBB122_16
.LBB122_8:
	v_mov_b32_e32 v22, 0
	v_mov_b32_e32 v4, 0
	s_branch .LBB122_13
.LBB122_9:
	s_mov_b32 s28, 0
	v_mov_b32_e32 v22, 0
	v_mov_b32_e32 v4, 0
	;; [unrolled: 1-line block ×3, first 2 shown]
.LBB122_10:
	s_and_b32 s8, s29, 3
	s_cmp_eq_u32 s8, 0
	s_cbranch_scc1 .LBB122_13
; %bb.11:
	s_lshl_b32 s4, s28, 3
	s_add_u32 s4, s58, s4
	s_addc_u32 s5, s59, 0
	s_add_u32 s4, s4, 0xc4
	s_addc_u32 s5, s5, 0
	s_mul_i32 s6, s28, 12
	s_add_u32 s6, s58, s6
	s_addc_u32 s7, s59, 0
.LBB122_12:                             ; =>This Inner Loop Header: Depth=1
	s_load_dwordx2 s[10:11], s[6:7], 0x4
	s_load_dword s9, s[6:7], 0xc
	s_load_dwordx2 s[12:13], s[4:5], 0x0
	s_add_u32 s6, s6, 12
	s_addc_u32 s7, s7, 0
	s_waitcnt lgkmcnt(0)
	v_mul_hi_u32 v1, s11, v0
	s_add_u32 s4, s4, 8
	s_addc_u32 s5, s5, 0
	s_add_i32 s8, s8, -1
	v_add_u32_e32 v1, v0, v1
	v_lshrrev_b32_e32 v1, s9, v1
	v_mul_lo_u32 v2, v1, s10
	s_cmp_lg_u32 s8, 0
	v_sub_u32_e32 v0, v0, v2
	v_mad_u64_u32 v[22:23], s[10:11], v0, s12, v[22:23]
	v_mad_u64_u32 v[4:5], s[10:11], v0, s13, v[4:5]
	v_mov_b32_e32 v0, v1
	s_cbranch_scc1 .LBB122_12
.LBB122_13:
	s_cbranch_execnz .LBB122_16
.LBB122_14:
	v_mul_hi_u32 v0, s49, v24
	s_andn2_b64 vcc, exec, s[70:71]
	v_add_u32_e32 v0, v24, v0
	v_lshrrev_b32_e32 v0, s50, v0
	v_mul_lo_u32 v1, v0, s48
	v_sub_u32_e32 v1, v24, v1
	v_mul_lo_u32 v22, v1, s52
	v_mul_lo_u32 v4, v1, s53
	s_cbranch_vccnz .LBB122_16
; %bb.15:
	v_mul_hi_u32 v1, s68, v0
	v_add_u32_e32 v1, v0, v1
	v_lshrrev_b32_e32 v1, s69, v1
	v_mul_lo_u32 v1, v1, s51
	v_sub_u32_e32 v0, v0, v1
	v_mad_u64_u32 v[22:23], s[4:5], v0, s54, v[22:23]
	v_mad_u64_u32 v[4:5], s[4:5], v0, s55, v[4:5]
.LBB122_16:
	s_getpc_b64 s[4:5]
	s_add_u32 s4, s4, _ZN2at6native6invokeIZZZNS0_21polygamma_kernel_cudaERNS_18TensorIteratorBaseElENKUlvE_clEvENKUlvE2_clEvEUlN3c108BFloat16EE_j15function_traitsIS8_EEENT1_11result_typeERKT_PrKPcPKT0_PKNS6_10ScalarTypeEi@rel32@lo+4
	s_addc_u32 s5, s5, _ZN2at6native6invokeIZZZNS0_21polygamma_kernel_cudaERNS_18TensorIteratorBaseElENKUlvE_clEvENKUlvE2_clEvEUlN3c108BFloat16EE_j15function_traitsIS8_EEENT1_11result_typeERKT_PrKPcPKT0_PKNS6_10ScalarTypeEi@rel32@hi+12
	v_mov_b32_e32 v0, s66
	v_mov_b32_e32 v1, s67
	;; [unrolled: 1-line block ×5, first 2 shown]
	s_swappc_b64 s[30:31], s[4:5]
	v_mov_b32_e32 v2, s37
	s_and_b32 s12, s91, 0xff
	v_add_co_u32_e32 v1, vcc, s36, v22
	s_cmp_lt_i32 s12, 11
	v_addc_co_u32_e32 v2, vcc, 0, v2, vcc
	s_cbranch_scc1 .LBB122_23
; %bb.17:
	s_and_b32 s13, 0xffff, s12
	s_cmp_gt_i32 s13, 25
	s_cbranch_scc0 .LBB122_26
; %bb.18:
	s_cmp_gt_i32 s13, 28
	s_cbranch_scc0 .LBB122_27
; %bb.19:
	;; [unrolled: 3-line block ×4, first 2 shown]
	s_mov_b64 s[8:9], 0
	s_mov_b64 s[4:5], -1
	s_cmp_eq_u32 s13, 46
	s_mov_b64 s[6:7], 0
	s_cbranch_scc0 .LBB122_30
; %bb.22:
	v_and_b32_e32 v3, 0xffff, v0
	global_store_dword v[1:2], v3, off
	s_mov_b64 s[6:7], -1
	s_mov_b64 s[4:5], 0
	s_branch .LBB122_30
.LBB122_23:
	s_mov_b64 s[4:5], 0
	s_mov_b64 s[6:7], 0
	s_cbranch_execnz .LBB122_98
.LBB122_24:
	s_andn2_b64 vcc, exec, s[6:7]
	s_cbranch_vccnz .LBB122_136
.LBB122_25:
	v_add_u32_e32 v24, 0x80, v24
	s_mov_b64 s[6:7], -1
	s_branch .LBB122_137
.LBB122_26:
	s_mov_b64 s[4:5], 0
	s_mov_b64 s[6:7], 0
	s_cbranch_execnz .LBB122_57
	s_branch .LBB122_97
.LBB122_27:
	s_mov_b64 s[8:9], -1
	s_mov_b64 s[4:5], 0
	s_mov_b64 s[6:7], 0
	s_branch .LBB122_40
.LBB122_28:
	s_mov_b64 s[8:9], -1
	s_mov_b64 s[4:5], 0
	s_mov_b64 s[6:7], 0
	s_branch .LBB122_36
.LBB122_29:
	s_mov_b64 s[8:9], -1
	s_mov_b64 s[4:5], 0
	s_mov_b64 s[6:7], 0
.LBB122_30:
	s_and_b64 vcc, exec, s[8:9]
	s_cbranch_vccz .LBB122_35
; %bb.31:
	s_cmp_eq_u32 s13, 44
	s_mov_b64 s[4:5], -1
	s_cbranch_scc0 .LBB122_35
; %bb.32:
	v_and_b32_e32 v4, 0xffff, v0
	v_bfe_u32 v3, v4, 7, 8
	s_movk_i32 s4, 0xff
	v_cmp_ne_u32_e32 vcc, s4, v3
	v_mov_b32_e32 v5, 0xff
	s_and_saveexec_b64 s[6:7], vcc
	s_cbranch_execz .LBB122_34
; %bb.33:
	v_lshlrev_b32_e32 v6, 16, v4
	s_mov_b32 s4, 0x3f0000
	v_lshrrev_b32_e32 v5, 7, v4
	v_and_b32_e32 v4, 64, v4
	v_and_or_b32 v3, v6, s4, v3
	v_cmp_ne_u32_e32 vcc, 0, v4
	v_cmp_ne_u32_e64 s[4:5], 0, v3
	s_and_b64 s[4:5], vcc, s[4:5]
	v_cndmask_b32_e64 v3, 0, 1, s[4:5]
	v_add_u32_e32 v5, v5, v3
.LBB122_34:
	s_or_b64 exec, exec, s[6:7]
	s_mov_b64 s[6:7], -1
	s_mov_b64 s[4:5], 0
	global_store_byte v[1:2], v5, off
.LBB122_35:
	s_mov_b64 s[8:9], 0
.LBB122_36:
	s_and_b64 vcc, exec, s[8:9]
	s_cbranch_vccz .LBB122_39
; %bb.37:
	s_cmp_eq_u32 s13, 29
	s_mov_b64 s[4:5], -1
	s_cbranch_scc0 .LBB122_39
; %bb.38:
	v_lshlrev_b32_e32 v3, 16, v0
	v_trunc_f32_e32 v3, v3
	v_mul_f32_e32 v4, 0x2f800000, v3
	v_floor_f32_e32 v5, v4
	v_fmac_f32_e32 v3, 0xcf800000, v5
	v_cvt_u32_f32_e32 v4, v5
	v_cvt_u32_f32_e32 v3, v3
	s_mov_b64 s[6:7], -1
	s_mov_b64 s[4:5], 0
	s_mov_b64 s[8:9], 0
	global_store_dwordx2 v[1:2], v[3:4], off
	s_branch .LBB122_40
.LBB122_39:
	s_mov_b64 s[8:9], 0
.LBB122_40:
	s_and_b64 vcc, exec, s[8:9]
	s_cbranch_vccz .LBB122_56
; %bb.41:
	s_cmp_lt_i32 s13, 27
	s_mov_b64 s[6:7], -1
	s_cbranch_scc1 .LBB122_47
; %bb.42:
	s_cmp_gt_i32 s13, 27
	s_cbranch_scc0 .LBB122_44
; %bb.43:
	v_lshlrev_b32_e32 v3, 16, v0
	v_cvt_u32_f32_e32 v3, v3
	s_mov_b64 s[6:7], 0
	global_store_dword v[1:2], v3, off
.LBB122_44:
	s_andn2_b64 vcc, exec, s[6:7]
	s_cbranch_vccnz .LBB122_46
; %bb.45:
	v_lshlrev_b32_e32 v3, 16, v0
	v_cvt_u32_f32_e32 v3, v3
	global_store_short v[1:2], v3, off
.LBB122_46:
	s_mov_b64 s[6:7], 0
.LBB122_47:
	s_andn2_b64 vcc, exec, s[6:7]
	s_cbranch_vccnz .LBB122_55
; %bb.48:
	v_lshlrev_b32_e32 v5, 16, v0
	v_and_b32_e32 v4, 0x7fffffff, v5
	s_mov_b32 s6, 0x43800000
	v_cmp_gt_u32_e32 vcc, s6, v4
	v_mov_b32_e32 v6, 0x80
	s_and_saveexec_b64 s[6:7], vcc
	s_cbranch_execz .LBB122_54
; %bb.49:
	s_mov_b32 s8, 0x3bffffff
	v_and_b32_e32 v3, 0xffff, v0
	v_cmp_lt_u32_e32 vcc, s8, v4
	s_mov_b64 s[8:9], 0
                                        ; implicit-def: $vgpr4
	s_and_saveexec_b64 s[10:11], vcc
	s_xor_b64 s[10:11], exec, s[10:11]
	s_cbranch_execz .LBB122_169
; %bb.50:
	v_bfe_u32 v4, v3, 4, 1
	s_mov_b32 s14, 0x487ffff
	v_add3_u32 v4, v5, v4, s14
	s_mov_b64 s[8:9], exec
	v_lshrrev_b32_e32 v4, 20, v4
                                        ; implicit-def: $vgpr5
	s_andn2_saveexec_b64 s[10:11], s[10:11]
	s_cbranch_execnz .LBB122_170
.LBB122_51:
	s_or_b64 exec, exec, s[10:11]
	v_mov_b32_e32 v6, 0
	s_and_saveexec_b64 s[10:11], s[8:9]
.LBB122_52:
	v_lshrrev_b32_e32 v3, 8, v3
	s_movk_i32 s8, 0x80
	v_and_or_b32 v6, v3, s8, v4
.LBB122_53:
	s_or_b64 exec, exec, s[10:11]
.LBB122_54:
	s_or_b64 exec, exec, s[6:7]
	global_store_byte v[1:2], v6, off
.LBB122_55:
	s_mov_b64 s[6:7], -1
.LBB122_56:
	s_branch .LBB122_97
.LBB122_57:
	s_cmp_gt_i32 s13, 22
	s_mov_b64 s[8:9], -1
	s_cbranch_scc0 .LBB122_89
; %bb.58:
	s_cmp_lt_i32 s13, 24
	s_mov_b64 s[6:7], -1
	s_cbranch_scc1 .LBB122_78
; %bb.59:
	s_cmp_gt_i32 s13, 24
	s_cbranch_scc0 .LBB122_67
; %bb.60:
	v_lshlrev_b32_e32 v5, 16, v0
	v_and_b32_e32 v4, 0x7fffffff, v5
	s_mov_b32 s6, 0x47800000
	v_cmp_gt_u32_e32 vcc, s6, v4
	v_mov_b32_e32 v6, 0x80
	s_and_saveexec_b64 s[6:7], vcc
	s_cbranch_execz .LBB122_66
; %bb.61:
	s_mov_b32 s8, 0x37ffffff
	v_and_b32_e32 v3, 0xffff, v0
	v_cmp_lt_u32_e32 vcc, s8, v4
	s_mov_b64 s[8:9], 0
                                        ; implicit-def: $vgpr4
	s_and_saveexec_b64 s[10:11], vcc
	s_xor_b64 s[10:11], exec, s[10:11]
	s_cbranch_execz .LBB122_172
; %bb.62:
	v_bfe_u32 v4, v3, 5, 1
	s_mov_b32 s14, 0x88fffff
	v_add3_u32 v4, v5, v4, s14
	s_mov_b64 s[8:9], exec
	v_lshrrev_b32_e32 v4, 21, v4
                                        ; implicit-def: $vgpr5
	s_andn2_saveexec_b64 s[10:11], s[10:11]
	s_cbranch_execnz .LBB122_173
.LBB122_63:
	s_or_b64 exec, exec, s[10:11]
	v_mov_b32_e32 v6, 0
	s_and_saveexec_b64 s[10:11], s[8:9]
.LBB122_64:
	v_lshrrev_b32_e32 v3, 8, v3
	s_movk_i32 s8, 0x80
	v_and_or_b32 v6, v3, s8, v4
.LBB122_65:
	s_or_b64 exec, exec, s[10:11]
.LBB122_66:
	s_or_b64 exec, exec, s[6:7]
	s_mov_b64 s[6:7], 0
	global_store_byte v[1:2], v6, off
.LBB122_67:
	s_and_b64 vcc, exec, s[6:7]
	s_cbranch_vccz .LBB122_77
; %bb.68:
	v_lshlrev_b32_e32 v5, 16, v0
	v_and_b32_e32 v6, 0x7fffffff, v5
	s_mov_b32 s6, 0x43f00000
	v_and_b32_e32 v3, 0xffff, v0
	v_cmp_gt_u32_e32 vcc, s6, v6
                                        ; implicit-def: $vgpr4
	s_and_saveexec_b64 s[6:7], vcc
	s_xor_b64 s[6:7], exec, s[6:7]
	s_cbranch_execz .LBB122_74
; %bb.69:
	s_mov_b32 s8, 0x3c7fffff
	v_cmp_lt_u32_e32 vcc, s8, v6
                                        ; implicit-def: $vgpr4
	s_and_saveexec_b64 s[8:9], vcc
	s_xor_b64 s[8:9], exec, s[8:9]
; %bb.70:
	v_bfe_u32 v4, v3, 4, 1
	s_mov_b32 s10, 0x407ffff
	v_add3_u32 v4, v5, v4, s10
	v_lshrrev_b32_e32 v5, 20, v4
	v_and_b32_e32 v4, 0xff00000, v4
	s_mov_b32 s10, 0x7f00000
	v_mov_b32_e32 v6, 0x7e
	v_cmp_ne_u32_e32 vcc, s10, v4
	v_cndmask_b32_e32 v4, v6, v5, vcc
                                        ; implicit-def: $vgpr5
; %bb.71:
	s_andn2_saveexec_b64 s[8:9], s[8:9]
; %bb.72:
	s_mov_b32 s10, 0x46800000
	v_add_f32_e64 v4, |v5|, s10
; %bb.73:
	s_or_b64 exec, exec, s[8:9]
                                        ; implicit-def: $vgpr6
.LBB122_74:
	s_andn2_saveexec_b64 s[6:7], s[6:7]
; %bb.75:
	s_mov_b32 s8, 0x7f800000
	v_mov_b32_e32 v4, 0x7e
	v_mov_b32_e32 v5, 0x7f
	v_cmp_lt_u32_e32 vcc, s8, v6
	v_cndmask_b32_e32 v4, v4, v5, vcc
; %bb.76:
	s_or_b64 exec, exec, s[6:7]
	v_lshrrev_b32_e32 v3, 8, v3
	s_movk_i32 s6, 0x80
	v_and_or_b32 v3, v3, s6, v4
	global_store_byte v[1:2], v3, off
.LBB122_77:
	s_mov_b64 s[6:7], 0
.LBB122_78:
	s_andn2_b64 vcc, exec, s[6:7]
	s_cbranch_vccnz .LBB122_88
; %bb.79:
	v_lshlrev_b32_e32 v5, 16, v0
	v_and_b32_e32 v6, 0x7fffffff, v5
	s_mov_b32 s6, 0x47800000
	v_and_b32_e32 v3, 0xffff, v0
	v_cmp_gt_u32_e32 vcc, s6, v6
                                        ; implicit-def: $vgpr4
	s_and_saveexec_b64 s[6:7], vcc
	s_xor_b64 s[6:7], exec, s[6:7]
	s_cbranch_execz .LBB122_85
; %bb.80:
	s_mov_b32 s8, 0x387fffff
	v_cmp_lt_u32_e32 vcc, s8, v6
                                        ; implicit-def: $vgpr4
	s_and_saveexec_b64 s[8:9], vcc
	s_xor_b64 s[8:9], exec, s[8:9]
; %bb.81:
	v_bfe_u32 v4, v3, 5, 1
	s_mov_b32 s10, 0x80fffff
	v_add3_u32 v4, v5, v4, s10
	v_lshrrev_b32_e32 v4, 21, v4
                                        ; implicit-def: $vgpr5
; %bb.82:
	s_andn2_saveexec_b64 s[8:9], s[8:9]
; %bb.83:
	s_mov_b32 s10, 0x43000000
	v_add_f32_e64 v4, |v5|, s10
; %bb.84:
	s_or_b64 exec, exec, s[8:9]
                                        ; implicit-def: $vgpr6
.LBB122_85:
	s_andn2_saveexec_b64 s[6:7], s[6:7]
; %bb.86:
	s_mov_b32 s8, 0x7f800000
	v_mov_b32_e32 v4, 0x7c
	v_mov_b32_e32 v5, 0x7f
	v_cmp_lt_u32_e32 vcc, s8, v6
	v_cndmask_b32_e32 v4, v4, v5, vcc
; %bb.87:
	s_or_b64 exec, exec, s[6:7]
	v_lshrrev_b32_e32 v3, 8, v3
	s_movk_i32 s6, 0x80
	v_and_or_b32 v3, v3, s6, v4
	global_store_byte v[1:2], v3, off
.LBB122_88:
	s_mov_b64 s[8:9], 0
	s_mov_b64 s[6:7], -1
.LBB122_89:
	s_andn2_b64 vcc, exec, s[8:9]
	s_cbranch_vccnz .LBB122_97
; %bb.90:
	s_cmp_gt_i32 s13, 14
	s_mov_b64 s[8:9], -1
	s_cbranch_scc0 .LBB122_94
; %bb.91:
	s_cmp_eq_u32 s13, 15
	s_mov_b64 s[4:5], -1
	s_cbranch_scc0 .LBB122_93
; %bb.92:
	global_store_short v[1:2], v0, off
	s_mov_b64 s[6:7], -1
	s_mov_b64 s[4:5], 0
.LBB122_93:
	s_mov_b64 s[8:9], 0
.LBB122_94:
	s_and_b64 vcc, exec, s[8:9]
	s_cbranch_vccz .LBB122_97
; %bb.95:
	s_cmp_eq_u32 s13, 11
	s_mov_b64 s[4:5], -1
	s_cbranch_scc0 .LBB122_97
; %bb.96:
	v_and_b32_e32 v3, 0x7fff, v0
	v_cmp_ne_u16_e32 vcc, 0, v3
	v_cndmask_b32_e64 v3, 0, 1, vcc
	s_mov_b64 s[6:7], -1
	s_mov_b64 s[4:5], 0
	global_store_byte v[1:2], v3, off
.LBB122_97:
	s_branch .LBB122_24
.LBB122_98:
	s_and_b32 s8, 0xffff, s12
	s_cmp_lt_i32 s8, 5
	s_mov_b64 s[6:7], -1
	s_cbranch_scc1 .LBB122_119
; %bb.99:
	s_cmp_lt_i32 s8, 8
	s_cbranch_scc1 .LBB122_109
; %bb.100:
	s_cmp_lt_i32 s8, 9
	s_cbranch_scc1 .LBB122_106
; %bb.101:
	s_cmp_gt_i32 s8, 9
	s_cbranch_scc0 .LBB122_103
; %bb.102:
	v_lshlrev_b32_e32 v3, 16, v0
	v_cvt_f64_f32_e32 v[3:4], v3
	v_mov_b32_e32 v5, 0
	v_mov_b32_e32 v6, v5
	s_mov_b64 s[6:7], 0
	global_store_dwordx4 v[1:2], v[3:6], off
.LBB122_103:
	s_andn2_b64 vcc, exec, s[6:7]
	s_cbranch_vccnz .LBB122_105
; %bb.104:
	v_lshlrev_b32_e32 v3, 16, v0
	v_mov_b32_e32 v4, 0
	global_store_dwordx2 v[1:2], v[3:4], off
.LBB122_105:
	s_mov_b64 s[6:7], 0
.LBB122_106:
	s_andn2_b64 vcc, exec, s[6:7]
	s_cbranch_vccnz .LBB122_108
; %bb.107:
	v_lshlrev_b32_e32 v3, 16, v0
	v_cvt_f16_f32_e32 v3, v3
	global_store_dword v[1:2], v3, off
.LBB122_108:
	s_mov_b64 s[6:7], 0
.LBB122_109:
	s_andn2_b64 vcc, exec, s[6:7]
	s_cbranch_vccnz .LBB122_118
; %bb.110:
	s_cmp_lt_i32 s8, 6
	s_mov_b64 s[6:7], -1
	s_cbranch_scc1 .LBB122_116
; %bb.111:
	s_cmp_gt_i32 s8, 6
	s_cbranch_scc0 .LBB122_113
; %bb.112:
	v_lshlrev_b32_e32 v3, 16, v0
	v_cvt_f64_f32_e32 v[3:4], v3
	s_mov_b64 s[6:7], 0
	global_store_dwordx2 v[1:2], v[3:4], off
.LBB122_113:
	s_andn2_b64 vcc, exec, s[6:7]
	s_cbranch_vccnz .LBB122_115
; %bb.114:
	v_lshlrev_b32_e32 v3, 16, v0
	global_store_dword v[1:2], v3, off
.LBB122_115:
	s_mov_b64 s[6:7], 0
.LBB122_116:
	s_andn2_b64 vcc, exec, s[6:7]
	s_cbranch_vccnz .LBB122_118
; %bb.117:
	v_lshlrev_b32_e32 v3, 16, v0
	v_cvt_f16_f32_e32 v3, v3
	global_store_short v[1:2], v3, off
.LBB122_118:
	s_mov_b64 s[6:7], 0
.LBB122_119:
	s_andn2_b64 vcc, exec, s[6:7]
	s_cbranch_vccnz .LBB122_135
; %bb.120:
	s_cmp_lt_i32 s8, 2
	s_mov_b64 s[6:7], -1
	s_cbranch_scc1 .LBB122_130
; %bb.121:
	s_cmp_lt_i32 s8, 3
	s_cbranch_scc1 .LBB122_127
; %bb.122:
	s_cmp_gt_i32 s8, 3
	s_cbranch_scc0 .LBB122_124
; %bb.123:
	v_lshlrev_b32_e32 v3, 16, v0
	v_trunc_f32_e32 v3, v3
	s_mov_b32 s6, 0x2f800000
	v_mul_f32_e64 v4, |v3|, s6
	v_floor_f32_e32 v4, v4
	s_mov_b32 s6, 0xcf800000
	v_cvt_u32_f32_e32 v5, v4
	v_fma_f32 v4, v4, s6, |v3|
	v_cvt_u32_f32_e32 v4, v4
	v_ashrrev_i32_e32 v6, 31, v3
	v_xor_b32_e32 v5, v5, v6
	s_mov_b64 s[6:7], 0
	v_xor_b32_e32 v3, v4, v6
	v_sub_co_u32_e32 v3, vcc, v3, v6
	v_subb_co_u32_e32 v4, vcc, v5, v6, vcc
	global_store_dwordx2 v[1:2], v[3:4], off
.LBB122_124:
	s_andn2_b64 vcc, exec, s[6:7]
	s_cbranch_vccnz .LBB122_126
; %bb.125:
	v_lshlrev_b32_e32 v3, 16, v0
	v_cvt_i32_f32_e32 v3, v3
	global_store_dword v[1:2], v3, off
.LBB122_126:
	s_mov_b64 s[6:7], 0
.LBB122_127:
	s_andn2_b64 vcc, exec, s[6:7]
	s_cbranch_vccnz .LBB122_129
; %bb.128:
	v_lshlrev_b32_e32 v3, 16, v0
	v_cvt_i32_f32_e32 v3, v3
	global_store_short v[1:2], v3, off
.LBB122_129:
	s_mov_b64 s[6:7], 0
.LBB122_130:
	s_andn2_b64 vcc, exec, s[6:7]
	s_cbranch_vccnz .LBB122_135
; %bb.131:
	s_cmp_gt_i32 s8, 0
	s_mov_b64 s[6:7], -1
	s_cbranch_scc0 .LBB122_133
; %bb.132:
	v_lshlrev_b32_e32 v3, 16, v0
	v_cvt_i32_f32_e32 v3, v3
	s_mov_b64 s[6:7], 0
	global_store_byte v[1:2], v3, off
.LBB122_133:
	s_andn2_b64 vcc, exec, s[6:7]
	s_cbranch_vccnz .LBB122_135
; %bb.134:
	v_lshlrev_b32_e32 v0, 16, v0
	v_trunc_f32_e32 v0, v0
	s_mov_b32 s6, 0x2f800000
	v_mul_f32_e64 v3, |v0|, s6
	v_floor_f32_e32 v3, v3
	s_mov_b32 s6, 0xcf800000
	v_fma_f32 v3, v3, s6, |v0|
	v_cvt_u32_f32_e32 v3, v3
	v_ashrrev_i32_e32 v0, 31, v0
	v_xor_b32_e32 v3, v3, v0
	v_sub_u32_e32 v0, v3, v0
	global_store_byte v[1:2], v0, off
.LBB122_135:
	s_branch .LBB122_25
.LBB122_136:
	s_mov_b64 s[6:7], 0
                                        ; implicit-def: $vgpr24
.LBB122_137:
	s_and_b64 s[76:77], s[4:5], exec
	s_orn2_b64 s[4:5], s[6:7], exec
.LBB122_138:
	s_or_b64 exec, exec, s[78:79]
	s_mov_b64 s[6:7], 0
                                        ; implicit-def: $sgpr14
                                        ; implicit-def: $vgpr1_vgpr2
                                        ; implicit-def: $vgpr0
	s_and_saveexec_b64 s[78:79], s[4:5]
	s_cbranch_execz .LBB122_145
; %bb.139:
	v_cmp_gt_i32_e32 vcc, s88, v24
	s_mov_b64 s[8:9], -1
	s_mov_b64 s[80:81], s[76:77]
	s_and_saveexec_b64 s[82:83], vcc
	s_cbranch_execz .LBB122_284
; %bb.140:
	s_andn2_b64 vcc, exec, s[62:63]
	s_cbranch_vccnz .LBB122_148
; %bb.141:
	s_andn2_b64 vcc, exec, s[74:75]
	s_cbranch_vccnz .LBB122_149
; %bb.142:
	s_add_i32 s29, s93, 1
	s_cmp_eq_u32 s90, 2
	s_cbranch_scc1 .LBB122_150
; %bb.143:
	s_and_b32 s28, s29, 28
	v_mov_b32_e32 v4, 0
	s_mov_b32 s30, 0
	s_mov_b64 s[24:25], s[58:59]
	s_mov_b64 s[26:27], s[72:73]
	v_mov_b32_e32 v22, 0
	v_mov_b32_e32 v0, v24
.LBB122_144:                            ; =>This Inner Loop Header: Depth=1
	s_load_dwordx8 s[12:19], s[24:25], 0x4
	s_load_dwordx4 s[20:23], s[24:25], 0x24
	s_load_dwordx8 s[4:11], s[26:27], 0x0
	s_add_u32 s24, s24, 48
	s_addc_u32 s25, s25, 0
	s_waitcnt lgkmcnt(0)
	v_mul_hi_u32 v1, s13, v0
	s_add_i32 s30, s30, 4
	s_add_u32 s26, s26, 32
	s_addc_u32 s27, s27, 0
	v_add_u32_e32 v1, v0, v1
	v_lshrrev_b32_e32 v1, s14, v1
	v_mul_lo_u32 v2, v1, s12
	v_mul_hi_u32 v3, s16, v1
	s_cmp_eq_u32 s28, s30
	v_sub_u32_e32 v0, v0, v2
	v_add_u32_e32 v2, v1, v3
	v_mul_lo_u32 v3, v0, s4
	v_mul_lo_u32 v5, v0, s5
	v_lshrrev_b32_e32 v0, s17, v2
	v_mul_lo_u32 v2, v0, s15
	v_mul_hi_u32 v6, s19, v0
	v_sub_u32_e32 v1, v1, v2
	v_add_u32_e32 v2, v0, v6
	v_lshrrev_b32_e32 v2, s20, v2
	v_mul_hi_u32 v7, s22, v2
	v_mul_lo_u32 v8, v2, s18
	v_mul_lo_u32 v6, v1, s6
	;; [unrolled: 1-line block ×3, first 2 shown]
	v_sub_u32_e32 v8, v0, v8
	v_add_u32_e32 v0, v2, v7
	v_lshrrev_b32_e32 v0, s23, v0
	v_mul_lo_u32 v7, v0, s21
	v_mul_lo_u32 v9, v8, s8
	;; [unrolled: 1-line block ×3, first 2 shown]
	v_add3_u32 v3, v3, v22, v6
	v_sub_u32_e32 v2, v2, v7
	v_mul_lo_u32 v7, v2, s10
	v_mul_lo_u32 v2, v2, s11
	v_add3_u32 v1, v5, v4, v1
	v_add3_u32 v22, v9, v3, v7
	;; [unrolled: 1-line block ×3, first 2 shown]
	s_cbranch_scc0 .LBB122_144
	s_branch .LBB122_151
.LBB122_145:
	s_or_b64 exec, exec, s[78:79]
	s_mov_b64 s[4:5], 0
	s_and_saveexec_b64 s[8:9], s[76:77]
	s_cbranch_execnz .LBB122_526
.LBB122_146:
	s_or_b64 exec, exec, s[8:9]
	s_and_saveexec_b64 s[8:9], s[82:83]
	s_xor_b64 s[8:9], exec, s[8:9]
	s_cbranch_execz .LBB122_527
.LBB122_147:
	v_and_b32_e32 v3, 0x7fff, v0
	v_cmp_ne_u16_e32 vcc, 0, v3
	v_cndmask_b32_e64 v3, 0, 1, vcc
	global_store_byte v[1:2], v3, off
	s_or_b64 exec, exec, s[8:9]
	s_and_saveexec_b64 s[8:9], s[6:7]
	s_xor_b64 s[6:7], exec, s[8:9]
	s_cbranch_execz .LBB122_565
	s_branch .LBB122_528
.LBB122_148:
                                        ; implicit-def: $vgpr22
                                        ; implicit-def: $vgpr4
	s_branch .LBB122_155
.LBB122_149:
	v_mov_b32_e32 v22, 0
	v_mov_b32_e32 v4, 0
	s_branch .LBB122_154
.LBB122_150:
	s_mov_b32 s28, 0
	v_mov_b32_e32 v22, 0
	v_mov_b32_e32 v4, 0
	;; [unrolled: 1-line block ×3, first 2 shown]
.LBB122_151:
	s_and_b32 s8, s29, 3
	s_cmp_eq_u32 s8, 0
	s_cbranch_scc1 .LBB122_154
; %bb.152:
	s_lshl_b32 s4, s28, 3
	s_add_u32 s4, s58, s4
	s_addc_u32 s5, s59, 0
	s_add_u32 s4, s4, 0xc4
	s_addc_u32 s5, s5, 0
	s_mul_i32 s6, s28, 12
	s_add_u32 s6, s58, s6
	s_addc_u32 s7, s59, 0
.LBB122_153:                            ; =>This Inner Loop Header: Depth=1
	s_load_dwordx2 s[10:11], s[6:7], 0x4
	s_load_dword s9, s[6:7], 0xc
	s_load_dwordx2 s[12:13], s[4:5], 0x0
	s_add_u32 s6, s6, 12
	s_addc_u32 s7, s7, 0
	s_waitcnt lgkmcnt(0)
	v_mul_hi_u32 v1, s11, v0
	s_add_u32 s4, s4, 8
	s_addc_u32 s5, s5, 0
	s_add_i32 s8, s8, -1
	v_add_u32_e32 v1, v0, v1
	v_lshrrev_b32_e32 v1, s9, v1
	v_mul_lo_u32 v2, v1, s10
	s_cmp_lg_u32 s8, 0
	v_sub_u32_e32 v0, v0, v2
	v_mad_u64_u32 v[22:23], s[10:11], v0, s12, v[22:23]
	v_mad_u64_u32 v[4:5], s[10:11], v0, s13, v[4:5]
	v_mov_b32_e32 v0, v1
	s_cbranch_scc1 .LBB122_153
.LBB122_154:
	s_cbranch_execnz .LBB122_157
.LBB122_155:
	v_mul_hi_u32 v0, s49, v24
	s_andn2_b64 vcc, exec, s[70:71]
	v_add_u32_e32 v0, v24, v0
	v_lshrrev_b32_e32 v0, s50, v0
	v_mul_lo_u32 v1, v0, s48
	v_sub_u32_e32 v1, v24, v1
	v_mul_lo_u32 v22, v1, s52
	v_mul_lo_u32 v4, v1, s53
	s_cbranch_vccnz .LBB122_157
; %bb.156:
	v_mul_hi_u32 v1, s68, v0
	v_add_u32_e32 v1, v0, v1
	v_lshrrev_b32_e32 v1, s69, v1
	v_mul_lo_u32 v1, v1, s51
	v_sub_u32_e32 v0, v0, v1
	v_mad_u64_u32 v[22:23], s[4:5], v0, s54, v[22:23]
	v_mad_u64_u32 v[4:5], s[4:5], v0, s55, v[4:5]
.LBB122_157:
	s_getpc_b64 s[4:5]
	s_add_u32 s4, s4, _ZN2at6native6invokeIZZZNS0_21polygamma_kernel_cudaERNS_18TensorIteratorBaseElENKUlvE_clEvENKUlvE2_clEvEUlN3c108BFloat16EE_j15function_traitsIS8_EEENT1_11result_typeERKT_PrKPcPKT0_PKNS6_10ScalarTypeEi@rel32@lo+4
	s_addc_u32 s5, s5, _ZN2at6native6invokeIZZZNS0_21polygamma_kernel_cudaERNS_18TensorIteratorBaseElENKUlvE_clEvENKUlvE2_clEvEUlN3c108BFloat16EE_j15function_traitsIS8_EEENT1_11result_typeERKT_PrKPcPKT0_PKNS6_10ScalarTypeEi@rel32@hi+12
	v_mov_b32_e32 v0, s66
	v_mov_b32_e32 v1, s67
	;; [unrolled: 1-line block ×5, first 2 shown]
	s_swappc_b64 s[30:31], s[4:5]
	v_mov_b32_e32 v2, s37
	s_and_b32 s12, s91, 0xff
	v_add_co_u32_e32 v1, vcc, s36, v22
	s_cmp_lt_i32 s12, 11
	v_addc_co_u32_e32 v2, vcc, 0, v2, vcc
	s_cbranch_scc1 .LBB122_164
; %bb.158:
	s_and_b32 s13, 0xffff, s12
	s_cmp_gt_i32 s13, 25
	s_cbranch_scc0 .LBB122_167
; %bb.159:
	s_cmp_gt_i32 s13, 28
	s_cbranch_scc0 .LBB122_168
; %bb.160:
	;; [unrolled: 3-line block ×4, first 2 shown]
	s_mov_b64 s[8:9], 0
	s_mov_b64 s[4:5], -1
	s_cmp_eq_u32 s13, 46
	s_mov_b64 s[6:7], 0
	s_cbranch_scc0 .LBB122_175
; %bb.163:
	v_and_b32_e32 v3, 0xffff, v0
	global_store_dword v[1:2], v3, off
	s_mov_b64 s[6:7], -1
	s_mov_b64 s[4:5], 0
	s_branch .LBB122_175
.LBB122_164:
	s_mov_b64 s[6:7], 0
	s_mov_b64 s[4:5], s[76:77]
	s_cbranch_execnz .LBB122_244
.LBB122_165:
	s_andn2_b64 vcc, exec, s[6:7]
	s_cbranch_vccnz .LBB122_282
.LBB122_166:
	v_add_u32_e32 v24, 0x80, v24
	s_mov_b64 s[6:7], -1
	s_branch .LBB122_283
.LBB122_167:
	s_mov_b64 s[8:9], -1
	s_mov_b64 s[6:7], 0
	s_mov_b64 s[4:5], s[76:77]
	s_branch .LBB122_202
.LBB122_168:
	s_mov_b64 s[8:9], -1
	s_mov_b64 s[6:7], 0
	s_mov_b64 s[4:5], s[76:77]
	s_branch .LBB122_185
.LBB122_169:
	s_andn2_saveexec_b64 s[10:11], s[10:11]
	s_cbranch_execz .LBB122_51
.LBB122_170:
	s_mov_b32 s14, 0x46000000
	v_add_f32_e64 v4, |v5|, s14
	v_and_b32_e32 v4, 0xff, v4
	v_cmp_ne_u32_e32 vcc, 0, v4
	s_andn2_b64 s[8:9], s[8:9], exec
	s_and_b64 s[14:15], vcc, exec
	s_or_b64 s[8:9], s[8:9], s[14:15]
	s_or_b64 exec, exec, s[10:11]
	v_mov_b32_e32 v6, 0
	s_and_saveexec_b64 s[10:11], s[8:9]
	s_cbranch_execnz .LBB122_52
	s_branch .LBB122_53
.LBB122_171:
	s_mov_b64 s[8:9], -1
	s_mov_b64 s[6:7], 0
	s_mov_b64 s[4:5], s[76:77]
	s_branch .LBB122_181
.LBB122_172:
	s_andn2_saveexec_b64 s[10:11], s[10:11]
	s_cbranch_execz .LBB122_63
.LBB122_173:
	s_mov_b32 s14, 0x42800000
	v_add_f32_e64 v4, |v5|, s14
	v_and_b32_e32 v4, 0xff, v4
	v_cmp_ne_u32_e32 vcc, 0, v4
	s_andn2_b64 s[8:9], s[8:9], exec
	s_and_b64 s[14:15], vcc, exec
	s_or_b64 s[8:9], s[8:9], s[14:15]
	s_or_b64 exec, exec, s[10:11]
	v_mov_b32_e32 v6, 0
	s_and_saveexec_b64 s[10:11], s[8:9]
	s_cbranch_execnz .LBB122_64
	s_branch .LBB122_65
.LBB122_174:
	s_mov_b64 s[8:9], -1
	s_mov_b64 s[6:7], 0
	s_mov_b64 s[4:5], s[76:77]
.LBB122_175:
	s_and_b64 vcc, exec, s[8:9]
	s_cbranch_vccz .LBB122_180
; %bb.176:
	s_cmp_eq_u32 s13, 44
	s_mov_b64 s[4:5], -1
	s_cbranch_scc0 .LBB122_180
; %bb.177:
	v_and_b32_e32 v4, 0xffff, v0
	v_bfe_u32 v3, v4, 7, 8
	s_movk_i32 s4, 0xff
	v_cmp_ne_u32_e32 vcc, s4, v3
	v_mov_b32_e32 v5, 0xff
	s_and_saveexec_b64 s[6:7], vcc
	s_cbranch_execz .LBB122_179
; %bb.178:
	v_lshlrev_b32_e32 v6, 16, v4
	s_mov_b32 s4, 0x3f0000
	v_lshrrev_b32_e32 v5, 7, v4
	v_and_b32_e32 v4, 64, v4
	v_and_or_b32 v3, v6, s4, v3
	v_cmp_ne_u32_e32 vcc, 0, v4
	v_cmp_ne_u32_e64 s[4:5], 0, v3
	s_and_b64 s[4:5], vcc, s[4:5]
	v_cndmask_b32_e64 v3, 0, 1, s[4:5]
	v_add_u32_e32 v5, v5, v3
.LBB122_179:
	s_or_b64 exec, exec, s[6:7]
	s_mov_b64 s[6:7], -1
	s_mov_b64 s[4:5], 0
	global_store_byte v[1:2], v5, off
.LBB122_180:
	s_mov_b64 s[8:9], 0
.LBB122_181:
	s_and_b64 vcc, exec, s[8:9]
	s_cbranch_vccz .LBB122_184
; %bb.182:
	s_cmp_eq_u32 s13, 29
	s_mov_b64 s[4:5], -1
	s_cbranch_scc0 .LBB122_184
; %bb.183:
	v_lshlrev_b32_e32 v3, 16, v0
	v_trunc_f32_e32 v3, v3
	v_mul_f32_e32 v4, 0x2f800000, v3
	v_floor_f32_e32 v5, v4
	v_fmac_f32_e32 v3, 0xcf800000, v5
	v_cvt_u32_f32_e32 v4, v5
	v_cvt_u32_f32_e32 v3, v3
	s_mov_b64 s[6:7], -1
	s_mov_b64 s[4:5], 0
	s_mov_b64 s[8:9], 0
	global_store_dwordx2 v[1:2], v[3:4], off
	s_branch .LBB122_185
.LBB122_184:
	s_mov_b64 s[8:9], 0
.LBB122_185:
	s_and_b64 vcc, exec, s[8:9]
	s_cbranch_vccz .LBB122_201
; %bb.186:
	s_cmp_lt_i32 s13, 27
	s_mov_b64 s[6:7], -1
	s_cbranch_scc1 .LBB122_192
; %bb.187:
	s_cmp_gt_i32 s13, 27
	s_cbranch_scc0 .LBB122_189
; %bb.188:
	v_lshlrev_b32_e32 v3, 16, v0
	v_cvt_u32_f32_e32 v3, v3
	s_mov_b64 s[6:7], 0
	global_store_dword v[1:2], v3, off
.LBB122_189:
	s_andn2_b64 vcc, exec, s[6:7]
	s_cbranch_vccnz .LBB122_191
; %bb.190:
	v_lshlrev_b32_e32 v3, 16, v0
	v_cvt_u32_f32_e32 v3, v3
	global_store_short v[1:2], v3, off
.LBB122_191:
	s_mov_b64 s[6:7], 0
.LBB122_192:
	s_andn2_b64 vcc, exec, s[6:7]
	s_cbranch_vccnz .LBB122_200
; %bb.193:
	v_lshlrev_b32_e32 v5, 16, v0
	v_and_b32_e32 v4, 0x7fffffff, v5
	s_mov_b32 s6, 0x43800000
	v_cmp_gt_u32_e32 vcc, s6, v4
	v_mov_b32_e32 v6, 0x80
	s_and_saveexec_b64 s[6:7], vcc
	s_cbranch_execz .LBB122_199
; %bb.194:
	s_mov_b32 s8, 0x3bffffff
	v_and_b32_e32 v3, 0xffff, v0
	v_cmp_lt_u32_e32 vcc, s8, v4
	s_mov_b64 s[8:9], 0
                                        ; implicit-def: $vgpr4
	s_and_saveexec_b64 s[10:11], vcc
	s_xor_b64 s[10:11], exec, s[10:11]
	s_cbranch_execz .LBB122_311
; %bb.195:
	v_bfe_u32 v4, v3, 4, 1
	s_mov_b32 s14, 0x487ffff
	v_add3_u32 v4, v5, v4, s14
	s_mov_b64 s[8:9], exec
	v_lshrrev_b32_e32 v4, 20, v4
                                        ; implicit-def: $vgpr5
	s_andn2_saveexec_b64 s[10:11], s[10:11]
	s_cbranch_execnz .LBB122_312
.LBB122_196:
	s_or_b64 exec, exec, s[10:11]
	v_mov_b32_e32 v6, 0
	s_and_saveexec_b64 s[10:11], s[8:9]
.LBB122_197:
	v_lshrrev_b32_e32 v3, 8, v3
	s_movk_i32 s8, 0x80
	v_and_or_b32 v6, v3, s8, v4
.LBB122_198:
	s_or_b64 exec, exec, s[10:11]
.LBB122_199:
	s_or_b64 exec, exec, s[6:7]
	global_store_byte v[1:2], v6, off
.LBB122_200:
	s_mov_b64 s[6:7], -1
.LBB122_201:
	s_mov_b64 s[8:9], 0
.LBB122_202:
	s_and_b64 vcc, exec, s[8:9]
	s_cbranch_vccz .LBB122_243
; %bb.203:
	s_cmp_gt_i32 s13, 22
	s_mov_b64 s[8:9], -1
	s_cbranch_scc0 .LBB122_235
; %bb.204:
	s_cmp_lt_i32 s13, 24
	s_mov_b64 s[6:7], -1
	s_cbranch_scc1 .LBB122_224
; %bb.205:
	s_cmp_gt_i32 s13, 24
	s_cbranch_scc0 .LBB122_213
; %bb.206:
	v_lshlrev_b32_e32 v5, 16, v0
	v_and_b32_e32 v4, 0x7fffffff, v5
	s_mov_b32 s6, 0x47800000
	v_cmp_gt_u32_e32 vcc, s6, v4
	v_mov_b32_e32 v6, 0x80
	s_and_saveexec_b64 s[6:7], vcc
	s_cbranch_execz .LBB122_212
; %bb.207:
	s_mov_b32 s8, 0x37ffffff
	v_and_b32_e32 v3, 0xffff, v0
	v_cmp_lt_u32_e32 vcc, s8, v4
	s_mov_b64 s[8:9], 0
                                        ; implicit-def: $vgpr4
	s_and_saveexec_b64 s[10:11], vcc
	s_xor_b64 s[10:11], exec, s[10:11]
	s_cbranch_execz .LBB122_314
; %bb.208:
	v_bfe_u32 v4, v3, 5, 1
	s_mov_b32 s14, 0x88fffff
	v_add3_u32 v4, v5, v4, s14
	s_mov_b64 s[8:9], exec
	v_lshrrev_b32_e32 v4, 21, v4
                                        ; implicit-def: $vgpr5
	s_andn2_saveexec_b64 s[10:11], s[10:11]
	s_cbranch_execnz .LBB122_315
.LBB122_209:
	s_or_b64 exec, exec, s[10:11]
	v_mov_b32_e32 v6, 0
	s_and_saveexec_b64 s[10:11], s[8:9]
.LBB122_210:
	v_lshrrev_b32_e32 v3, 8, v3
	s_movk_i32 s8, 0x80
	v_and_or_b32 v6, v3, s8, v4
.LBB122_211:
	s_or_b64 exec, exec, s[10:11]
.LBB122_212:
	s_or_b64 exec, exec, s[6:7]
	s_mov_b64 s[6:7], 0
	global_store_byte v[1:2], v6, off
.LBB122_213:
	s_and_b64 vcc, exec, s[6:7]
	s_cbranch_vccz .LBB122_223
; %bb.214:
	v_lshlrev_b32_e32 v5, 16, v0
	v_and_b32_e32 v6, 0x7fffffff, v5
	s_mov_b32 s6, 0x43f00000
	v_and_b32_e32 v3, 0xffff, v0
	v_cmp_gt_u32_e32 vcc, s6, v6
                                        ; implicit-def: $vgpr4
	s_and_saveexec_b64 s[6:7], vcc
	s_xor_b64 s[6:7], exec, s[6:7]
	s_cbranch_execz .LBB122_220
; %bb.215:
	s_mov_b32 s8, 0x3c7fffff
	v_cmp_lt_u32_e32 vcc, s8, v6
                                        ; implicit-def: $vgpr4
	s_and_saveexec_b64 s[8:9], vcc
	s_xor_b64 s[8:9], exec, s[8:9]
; %bb.216:
	v_bfe_u32 v4, v3, 4, 1
	s_mov_b32 s10, 0x407ffff
	v_add3_u32 v4, v5, v4, s10
	v_lshrrev_b32_e32 v5, 20, v4
	v_and_b32_e32 v4, 0xff00000, v4
	s_mov_b32 s10, 0x7f00000
	v_mov_b32_e32 v6, 0x7e
	v_cmp_ne_u32_e32 vcc, s10, v4
	v_cndmask_b32_e32 v4, v6, v5, vcc
                                        ; implicit-def: $vgpr5
; %bb.217:
	s_andn2_saveexec_b64 s[8:9], s[8:9]
; %bb.218:
	s_mov_b32 s10, 0x46800000
	v_add_f32_e64 v4, |v5|, s10
; %bb.219:
	s_or_b64 exec, exec, s[8:9]
                                        ; implicit-def: $vgpr6
.LBB122_220:
	s_andn2_saveexec_b64 s[6:7], s[6:7]
; %bb.221:
	s_mov_b32 s8, 0x7f800000
	v_mov_b32_e32 v4, 0x7e
	v_mov_b32_e32 v5, 0x7f
	v_cmp_lt_u32_e32 vcc, s8, v6
	v_cndmask_b32_e32 v4, v4, v5, vcc
; %bb.222:
	s_or_b64 exec, exec, s[6:7]
	v_lshrrev_b32_e32 v3, 8, v3
	s_movk_i32 s6, 0x80
	v_and_or_b32 v3, v3, s6, v4
	global_store_byte v[1:2], v3, off
.LBB122_223:
	s_mov_b64 s[6:7], 0
.LBB122_224:
	s_andn2_b64 vcc, exec, s[6:7]
	s_cbranch_vccnz .LBB122_234
; %bb.225:
	v_lshlrev_b32_e32 v5, 16, v0
	v_and_b32_e32 v6, 0x7fffffff, v5
	s_mov_b32 s6, 0x47800000
	v_and_b32_e32 v3, 0xffff, v0
	v_cmp_gt_u32_e32 vcc, s6, v6
                                        ; implicit-def: $vgpr4
	s_and_saveexec_b64 s[6:7], vcc
	s_xor_b64 s[6:7], exec, s[6:7]
	s_cbranch_execz .LBB122_231
; %bb.226:
	s_mov_b32 s8, 0x387fffff
	v_cmp_lt_u32_e32 vcc, s8, v6
                                        ; implicit-def: $vgpr4
	s_and_saveexec_b64 s[8:9], vcc
	s_xor_b64 s[8:9], exec, s[8:9]
; %bb.227:
	v_bfe_u32 v4, v3, 5, 1
	s_mov_b32 s10, 0x80fffff
	v_add3_u32 v4, v5, v4, s10
	v_lshrrev_b32_e32 v4, 21, v4
                                        ; implicit-def: $vgpr5
; %bb.228:
	s_andn2_saveexec_b64 s[8:9], s[8:9]
; %bb.229:
	s_mov_b32 s10, 0x43000000
	v_add_f32_e64 v4, |v5|, s10
; %bb.230:
	s_or_b64 exec, exec, s[8:9]
                                        ; implicit-def: $vgpr6
.LBB122_231:
	s_andn2_saveexec_b64 s[6:7], s[6:7]
; %bb.232:
	s_mov_b32 s8, 0x7f800000
	v_mov_b32_e32 v4, 0x7c
	v_mov_b32_e32 v5, 0x7f
	v_cmp_lt_u32_e32 vcc, s8, v6
	v_cndmask_b32_e32 v4, v4, v5, vcc
; %bb.233:
	s_or_b64 exec, exec, s[6:7]
	v_lshrrev_b32_e32 v3, 8, v3
	s_movk_i32 s6, 0x80
	v_and_or_b32 v3, v3, s6, v4
	global_store_byte v[1:2], v3, off
.LBB122_234:
	s_mov_b64 s[8:9], 0
	s_mov_b64 s[6:7], -1
.LBB122_235:
	s_andn2_b64 vcc, exec, s[8:9]
	s_cbranch_vccnz .LBB122_243
; %bb.236:
	s_cmp_gt_i32 s13, 14
	s_mov_b64 s[8:9], -1
	s_cbranch_scc0 .LBB122_240
; %bb.237:
	s_cmp_eq_u32 s13, 15
	s_mov_b64 s[4:5], -1
	s_cbranch_scc0 .LBB122_239
; %bb.238:
	global_store_short v[1:2], v0, off
	s_mov_b64 s[6:7], -1
	s_mov_b64 s[4:5], 0
.LBB122_239:
	s_mov_b64 s[8:9], 0
.LBB122_240:
	s_and_b64 vcc, exec, s[8:9]
	s_cbranch_vccz .LBB122_243
; %bb.241:
	s_cmp_eq_u32 s13, 11
	s_mov_b64 s[4:5], -1
	s_cbranch_scc0 .LBB122_243
; %bb.242:
	v_and_b32_e32 v3, 0x7fff, v0
	v_cmp_ne_u16_e32 vcc, 0, v3
	v_cndmask_b32_e64 v3, 0, 1, vcc
	s_mov_b64 s[6:7], -1
	s_mov_b64 s[4:5], 0
	global_store_byte v[1:2], v3, off
.LBB122_243:
	s_branch .LBB122_165
.LBB122_244:
	s_and_b32 s8, 0xffff, s12
	s_cmp_lt_i32 s8, 5
	s_mov_b64 s[6:7], -1
	s_cbranch_scc1 .LBB122_265
; %bb.245:
	s_cmp_lt_i32 s8, 8
	s_cbranch_scc1 .LBB122_255
; %bb.246:
	s_cmp_lt_i32 s8, 9
	s_cbranch_scc1 .LBB122_252
; %bb.247:
	s_cmp_gt_i32 s8, 9
	s_cbranch_scc0 .LBB122_249
; %bb.248:
	v_lshlrev_b32_e32 v3, 16, v0
	v_cvt_f64_f32_e32 v[3:4], v3
	v_mov_b32_e32 v5, 0
	v_mov_b32_e32 v6, v5
	s_mov_b64 s[6:7], 0
	global_store_dwordx4 v[1:2], v[3:6], off
.LBB122_249:
	s_andn2_b64 vcc, exec, s[6:7]
	s_cbranch_vccnz .LBB122_251
; %bb.250:
	v_lshlrev_b32_e32 v3, 16, v0
	v_mov_b32_e32 v4, 0
	global_store_dwordx2 v[1:2], v[3:4], off
.LBB122_251:
	s_mov_b64 s[6:7], 0
.LBB122_252:
	s_andn2_b64 vcc, exec, s[6:7]
	s_cbranch_vccnz .LBB122_254
; %bb.253:
	v_lshlrev_b32_e32 v3, 16, v0
	v_cvt_f16_f32_e32 v3, v3
	global_store_dword v[1:2], v3, off
.LBB122_254:
	s_mov_b64 s[6:7], 0
.LBB122_255:
	s_andn2_b64 vcc, exec, s[6:7]
	s_cbranch_vccnz .LBB122_264
; %bb.256:
	s_cmp_lt_i32 s8, 6
	s_mov_b64 s[6:7], -1
	s_cbranch_scc1 .LBB122_262
; %bb.257:
	s_cmp_gt_i32 s8, 6
	s_cbranch_scc0 .LBB122_259
; %bb.258:
	v_lshlrev_b32_e32 v3, 16, v0
	v_cvt_f64_f32_e32 v[3:4], v3
	s_mov_b64 s[6:7], 0
	global_store_dwordx2 v[1:2], v[3:4], off
.LBB122_259:
	s_andn2_b64 vcc, exec, s[6:7]
	s_cbranch_vccnz .LBB122_261
; %bb.260:
	v_lshlrev_b32_e32 v3, 16, v0
	global_store_dword v[1:2], v3, off
.LBB122_261:
	s_mov_b64 s[6:7], 0
.LBB122_262:
	s_andn2_b64 vcc, exec, s[6:7]
	s_cbranch_vccnz .LBB122_264
; %bb.263:
	v_lshlrev_b32_e32 v3, 16, v0
	v_cvt_f16_f32_e32 v3, v3
	global_store_short v[1:2], v3, off
.LBB122_264:
	s_mov_b64 s[6:7], 0
.LBB122_265:
	s_andn2_b64 vcc, exec, s[6:7]
	s_cbranch_vccnz .LBB122_281
; %bb.266:
	s_cmp_lt_i32 s8, 2
	s_mov_b64 s[6:7], -1
	s_cbranch_scc1 .LBB122_276
; %bb.267:
	s_cmp_lt_i32 s8, 3
	s_cbranch_scc1 .LBB122_273
; %bb.268:
	s_cmp_gt_i32 s8, 3
	s_cbranch_scc0 .LBB122_270
; %bb.269:
	v_lshlrev_b32_e32 v3, 16, v0
	v_trunc_f32_e32 v3, v3
	s_mov_b32 s6, 0x2f800000
	v_mul_f32_e64 v4, |v3|, s6
	v_floor_f32_e32 v4, v4
	s_mov_b32 s6, 0xcf800000
	v_cvt_u32_f32_e32 v5, v4
	v_fma_f32 v4, v4, s6, |v3|
	v_cvt_u32_f32_e32 v4, v4
	v_ashrrev_i32_e32 v6, 31, v3
	v_xor_b32_e32 v5, v5, v6
	s_mov_b64 s[6:7], 0
	v_xor_b32_e32 v3, v4, v6
	v_sub_co_u32_e32 v3, vcc, v3, v6
	v_subb_co_u32_e32 v4, vcc, v5, v6, vcc
	global_store_dwordx2 v[1:2], v[3:4], off
.LBB122_270:
	s_andn2_b64 vcc, exec, s[6:7]
	s_cbranch_vccnz .LBB122_272
; %bb.271:
	v_lshlrev_b32_e32 v3, 16, v0
	v_cvt_i32_f32_e32 v3, v3
	global_store_dword v[1:2], v3, off
.LBB122_272:
	s_mov_b64 s[6:7], 0
.LBB122_273:
	s_andn2_b64 vcc, exec, s[6:7]
	s_cbranch_vccnz .LBB122_275
; %bb.274:
	v_lshlrev_b32_e32 v3, 16, v0
	v_cvt_i32_f32_e32 v3, v3
	global_store_short v[1:2], v3, off
.LBB122_275:
	s_mov_b64 s[6:7], 0
.LBB122_276:
	s_andn2_b64 vcc, exec, s[6:7]
	s_cbranch_vccnz .LBB122_281
; %bb.277:
	s_cmp_gt_i32 s8, 0
	s_mov_b64 s[6:7], -1
	s_cbranch_scc0 .LBB122_279
; %bb.278:
	v_lshlrev_b32_e32 v3, 16, v0
	v_cvt_i32_f32_e32 v3, v3
	s_mov_b64 s[6:7], 0
	global_store_byte v[1:2], v3, off
.LBB122_279:
	s_andn2_b64 vcc, exec, s[6:7]
	s_cbranch_vccnz .LBB122_281
; %bb.280:
	v_lshlrev_b32_e32 v0, 16, v0
	v_trunc_f32_e32 v0, v0
	s_mov_b32 s6, 0x2f800000
	v_mul_f32_e64 v3, |v0|, s6
	v_floor_f32_e32 v3, v3
	s_mov_b32 s6, 0xcf800000
	v_fma_f32 v3, v3, s6, |v0|
	v_cvt_u32_f32_e32 v3, v3
	v_ashrrev_i32_e32 v0, 31, v0
	v_xor_b32_e32 v3, v3, v0
	v_sub_u32_e32 v0, v3, v0
	global_store_byte v[1:2], v0, off
.LBB122_281:
	s_branch .LBB122_166
.LBB122_282:
	s_mov_b64 s[6:7], 0
                                        ; implicit-def: $vgpr24
.LBB122_283:
	s_andn2_b64 s[8:9], s[76:77], exec
	s_and_b64 s[4:5], s[4:5], exec
	s_or_b64 s[80:81], s[8:9], s[4:5]
	s_orn2_b64 s[8:9], s[6:7], exec
.LBB122_284:
	s_or_b64 exec, exec, s[82:83]
	s_mov_b64 s[4:5], 0
	s_mov_b64 s[6:7], 0
                                        ; implicit-def: $sgpr14
                                        ; implicit-def: $vgpr1_vgpr2
                                        ; implicit-def: $vgpr0
	s_and_saveexec_b64 s[82:83], s[8:9]
	s_cbranch_execz .LBB122_525
; %bb.285:
	v_cmp_gt_i32_e32 vcc, s88, v24
	s_mov_b64 s[6:7], -1
	s_mov_b64 s[86:87], s[80:81]
	s_and_saveexec_b64 s[84:85], vcc
	s_cbranch_execz .LBB122_429
; %bb.286:
	s_andn2_b64 vcc, exec, s[62:63]
	s_cbranch_vccnz .LBB122_291
; %bb.287:
	s_andn2_b64 vcc, exec, s[74:75]
	s_cbranch_vccnz .LBB122_292
; %bb.288:
	s_add_i32 s29, s93, 1
	s_cmp_eq_u32 s90, 2
	s_cbranch_scc1 .LBB122_293
; %bb.289:
	s_and_b32 s28, s29, 28
	v_mov_b32_e32 v4, 0
	s_mov_b32 s30, 0
	s_mov_b64 s[24:25], s[58:59]
	s_mov_b64 s[26:27], s[72:73]
	v_mov_b32_e32 v22, 0
	v_mov_b32_e32 v0, v24
.LBB122_290:                            ; =>This Inner Loop Header: Depth=1
	s_load_dwordx8 s[12:19], s[24:25], 0x4
	s_load_dwordx4 s[20:23], s[24:25], 0x24
	s_load_dwordx8 s[4:11], s[26:27], 0x0
	s_add_u32 s24, s24, 48
	s_addc_u32 s25, s25, 0
	s_waitcnt lgkmcnt(0)
	v_mul_hi_u32 v1, s13, v0
	s_add_i32 s30, s30, 4
	s_add_u32 s26, s26, 32
	s_addc_u32 s27, s27, 0
	v_add_u32_e32 v1, v0, v1
	v_lshrrev_b32_e32 v1, s14, v1
	v_mul_lo_u32 v2, v1, s12
	v_mul_hi_u32 v3, s16, v1
	s_cmp_eq_u32 s28, s30
	v_sub_u32_e32 v0, v0, v2
	v_add_u32_e32 v2, v1, v3
	v_mul_lo_u32 v3, v0, s4
	v_mul_lo_u32 v5, v0, s5
	v_lshrrev_b32_e32 v0, s17, v2
	v_mul_lo_u32 v2, v0, s15
	v_mul_hi_u32 v6, s19, v0
	v_sub_u32_e32 v1, v1, v2
	v_add_u32_e32 v2, v0, v6
	v_lshrrev_b32_e32 v2, s20, v2
	v_mul_hi_u32 v7, s22, v2
	v_mul_lo_u32 v8, v2, s18
	v_mul_lo_u32 v6, v1, s6
	;; [unrolled: 1-line block ×3, first 2 shown]
	v_sub_u32_e32 v8, v0, v8
	v_add_u32_e32 v0, v2, v7
	v_lshrrev_b32_e32 v0, s23, v0
	v_mul_lo_u32 v7, v0, s21
	v_mul_lo_u32 v9, v8, s8
	;; [unrolled: 1-line block ×3, first 2 shown]
	v_add3_u32 v3, v3, v22, v6
	v_sub_u32_e32 v2, v2, v7
	v_mul_lo_u32 v7, v2, s10
	v_mul_lo_u32 v2, v2, s11
	v_add3_u32 v1, v5, v4, v1
	v_add3_u32 v22, v9, v3, v7
	;; [unrolled: 1-line block ×3, first 2 shown]
	s_cbranch_scc0 .LBB122_290
	s_branch .LBB122_294
.LBB122_291:
	s_mov_b64 s[4:5], -1
                                        ; implicit-def: $vgpr22
                                        ; implicit-def: $vgpr4
	s_branch .LBB122_298
.LBB122_292:
	v_mov_b32_e32 v22, 0
	v_mov_b32_e32 v4, 0
	s_branch .LBB122_297
.LBB122_293:
	s_mov_b32 s28, 0
	v_mov_b32_e32 v22, 0
	v_mov_b32_e32 v4, 0
	;; [unrolled: 1-line block ×3, first 2 shown]
.LBB122_294:
	s_and_b32 s8, s29, 3
	s_cmp_eq_u32 s8, 0
	s_cbranch_scc1 .LBB122_297
; %bb.295:
	s_lshl_b32 s4, s28, 3
	s_add_u32 s4, s58, s4
	s_addc_u32 s5, s59, 0
	s_add_u32 s4, s4, 0xc4
	s_addc_u32 s5, s5, 0
	s_mul_i32 s6, s28, 12
	s_add_u32 s6, s58, s6
	s_addc_u32 s7, s59, 0
.LBB122_296:                            ; =>This Inner Loop Header: Depth=1
	s_load_dwordx2 s[10:11], s[6:7], 0x4
	s_load_dword s9, s[6:7], 0xc
	s_load_dwordx2 s[12:13], s[4:5], 0x0
	s_add_u32 s6, s6, 12
	s_addc_u32 s7, s7, 0
	s_waitcnt lgkmcnt(0)
	v_mul_hi_u32 v1, s11, v0
	s_add_u32 s4, s4, 8
	s_addc_u32 s5, s5, 0
	s_add_i32 s8, s8, -1
	v_add_u32_e32 v1, v0, v1
	v_lshrrev_b32_e32 v1, s9, v1
	v_mul_lo_u32 v2, v1, s10
	s_cmp_lg_u32 s8, 0
	v_sub_u32_e32 v0, v0, v2
	v_mad_u64_u32 v[22:23], s[10:11], v0, s12, v[22:23]
	v_mad_u64_u32 v[4:5], s[10:11], v0, s13, v[4:5]
	v_mov_b32_e32 v0, v1
	s_cbranch_scc1 .LBB122_296
.LBB122_297:
	s_mov_b64 s[4:5], 0
.LBB122_298:
	s_andn2_b64 vcc, exec, s[4:5]
	s_cbranch_vccnz .LBB122_301
; %bb.299:
	v_mul_hi_u32 v0, s49, v24
	s_andn2_b64 vcc, exec, s[70:71]
	v_add_u32_e32 v0, v24, v0
	v_lshrrev_b32_e32 v0, s50, v0
	v_mul_lo_u32 v1, v0, s48
	v_sub_u32_e32 v1, v24, v1
	v_mul_lo_u32 v22, v1, s52
	v_mul_lo_u32 v4, v1, s53
	s_cbranch_vccnz .LBB122_301
; %bb.300:
	v_mul_hi_u32 v1, s68, v0
	v_add_u32_e32 v1, v0, v1
	v_lshrrev_b32_e32 v1, s69, v1
	v_mul_lo_u32 v1, v1, s51
	v_sub_u32_e32 v0, v0, v1
	v_mad_u64_u32 v[22:23], s[4:5], v0, s54, v[22:23]
	v_mad_u64_u32 v[4:5], s[4:5], v0, s55, v[4:5]
.LBB122_301:
	s_getpc_b64 s[4:5]
	s_add_u32 s4, s4, _ZN2at6native6invokeIZZZNS0_21polygamma_kernel_cudaERNS_18TensorIteratorBaseElENKUlvE_clEvENKUlvE2_clEvEUlN3c108BFloat16EE_j15function_traitsIS8_EEENT1_11result_typeERKT_PrKPcPKT0_PKNS6_10ScalarTypeEi@rel32@lo+4
	s_addc_u32 s5, s5, _ZN2at6native6invokeIZZZNS0_21polygamma_kernel_cudaERNS_18TensorIteratorBaseElENKUlvE_clEvENKUlvE2_clEvEUlN3c108BFloat16EE_j15function_traitsIS8_EEENT1_11result_typeERKT_PrKPcPKT0_PKNS6_10ScalarTypeEi@rel32@hi+12
	v_mov_b32_e32 v0, s66
	v_mov_b32_e32 v1, s67
	;; [unrolled: 1-line block ×5, first 2 shown]
	s_swappc_b64 s[30:31], s[4:5]
	v_mov_b32_e32 v2, s37
	s_and_b32 s12, s91, 0xff
	v_add_co_u32_e32 v1, vcc, s36, v22
	s_cmp_lt_i32 s12, 11
	v_addc_co_u32_e32 v2, vcc, 0, v2, vcc
	s_cbranch_scc1 .LBB122_308
; %bb.302:
	s_and_b32 s13, 0xffff, s12
	s_cmp_gt_i32 s13, 25
	s_cbranch_scc0 .LBB122_309
; %bb.303:
	s_cmp_gt_i32 s13, 28
	s_cbranch_scc0 .LBB122_310
; %bb.304:
	;; [unrolled: 3-line block ×4, first 2 shown]
	s_mov_b64 s[8:9], 0
	s_mov_b64 s[4:5], -1
	s_cmp_eq_u32 s13, 46
	s_mov_b64 s[6:7], 0
	s_cbranch_scc0 .LBB122_317
; %bb.307:
	v_and_b32_e32 v3, 0xffff, v0
	global_store_dword v[1:2], v3, off
	s_mov_b64 s[6:7], -1
	s_mov_b64 s[4:5], 0
	s_branch .LBB122_317
.LBB122_308:
	s_mov_b64 s[8:9], -1
	s_mov_b64 s[6:7], 0
	s_mov_b64 s[4:5], s[80:81]
	s_branch .LBB122_386
.LBB122_309:
	s_mov_b64 s[8:9], -1
	s_mov_b64 s[6:7], 0
	s_mov_b64 s[4:5], s[80:81]
	s_branch .LBB122_344
.LBB122_310:
	s_mov_b64 s[8:9], -1
	s_mov_b64 s[6:7], 0
	s_mov_b64 s[4:5], s[80:81]
	s_branch .LBB122_327
.LBB122_311:
	s_andn2_saveexec_b64 s[10:11], s[10:11]
	s_cbranch_execz .LBB122_196
.LBB122_312:
	s_mov_b32 s14, 0x46000000
	v_add_f32_e64 v4, |v5|, s14
	v_and_b32_e32 v4, 0xff, v4
	v_cmp_ne_u32_e32 vcc, 0, v4
	s_andn2_b64 s[8:9], s[8:9], exec
	s_and_b64 s[14:15], vcc, exec
	s_or_b64 s[8:9], s[8:9], s[14:15]
	s_or_b64 exec, exec, s[10:11]
	v_mov_b32_e32 v6, 0
	s_and_saveexec_b64 s[10:11], s[8:9]
	s_cbranch_execnz .LBB122_197
	s_branch .LBB122_198
.LBB122_313:
	s_mov_b64 s[8:9], -1
	s_mov_b64 s[6:7], 0
	s_mov_b64 s[4:5], s[80:81]
	s_branch .LBB122_323
.LBB122_314:
	s_andn2_saveexec_b64 s[10:11], s[10:11]
	s_cbranch_execz .LBB122_209
.LBB122_315:
	s_mov_b32 s14, 0x42800000
	v_add_f32_e64 v4, |v5|, s14
	v_and_b32_e32 v4, 0xff, v4
	v_cmp_ne_u32_e32 vcc, 0, v4
	s_andn2_b64 s[8:9], s[8:9], exec
	s_and_b64 s[14:15], vcc, exec
	s_or_b64 s[8:9], s[8:9], s[14:15]
	s_or_b64 exec, exec, s[10:11]
	v_mov_b32_e32 v6, 0
	s_and_saveexec_b64 s[10:11], s[8:9]
	s_cbranch_execnz .LBB122_210
	s_branch .LBB122_211
.LBB122_316:
	s_mov_b64 s[8:9], -1
	s_mov_b64 s[6:7], 0
	s_mov_b64 s[4:5], s[80:81]
.LBB122_317:
	s_and_b64 vcc, exec, s[8:9]
	s_cbranch_vccz .LBB122_322
; %bb.318:
	s_cmp_eq_u32 s13, 44
	s_mov_b64 s[4:5], -1
	s_cbranch_scc0 .LBB122_322
; %bb.319:
	v_and_b32_e32 v4, 0xffff, v0
	v_bfe_u32 v3, v4, 7, 8
	s_movk_i32 s4, 0xff
	v_cmp_ne_u32_e32 vcc, s4, v3
	v_mov_b32_e32 v5, 0xff
	s_and_saveexec_b64 s[6:7], vcc
	s_cbranch_execz .LBB122_321
; %bb.320:
	v_lshlrev_b32_e32 v6, 16, v4
	s_mov_b32 s4, 0x3f0000
	v_lshrrev_b32_e32 v5, 7, v4
	v_and_b32_e32 v4, 64, v4
	v_and_or_b32 v3, v6, s4, v3
	v_cmp_ne_u32_e32 vcc, 0, v4
	v_cmp_ne_u32_e64 s[4:5], 0, v3
	s_and_b64 s[4:5], vcc, s[4:5]
	v_cndmask_b32_e64 v3, 0, 1, s[4:5]
	v_add_u32_e32 v5, v5, v3
.LBB122_321:
	s_or_b64 exec, exec, s[6:7]
	s_mov_b64 s[6:7], -1
	s_mov_b64 s[4:5], 0
	global_store_byte v[1:2], v5, off
.LBB122_322:
	s_mov_b64 s[8:9], 0
.LBB122_323:
	s_and_b64 vcc, exec, s[8:9]
	s_cbranch_vccz .LBB122_326
; %bb.324:
	s_cmp_eq_u32 s13, 29
	s_mov_b64 s[4:5], -1
	s_cbranch_scc0 .LBB122_326
; %bb.325:
	v_lshlrev_b32_e32 v3, 16, v0
	v_trunc_f32_e32 v3, v3
	v_mul_f32_e32 v4, 0x2f800000, v3
	v_floor_f32_e32 v5, v4
	v_fmac_f32_e32 v3, 0xcf800000, v5
	v_cvt_u32_f32_e32 v4, v5
	v_cvt_u32_f32_e32 v3, v3
	s_mov_b64 s[6:7], -1
	s_mov_b64 s[4:5], 0
	s_mov_b64 s[8:9], 0
	global_store_dwordx2 v[1:2], v[3:4], off
	s_branch .LBB122_327
.LBB122_326:
	s_mov_b64 s[8:9], 0
.LBB122_327:
	s_and_b64 vcc, exec, s[8:9]
	s_cbranch_vccz .LBB122_343
; %bb.328:
	s_cmp_lt_i32 s13, 27
	s_mov_b64 s[6:7], -1
	s_cbranch_scc1 .LBB122_334
; %bb.329:
	s_cmp_gt_i32 s13, 27
	s_cbranch_scc0 .LBB122_331
; %bb.330:
	v_lshlrev_b32_e32 v3, 16, v0
	v_cvt_u32_f32_e32 v3, v3
	s_mov_b64 s[6:7], 0
	global_store_dword v[1:2], v3, off
.LBB122_331:
	s_andn2_b64 vcc, exec, s[6:7]
	s_cbranch_vccnz .LBB122_333
; %bb.332:
	v_lshlrev_b32_e32 v3, 16, v0
	v_cvt_u32_f32_e32 v3, v3
	global_store_short v[1:2], v3, off
.LBB122_333:
	s_mov_b64 s[6:7], 0
.LBB122_334:
	s_andn2_b64 vcc, exec, s[6:7]
	s_cbranch_vccnz .LBB122_342
; %bb.335:
	v_lshlrev_b32_e32 v5, 16, v0
	v_and_b32_e32 v4, 0x7fffffff, v5
	s_mov_b32 s6, 0x43800000
	v_cmp_gt_u32_e32 vcc, s6, v4
	v_mov_b32_e32 v6, 0x80
	s_and_saveexec_b64 s[6:7], vcc
	s_cbranch_execz .LBB122_341
; %bb.336:
	s_mov_b32 s8, 0x3bffffff
	v_and_b32_e32 v3, 0xffff, v0
	v_cmp_lt_u32_e32 vcc, s8, v4
	s_mov_b64 s[8:9], 0
                                        ; implicit-def: $vgpr4
	s_and_saveexec_b64 s[10:11], vcc
	s_xor_b64 s[10:11], exec, s[10:11]
	s_cbranch_execz .LBB122_1112
; %bb.337:
	v_bfe_u32 v4, v3, 4, 1
	s_mov_b32 s14, 0x487ffff
	v_add3_u32 v4, v5, v4, s14
	s_mov_b64 s[8:9], exec
	v_lshrrev_b32_e32 v4, 20, v4
                                        ; implicit-def: $vgpr5
	s_andn2_saveexec_b64 s[10:11], s[10:11]
	s_cbranch_execnz .LBB122_1113
.LBB122_338:
	s_or_b64 exec, exec, s[10:11]
	v_mov_b32_e32 v6, 0
	s_and_saveexec_b64 s[10:11], s[8:9]
.LBB122_339:
	v_lshrrev_b32_e32 v3, 8, v3
	s_movk_i32 s8, 0x80
	v_and_or_b32 v6, v3, s8, v4
.LBB122_340:
	s_or_b64 exec, exec, s[10:11]
.LBB122_341:
	s_or_b64 exec, exec, s[6:7]
	global_store_byte v[1:2], v6, off
.LBB122_342:
	s_mov_b64 s[6:7], -1
.LBB122_343:
	s_mov_b64 s[8:9], 0
.LBB122_344:
	s_and_b64 vcc, exec, s[8:9]
	s_cbranch_vccz .LBB122_385
; %bb.345:
	s_cmp_gt_i32 s13, 22
	s_mov_b64 s[8:9], -1
	s_cbranch_scc0 .LBB122_377
; %bb.346:
	s_cmp_lt_i32 s13, 24
	s_mov_b64 s[6:7], -1
	s_cbranch_scc1 .LBB122_366
; %bb.347:
	s_cmp_gt_i32 s13, 24
	s_cbranch_scc0 .LBB122_355
; %bb.348:
	v_lshlrev_b32_e32 v5, 16, v0
	v_and_b32_e32 v4, 0x7fffffff, v5
	s_mov_b32 s6, 0x47800000
	v_cmp_gt_u32_e32 vcc, s6, v4
	v_mov_b32_e32 v6, 0x80
	s_and_saveexec_b64 s[6:7], vcc
	s_cbranch_execz .LBB122_354
; %bb.349:
	s_mov_b32 s8, 0x37ffffff
	v_and_b32_e32 v3, 0xffff, v0
	v_cmp_lt_u32_e32 vcc, s8, v4
	s_mov_b64 s[8:9], 0
                                        ; implicit-def: $vgpr4
	s_and_saveexec_b64 s[10:11], vcc
	s_xor_b64 s[10:11], exec, s[10:11]
	s_cbranch_execz .LBB122_1119
; %bb.350:
	v_bfe_u32 v4, v3, 5, 1
	s_mov_b32 s14, 0x88fffff
	v_add3_u32 v4, v5, v4, s14
	s_mov_b64 s[8:9], exec
	v_lshrrev_b32_e32 v4, 21, v4
                                        ; implicit-def: $vgpr5
	s_andn2_saveexec_b64 s[10:11], s[10:11]
	s_cbranch_execnz .LBB122_1120
.LBB122_351:
	s_or_b64 exec, exec, s[10:11]
	v_mov_b32_e32 v6, 0
	s_and_saveexec_b64 s[10:11], s[8:9]
.LBB122_352:
	v_lshrrev_b32_e32 v3, 8, v3
	s_movk_i32 s8, 0x80
	v_and_or_b32 v6, v3, s8, v4
.LBB122_353:
	s_or_b64 exec, exec, s[10:11]
.LBB122_354:
	s_or_b64 exec, exec, s[6:7]
	s_mov_b64 s[6:7], 0
	global_store_byte v[1:2], v6, off
.LBB122_355:
	s_and_b64 vcc, exec, s[6:7]
	s_cbranch_vccz .LBB122_365
; %bb.356:
	v_lshlrev_b32_e32 v5, 16, v0
	v_and_b32_e32 v6, 0x7fffffff, v5
	s_mov_b32 s6, 0x43f00000
	v_and_b32_e32 v3, 0xffff, v0
	v_cmp_gt_u32_e32 vcc, s6, v6
                                        ; implicit-def: $vgpr4
	s_and_saveexec_b64 s[6:7], vcc
	s_xor_b64 s[6:7], exec, s[6:7]
	s_cbranch_execz .LBB122_362
; %bb.357:
	s_mov_b32 s8, 0x3c7fffff
	v_cmp_lt_u32_e32 vcc, s8, v6
                                        ; implicit-def: $vgpr4
	s_and_saveexec_b64 s[8:9], vcc
	s_xor_b64 s[8:9], exec, s[8:9]
; %bb.358:
	v_bfe_u32 v4, v3, 4, 1
	s_mov_b32 s10, 0x407ffff
	v_add3_u32 v4, v5, v4, s10
	v_lshrrev_b32_e32 v5, 20, v4
	v_and_b32_e32 v4, 0xff00000, v4
	s_mov_b32 s10, 0x7f00000
	v_mov_b32_e32 v6, 0x7e
	v_cmp_ne_u32_e32 vcc, s10, v4
	v_cndmask_b32_e32 v4, v6, v5, vcc
                                        ; implicit-def: $vgpr5
; %bb.359:
	s_andn2_saveexec_b64 s[8:9], s[8:9]
; %bb.360:
	s_mov_b32 s10, 0x46800000
	v_add_f32_e64 v4, |v5|, s10
; %bb.361:
	s_or_b64 exec, exec, s[8:9]
                                        ; implicit-def: $vgpr6
.LBB122_362:
	s_andn2_saveexec_b64 s[6:7], s[6:7]
; %bb.363:
	s_mov_b32 s8, 0x7f800000
	v_mov_b32_e32 v4, 0x7e
	v_mov_b32_e32 v5, 0x7f
	v_cmp_lt_u32_e32 vcc, s8, v6
	v_cndmask_b32_e32 v4, v4, v5, vcc
; %bb.364:
	s_or_b64 exec, exec, s[6:7]
	v_lshrrev_b32_e32 v3, 8, v3
	s_movk_i32 s6, 0x80
	v_and_or_b32 v3, v3, s6, v4
	global_store_byte v[1:2], v3, off
.LBB122_365:
	s_mov_b64 s[6:7], 0
.LBB122_366:
	s_andn2_b64 vcc, exec, s[6:7]
	s_cbranch_vccnz .LBB122_376
; %bb.367:
	v_lshlrev_b32_e32 v5, 16, v0
	v_and_b32_e32 v6, 0x7fffffff, v5
	s_mov_b32 s6, 0x47800000
	v_and_b32_e32 v3, 0xffff, v0
	v_cmp_gt_u32_e32 vcc, s6, v6
                                        ; implicit-def: $vgpr4
	s_and_saveexec_b64 s[6:7], vcc
	s_xor_b64 s[6:7], exec, s[6:7]
	s_cbranch_execz .LBB122_373
; %bb.368:
	s_mov_b32 s8, 0x387fffff
	v_cmp_lt_u32_e32 vcc, s8, v6
                                        ; implicit-def: $vgpr4
	s_and_saveexec_b64 s[8:9], vcc
	s_xor_b64 s[8:9], exec, s[8:9]
; %bb.369:
	v_bfe_u32 v4, v3, 5, 1
	s_mov_b32 s10, 0x80fffff
	v_add3_u32 v4, v5, v4, s10
	v_lshrrev_b32_e32 v4, 21, v4
                                        ; implicit-def: $vgpr5
; %bb.370:
	s_andn2_saveexec_b64 s[8:9], s[8:9]
; %bb.371:
	s_mov_b32 s10, 0x43000000
	v_add_f32_e64 v4, |v5|, s10
; %bb.372:
	s_or_b64 exec, exec, s[8:9]
                                        ; implicit-def: $vgpr6
.LBB122_373:
	s_andn2_saveexec_b64 s[6:7], s[6:7]
; %bb.374:
	s_mov_b32 s8, 0x7f800000
	v_mov_b32_e32 v4, 0x7c
	v_mov_b32_e32 v5, 0x7f
	v_cmp_lt_u32_e32 vcc, s8, v6
	v_cndmask_b32_e32 v4, v4, v5, vcc
; %bb.375:
	s_or_b64 exec, exec, s[6:7]
	v_lshrrev_b32_e32 v3, 8, v3
	s_movk_i32 s6, 0x80
	v_and_or_b32 v3, v3, s6, v4
	global_store_byte v[1:2], v3, off
.LBB122_376:
	s_mov_b64 s[8:9], 0
	s_mov_b64 s[6:7], -1
.LBB122_377:
	s_andn2_b64 vcc, exec, s[8:9]
	s_cbranch_vccnz .LBB122_385
; %bb.378:
	s_cmp_gt_i32 s13, 14
	s_mov_b64 s[8:9], -1
	s_cbranch_scc0 .LBB122_382
; %bb.379:
	s_cmp_eq_u32 s13, 15
	s_mov_b64 s[4:5], -1
	s_cbranch_scc0 .LBB122_381
; %bb.380:
	global_store_short v[1:2], v0, off
	s_mov_b64 s[6:7], -1
	s_mov_b64 s[4:5], 0
.LBB122_381:
	s_mov_b64 s[8:9], 0
.LBB122_382:
	s_and_b64 vcc, exec, s[8:9]
	s_cbranch_vccz .LBB122_385
; %bb.383:
	s_cmp_eq_u32 s13, 11
	s_mov_b64 s[4:5], -1
	s_cbranch_scc0 .LBB122_385
; %bb.384:
	v_and_b32_e32 v3, 0x7fff, v0
	v_cmp_ne_u16_e32 vcc, 0, v3
	v_cndmask_b32_e64 v3, 0, 1, vcc
	s_mov_b64 s[6:7], -1
	s_mov_b64 s[4:5], 0
	global_store_byte v[1:2], v3, off
.LBB122_385:
	s_mov_b64 s[8:9], 0
.LBB122_386:
	s_and_b64 vcc, exec, s[8:9]
	s_cbranch_vccz .LBB122_425
; %bb.387:
	s_and_b32 s8, 0xffff, s12
	s_cmp_lt_i32 s8, 5
	s_mov_b64 s[6:7], -1
	s_cbranch_scc1 .LBB122_408
; %bb.388:
	s_cmp_lt_i32 s8, 8
	s_cbranch_scc1 .LBB122_398
; %bb.389:
	s_cmp_lt_i32 s8, 9
	s_cbranch_scc1 .LBB122_395
; %bb.390:
	s_cmp_gt_i32 s8, 9
	s_cbranch_scc0 .LBB122_392
; %bb.391:
	v_lshlrev_b32_e32 v3, 16, v0
	v_cvt_f64_f32_e32 v[3:4], v3
	v_mov_b32_e32 v5, 0
	v_mov_b32_e32 v6, v5
	s_mov_b64 s[6:7], 0
	global_store_dwordx4 v[1:2], v[3:6], off
.LBB122_392:
	s_andn2_b64 vcc, exec, s[6:7]
	s_cbranch_vccnz .LBB122_394
; %bb.393:
	v_lshlrev_b32_e32 v3, 16, v0
	v_mov_b32_e32 v4, 0
	global_store_dwordx2 v[1:2], v[3:4], off
.LBB122_394:
	s_mov_b64 s[6:7], 0
.LBB122_395:
	s_andn2_b64 vcc, exec, s[6:7]
	s_cbranch_vccnz .LBB122_397
; %bb.396:
	v_lshlrev_b32_e32 v3, 16, v0
	v_cvt_f16_f32_e32 v3, v3
	global_store_dword v[1:2], v3, off
.LBB122_397:
	s_mov_b64 s[6:7], 0
.LBB122_398:
	s_andn2_b64 vcc, exec, s[6:7]
	s_cbranch_vccnz .LBB122_407
; %bb.399:
	s_cmp_lt_i32 s8, 6
	s_mov_b64 s[6:7], -1
	s_cbranch_scc1 .LBB122_405
; %bb.400:
	s_cmp_gt_i32 s8, 6
	s_cbranch_scc0 .LBB122_402
; %bb.401:
	v_lshlrev_b32_e32 v3, 16, v0
	v_cvt_f64_f32_e32 v[3:4], v3
	s_mov_b64 s[6:7], 0
	global_store_dwordx2 v[1:2], v[3:4], off
.LBB122_402:
	s_andn2_b64 vcc, exec, s[6:7]
	s_cbranch_vccnz .LBB122_404
; %bb.403:
	v_lshlrev_b32_e32 v3, 16, v0
	global_store_dword v[1:2], v3, off
.LBB122_404:
	s_mov_b64 s[6:7], 0
.LBB122_405:
	s_andn2_b64 vcc, exec, s[6:7]
	s_cbranch_vccnz .LBB122_407
; %bb.406:
	v_lshlrev_b32_e32 v3, 16, v0
	v_cvt_f16_f32_e32 v3, v3
	global_store_short v[1:2], v3, off
.LBB122_407:
	s_mov_b64 s[6:7], 0
.LBB122_408:
	s_andn2_b64 vcc, exec, s[6:7]
	s_cbranch_vccnz .LBB122_424
; %bb.409:
	s_cmp_lt_i32 s8, 2
	s_mov_b64 s[6:7], -1
	s_cbranch_scc1 .LBB122_419
; %bb.410:
	s_cmp_lt_i32 s8, 3
	s_cbranch_scc1 .LBB122_416
; %bb.411:
	s_cmp_gt_i32 s8, 3
	s_cbranch_scc0 .LBB122_413
; %bb.412:
	v_lshlrev_b32_e32 v3, 16, v0
	v_trunc_f32_e32 v3, v3
	s_mov_b32 s6, 0x2f800000
	v_mul_f32_e64 v4, |v3|, s6
	v_floor_f32_e32 v4, v4
	s_mov_b32 s6, 0xcf800000
	v_cvt_u32_f32_e32 v5, v4
	v_fma_f32 v4, v4, s6, |v3|
	v_cvt_u32_f32_e32 v4, v4
	v_ashrrev_i32_e32 v6, 31, v3
	v_xor_b32_e32 v5, v5, v6
	s_mov_b64 s[6:7], 0
	v_xor_b32_e32 v3, v4, v6
	v_sub_co_u32_e32 v3, vcc, v3, v6
	v_subb_co_u32_e32 v4, vcc, v5, v6, vcc
	global_store_dwordx2 v[1:2], v[3:4], off
.LBB122_413:
	s_andn2_b64 vcc, exec, s[6:7]
	s_cbranch_vccnz .LBB122_415
; %bb.414:
	v_lshlrev_b32_e32 v3, 16, v0
	v_cvt_i32_f32_e32 v3, v3
	global_store_dword v[1:2], v3, off
.LBB122_415:
	s_mov_b64 s[6:7], 0
.LBB122_416:
	s_andn2_b64 vcc, exec, s[6:7]
	s_cbranch_vccnz .LBB122_418
; %bb.417:
	v_lshlrev_b32_e32 v3, 16, v0
	v_cvt_i32_f32_e32 v3, v3
	global_store_short v[1:2], v3, off
.LBB122_418:
	s_mov_b64 s[6:7], 0
.LBB122_419:
	s_andn2_b64 vcc, exec, s[6:7]
	s_cbranch_vccnz .LBB122_424
; %bb.420:
	s_mov_b64 s[6:7], -1
	s_cmp_gt_i32 s8, 0
	v_lshlrev_b32_e32 v0, 16, v0
	s_cbranch_scc0 .LBB122_422
; %bb.421:
	v_cvt_i32_f32_e32 v3, v0
	s_mov_b64 s[6:7], 0
	global_store_byte v[1:2], v3, off
.LBB122_422:
	s_andn2_b64 vcc, exec, s[6:7]
	s_cbranch_vccnz .LBB122_424
; %bb.423:
	v_trunc_f32_e32 v0, v0
	s_mov_b32 s6, 0x2f800000
	v_mul_f32_e64 v3, |v0|, s6
	v_floor_f32_e32 v3, v3
	s_mov_b32 s6, 0xcf800000
	v_fma_f32 v3, v3, s6, |v0|
	v_cvt_u32_f32_e32 v3, v3
	v_ashrrev_i32_e32 v0, 31, v0
	v_xor_b32_e32 v3, v3, v0
	v_sub_u32_e32 v0, v3, v0
	global_store_byte v[1:2], v0, off
.LBB122_424:
	s_mov_b64 s[6:7], -1
.LBB122_425:
	s_andn2_b64 vcc, exec, s[6:7]
	s_cbranch_vccnz .LBB122_427
; %bb.426:
	v_add_u32_e32 v24, 0x80, v24
	s_mov_b64 s[6:7], -1
	s_branch .LBB122_428
.LBB122_427:
	s_mov_b64 s[6:7], 0
                                        ; implicit-def: $vgpr24
.LBB122_428:
	s_andn2_b64 s[8:9], s[80:81], exec
	s_and_b64 s[4:5], s[4:5], exec
	s_or_b64 s[86:87], s[8:9], s[4:5]
	s_orn2_b64 s[6:7], s[6:7], exec
.LBB122_429:
	s_or_b64 exec, exec, s[84:85]
	s_mov_b64 s[4:5], 0
	s_mov_b64 s[10:11], 0
                                        ; implicit-def: $sgpr14
                                        ; implicit-def: $vgpr1_vgpr2
                                        ; implicit-def: $vgpr0
	s_and_saveexec_b64 s[84:85], s[6:7]
	s_cbranch_execz .LBB122_524
; %bb.430:
	v_cmp_gt_i32_e32 vcc, s88, v24
	s_mov_b64 s[6:7], 0
	s_mov_b64 s[8:9], s[86:87]
                                        ; implicit-def: $sgpr14
                                        ; implicit-def: $vgpr1_vgpr2
                                        ; implicit-def: $vgpr0
	s_and_saveexec_b64 s[88:89], vcc
	s_cbranch_execz .LBB122_523
; %bb.431:
	s_andn2_b64 vcc, exec, s[62:63]
	s_cbranch_vccnz .LBB122_436
; %bb.432:
	s_andn2_b64 vcc, exec, s[74:75]
	s_cbranch_vccnz .LBB122_437
; %bb.433:
	s_add_i32 s93, s93, 1
	s_cmp_eq_u32 s90, 2
	s_cbranch_scc1 .LBB122_438
; %bb.434:
	s_and_b32 s26, s93, 28
	v_mov_b32_e32 v4, 0
	s_mov_b32 s27, 0
	s_mov_b64 s[24:25], s[58:59]
	v_mov_b32_e32 v22, 0
	v_mov_b32_e32 v0, v24
.LBB122_435:                            ; =>This Inner Loop Header: Depth=1
	s_load_dwordx8 s[12:19], s[24:25], 0x4
	s_load_dwordx4 s[20:23], s[24:25], 0x24
	s_load_dwordx8 s[4:11], s[72:73], 0x0
	s_add_u32 s24, s24, 48
	s_addc_u32 s25, s25, 0
	s_waitcnt lgkmcnt(0)
	v_mul_hi_u32 v1, s13, v0
	s_add_i32 s27, s27, 4
	s_add_u32 s72, s72, 32
	s_addc_u32 s73, s73, 0
	v_add_u32_e32 v1, v0, v1
	v_lshrrev_b32_e32 v1, s14, v1
	v_mul_lo_u32 v2, v1, s12
	v_mul_hi_u32 v3, s16, v1
	s_cmp_eq_u32 s26, s27
	v_sub_u32_e32 v0, v0, v2
	v_add_u32_e32 v2, v1, v3
	v_mul_lo_u32 v3, v0, s4
	v_mul_lo_u32 v5, v0, s5
	v_lshrrev_b32_e32 v0, s17, v2
	v_mul_lo_u32 v2, v0, s15
	v_mul_hi_u32 v6, s19, v0
	v_sub_u32_e32 v1, v1, v2
	v_add_u32_e32 v2, v0, v6
	v_lshrrev_b32_e32 v2, s20, v2
	v_mul_hi_u32 v7, s22, v2
	v_mul_lo_u32 v8, v2, s18
	v_mul_lo_u32 v6, v1, s6
	;; [unrolled: 1-line block ×3, first 2 shown]
	v_sub_u32_e32 v8, v0, v8
	v_add_u32_e32 v0, v2, v7
	v_lshrrev_b32_e32 v0, s23, v0
	v_mul_lo_u32 v7, v0, s21
	v_mul_lo_u32 v9, v8, s8
	;; [unrolled: 1-line block ×3, first 2 shown]
	v_add3_u32 v3, v3, v22, v6
	v_sub_u32_e32 v2, v2, v7
	v_mul_lo_u32 v7, v2, s10
	v_mul_lo_u32 v2, v2, s11
	v_add3_u32 v1, v5, v4, v1
	v_add3_u32 v22, v9, v3, v7
	v_add3_u32 v4, v8, v1, v2
	s_cbranch_scc0 .LBB122_435
	s_branch .LBB122_439
.LBB122_436:
	s_mov_b64 s[4:5], -1
                                        ; implicit-def: $vgpr22
                                        ; implicit-def: $vgpr4
	s_branch .LBB122_443
.LBB122_437:
	v_mov_b32_e32 v22, 0
	v_mov_b32_e32 v4, 0
	s_branch .LBB122_442
.LBB122_438:
	s_mov_b32 s26, 0
	v_mov_b32_e32 v22, 0
	v_mov_b32_e32 v4, 0
	;; [unrolled: 1-line block ×3, first 2 shown]
.LBB122_439:
	s_and_b32 s8, s93, 3
	s_cmp_eq_u32 s8, 0
	s_cbranch_scc1 .LBB122_442
; %bb.440:
	s_lshl_b32 s4, s26, 3
	s_add_u32 s4, s58, s4
	s_addc_u32 s5, s59, 0
	s_add_u32 s4, s4, 0xc4
	s_addc_u32 s5, s5, 0
	s_mul_i32 s6, s26, 12
	s_add_u32 s6, s58, s6
	s_addc_u32 s7, s59, 0
.LBB122_441:                            ; =>This Inner Loop Header: Depth=1
	s_load_dwordx2 s[10:11], s[6:7], 0x4
	s_load_dword s9, s[6:7], 0xc
	s_load_dwordx2 s[12:13], s[4:5], 0x0
	s_add_u32 s6, s6, 12
	s_addc_u32 s7, s7, 0
	s_waitcnt lgkmcnt(0)
	v_mul_hi_u32 v1, s11, v0
	s_add_u32 s4, s4, 8
	s_addc_u32 s5, s5, 0
	s_add_i32 s8, s8, -1
	v_add_u32_e32 v1, v0, v1
	v_lshrrev_b32_e32 v1, s9, v1
	v_mul_lo_u32 v2, v1, s10
	s_cmp_lg_u32 s8, 0
	v_sub_u32_e32 v0, v0, v2
	v_mad_u64_u32 v[22:23], s[10:11], v0, s12, v[22:23]
	v_mad_u64_u32 v[4:5], s[10:11], v0, s13, v[4:5]
	v_mov_b32_e32 v0, v1
	s_cbranch_scc1 .LBB122_441
.LBB122_442:
	s_mov_b64 s[4:5], 0
.LBB122_443:
	s_andn2_b64 vcc, exec, s[4:5]
	s_cbranch_vccnz .LBB122_446
; %bb.444:
	v_mul_hi_u32 v0, s49, v24
	s_andn2_b64 vcc, exec, s[70:71]
	v_add_u32_e32 v0, v24, v0
	v_lshrrev_b32_e32 v0, s50, v0
	v_mul_lo_u32 v1, v0, s48
	v_sub_u32_e32 v1, v24, v1
	v_mul_lo_u32 v22, v1, s52
	v_mul_lo_u32 v4, v1, s53
	s_cbranch_vccnz .LBB122_446
; %bb.445:
	v_mul_hi_u32 v1, s68, v0
	v_add_u32_e32 v1, v0, v1
	v_lshrrev_b32_e32 v1, s69, v1
	v_mul_lo_u32 v1, v1, s51
	v_sub_u32_e32 v0, v0, v1
	v_mad_u64_u32 v[22:23], s[4:5], v0, s54, v[22:23]
	v_mad_u64_u32 v[4:5], s[4:5], v0, s55, v[4:5]
.LBB122_446:
	s_getpc_b64 s[4:5]
	s_add_u32 s4, s4, _ZN2at6native6invokeIZZZNS0_21polygamma_kernel_cudaERNS_18TensorIteratorBaseElENKUlvE_clEvENKUlvE2_clEvEUlN3c108BFloat16EE_j15function_traitsIS8_EEENT1_11result_typeERKT_PrKPcPKT0_PKNS6_10ScalarTypeEi@rel32@lo+4
	s_addc_u32 s5, s5, _ZN2at6native6invokeIZZZNS0_21polygamma_kernel_cudaERNS_18TensorIteratorBaseElENKUlvE_clEvENKUlvE2_clEvEUlN3c108BFloat16EE_j15function_traitsIS8_EEENT1_11result_typeERKT_PrKPcPKT0_PKNS6_10ScalarTypeEi@rel32@hi+12
	v_mov_b32_e32 v0, s66
	v_mov_b32_e32 v1, s67
	;; [unrolled: 1-line block ×5, first 2 shown]
	s_swappc_b64 s[30:31], s[4:5]
	v_mov_b32_e32 v2, s37
	s_and_b32 s14, s91, 0xff
	v_add_co_u32_e32 v1, vcc, s36, v22
	s_cmp_lt_i32 s14, 11
	v_addc_co_u32_e32 v2, vcc, 0, v2, vcc
	s_cbranch_scc1 .LBB122_463
; %bb.447:
	s_and_b32 s15, 0xffff, s14
	s_mov_b64 s[8:9], -1
	s_cmp_gt_i32 s15, 25
	s_mov_b64 s[4:5], s[86:87]
	s_cbranch_scc0 .LBB122_481
; %bb.448:
	s_mov_b64 s[6:7], -1
	s_cmp_gt_i32 s15, 28
	s_mov_b64 s[4:5], s[86:87]
	s_cbranch_scc0 .LBB122_465
; %bb.449:
	s_cmp_gt_i32 s15, 43
	s_mov_b64 s[4:5], s[86:87]
	s_cbranch_scc0 .LBB122_460
; %bb.450:
	s_cmp_gt_i32 s15, 45
	s_mov_b64 s[4:5], s[86:87]
	s_cbranch_scc0 .LBB122_454
; %bb.451:
	s_cmp_eq_u32 s15, 46
	s_mov_b64 s[4:5], -1
	s_cbranch_scc0 .LBB122_453
; %bb.452:
	v_and_b32_e32 v3, 0xffff, v0
	global_store_dword v[1:2], v3, off
	s_mov_b64 s[4:5], 0
.LBB122_453:
	s_mov_b64 s[6:7], 0
.LBB122_454:
	s_and_b64 vcc, exec, s[6:7]
	s_cbranch_vccz .LBB122_459
; %bb.455:
	s_cmp_eq_u32 s15, 44
	s_mov_b64 s[4:5], -1
	s_cbranch_scc0 .LBB122_459
; %bb.456:
	v_and_b32_e32 v4, 0xffff, v0
	v_bfe_u32 v3, v4, 7, 8
	s_movk_i32 s4, 0xff
	v_cmp_ne_u32_e32 vcc, s4, v3
	v_mov_b32_e32 v5, 0xff
	s_and_saveexec_b64 s[6:7], vcc
	s_cbranch_execz .LBB122_458
; %bb.457:
	v_lshlrev_b32_e32 v6, 16, v4
	s_mov_b32 s4, 0x3f0000
	v_lshrrev_b32_e32 v5, 7, v4
	v_and_b32_e32 v4, 64, v4
	v_and_or_b32 v3, v6, s4, v3
	v_cmp_ne_u32_e32 vcc, 0, v4
	v_cmp_ne_u32_e64 s[4:5], 0, v3
	s_and_b64 s[4:5], vcc, s[4:5]
	v_cndmask_b32_e64 v3, 0, 1, s[4:5]
	v_add_u32_e32 v5, v5, v3
.LBB122_458:
	s_or_b64 exec, exec, s[6:7]
	s_mov_b64 s[4:5], 0
	global_store_byte v[1:2], v5, off
.LBB122_459:
	s_mov_b64 s[6:7], 0
.LBB122_460:
	s_and_b64 vcc, exec, s[6:7]
	s_cbranch_vccz .LBB122_464
; %bb.461:
	s_cmp_eq_u32 s15, 29
	s_mov_b64 s[4:5], -1
	s_cbranch_scc0 .LBB122_464
; %bb.462:
	v_lshlrev_b32_e32 v3, 16, v0
	v_trunc_f32_e32 v3, v3
	v_mul_f32_e32 v4, 0x2f800000, v3
	v_floor_f32_e32 v5, v4
	v_fmac_f32_e32 v3, 0xcf800000, v5
	v_cvt_u32_f32_e32 v4, v5
	v_cvt_u32_f32_e32 v3, v3
	s_mov_b64 s[4:5], 0
	s_mov_b64 s[6:7], 0
	global_store_dwordx2 v[1:2], v[3:4], off
	s_branch .LBB122_465
.LBB122_463:
	s_mov_b64 s[8:9], 0
	s_mov_b64 s[6:7], -1
	s_mov_b64 s[4:5], s[86:87]
	s_branch .LBB122_522
.LBB122_464:
	s_mov_b64 s[6:7], 0
.LBB122_465:
	s_and_b64 vcc, exec, s[6:7]
	s_cbranch_vccz .LBB122_480
; %bb.466:
	s_cmp_lt_i32 s15, 27
	s_mov_b64 s[6:7], -1
	s_cbranch_scc1 .LBB122_472
; %bb.467:
	s_cmp_gt_i32 s15, 27
	s_cbranch_scc0 .LBB122_469
; %bb.468:
	v_lshlrev_b32_e32 v3, 16, v0
	v_cvt_u32_f32_e32 v3, v3
	s_mov_b64 s[6:7], 0
	global_store_dword v[1:2], v3, off
.LBB122_469:
	s_andn2_b64 vcc, exec, s[6:7]
	s_cbranch_vccnz .LBB122_471
; %bb.470:
	v_lshlrev_b32_e32 v3, 16, v0
	v_cvt_u32_f32_e32 v3, v3
	global_store_short v[1:2], v3, off
.LBB122_471:
	s_mov_b64 s[6:7], 0
.LBB122_472:
	s_andn2_b64 vcc, exec, s[6:7]
	s_cbranch_vccnz .LBB122_480
; %bb.473:
	v_lshlrev_b32_e32 v5, 16, v0
	v_and_b32_e32 v4, 0x7fffffff, v5
	s_mov_b32 s6, 0x43800000
	v_cmp_gt_u32_e32 vcc, s6, v4
	v_mov_b32_e32 v6, 0x80
	s_and_saveexec_b64 s[6:7], vcc
	s_cbranch_execz .LBB122_479
; %bb.474:
	s_mov_b32 s8, 0x3bffffff
	v_and_b32_e32 v3, 0xffff, v0
	v_cmp_lt_u32_e32 vcc, s8, v4
	s_mov_b64 s[8:9], 0
                                        ; implicit-def: $vgpr4
	s_and_saveexec_b64 s[10:11], vcc
	s_xor_b64 s[10:11], exec, s[10:11]
	s_cbranch_execz .LBB122_1121
; %bb.475:
	v_bfe_u32 v4, v3, 4, 1
	s_mov_b32 s12, 0x487ffff
	v_add3_u32 v4, v5, v4, s12
	s_mov_b64 s[8:9], exec
	v_lshrrev_b32_e32 v4, 20, v4
                                        ; implicit-def: $vgpr5
	s_andn2_saveexec_b64 s[10:11], s[10:11]
	s_cbranch_execnz .LBB122_1122
.LBB122_476:
	s_or_b64 exec, exec, s[10:11]
	v_mov_b32_e32 v6, 0
	s_and_saveexec_b64 s[10:11], s[8:9]
.LBB122_477:
	v_lshrrev_b32_e32 v3, 8, v3
	s_movk_i32 s8, 0x80
	v_and_or_b32 v6, v3, s8, v4
.LBB122_478:
	s_or_b64 exec, exec, s[10:11]
.LBB122_479:
	s_or_b64 exec, exec, s[6:7]
	global_store_byte v[1:2], v6, off
.LBB122_480:
	s_mov_b64 s[8:9], 0
.LBB122_481:
	s_mov_b64 s[6:7], 0
	s_and_b64 vcc, exec, s[8:9]
	s_cbranch_vccz .LBB122_521
; %bb.482:
	s_cmp_gt_i32 s15, 22
	s_mov_b64 s[8:9], -1
	s_cbranch_scc0 .LBB122_514
; %bb.483:
	s_cmp_lt_i32 s15, 24
	s_cbranch_scc1 .LBB122_503
; %bb.484:
	s_cmp_gt_i32 s15, 24
	s_cbranch_scc0 .LBB122_492
; %bb.485:
	v_lshlrev_b32_e32 v5, 16, v0
	v_and_b32_e32 v4, 0x7fffffff, v5
	s_mov_b32 s8, 0x47800000
	v_cmp_gt_u32_e32 vcc, s8, v4
	v_mov_b32_e32 v6, 0x80
	s_and_saveexec_b64 s[8:9], vcc
	s_cbranch_execz .LBB122_491
; %bb.486:
	s_mov_b32 s10, 0x37ffffff
	v_and_b32_e32 v3, 0xffff, v0
	v_cmp_lt_u32_e32 vcc, s10, v4
	s_mov_b64 s[10:11], 0
                                        ; implicit-def: $vgpr4
	s_and_saveexec_b64 s[12:13], vcc
	s_xor_b64 s[12:13], exec, s[12:13]
	s_cbranch_execz .LBB122_1125
; %bb.487:
	v_bfe_u32 v4, v3, 5, 1
	s_mov_b32 s16, 0x88fffff
	v_add3_u32 v4, v5, v4, s16
	s_mov_b64 s[10:11], exec
	v_lshrrev_b32_e32 v4, 21, v4
                                        ; implicit-def: $vgpr5
	s_andn2_saveexec_b64 s[12:13], s[12:13]
	s_cbranch_execnz .LBB122_1126
.LBB122_488:
	s_or_b64 exec, exec, s[12:13]
	v_mov_b32_e32 v6, 0
	s_and_saveexec_b64 s[12:13], s[10:11]
.LBB122_489:
	v_lshrrev_b32_e32 v3, 8, v3
	s_movk_i32 s10, 0x80
	v_and_or_b32 v6, v3, s10, v4
.LBB122_490:
	s_or_b64 exec, exec, s[12:13]
.LBB122_491:
	s_or_b64 exec, exec, s[8:9]
	s_mov_b64 s[8:9], 0
	global_store_byte v[1:2], v6, off
.LBB122_492:
	s_and_b64 vcc, exec, s[8:9]
	s_cbranch_vccz .LBB122_502
; %bb.493:
	v_lshlrev_b32_e32 v5, 16, v0
	v_and_b32_e32 v6, 0x7fffffff, v5
	s_mov_b32 s8, 0x43f00000
	v_and_b32_e32 v3, 0xffff, v0
	v_cmp_gt_u32_e32 vcc, s8, v6
                                        ; implicit-def: $vgpr4
	s_and_saveexec_b64 s[8:9], vcc
	s_xor_b64 s[8:9], exec, s[8:9]
	s_cbranch_execz .LBB122_499
; %bb.494:
	s_mov_b32 s10, 0x3c7fffff
	v_cmp_lt_u32_e32 vcc, s10, v6
                                        ; implicit-def: $vgpr4
	s_and_saveexec_b64 s[10:11], vcc
	s_xor_b64 s[10:11], exec, s[10:11]
; %bb.495:
	v_bfe_u32 v4, v3, 4, 1
	s_mov_b32 s12, 0x407ffff
	v_add3_u32 v4, v5, v4, s12
	v_lshrrev_b32_e32 v5, 20, v4
	v_and_b32_e32 v4, 0xff00000, v4
	s_mov_b32 s12, 0x7f00000
	v_mov_b32_e32 v6, 0x7e
	v_cmp_ne_u32_e32 vcc, s12, v4
	v_cndmask_b32_e32 v4, v6, v5, vcc
                                        ; implicit-def: $vgpr5
; %bb.496:
	s_andn2_saveexec_b64 s[10:11], s[10:11]
; %bb.497:
	s_mov_b32 s12, 0x46800000
	v_add_f32_e64 v4, |v5|, s12
; %bb.498:
	s_or_b64 exec, exec, s[10:11]
                                        ; implicit-def: $vgpr6
.LBB122_499:
	s_andn2_saveexec_b64 s[8:9], s[8:9]
; %bb.500:
	s_mov_b32 s10, 0x7f800000
	v_mov_b32_e32 v4, 0x7e
	v_mov_b32_e32 v5, 0x7f
	v_cmp_lt_u32_e32 vcc, s10, v6
	v_cndmask_b32_e32 v4, v4, v5, vcc
; %bb.501:
	s_or_b64 exec, exec, s[8:9]
	v_lshrrev_b32_e32 v3, 8, v3
	s_movk_i32 s8, 0x80
	v_and_or_b32 v3, v3, s8, v4
	global_store_byte v[1:2], v3, off
.LBB122_502:
	s_mov_b64 s[8:9], 0
.LBB122_503:
	s_andn2_b64 vcc, exec, s[8:9]
	s_cbranch_vccnz .LBB122_513
; %bb.504:
	v_lshlrev_b32_e32 v5, 16, v0
	v_and_b32_e32 v6, 0x7fffffff, v5
	s_mov_b32 s8, 0x47800000
	v_and_b32_e32 v3, 0xffff, v0
	v_cmp_gt_u32_e32 vcc, s8, v6
                                        ; implicit-def: $vgpr4
	s_and_saveexec_b64 s[8:9], vcc
	s_xor_b64 s[8:9], exec, s[8:9]
	s_cbranch_execz .LBB122_510
; %bb.505:
	s_mov_b32 s10, 0x387fffff
	v_cmp_lt_u32_e32 vcc, s10, v6
                                        ; implicit-def: $vgpr4
	s_and_saveexec_b64 s[10:11], vcc
	s_xor_b64 s[10:11], exec, s[10:11]
; %bb.506:
	v_bfe_u32 v4, v3, 5, 1
	s_mov_b32 s12, 0x80fffff
	v_add3_u32 v4, v5, v4, s12
	v_lshrrev_b32_e32 v4, 21, v4
                                        ; implicit-def: $vgpr5
; %bb.507:
	s_andn2_saveexec_b64 s[10:11], s[10:11]
; %bb.508:
	s_mov_b32 s12, 0x43000000
	v_add_f32_e64 v4, |v5|, s12
; %bb.509:
	s_or_b64 exec, exec, s[10:11]
                                        ; implicit-def: $vgpr6
.LBB122_510:
	s_andn2_saveexec_b64 s[8:9], s[8:9]
; %bb.511:
	s_mov_b32 s10, 0x7f800000
	v_mov_b32_e32 v4, 0x7c
	v_mov_b32_e32 v5, 0x7f
	v_cmp_lt_u32_e32 vcc, s10, v6
	v_cndmask_b32_e32 v4, v4, v5, vcc
; %bb.512:
	s_or_b64 exec, exec, s[8:9]
	v_lshrrev_b32_e32 v3, 8, v3
	s_movk_i32 s8, 0x80
	v_and_or_b32 v3, v3, s8, v4
	global_store_byte v[1:2], v3, off
.LBB122_513:
	s_mov_b64 s[8:9], 0
.LBB122_514:
	s_andn2_b64 vcc, exec, s[8:9]
	s_mov_b64 s[8:9], 0
	s_cbranch_vccnz .LBB122_522
; %bb.515:
	s_cmp_gt_i32 s15, 14
	s_mov_b64 s[10:11], -1
	s_cbranch_scc0 .LBB122_519
; %bb.516:
	s_cmp_eq_u32 s15, 15
	s_mov_b64 s[4:5], -1
	s_cbranch_scc0 .LBB122_518
; %bb.517:
	global_store_short v[1:2], v0, off
	s_mov_b64 s[4:5], 0
.LBB122_518:
	s_mov_b64 s[10:11], 0
.LBB122_519:
	s_and_b64 vcc, exec, s[10:11]
	s_cbranch_vccz .LBB122_522
; %bb.520:
	s_cmp_lg_u32 s15, 11
	s_cselect_b64 s[10:11], -1, 0
	s_andn2_b64 s[4:5], s[4:5], exec
	s_and_b64 s[10:11], s[10:11], exec
	s_mov_b64 s[8:9], -1
	s_or_b64 s[4:5], s[4:5], s[10:11]
	s_branch .LBB122_522
.LBB122_521:
	s_mov_b64 s[8:9], 0
.LBB122_522:
	s_and_b64 s[10:11], s[6:7], exec
	s_and_b64 s[6:7], s[8:9], exec
	s_andn2_b64 s[8:9], s[86:87], exec
	s_and_b64 s[4:5], s[4:5], exec
	s_or_b64 s[8:9], s[8:9], s[4:5]
.LBB122_523:
	s_or_b64 exec, exec, s[88:89]
	s_and_b64 s[4:5], s[6:7], exec
	s_andn2_b64 s[6:7], s[86:87], exec
	s_and_b64 s[8:9], s[8:9], exec
	s_and_b64 s[10:11], s[10:11], exec
	s_or_b64 s[86:87], s[6:7], s[8:9]
.LBB122_524:
	s_or_b64 exec, exec, s[84:85]
	s_and_b64 s[6:7], s[10:11], exec
	s_andn2_b64 s[8:9], s[80:81], exec
	s_and_b64 s[10:11], s[86:87], exec
	s_and_b64 s[4:5], s[4:5], exec
	s_or_b64 s[80:81], s[8:9], s[10:11]
.LBB122_525:
	s_or_b64 exec, exec, s[82:83]
	s_and_b64 s[82:83], s[4:5], exec
	s_andn2_b64 s[4:5], s[76:77], exec
	s_and_b64 s[8:9], s[80:81], exec
	s_and_b64 s[6:7], s[6:7], exec
	s_or_b64 s[76:77], s[4:5], s[8:9]
	s_or_b64 exec, exec, s[78:79]
	s_mov_b64 s[4:5], 0
	s_and_saveexec_b64 s[8:9], s[76:77]
	s_cbranch_execz .LBB122_146
.LBB122_526:
	s_mov_b64 s[4:5], exec
	s_andn2_b64 s[82:83], s[82:83], exec
	s_trap 2
	s_or_b64 exec, exec, s[8:9]
	s_and_saveexec_b64 s[8:9], s[82:83]
	s_xor_b64 s[8:9], exec, s[8:9]
	s_cbranch_execnz .LBB122_147
.LBB122_527:
	s_or_b64 exec, exec, s[8:9]
	s_and_saveexec_b64 s[8:9], s[6:7]
	s_xor_b64 s[6:7], exec, s[8:9]
	s_cbranch_execz .LBB122_565
.LBB122_528:
	s_sext_i32_i16 s10, s14
	s_cmp_lt_i32 s10, 5
	s_mov_b64 s[8:9], -1
	s_cbranch_scc1 .LBB122_549
; %bb.529:
	s_cmp_lt_i32 s10, 8
	s_cbranch_scc1 .LBB122_539
; %bb.530:
	s_cmp_lt_i32 s10, 9
	s_cbranch_scc1 .LBB122_536
; %bb.531:
	s_cmp_gt_i32 s10, 9
	s_cbranch_scc0 .LBB122_533
; %bb.532:
	v_lshlrev_b32_e32 v3, 16, v0
	v_cvt_f64_f32_e32 v[3:4], v3
	v_mov_b32_e32 v5, 0
	v_mov_b32_e32 v6, v5
	s_mov_b64 s[8:9], 0
	global_store_dwordx4 v[1:2], v[3:6], off
.LBB122_533:
	s_andn2_b64 vcc, exec, s[8:9]
	s_cbranch_vccnz .LBB122_535
; %bb.534:
	v_lshlrev_b32_e32 v3, 16, v0
	v_mov_b32_e32 v4, 0
	global_store_dwordx2 v[1:2], v[3:4], off
.LBB122_535:
	s_mov_b64 s[8:9], 0
.LBB122_536:
	s_andn2_b64 vcc, exec, s[8:9]
	s_cbranch_vccnz .LBB122_538
; %bb.537:
	v_lshlrev_b32_e32 v3, 16, v0
	v_cvt_f16_f32_e32 v3, v3
	global_store_dword v[1:2], v3, off
.LBB122_538:
	s_mov_b64 s[8:9], 0
.LBB122_539:
	s_andn2_b64 vcc, exec, s[8:9]
	s_cbranch_vccnz .LBB122_548
; %bb.540:
	s_sext_i32_i16 s10, s14
	s_cmp_lt_i32 s10, 6
	s_mov_b64 s[8:9], -1
	s_cbranch_scc1 .LBB122_546
; %bb.541:
	s_cmp_gt_i32 s10, 6
	s_cbranch_scc0 .LBB122_543
; %bb.542:
	v_lshlrev_b32_e32 v3, 16, v0
	v_cvt_f64_f32_e32 v[3:4], v3
	s_mov_b64 s[8:9], 0
	global_store_dwordx2 v[1:2], v[3:4], off
.LBB122_543:
	s_andn2_b64 vcc, exec, s[8:9]
	s_cbranch_vccnz .LBB122_545
; %bb.544:
	v_lshlrev_b32_e32 v3, 16, v0
	global_store_dword v[1:2], v3, off
.LBB122_545:
	s_mov_b64 s[8:9], 0
.LBB122_546:
	s_andn2_b64 vcc, exec, s[8:9]
	s_cbranch_vccnz .LBB122_548
; %bb.547:
	v_lshlrev_b32_e32 v3, 16, v0
	v_cvt_f16_f32_e32 v3, v3
	global_store_short v[1:2], v3, off
.LBB122_548:
	s_mov_b64 s[8:9], 0
.LBB122_549:
	s_andn2_b64 vcc, exec, s[8:9]
	s_cbranch_vccnz .LBB122_565
; %bb.550:
	s_sext_i32_i16 s10, s14
	s_cmp_lt_i32 s10, 2
	s_mov_b64 s[8:9], -1
	s_cbranch_scc1 .LBB122_560
; %bb.551:
	s_cmp_lt_i32 s10, 3
	s_cbranch_scc1 .LBB122_557
; %bb.552:
	s_cmp_gt_i32 s10, 3
	s_cbranch_scc0 .LBB122_554
; %bb.553:
	v_lshlrev_b32_e32 v3, 16, v0
	v_trunc_f32_e32 v3, v3
	s_mov_b32 s8, 0x2f800000
	v_mul_f32_e64 v4, |v3|, s8
	v_floor_f32_e32 v4, v4
	s_mov_b32 s8, 0xcf800000
	v_cvt_u32_f32_e32 v5, v4
	v_fma_f32 v4, v4, s8, |v3|
	v_cvt_u32_f32_e32 v4, v4
	v_ashrrev_i32_e32 v6, 31, v3
	v_xor_b32_e32 v5, v5, v6
	s_mov_b64 s[8:9], 0
	v_xor_b32_e32 v3, v4, v6
	v_sub_co_u32_e32 v3, vcc, v3, v6
	v_subb_co_u32_e32 v4, vcc, v5, v6, vcc
	global_store_dwordx2 v[1:2], v[3:4], off
.LBB122_554:
	s_andn2_b64 vcc, exec, s[8:9]
	s_cbranch_vccnz .LBB122_556
; %bb.555:
	v_lshlrev_b32_e32 v3, 16, v0
	v_cvt_i32_f32_e32 v3, v3
	global_store_dword v[1:2], v3, off
.LBB122_556:
	s_mov_b64 s[8:9], 0
.LBB122_557:
	s_andn2_b64 vcc, exec, s[8:9]
	s_cbranch_vccnz .LBB122_559
; %bb.558:
	v_lshlrev_b32_e32 v3, 16, v0
	v_cvt_i32_f32_e32 v3, v3
	global_store_short v[1:2], v3, off
.LBB122_559:
	s_mov_b64 s[8:9], 0
.LBB122_560:
	s_andn2_b64 vcc, exec, s[8:9]
	s_cbranch_vccnz .LBB122_565
; %bb.561:
	s_sext_i32_i16 s8, s14
	s_cmp_gt_i32 s8, 0
	s_mov_b64 s[8:9], -1
	s_cbranch_scc0 .LBB122_563
; %bb.562:
	v_lshlrev_b32_e32 v3, 16, v0
	v_cvt_i32_f32_e32 v3, v3
	s_mov_b64 s[8:9], 0
	global_store_byte v[1:2], v3, off
.LBB122_563:
	s_andn2_b64 vcc, exec, s[8:9]
	s_cbranch_vccnz .LBB122_565
; %bb.564:
	v_lshlrev_b32_e32 v0, 16, v0
	v_trunc_f32_e32 v0, v0
	s_mov_b32 s8, 0x2f800000
	v_mul_f32_e64 v3, |v0|, s8
	v_floor_f32_e32 v3, v3
	s_mov_b32 s8, 0xcf800000
	v_fma_f32 v3, v3, s8, |v0|
	v_cvt_u32_f32_e32 v3, v3
	v_ashrrev_i32_e32 v0, 31, v0
	v_xor_b32_e32 v3, v3, v0
	v_sub_u32_e32 v0, v3, v0
	global_store_byte v[1:2], v0, off
.LBB122_565:
	s_or_b64 exec, exec, s[6:7]
	s_and_b64 s[48:49], s[4:5], exec
                                        ; implicit-def: $vgpr3
                                        ; implicit-def: $vgpr24
.LBB122_566:
	s_or_saveexec_b64 s[50:51], s[64:65]
	s_mov_b64 s[4:5], 0
                                        ; implicit-def: $sgpr16
                                        ; implicit-def: $vgpr1_vgpr2
                                        ; implicit-def: $vgpr0
	s_xor_b64 exec, exec, s[50:51]
	s_cbranch_execz .LBB122_1055
; %bb.567:
	v_cndmask_b32_e64 v0, 0, 1, s[62:63]
	v_cmp_ne_u32_e64 s[4:5], 1, v0
	s_andn2_b64 vcc, exec, s[62:63]
	s_cbranch_vccnz .LBB122_573
; %bb.568:
	s_cmp_lg_u32 s33, 0
	s_mov_b32 s30, 0
	s_cbranch_scc0 .LBB122_574
; %bb.569:
	s_min_u32 s31, s90, 15
	s_add_i32 s31, s31, 1
	s_cmp_eq_u32 s90, 2
	s_cbranch_scc1 .LBB122_575
; %bb.570:
	s_and_b32 s30, s31, 28
	s_add_u32 s6, s58, 0xc4
	s_addc_u32 s7, s59, 0
	v_mov_b32_e32 v4, 0
	s_mov_b32 s36, 0
	s_mov_b64 s[28:29], s[58:59]
	v_mov_b32_e32 v33, 0
	v_mov_b32_e32 v0, v24
.LBB122_571:                            ; =>This Inner Loop Header: Depth=1
	s_load_dwordx8 s[16:23], s[28:29], 0x4
	s_load_dwordx4 s[24:27], s[28:29], 0x24
	s_load_dwordx8 s[8:15], s[6:7], 0x0
	s_add_u32 s28, s28, 48
	s_addc_u32 s29, s29, 0
	s_waitcnt lgkmcnt(0)
	v_mul_hi_u32 v1, s17, v0
	s_add_i32 s36, s36, 4
	s_add_u32 s6, s6, 32
	s_addc_u32 s7, s7, 0
	v_add_u32_e32 v1, v0, v1
	v_lshrrev_b32_e32 v1, s18, v1
	v_mul_lo_u32 v2, v1, s16
	v_mul_hi_u32 v5, s20, v1
	s_cmp_lg_u32 s30, s36
	v_sub_u32_e32 v0, v0, v2
	v_add_u32_e32 v2, v1, v5
	v_mul_lo_u32 v5, v0, s8
	v_mul_lo_u32 v6, v0, s9
	v_lshrrev_b32_e32 v0, s21, v2
	v_mul_lo_u32 v2, v0, s19
	v_mul_hi_u32 v7, s23, v0
	v_sub_u32_e32 v1, v1, v2
	v_add_u32_e32 v2, v0, v7
	v_lshrrev_b32_e32 v2, s24, v2
	v_mul_hi_u32 v8, s26, v2
	v_mul_lo_u32 v9, v2, s22
	v_mul_lo_u32 v7, v1, s10
	v_mul_lo_u32 v1, v1, s11
	v_sub_u32_e32 v9, v0, v9
	v_add_u32_e32 v0, v2, v8
	v_lshrrev_b32_e32 v0, s27, v0
	v_mul_lo_u32 v8, v0, s25
	v_mul_lo_u32 v10, v9, s12
	;; [unrolled: 1-line block ×3, first 2 shown]
	v_add3_u32 v5, v5, v33, v7
	v_sub_u32_e32 v2, v2, v8
	v_mul_lo_u32 v8, v2, s14
	v_mul_lo_u32 v2, v2, s15
	v_add3_u32 v1, v6, v4, v1
	v_add3_u32 v33, v10, v5, v8
	;; [unrolled: 1-line block ×3, first 2 shown]
	s_cbranch_scc1 .LBB122_571
; %bb.572:
	s_and_b32 s10, s31, 3
	s_cmp_eq_u32 s10, 0
	s_cbranch_scc0 .LBB122_576
	s_branch .LBB122_578
.LBB122_573:
                                        ; implicit-def: $vgpr33
                                        ; implicit-def: $vgpr4
	s_branch .LBB122_579
.LBB122_574:
	v_mov_b32_e32 v33, 0
	v_mov_b32_e32 v4, 0
	s_branch .LBB122_578
.LBB122_575:
	v_mov_b32_e32 v33, 0
	v_mov_b32_e32 v4, 0
	;; [unrolled: 1-line block ×3, first 2 shown]
	s_and_b32 s10, s31, 3
	s_cmp_eq_u32 s10, 0
	s_cbranch_scc1 .LBB122_578
.LBB122_576:
	s_lshl_b32 s6, s30, 3
	s_add_u32 s6, s58, s6
	s_addc_u32 s7, s59, 0
	s_add_u32 s6, s6, 0xc4
	s_addc_u32 s7, s7, 0
	s_mul_i32 s8, s30, 12
	s_add_u32 s8, s58, s8
	s_addc_u32 s9, s59, 0
.LBB122_577:                            ; =>This Inner Loop Header: Depth=1
	s_load_dwordx2 s[12:13], s[8:9], 0x4
	s_load_dword s11, s[8:9], 0xc
	s_load_dwordx2 s[14:15], s[6:7], 0x0
	s_add_u32 s8, s8, 12
	s_addc_u32 s9, s9, 0
	s_waitcnt lgkmcnt(0)
	v_mul_hi_u32 v1, s13, v0
	s_add_u32 s6, s6, 8
	s_addc_u32 s7, s7, 0
	s_add_i32 s10, s10, -1
	v_add_u32_e32 v1, v0, v1
	v_lshrrev_b32_e32 v1, s11, v1
	v_mul_lo_u32 v2, v1, s12
	s_cmp_lg_u32 s10, 0
	v_sub_u32_e32 v0, v0, v2
	v_mad_u64_u32 v[33:34], s[12:13], v0, s14, v[33:34]
	v_mad_u64_u32 v[4:5], s[12:13], v0, s15, v[4:5]
	v_mov_b32_e32 v0, v1
	s_cbranch_scc1 .LBB122_577
.LBB122_578:
	s_cbranch_execnz .LBB122_581
.LBB122_579:
	s_load_dwordx4 s[8:11], s[58:59], 0x4
	s_load_dwordx2 s[6:7], s[58:59], 0xc4
	s_cmp_lt_u32 s33, 2
	s_waitcnt lgkmcnt(0)
	v_mul_hi_u32 v0, s9, v24
	v_add_u32_e32 v0, v24, v0
	v_lshrrev_b32_e32 v0, s10, v0
	v_mul_lo_u32 v1, v0, s8
	v_sub_u32_e32 v1, v24, v1
	v_mul_lo_u32 v33, v1, s6
	v_mul_lo_u32 v4, v1, s7
	s_cbranch_scc1 .LBB122_581
; %bb.580:
	s_load_dwordx4 s[8:11], s[58:59], 0x10
	s_load_dwordx2 s[6:7], s[58:59], 0xcc
	s_waitcnt lgkmcnt(0)
	v_mul_hi_u32 v1, s9, v0
	v_add_u32_e32 v1, v0, v1
	v_lshrrev_b32_e32 v1, s10, v1
	v_mul_lo_u32 v1, v1, s8
	v_sub_u32_e32 v0, v0, v1
	v_mad_u64_u32 v[33:34], s[8:9], v0, s6, v[33:34]
	v_mad_u64_u32 v[4:5], s[6:7], v0, s7, v[4:5]
.LBB122_581:
	s_and_b64 vcc, exec, s[4:5]
	v_add_u32_e32 v0, 0x80, v24
	s_cbranch_vccnz .LBB122_587
; %bb.582:
	s_cmp_lg_u32 s33, 0
	s_mov_b32 s30, 0
	s_cbranch_scc0 .LBB122_588
; %bb.583:
	s_min_u32 s31, s90, 15
	s_add_i32 s31, s31, 1
	s_cmp_eq_u32 s90, 2
	s_cbranch_scc1 .LBB122_589
; %bb.584:
	s_and_b32 s30, s31, 28
	s_add_u32 s6, s58, 0xc4
	s_addc_u32 s7, s59, 0
	v_mov_b32_e32 v22, 0
	s_mov_b32 s36, 0
	s_mov_b64 s[28:29], s[58:59]
	v_mov_b32_e32 v31, 0
	v_mov_b32_e32 v1, v0
.LBB122_585:                            ; =>This Inner Loop Header: Depth=1
	s_load_dwordx8 s[16:23], s[28:29], 0x4
	s_load_dwordx4 s[24:27], s[28:29], 0x24
	s_load_dwordx8 s[8:15], s[6:7], 0x0
	s_add_u32 s28, s28, 48
	s_addc_u32 s29, s29, 0
	s_waitcnt lgkmcnt(0)
	v_mul_hi_u32 v2, s17, v1
	s_add_i32 s36, s36, 4
	s_add_u32 s6, s6, 32
	s_addc_u32 s7, s7, 0
	v_add_u32_e32 v2, v1, v2
	v_lshrrev_b32_e32 v2, s18, v2
	v_mul_lo_u32 v5, v2, s16
	v_mul_hi_u32 v6, s20, v2
	s_cmp_lg_u32 s30, s36
	v_sub_u32_e32 v1, v1, v5
	v_add_u32_e32 v5, v2, v6
	v_mul_lo_u32 v6, v1, s8
	v_mul_lo_u32 v7, v1, s9
	v_lshrrev_b32_e32 v1, s21, v5
	v_mul_lo_u32 v5, v1, s19
	v_mul_hi_u32 v8, s23, v1
	v_sub_u32_e32 v2, v2, v5
	v_add_u32_e32 v5, v1, v8
	v_lshrrev_b32_e32 v5, s24, v5
	v_mul_hi_u32 v9, s26, v5
	v_mul_lo_u32 v10, v5, s22
	v_mul_lo_u32 v8, v2, s10
	;; [unrolled: 1-line block ×3, first 2 shown]
	v_sub_u32_e32 v10, v1, v10
	v_add_u32_e32 v1, v5, v9
	v_lshrrev_b32_e32 v1, s27, v1
	v_mul_lo_u32 v9, v1, s25
	v_mul_lo_u32 v11, v10, s12
	;; [unrolled: 1-line block ×3, first 2 shown]
	v_add3_u32 v6, v6, v31, v8
	v_sub_u32_e32 v5, v5, v9
	v_mul_lo_u32 v9, v5, s14
	v_mul_lo_u32 v5, v5, s15
	v_add3_u32 v2, v7, v22, v2
	v_add3_u32 v31, v11, v6, v9
	;; [unrolled: 1-line block ×3, first 2 shown]
	s_cbranch_scc1 .LBB122_585
; %bb.586:
	s_and_b32 s10, s31, 3
	s_cmp_eq_u32 s10, 0
	s_cbranch_scc0 .LBB122_590
	s_branch .LBB122_592
.LBB122_587:
                                        ; implicit-def: $vgpr31
                                        ; implicit-def: $vgpr22
	s_branch .LBB122_593
.LBB122_588:
	v_mov_b32_e32 v31, 0
	v_mov_b32_e32 v22, 0
	s_branch .LBB122_592
.LBB122_589:
	v_mov_b32_e32 v31, 0
	v_mov_b32_e32 v22, 0
	;; [unrolled: 1-line block ×3, first 2 shown]
	s_and_b32 s10, s31, 3
	s_cmp_eq_u32 s10, 0
	s_cbranch_scc1 .LBB122_592
.LBB122_590:
	s_lshl_b32 s6, s30, 3
	s_add_u32 s6, s58, s6
	s_addc_u32 s7, s59, 0
	s_add_u32 s6, s6, 0xc4
	s_addc_u32 s7, s7, 0
	s_mul_i32 s8, s30, 12
	s_add_u32 s8, s58, s8
	s_addc_u32 s9, s59, 0
.LBB122_591:                            ; =>This Inner Loop Header: Depth=1
	s_load_dwordx2 s[12:13], s[8:9], 0x4
	s_load_dword s11, s[8:9], 0xc
	s_load_dwordx2 s[14:15], s[6:7], 0x0
	s_add_u32 s8, s8, 12
	s_addc_u32 s9, s9, 0
	s_waitcnt lgkmcnt(0)
	v_mul_hi_u32 v2, s13, v1
	s_add_u32 s6, s6, 8
	s_addc_u32 s7, s7, 0
	s_add_i32 s10, s10, -1
	v_add_u32_e32 v2, v1, v2
	v_lshrrev_b32_e32 v2, s11, v2
	v_mul_lo_u32 v5, v2, s12
	s_cmp_lg_u32 s10, 0
	v_sub_u32_e32 v1, v1, v5
	v_mad_u64_u32 v[31:32], s[12:13], v1, s14, v[31:32]
	v_mad_u64_u32 v[22:23], s[12:13], v1, s15, v[22:23]
	v_mov_b32_e32 v1, v2
	s_cbranch_scc1 .LBB122_591
.LBB122_592:
	s_cbranch_execnz .LBB122_595
.LBB122_593:
	s_load_dwordx4 s[8:11], s[58:59], 0x4
	s_load_dwordx2 s[6:7], s[58:59], 0xc4
	s_cmp_lt_u32 s33, 2
	s_waitcnt lgkmcnt(0)
	v_mul_hi_u32 v1, s9, v0
	v_add_u32_e32 v1, v0, v1
	v_lshrrev_b32_e32 v1, s10, v1
	v_mul_lo_u32 v2, v1, s8
	v_sub_u32_e32 v0, v0, v2
	v_mul_lo_u32 v31, v0, s6
	v_mul_lo_u32 v22, v0, s7
	s_cbranch_scc1 .LBB122_595
; %bb.594:
	s_load_dwordx4 s[8:11], s[58:59], 0x10
	s_load_dwordx2 s[6:7], s[58:59], 0xcc
	s_waitcnt lgkmcnt(0)
	v_mul_hi_u32 v0, s9, v1
	v_add_u32_e32 v0, v1, v0
	v_lshrrev_b32_e32 v0, s10, v0
	v_mul_lo_u32 v0, v0, s8
	v_sub_u32_e32 v0, v1, v0
	v_mad_u64_u32 v[31:32], s[8:9], v0, s6, v[31:32]
	v_mad_u64_u32 v[22:23], s[6:7], v0, s7, v[22:23]
.LBB122_595:
	s_and_b64 vcc, exec, s[4:5]
	v_add_u32_e32 v0, 0x100, v24
	s_cbranch_vccnz .LBB122_601
; %bb.596:
	s_cmp_lg_u32 s33, 0
	s_mov_b32 s30, 0
	s_cbranch_scc0 .LBB122_602
; %bb.597:
	s_min_u32 s31, s90, 15
	s_add_i32 s31, s31, 1
	s_cmp_eq_u32 s90, 2
	s_cbranch_scc1 .LBB122_603
; %bb.598:
	s_and_b32 s30, s31, 28
	s_add_u32 s6, s58, 0xc4
	s_addc_u32 s7, s59, 0
	v_mov_b32_e32 v23, 0
	s_mov_b32 s36, 0
	s_mov_b64 s[28:29], s[58:59]
	v_mov_b32_e32 v29, 0
	v_mov_b32_e32 v1, v0
.LBB122_599:                            ; =>This Inner Loop Header: Depth=1
	s_load_dwordx8 s[16:23], s[28:29], 0x4
	s_load_dwordx4 s[24:27], s[28:29], 0x24
	s_load_dwordx8 s[8:15], s[6:7], 0x0
	s_add_u32 s28, s28, 48
	s_addc_u32 s29, s29, 0
	s_waitcnt lgkmcnt(0)
	v_mul_hi_u32 v2, s17, v1
	s_add_i32 s36, s36, 4
	s_add_u32 s6, s6, 32
	s_addc_u32 s7, s7, 0
	v_add_u32_e32 v2, v1, v2
	v_lshrrev_b32_e32 v2, s18, v2
	v_mul_lo_u32 v5, v2, s16
	v_mul_hi_u32 v6, s20, v2
	s_cmp_lg_u32 s30, s36
	v_sub_u32_e32 v1, v1, v5
	v_add_u32_e32 v5, v2, v6
	v_mul_lo_u32 v6, v1, s8
	v_mul_lo_u32 v7, v1, s9
	v_lshrrev_b32_e32 v1, s21, v5
	v_mul_lo_u32 v5, v1, s19
	v_mul_hi_u32 v8, s23, v1
	v_sub_u32_e32 v2, v2, v5
	v_add_u32_e32 v5, v1, v8
	v_lshrrev_b32_e32 v5, s24, v5
	v_mul_hi_u32 v9, s26, v5
	v_mul_lo_u32 v10, v5, s22
	v_mul_lo_u32 v8, v2, s10
	;; [unrolled: 1-line block ×3, first 2 shown]
	v_sub_u32_e32 v10, v1, v10
	v_add_u32_e32 v1, v5, v9
	v_lshrrev_b32_e32 v1, s27, v1
	v_mul_lo_u32 v9, v1, s25
	v_mul_lo_u32 v11, v10, s12
	;; [unrolled: 1-line block ×3, first 2 shown]
	v_add3_u32 v6, v6, v29, v8
	v_sub_u32_e32 v5, v5, v9
	v_mul_lo_u32 v9, v5, s14
	v_mul_lo_u32 v5, v5, s15
	v_add3_u32 v2, v7, v23, v2
	v_add3_u32 v29, v11, v6, v9
	v_add3_u32 v23, v10, v2, v5
	s_cbranch_scc1 .LBB122_599
; %bb.600:
	s_and_b32 s10, s31, 3
	s_cmp_eq_u32 s10, 0
	s_cbranch_scc0 .LBB122_604
	s_branch .LBB122_606
.LBB122_601:
                                        ; implicit-def: $vgpr29
                                        ; implicit-def: $vgpr23
	s_branch .LBB122_607
.LBB122_602:
	v_mov_b32_e32 v29, 0
	v_mov_b32_e32 v23, 0
	s_branch .LBB122_606
.LBB122_603:
	v_mov_b32_e32 v29, 0
	v_mov_b32_e32 v23, 0
	;; [unrolled: 1-line block ×3, first 2 shown]
	s_and_b32 s10, s31, 3
	s_cmp_eq_u32 s10, 0
	s_cbranch_scc1 .LBB122_606
.LBB122_604:
	s_lshl_b32 s6, s30, 3
	s_add_u32 s6, s58, s6
	s_addc_u32 s7, s59, 0
	s_add_u32 s6, s6, 0xc4
	s_addc_u32 s7, s7, 0
	s_mul_i32 s8, s30, 12
	s_add_u32 s8, s58, s8
	s_addc_u32 s9, s59, 0
.LBB122_605:                            ; =>This Inner Loop Header: Depth=1
	s_load_dwordx2 s[12:13], s[8:9], 0x4
	s_load_dword s11, s[8:9], 0xc
	s_load_dwordx2 s[14:15], s[6:7], 0x0
	s_add_u32 s8, s8, 12
	s_addc_u32 s9, s9, 0
	s_waitcnt lgkmcnt(0)
	v_mul_hi_u32 v2, s13, v1
	s_add_u32 s6, s6, 8
	s_addc_u32 s7, s7, 0
	s_add_i32 s10, s10, -1
	v_add_u32_e32 v2, v1, v2
	v_lshrrev_b32_e32 v2, s11, v2
	v_mul_lo_u32 v5, v2, s12
	s_cmp_lg_u32 s10, 0
	v_sub_u32_e32 v1, v1, v5
	v_mad_u64_u32 v[29:30], s[12:13], v1, s14, v[29:30]
	v_mad_u64_u32 v[23:24], s[12:13], v1, s15, v[23:24]
	v_mov_b32_e32 v1, v2
	s_cbranch_scc1 .LBB122_605
.LBB122_606:
	s_cbranch_execnz .LBB122_609
.LBB122_607:
	s_load_dwordx4 s[8:11], s[58:59], 0x4
	s_load_dwordx2 s[6:7], s[58:59], 0xc4
	s_cmp_lt_u32 s33, 2
	s_waitcnt lgkmcnt(0)
	v_mul_hi_u32 v1, s9, v0
	v_add_u32_e32 v1, v0, v1
	v_lshrrev_b32_e32 v1, s10, v1
	v_mul_lo_u32 v2, v1, s8
	v_sub_u32_e32 v0, v0, v2
	v_mul_lo_u32 v29, v0, s6
	v_mul_lo_u32 v23, v0, s7
	s_cbranch_scc1 .LBB122_609
; %bb.608:
	s_load_dwordx4 s[8:11], s[58:59], 0x10
	s_load_dwordx2 s[6:7], s[58:59], 0xcc
	s_waitcnt lgkmcnt(0)
	v_mul_hi_u32 v0, s9, v1
	v_add_u32_e32 v0, v1, v0
	v_lshrrev_b32_e32 v0, s10, v0
	v_mul_lo_u32 v0, v0, s8
	v_sub_u32_e32 v0, v1, v0
	v_mad_u64_u32 v[29:30], s[8:9], v0, s6, v[29:30]
	v_mad_u64_u32 v[23:24], s[6:7], v0, s7, v[23:24]
.LBB122_609:
	s_and_b64 vcc, exec, s[4:5]
	s_cbranch_vccnz .LBB122_615
; %bb.610:
	s_cmp_lg_u32 s33, 0
	s_mov_b32 s28, 0
	s_cbranch_scc0 .LBB122_616
; %bb.611:
	s_min_u32 s29, s90, 15
	s_add_i32 s29, s29, 1
	s_cmp_eq_u32 s90, 2
	s_cbranch_scc1 .LBB122_617
; %bb.612:
	s_and_b32 s28, s29, 28
	s_add_u32 s24, s58, 0xc4
	s_addc_u32 s25, s59, 0
	v_mov_b32_e32 v24, 0
	s_mov_b32 s30, 0
	s_mov_b64 s[26:27], s[58:59]
	v_mov_b32_e32 v27, 0
	v_mov_b32_e32 v0, v3
.LBB122_613:                            ; =>This Inner Loop Header: Depth=1
	s_load_dwordx8 s[12:19], s[26:27], 0x4
	s_load_dwordx4 s[20:23], s[26:27], 0x24
	s_load_dwordx8 s[4:11], s[24:25], 0x0
	s_add_u32 s26, s26, 48
	s_addc_u32 s27, s27, 0
	s_waitcnt lgkmcnt(0)
	v_mul_hi_u32 v1, s13, v0
	s_add_i32 s30, s30, 4
	s_add_u32 s24, s24, 32
	s_addc_u32 s25, s25, 0
	v_add_u32_e32 v1, v0, v1
	v_lshrrev_b32_e32 v1, s14, v1
	v_mul_lo_u32 v2, v1, s12
	v_mul_hi_u32 v5, s16, v1
	s_cmp_lg_u32 s28, s30
	v_sub_u32_e32 v0, v0, v2
	v_add_u32_e32 v2, v1, v5
	v_mul_lo_u32 v5, v0, s4
	v_mul_lo_u32 v6, v0, s5
	v_lshrrev_b32_e32 v0, s17, v2
	v_mul_lo_u32 v2, v0, s15
	v_mul_hi_u32 v7, s19, v0
	v_sub_u32_e32 v1, v1, v2
	v_add_u32_e32 v2, v0, v7
	v_lshrrev_b32_e32 v2, s20, v2
	v_mul_hi_u32 v8, s22, v2
	v_mul_lo_u32 v9, v2, s18
	v_mul_lo_u32 v7, v1, s6
	;; [unrolled: 1-line block ×3, first 2 shown]
	v_sub_u32_e32 v9, v0, v9
	v_add_u32_e32 v0, v2, v8
	v_lshrrev_b32_e32 v0, s23, v0
	v_mul_lo_u32 v8, v0, s21
	v_mul_lo_u32 v10, v9, s8
	v_mul_lo_u32 v9, v9, s9
	v_add3_u32 v5, v5, v27, v7
	v_sub_u32_e32 v2, v2, v8
	v_mul_lo_u32 v8, v2, s10
	v_mul_lo_u32 v2, v2, s11
	v_add3_u32 v1, v6, v24, v1
	v_add3_u32 v27, v10, v5, v8
	;; [unrolled: 1-line block ×3, first 2 shown]
	s_cbranch_scc1 .LBB122_613
; %bb.614:
	s_and_b32 s8, s29, 3
	s_cmp_eq_u32 s8, 0
	s_cbranch_scc0 .LBB122_618
	s_branch .LBB122_620
.LBB122_615:
                                        ; implicit-def: $vgpr27
                                        ; implicit-def: $vgpr24
	s_branch .LBB122_621
.LBB122_616:
	v_mov_b32_e32 v27, 0
	v_mov_b32_e32 v24, 0
	s_branch .LBB122_620
.LBB122_617:
	v_mov_b32_e32 v27, 0
	v_mov_b32_e32 v24, 0
	v_mov_b32_e32 v0, v3
	s_and_b32 s8, s29, 3
	s_cmp_eq_u32 s8, 0
	s_cbranch_scc1 .LBB122_620
.LBB122_618:
	s_lshl_b32 s4, s28, 3
	s_add_u32 s4, s58, s4
	s_addc_u32 s5, s59, 0
	s_add_u32 s4, s4, 0xc4
	s_addc_u32 s5, s5, 0
	s_mul_i32 s6, s28, 12
	s_add_u32 s6, s58, s6
	s_addc_u32 s7, s59, 0
.LBB122_619:                            ; =>This Inner Loop Header: Depth=1
	s_load_dwordx2 s[10:11], s[6:7], 0x4
	s_load_dword s9, s[6:7], 0xc
	s_load_dwordx2 s[12:13], s[4:5], 0x0
	s_add_u32 s6, s6, 12
	s_addc_u32 s7, s7, 0
	s_waitcnt lgkmcnt(0)
	v_mul_hi_u32 v1, s11, v0
	s_add_u32 s4, s4, 8
	s_addc_u32 s5, s5, 0
	s_add_i32 s8, s8, -1
	v_add_u32_e32 v1, v0, v1
	v_lshrrev_b32_e32 v1, s9, v1
	v_mul_lo_u32 v2, v1, s10
	s_cmp_lg_u32 s8, 0
	v_sub_u32_e32 v0, v0, v2
	v_mad_u64_u32 v[27:28], s[10:11], v0, s12, v[27:28]
	v_mad_u64_u32 v[24:25], s[10:11], v0, s13, v[24:25]
	v_mov_b32_e32 v0, v1
	s_cbranch_scc1 .LBB122_619
.LBB122_620:
	s_cbranch_execnz .LBB122_623
.LBB122_621:
	s_load_dwordx4 s[4:7], s[58:59], 0x4
	s_load_dwordx2 s[8:9], s[58:59], 0xc4
	s_cmp_lt_u32 s33, 2
	s_waitcnt lgkmcnt(0)
	v_mul_hi_u32 v0, s5, v3
	v_add_u32_e32 v0, v3, v0
	v_lshrrev_b32_e32 v0, s6, v0
	v_mul_lo_u32 v1, v0, s4
	v_sub_u32_e32 v1, v3, v1
	v_mul_lo_u32 v27, v1, s8
	v_mul_lo_u32 v24, v1, s9
	s_cbranch_scc1 .LBB122_623
; %bb.622:
	s_load_dwordx4 s[4:7], s[58:59], 0x10
	s_load_dwordx2 s[8:9], s[58:59], 0xcc
	s_waitcnt lgkmcnt(0)
	v_mul_hi_u32 v1, s5, v0
	v_add_u32_e32 v1, v0, v1
	v_lshrrev_b32_e32 v1, s6, v1
	v_mul_lo_u32 v1, v1, s4
	v_sub_u32_e32 v0, v0, v1
	v_mad_u64_u32 v[27:28], s[4:5], v0, s8, v[27:28]
	v_mad_u64_u32 v[24:25], s[4:5], v0, s9, v[24:25]
.LBB122_623:
	s_load_dword s4, s[34:35], 0x168
	s_load_dwordx2 s[52:53], s[58:59], 0x158
	s_load_dwordx4 s[36:39], s[58:59], 0x148
	s_getpc_b64 s[34:35]
	s_add_u32 s34, s34, _ZN2at6native6invokeIZZZNS0_21polygamma_kernel_cudaERNS_18TensorIteratorBaseElENKUlvE_clEvENKUlvE2_clEvEUlN3c108BFloat16EE_j15function_traitsIS8_EEENT1_11result_typeERKT_PrKPcPKT0_PKNS6_10ScalarTypeEi@rel32@lo+4
	s_addc_u32 s35, s35, _ZN2at6native6invokeIZZZNS0_21polygamma_kernel_cudaERNS_18TensorIteratorBaseElENKUlvE_clEvENKUlvE2_clEvEUlN3c108BFloat16EE_j15function_traitsIS8_EEENT1_11result_typeERKT_PrKPcPKT0_PKNS6_10ScalarTypeEi@rel32@hi+12
	s_waitcnt lgkmcnt(0)
	s_lshr_b32 s33, s4, 8
	v_mov_b32_e32 v0, s52
	v_mov_b32_e32 v1, s53
	v_mov_b32_e32 v2, s38
	v_mov_b32_e32 v3, s39
	v_mov_b32_e32 v5, s33
	s_swappc_b64 s[30:31], s[34:35]
	v_mov_b32_e32 v26, v0
	v_mov_b32_e32 v0, s52
	v_mov_b32_e32 v1, s53
	v_mov_b32_e32 v2, s38
	v_mov_b32_e32 v3, s39
	v_mov_b32_e32 v4, v22
	v_mov_b32_e32 v5, s33
	s_swappc_b64 s[30:31], s[34:35]
	v_mov_b32_e32 v25, v0
	v_mov_b32_e32 v0, s52
	v_mov_b32_e32 v1, s53
	v_mov_b32_e32 v2, s38
	v_mov_b32_e32 v3, s39
	v_mov_b32_e32 v4, v23
	v_mov_b32_e32 v5, s33
	s_swappc_b64 s[30:31], s[34:35]
	v_mov_b32_e32 v22, v0
	v_mov_b32_e32 v0, s52
	v_mov_b32_e32 v1, s53
	v_mov_b32_e32 v2, s38
	;; [unrolled: 1-line block ×5, first 2 shown]
	s_swappc_b64 s[30:31], s[34:35]
	s_load_dword s4, s[58:59], 0x160
	v_mov_b32_e32 v2, s37
	v_add_co_u32_e32 v1, vcc, s36, v33
	v_addc_co_u32_e32 v2, vcc, 0, v2, vcc
	s_waitcnt lgkmcnt(0)
	s_and_b32 s16, s4, 0xff
	s_cmp_lt_i32 s16, 11
	s_cbranch_scc1 .LBB122_702
; %bb.624:
	s_and_b32 s14, 0xffff, s16
	s_mov_b64 s[6:7], -1
	s_mov_b64 s[8:9], 0
	s_cmp_gt_i32 s14, 25
	s_mov_b64 s[10:11], 0
	s_mov_b64 s[4:5], 0
	s_cbranch_scc0 .LBB122_657
; %bb.625:
	s_cmp_gt_i32 s14, 28
	s_cbranch_scc0 .LBB122_640
; %bb.626:
	s_cmp_gt_i32 s14, 43
	;; [unrolled: 3-line block ×3, first 2 shown]
	s_cbranch_scc0 .LBB122_630
; %bb.628:
	s_mov_b64 s[4:5], -1
	s_mov_b64 s[6:7], 0
	s_cmp_eq_u32 s14, 46
	s_cbranch_scc0 .LBB122_630
; %bb.629:
	v_and_b32_e32 v3, 0xffff, v26
	global_store_dword v[1:2], v3, off
	s_mov_b64 s[4:5], 0
	s_mov_b64 s[10:11], -1
.LBB122_630:
	s_and_b64 vcc, exec, s[6:7]
	s_cbranch_vccz .LBB122_635
; %bb.631:
	s_cmp_eq_u32 s14, 44
	s_mov_b64 s[4:5], -1
	s_cbranch_scc0 .LBB122_635
; %bb.632:
	v_and_b32_e32 v4, 0xffff, v26
	v_bfe_u32 v3, v4, 7, 8
	s_movk_i32 s4, 0xff
	v_cmp_ne_u32_e32 vcc, s4, v3
	v_mov_b32_e32 v5, 0xff
	s_and_saveexec_b64 s[6:7], vcc
	s_cbranch_execz .LBB122_634
; %bb.633:
	v_lshlrev_b32_e32 v6, 16, v4
	s_mov_b32 s4, 0x3f0000
	v_lshrrev_b32_e32 v5, 7, v4
	v_and_b32_e32 v4, 64, v4
	v_and_or_b32 v3, v6, s4, v3
	v_cmp_ne_u32_e32 vcc, 0, v4
	v_cmp_ne_u32_e64 s[4:5], 0, v3
	s_and_b64 s[4:5], vcc, s[4:5]
	v_cndmask_b32_e64 v3, 0, 1, s[4:5]
	v_add_u32_e32 v5, v5, v3
.LBB122_634:
	s_or_b64 exec, exec, s[6:7]
	s_mov_b64 s[4:5], 0
	s_mov_b64 s[10:11], -1
	global_store_byte v[1:2], v5, off
.LBB122_635:
	s_mov_b64 s[6:7], 0
.LBB122_636:
	s_and_b64 vcc, exec, s[6:7]
	s_cbranch_vccz .LBB122_639
; %bb.637:
	s_cmp_eq_u32 s14, 29
	s_mov_b64 s[4:5], -1
	s_cbranch_scc0 .LBB122_639
; %bb.638:
	v_lshlrev_b32_e32 v3, 16, v26
	v_trunc_f32_e32 v3, v3
	v_mul_f32_e32 v4, 0x2f800000, v3
	v_floor_f32_e32 v5, v4
	v_fmac_f32_e32 v3, 0xcf800000, v5
	v_cvt_u32_f32_e32 v4, v5
	v_cvt_u32_f32_e32 v3, v3
	s_mov_b64 s[4:5], 0
	s_mov_b64 s[10:11], -1
	global_store_dwordx2 v[1:2], v[3:4], off
.LBB122_639:
	s_mov_b64 s[6:7], 0
.LBB122_640:
	s_and_b64 vcc, exec, s[6:7]
	s_cbranch_vccz .LBB122_656
; %bb.641:
	s_cmp_lt_i32 s14, 27
	s_mov_b64 s[6:7], -1
	s_cbranch_scc1 .LBB122_647
; %bb.642:
	s_cmp_gt_i32 s14, 27
	s_cbranch_scc0 .LBB122_644
; %bb.643:
	v_lshlrev_b32_e32 v3, 16, v26
	v_cvt_u32_f32_e32 v3, v3
	s_mov_b64 s[6:7], 0
	global_store_dword v[1:2], v3, off
.LBB122_644:
	s_andn2_b64 vcc, exec, s[6:7]
	s_cbranch_vccnz .LBB122_646
; %bb.645:
	v_lshlrev_b32_e32 v3, 16, v26
	v_cvt_u32_f32_e32 v3, v3
	global_store_short v[1:2], v3, off
.LBB122_646:
	s_mov_b64 s[6:7], 0
.LBB122_647:
	s_andn2_b64 vcc, exec, s[6:7]
	s_cbranch_vccnz .LBB122_655
; %bb.648:
	v_lshlrev_b32_e32 v5, 16, v26
	v_and_b32_e32 v4, 0x7fffffff, v5
	s_mov_b32 s6, 0x43800000
	v_cmp_gt_u32_e32 vcc, s6, v4
	v_mov_b32_e32 v6, 0x80
	s_and_saveexec_b64 s[6:7], vcc
	s_cbranch_execz .LBB122_654
; %bb.649:
	s_mov_b32 s10, 0x3bffffff
	v_and_b32_e32 v3, 0xffff, v26
	v_cmp_lt_u32_e32 vcc, s10, v4
	s_mov_b64 s[10:11], 0
                                        ; implicit-def: $vgpr4
	s_and_saveexec_b64 s[12:13], vcc
	s_xor_b64 s[12:13], exec, s[12:13]
	s_cbranch_execz .LBB122_1099
; %bb.650:
	v_bfe_u32 v4, v3, 4, 1
	s_mov_b32 s15, 0x487ffff
	v_add3_u32 v4, v5, v4, s15
	s_mov_b64 s[10:11], exec
	v_lshrrev_b32_e32 v4, 20, v4
                                        ; implicit-def: $vgpr5
	s_andn2_saveexec_b64 s[12:13], s[12:13]
	s_cbranch_execnz .LBB122_1100
.LBB122_651:
	s_or_b64 exec, exec, s[12:13]
	v_mov_b32_e32 v6, 0
	s_and_saveexec_b64 s[12:13], s[10:11]
.LBB122_652:
	v_lshrrev_b32_e32 v3, 8, v3
	s_movk_i32 s10, 0x80
	v_and_or_b32 v6, v3, s10, v4
.LBB122_653:
	s_or_b64 exec, exec, s[12:13]
.LBB122_654:
	s_or_b64 exec, exec, s[6:7]
	global_store_byte v[1:2], v6, off
.LBB122_655:
	s_mov_b64 s[10:11], -1
.LBB122_656:
	s_mov_b64 s[6:7], 0
.LBB122_657:
	s_and_b64 vcc, exec, s[6:7]
	s_cbranch_vccz .LBB122_697
; %bb.658:
	s_cmp_gt_i32 s14, 22
	s_mov_b64 s[6:7], -1
	s_cbranch_scc0 .LBB122_690
; %bb.659:
	s_cmp_lt_i32 s14, 24
	s_cbranch_scc1 .LBB122_679
; %bb.660:
	s_cmp_gt_i32 s14, 24
	s_cbranch_scc0 .LBB122_668
; %bb.661:
	v_lshlrev_b32_e32 v5, 16, v26
	v_and_b32_e32 v4, 0x7fffffff, v5
	s_mov_b32 s6, 0x47800000
	v_cmp_gt_u32_e32 vcc, s6, v4
	v_mov_b32_e32 v6, 0x80
	s_and_saveexec_b64 s[6:7], vcc
	s_cbranch_execz .LBB122_667
; %bb.662:
	s_mov_b32 s8, 0x37ffffff
	v_and_b32_e32 v3, 0xffff, v26
	v_cmp_lt_u32_e32 vcc, s8, v4
	s_mov_b64 s[8:9], 0
                                        ; implicit-def: $vgpr4
	s_and_saveexec_b64 s[10:11], vcc
	s_xor_b64 s[10:11], exec, s[10:11]
	s_cbranch_execz .LBB122_1102
; %bb.663:
	v_bfe_u32 v4, v3, 5, 1
	s_mov_b32 s12, 0x88fffff
	v_add3_u32 v4, v5, v4, s12
	s_mov_b64 s[8:9], exec
	v_lshrrev_b32_e32 v4, 21, v4
                                        ; implicit-def: $vgpr5
	s_andn2_saveexec_b64 s[10:11], s[10:11]
	s_cbranch_execnz .LBB122_1103
.LBB122_664:
	s_or_b64 exec, exec, s[10:11]
	v_mov_b32_e32 v6, 0
	s_and_saveexec_b64 s[10:11], s[8:9]
.LBB122_665:
	v_lshrrev_b32_e32 v3, 8, v3
	s_movk_i32 s8, 0x80
	v_and_or_b32 v6, v3, s8, v4
.LBB122_666:
	s_or_b64 exec, exec, s[10:11]
.LBB122_667:
	s_or_b64 exec, exec, s[6:7]
	s_mov_b64 s[6:7], 0
	global_store_byte v[1:2], v6, off
.LBB122_668:
	s_and_b64 vcc, exec, s[6:7]
	s_cbranch_vccz .LBB122_678
; %bb.669:
	v_lshlrev_b32_e32 v5, 16, v26
	v_and_b32_e32 v6, 0x7fffffff, v5
	s_mov_b32 s6, 0x43f00000
	v_and_b32_e32 v3, 0xffff, v26
	v_cmp_gt_u32_e32 vcc, s6, v6
                                        ; implicit-def: $vgpr4
	s_and_saveexec_b64 s[6:7], vcc
	s_xor_b64 s[6:7], exec, s[6:7]
	s_cbranch_execz .LBB122_675
; %bb.670:
	s_mov_b32 s8, 0x3c7fffff
	v_cmp_lt_u32_e32 vcc, s8, v6
                                        ; implicit-def: $vgpr4
	s_and_saveexec_b64 s[8:9], vcc
	s_xor_b64 s[8:9], exec, s[8:9]
; %bb.671:
	v_bfe_u32 v4, v3, 4, 1
	s_mov_b32 s10, 0x407ffff
	v_add3_u32 v4, v5, v4, s10
	v_lshrrev_b32_e32 v5, 20, v4
	v_and_b32_e32 v4, 0xff00000, v4
	s_mov_b32 s10, 0x7f00000
	v_mov_b32_e32 v6, 0x7e
	v_cmp_ne_u32_e32 vcc, s10, v4
	v_cndmask_b32_e32 v4, v6, v5, vcc
                                        ; implicit-def: $vgpr5
; %bb.672:
	s_andn2_saveexec_b64 s[8:9], s[8:9]
; %bb.673:
	s_mov_b32 s10, 0x46800000
	v_add_f32_e64 v4, |v5|, s10
; %bb.674:
	s_or_b64 exec, exec, s[8:9]
                                        ; implicit-def: $vgpr6
.LBB122_675:
	s_andn2_saveexec_b64 s[6:7], s[6:7]
; %bb.676:
	s_mov_b32 s8, 0x7f800000
	v_mov_b32_e32 v4, 0x7e
	v_mov_b32_e32 v5, 0x7f
	v_cmp_lt_u32_e32 vcc, s8, v6
	v_cndmask_b32_e32 v4, v4, v5, vcc
; %bb.677:
	s_or_b64 exec, exec, s[6:7]
	v_lshrrev_b32_e32 v3, 8, v3
	s_movk_i32 s6, 0x80
	v_and_or_b32 v3, v3, s6, v4
	global_store_byte v[1:2], v3, off
.LBB122_678:
	s_mov_b64 s[6:7], 0
.LBB122_679:
	s_andn2_b64 vcc, exec, s[6:7]
	s_cbranch_vccnz .LBB122_689
; %bb.680:
	v_lshlrev_b32_e32 v5, 16, v26
	v_and_b32_e32 v6, 0x7fffffff, v5
	s_mov_b32 s6, 0x47800000
	v_and_b32_e32 v3, 0xffff, v26
	v_cmp_gt_u32_e32 vcc, s6, v6
                                        ; implicit-def: $vgpr4
	s_and_saveexec_b64 s[6:7], vcc
	s_xor_b64 s[6:7], exec, s[6:7]
	s_cbranch_execz .LBB122_686
; %bb.681:
	s_mov_b32 s8, 0x387fffff
	v_cmp_lt_u32_e32 vcc, s8, v6
                                        ; implicit-def: $vgpr4
	s_and_saveexec_b64 s[8:9], vcc
	s_xor_b64 s[8:9], exec, s[8:9]
; %bb.682:
	v_bfe_u32 v4, v3, 5, 1
	s_mov_b32 s10, 0x80fffff
	v_add3_u32 v4, v5, v4, s10
	v_lshrrev_b32_e32 v4, 21, v4
                                        ; implicit-def: $vgpr5
; %bb.683:
	s_andn2_saveexec_b64 s[8:9], s[8:9]
; %bb.684:
	s_mov_b32 s10, 0x43000000
	v_add_f32_e64 v4, |v5|, s10
; %bb.685:
	s_or_b64 exec, exec, s[8:9]
                                        ; implicit-def: $vgpr6
.LBB122_686:
	s_andn2_saveexec_b64 s[6:7], s[6:7]
; %bb.687:
	s_mov_b32 s8, 0x7f800000
	v_mov_b32_e32 v4, 0x7c
	v_mov_b32_e32 v5, 0x7f
	v_cmp_lt_u32_e32 vcc, s8, v6
	v_cndmask_b32_e32 v4, v4, v5, vcc
; %bb.688:
	s_or_b64 exec, exec, s[6:7]
	v_lshrrev_b32_e32 v3, 8, v3
	s_movk_i32 s6, 0x80
	v_and_or_b32 v3, v3, s6, v4
	global_store_byte v[1:2], v3, off
.LBB122_689:
	s_mov_b64 s[6:7], 0
	s_mov_b64 s[10:11], -1
.LBB122_690:
	s_andn2_b64 vcc, exec, s[6:7]
	s_mov_b64 s[8:9], 0
	s_cbranch_vccnz .LBB122_697
; %bb.691:
	s_cmp_gt_i32 s14, 14
	s_mov_b64 s[6:7], -1
	s_cbranch_scc0 .LBB122_695
; %bb.692:
	s_cmp_eq_u32 s14, 15
	s_mov_b64 s[4:5], -1
	s_cbranch_scc0 .LBB122_694
; %bb.693:
	global_store_short v[1:2], v26, off
	s_mov_b64 s[4:5], 0
	s_mov_b64 s[10:11], -1
.LBB122_694:
	s_mov_b64 s[6:7], 0
.LBB122_695:
	s_and_b64 vcc, exec, s[6:7]
	s_cbranch_vccz .LBB122_697
; %bb.696:
	s_cmp_lg_u32 s14, 11
	s_mov_b64 s[8:9], -1
	s_cselect_b64 s[4:5], -1, 0
.LBB122_697:
	s_and_b64 vcc, exec, s[4:5]
	s_mov_b64 s[6:7], s[48:49]
	s_cbranch_vccnz .LBB122_1101
; %bb.698:
	s_andn2_b64 vcc, exec, s[8:9]
	s_cbranch_vccnz .LBB122_700
.LBB122_699:
	v_and_b32_e32 v3, 0x7fff, v26
	v_cmp_ne_u16_e32 vcc, 0, v3
	v_cndmask_b32_e64 v3, 0, 1, vcc
	global_store_byte v[1:2], v3, off
	s_mov_b64 s[10:11], -1
.LBB122_700:
.LBB122_701:
	s_andn2_b64 vcc, exec, s[10:11]
	s_cbranch_vccz .LBB122_741
	s_branch .LBB122_1053
.LBB122_702:
	s_mov_b64 s[10:11], 0
	s_mov_b64 s[6:7], s[48:49]
	s_cbranch_execz .LBB122_701
; %bb.703:
	s_and_b32 s8, 0xffff, s16
	s_cmp_lt_i32 s8, 5
	s_mov_b64 s[4:5], -1
	s_cbranch_scc1 .LBB122_724
; %bb.704:
	s_cmp_lt_i32 s8, 8
	s_cbranch_scc1 .LBB122_714
; %bb.705:
	s_cmp_lt_i32 s8, 9
	s_cbranch_scc1 .LBB122_711
; %bb.706:
	s_cmp_gt_i32 s8, 9
	s_cbranch_scc0 .LBB122_708
; %bb.707:
	v_lshlrev_b32_e32 v3, 16, v26
	v_cvt_f64_f32_e32 v[3:4], v3
	v_mov_b32_e32 v5, 0
	v_mov_b32_e32 v6, v5
	s_mov_b64 s[4:5], 0
	global_store_dwordx4 v[1:2], v[3:6], off
.LBB122_708:
	s_andn2_b64 vcc, exec, s[4:5]
	s_cbranch_vccnz .LBB122_710
; %bb.709:
	v_lshlrev_b32_e32 v3, 16, v26
	v_mov_b32_e32 v4, 0
	global_store_dwordx2 v[1:2], v[3:4], off
.LBB122_710:
	s_mov_b64 s[4:5], 0
.LBB122_711:
	s_andn2_b64 vcc, exec, s[4:5]
	s_cbranch_vccnz .LBB122_713
; %bb.712:
	v_lshlrev_b32_e32 v3, 16, v26
	v_cvt_f16_f32_e32 v3, v3
	global_store_dword v[1:2], v3, off
.LBB122_713:
	s_mov_b64 s[4:5], 0
.LBB122_714:
	s_andn2_b64 vcc, exec, s[4:5]
	s_cbranch_vccnz .LBB122_723
; %bb.715:
	s_cmp_lt_i32 s8, 6
	s_mov_b64 s[4:5], -1
	s_cbranch_scc1 .LBB122_721
; %bb.716:
	s_cmp_gt_i32 s8, 6
	s_cbranch_scc0 .LBB122_718
; %bb.717:
	v_lshlrev_b32_e32 v3, 16, v26
	v_cvt_f64_f32_e32 v[3:4], v3
	s_mov_b64 s[4:5], 0
	global_store_dwordx2 v[1:2], v[3:4], off
.LBB122_718:
	s_andn2_b64 vcc, exec, s[4:5]
	s_cbranch_vccnz .LBB122_720
; %bb.719:
	v_lshlrev_b32_e32 v3, 16, v26
	global_store_dword v[1:2], v3, off
.LBB122_720:
	s_mov_b64 s[4:5], 0
.LBB122_721:
	s_andn2_b64 vcc, exec, s[4:5]
	s_cbranch_vccnz .LBB122_723
; %bb.722:
	v_lshlrev_b32_e32 v3, 16, v26
	v_cvt_f16_f32_e32 v3, v3
	global_store_short v[1:2], v3, off
.LBB122_723:
	s_mov_b64 s[4:5], 0
.LBB122_724:
	s_andn2_b64 vcc, exec, s[4:5]
	s_cbranch_vccnz .LBB122_740
; %bb.725:
	s_cmp_lt_i32 s8, 2
	s_mov_b64 s[4:5], -1
	s_cbranch_scc1 .LBB122_735
; %bb.726:
	s_cmp_lt_i32 s8, 3
	s_cbranch_scc1 .LBB122_732
; %bb.727:
	s_cmp_gt_i32 s8, 3
	s_cbranch_scc0 .LBB122_729
; %bb.728:
	v_lshlrev_b32_e32 v3, 16, v26
	v_trunc_f32_e32 v3, v3
	s_mov_b32 s4, 0x2f800000
	v_mul_f32_e64 v4, |v3|, s4
	v_floor_f32_e32 v4, v4
	s_mov_b32 s4, 0xcf800000
	v_cvt_u32_f32_e32 v5, v4
	v_fma_f32 v4, v4, s4, |v3|
	v_cvt_u32_f32_e32 v4, v4
	v_ashrrev_i32_e32 v6, 31, v3
	v_xor_b32_e32 v5, v5, v6
	s_mov_b64 s[4:5], 0
	v_xor_b32_e32 v3, v4, v6
	v_sub_co_u32_e32 v3, vcc, v3, v6
	v_subb_co_u32_e32 v4, vcc, v5, v6, vcc
	global_store_dwordx2 v[1:2], v[3:4], off
.LBB122_729:
	s_andn2_b64 vcc, exec, s[4:5]
	s_cbranch_vccnz .LBB122_731
; %bb.730:
	v_lshlrev_b32_e32 v3, 16, v26
	v_cvt_i32_f32_e32 v3, v3
	global_store_dword v[1:2], v3, off
.LBB122_731:
	s_mov_b64 s[4:5], 0
.LBB122_732:
	s_andn2_b64 vcc, exec, s[4:5]
	s_cbranch_vccnz .LBB122_734
; %bb.733:
	v_lshlrev_b32_e32 v3, 16, v26
	v_cvt_i32_f32_e32 v3, v3
	global_store_short v[1:2], v3, off
.LBB122_734:
	s_mov_b64 s[4:5], 0
.LBB122_735:
	s_andn2_b64 vcc, exec, s[4:5]
	s_cbranch_vccnz .LBB122_740
; %bb.736:
	s_cmp_gt_i32 s8, 0
	s_mov_b64 s[4:5], -1
	s_cbranch_scc0 .LBB122_738
; %bb.737:
	v_lshlrev_b32_e32 v3, 16, v26
	v_cvt_i32_f32_e32 v3, v3
	s_mov_b64 s[4:5], 0
	global_store_byte v[1:2], v3, off
.LBB122_738:
	s_andn2_b64 vcc, exec, s[4:5]
	s_cbranch_vccnz .LBB122_740
; %bb.739:
	v_lshlrev_b32_e32 v3, 16, v26
	v_trunc_f32_e32 v3, v3
	s_mov_b32 s4, 0x2f800000
	v_mul_f32_e64 v4, |v3|, s4
	v_floor_f32_e32 v4, v4
	s_mov_b32 s4, 0xcf800000
	v_fma_f32 v4, v4, s4, |v3|
	v_cvt_u32_f32_e32 v4, v4
	v_ashrrev_i32_e32 v3, 31, v3
	v_xor_b32_e32 v4, v4, v3
	v_sub_u32_e32 v3, v4, v3
	global_store_byte v[1:2], v3, off
.LBB122_740:
.LBB122_741:
	v_mov_b32_e32 v2, s37
	s_and_b32 s17, 0xffff, s16
	v_add_co_u32_e32 v1, vcc, s36, v31
	s_cmp_lt_i32 s17, 11
	v_addc_co_u32_e32 v2, vcc, 0, v2, vcc
	s_cbranch_scc1 .LBB122_820
; %bb.742:
	s_mov_b64 s[12:13], -1
	s_mov_b64 s[8:9], 0
	s_cmp_gt_i32 s17, 25
	s_mov_b64 s[10:11], 0
	s_mov_b64 s[4:5], 0
	s_cbranch_scc0 .LBB122_775
; %bb.743:
	s_cmp_gt_i32 s17, 28
	s_cbranch_scc0 .LBB122_758
; %bb.744:
	s_cmp_gt_i32 s17, 43
	;; [unrolled: 3-line block ×3, first 2 shown]
	s_cbranch_scc0 .LBB122_748
; %bb.746:
	s_mov_b64 s[4:5], -1
	s_mov_b64 s[12:13], 0
	s_cmp_eq_u32 s17, 46
	s_cbranch_scc0 .LBB122_748
; %bb.747:
	v_and_b32_e32 v3, 0xffff, v25
	global_store_dword v[1:2], v3, off
	s_mov_b64 s[4:5], 0
	s_mov_b64 s[10:11], -1
.LBB122_748:
	s_and_b64 vcc, exec, s[12:13]
	s_cbranch_vccz .LBB122_753
; %bb.749:
	s_cmp_eq_u32 s17, 44
	s_mov_b64 s[4:5], -1
	s_cbranch_scc0 .LBB122_753
; %bb.750:
	v_and_b32_e32 v4, 0xffff, v25
	v_bfe_u32 v3, v4, 7, 8
	s_movk_i32 s4, 0xff
	v_cmp_ne_u32_e32 vcc, s4, v3
	v_mov_b32_e32 v5, 0xff
	s_and_saveexec_b64 s[10:11], vcc
	s_cbranch_execz .LBB122_752
; %bb.751:
	v_lshlrev_b32_e32 v6, 16, v4
	s_mov_b32 s4, 0x3f0000
	v_lshrrev_b32_e32 v5, 7, v4
	v_and_b32_e32 v4, 64, v4
	v_and_or_b32 v3, v6, s4, v3
	v_cmp_ne_u32_e32 vcc, 0, v4
	v_cmp_ne_u32_e64 s[4:5], 0, v3
	s_and_b64 s[4:5], vcc, s[4:5]
	v_cndmask_b32_e64 v3, 0, 1, s[4:5]
	v_add_u32_e32 v5, v5, v3
.LBB122_752:
	s_or_b64 exec, exec, s[10:11]
	s_mov_b64 s[4:5], 0
	s_mov_b64 s[10:11], -1
	global_store_byte v[1:2], v5, off
.LBB122_753:
	s_mov_b64 s[12:13], 0
.LBB122_754:
	s_and_b64 vcc, exec, s[12:13]
	s_cbranch_vccz .LBB122_757
; %bb.755:
	s_cmp_eq_u32 s17, 29
	s_mov_b64 s[4:5], -1
	s_cbranch_scc0 .LBB122_757
; %bb.756:
	v_lshlrev_b32_e32 v3, 16, v25
	v_trunc_f32_e32 v3, v3
	v_mul_f32_e32 v4, 0x2f800000, v3
	v_floor_f32_e32 v5, v4
	v_fmac_f32_e32 v3, 0xcf800000, v5
	v_cvt_u32_f32_e32 v4, v5
	v_cvt_u32_f32_e32 v3, v3
	s_mov_b64 s[4:5], 0
	s_mov_b64 s[10:11], -1
	global_store_dwordx2 v[1:2], v[3:4], off
.LBB122_757:
	s_mov_b64 s[12:13], 0
.LBB122_758:
	s_and_b64 vcc, exec, s[12:13]
	s_cbranch_vccz .LBB122_774
; %bb.759:
	s_cmp_lt_i32 s17, 27
	s_mov_b64 s[10:11], -1
	s_cbranch_scc1 .LBB122_765
; %bb.760:
	s_cmp_gt_i32 s17, 27
	s_cbranch_scc0 .LBB122_762
; %bb.761:
	v_lshlrev_b32_e32 v3, 16, v25
	v_cvt_u32_f32_e32 v3, v3
	s_mov_b64 s[10:11], 0
	global_store_dword v[1:2], v3, off
.LBB122_762:
	s_andn2_b64 vcc, exec, s[10:11]
	s_cbranch_vccnz .LBB122_764
; %bb.763:
	v_lshlrev_b32_e32 v3, 16, v25
	v_cvt_u32_f32_e32 v3, v3
	global_store_short v[1:2], v3, off
.LBB122_764:
	s_mov_b64 s[10:11], 0
.LBB122_765:
	s_andn2_b64 vcc, exec, s[10:11]
	s_cbranch_vccnz .LBB122_773
; %bb.766:
	v_lshlrev_b32_e32 v5, 16, v25
	v_and_b32_e32 v4, 0x7fffffff, v5
	s_mov_b32 s10, 0x43800000
	v_cmp_gt_u32_e32 vcc, s10, v4
	v_mov_b32_e32 v6, 0x80
	s_and_saveexec_b64 s[10:11], vcc
	s_cbranch_execz .LBB122_772
; %bb.767:
	s_mov_b32 s12, 0x3bffffff
	v_and_b32_e32 v3, 0xffff, v25
	v_cmp_lt_u32_e32 vcc, s12, v4
	s_mov_b64 s[12:13], 0
                                        ; implicit-def: $vgpr4
	s_and_saveexec_b64 s[14:15], vcc
	s_xor_b64 s[14:15], exec, s[14:15]
	s_cbranch_execz .LBB122_1104
; %bb.768:
	v_bfe_u32 v4, v3, 4, 1
	s_mov_b32 s18, 0x487ffff
	v_add3_u32 v4, v5, v4, s18
	s_mov_b64 s[12:13], exec
	v_lshrrev_b32_e32 v4, 20, v4
                                        ; implicit-def: $vgpr5
	s_andn2_saveexec_b64 s[14:15], s[14:15]
	s_cbranch_execnz .LBB122_1105
.LBB122_769:
	s_or_b64 exec, exec, s[14:15]
	v_mov_b32_e32 v6, 0
	s_and_saveexec_b64 s[14:15], s[12:13]
.LBB122_770:
	v_lshrrev_b32_e32 v3, 8, v3
	s_movk_i32 s12, 0x80
	v_and_or_b32 v6, v3, s12, v4
.LBB122_771:
	s_or_b64 exec, exec, s[14:15]
.LBB122_772:
	s_or_b64 exec, exec, s[10:11]
	global_store_byte v[1:2], v6, off
.LBB122_773:
	s_mov_b64 s[10:11], -1
.LBB122_774:
	s_mov_b64 s[12:13], 0
.LBB122_775:
	s_and_b64 vcc, exec, s[12:13]
	s_cbranch_vccz .LBB122_815
; %bb.776:
	s_cmp_gt_i32 s17, 22
	s_mov_b64 s[8:9], -1
	s_cbranch_scc0 .LBB122_808
; %bb.777:
	s_cmp_lt_i32 s17, 24
	s_cbranch_scc1 .LBB122_797
; %bb.778:
	s_cmp_gt_i32 s17, 24
	s_cbranch_scc0 .LBB122_786
; %bb.779:
	v_lshlrev_b32_e32 v5, 16, v25
	v_and_b32_e32 v4, 0x7fffffff, v5
	s_mov_b32 s8, 0x47800000
	v_cmp_gt_u32_e32 vcc, s8, v4
	v_mov_b32_e32 v6, 0x80
	s_and_saveexec_b64 s[8:9], vcc
	s_cbranch_execz .LBB122_785
; %bb.780:
	s_mov_b32 s10, 0x37ffffff
	v_and_b32_e32 v3, 0xffff, v25
	v_cmp_lt_u32_e32 vcc, s10, v4
	s_mov_b64 s[10:11], 0
                                        ; implicit-def: $vgpr4
	s_and_saveexec_b64 s[12:13], vcc
	s_xor_b64 s[12:13], exec, s[12:13]
	s_cbranch_execz .LBB122_1107
; %bb.781:
	v_bfe_u32 v4, v3, 5, 1
	s_mov_b32 s14, 0x88fffff
	v_add3_u32 v4, v5, v4, s14
	s_mov_b64 s[10:11], exec
	v_lshrrev_b32_e32 v4, 21, v4
                                        ; implicit-def: $vgpr5
	s_andn2_saveexec_b64 s[12:13], s[12:13]
	s_cbranch_execnz .LBB122_1108
.LBB122_782:
	s_or_b64 exec, exec, s[12:13]
	v_mov_b32_e32 v6, 0
	s_and_saveexec_b64 s[12:13], s[10:11]
.LBB122_783:
	v_lshrrev_b32_e32 v3, 8, v3
	s_movk_i32 s10, 0x80
	v_and_or_b32 v6, v3, s10, v4
.LBB122_784:
	s_or_b64 exec, exec, s[12:13]
.LBB122_785:
	s_or_b64 exec, exec, s[8:9]
	s_mov_b64 s[8:9], 0
	global_store_byte v[1:2], v6, off
.LBB122_786:
	s_and_b64 vcc, exec, s[8:9]
	s_cbranch_vccz .LBB122_796
; %bb.787:
	v_lshlrev_b32_e32 v5, 16, v25
	v_and_b32_e32 v6, 0x7fffffff, v5
	s_mov_b32 s8, 0x43f00000
	v_and_b32_e32 v3, 0xffff, v25
	v_cmp_gt_u32_e32 vcc, s8, v6
                                        ; implicit-def: $vgpr4
	s_and_saveexec_b64 s[8:9], vcc
	s_xor_b64 s[8:9], exec, s[8:9]
	s_cbranch_execz .LBB122_793
; %bb.788:
	s_mov_b32 s10, 0x3c7fffff
	v_cmp_lt_u32_e32 vcc, s10, v6
                                        ; implicit-def: $vgpr4
	s_and_saveexec_b64 s[10:11], vcc
	s_xor_b64 s[10:11], exec, s[10:11]
; %bb.789:
	v_bfe_u32 v4, v3, 4, 1
	s_mov_b32 s12, 0x407ffff
	v_add3_u32 v4, v5, v4, s12
	v_lshrrev_b32_e32 v5, 20, v4
	v_and_b32_e32 v4, 0xff00000, v4
	s_mov_b32 s12, 0x7f00000
	v_mov_b32_e32 v6, 0x7e
	v_cmp_ne_u32_e32 vcc, s12, v4
	v_cndmask_b32_e32 v4, v6, v5, vcc
                                        ; implicit-def: $vgpr5
; %bb.790:
	s_andn2_saveexec_b64 s[10:11], s[10:11]
; %bb.791:
	s_mov_b32 s12, 0x46800000
	v_add_f32_e64 v4, |v5|, s12
; %bb.792:
	s_or_b64 exec, exec, s[10:11]
                                        ; implicit-def: $vgpr6
.LBB122_793:
	s_andn2_saveexec_b64 s[8:9], s[8:9]
; %bb.794:
	s_mov_b32 s10, 0x7f800000
	v_mov_b32_e32 v4, 0x7e
	v_mov_b32_e32 v5, 0x7f
	v_cmp_lt_u32_e32 vcc, s10, v6
	v_cndmask_b32_e32 v4, v4, v5, vcc
; %bb.795:
	s_or_b64 exec, exec, s[8:9]
	v_lshrrev_b32_e32 v3, 8, v3
	s_movk_i32 s8, 0x80
	v_and_or_b32 v3, v3, s8, v4
	global_store_byte v[1:2], v3, off
.LBB122_796:
	s_mov_b64 s[8:9], 0
.LBB122_797:
	s_andn2_b64 vcc, exec, s[8:9]
	s_cbranch_vccnz .LBB122_807
; %bb.798:
	v_lshlrev_b32_e32 v5, 16, v25
	v_and_b32_e32 v6, 0x7fffffff, v5
	s_mov_b32 s8, 0x47800000
	v_and_b32_e32 v3, 0xffff, v25
	v_cmp_gt_u32_e32 vcc, s8, v6
                                        ; implicit-def: $vgpr4
	s_and_saveexec_b64 s[8:9], vcc
	s_xor_b64 s[8:9], exec, s[8:9]
	s_cbranch_execz .LBB122_804
; %bb.799:
	s_mov_b32 s10, 0x387fffff
	v_cmp_lt_u32_e32 vcc, s10, v6
                                        ; implicit-def: $vgpr4
	s_and_saveexec_b64 s[10:11], vcc
	s_xor_b64 s[10:11], exec, s[10:11]
; %bb.800:
	v_bfe_u32 v4, v3, 5, 1
	s_mov_b32 s12, 0x80fffff
	v_add3_u32 v4, v5, v4, s12
	v_lshrrev_b32_e32 v4, 21, v4
                                        ; implicit-def: $vgpr5
; %bb.801:
	s_andn2_saveexec_b64 s[10:11], s[10:11]
; %bb.802:
	s_mov_b32 s12, 0x43000000
	v_add_f32_e64 v4, |v5|, s12
; %bb.803:
	s_or_b64 exec, exec, s[10:11]
                                        ; implicit-def: $vgpr6
.LBB122_804:
	s_andn2_saveexec_b64 s[8:9], s[8:9]
; %bb.805:
	s_mov_b32 s10, 0x7f800000
	v_mov_b32_e32 v4, 0x7c
	v_mov_b32_e32 v5, 0x7f
	v_cmp_lt_u32_e32 vcc, s10, v6
	v_cndmask_b32_e32 v4, v4, v5, vcc
; %bb.806:
	s_or_b64 exec, exec, s[8:9]
	v_lshrrev_b32_e32 v3, 8, v3
	s_movk_i32 s8, 0x80
	v_and_or_b32 v3, v3, s8, v4
	global_store_byte v[1:2], v3, off
.LBB122_807:
	s_mov_b64 s[8:9], 0
	s_mov_b64 s[10:11], -1
.LBB122_808:
	s_andn2_b64 vcc, exec, s[8:9]
	s_mov_b64 s[8:9], 0
	s_cbranch_vccnz .LBB122_815
; %bb.809:
	s_cmp_gt_i32 s17, 14
	s_mov_b64 s[12:13], -1
	s_cbranch_scc0 .LBB122_813
; %bb.810:
	s_cmp_eq_u32 s17, 15
	s_mov_b64 s[4:5], -1
	s_cbranch_scc0 .LBB122_812
; %bb.811:
	global_store_short v[1:2], v25, off
	s_mov_b64 s[4:5], 0
	s_mov_b64 s[10:11], -1
.LBB122_812:
	s_mov_b64 s[12:13], 0
.LBB122_813:
	s_and_b64 vcc, exec, s[12:13]
	s_cbranch_vccz .LBB122_815
; %bb.814:
	s_cmp_lg_u32 s17, 11
	s_mov_b64 s[8:9], -1
	s_cselect_b64 s[4:5], -1, 0
.LBB122_815:
	s_and_b64 vcc, exec, s[4:5]
	s_cbranch_vccnz .LBB122_1106
; %bb.816:
	s_andn2_b64 vcc, exec, s[8:9]
	s_cbranch_vccnz .LBB122_818
.LBB122_817:
	v_and_b32_e32 v3, 0x7fff, v25
	v_cmp_ne_u16_e32 vcc, 0, v3
	v_cndmask_b32_e64 v3, 0, 1, vcc
	s_mov_b64 s[10:11], -1
	global_store_byte v[1:2], v3, off
.LBB122_818:
.LBB122_819:
	s_andn2_b64 vcc, exec, s[10:11]
	s_cbranch_vccz .LBB122_859
	s_branch .LBB122_1053
.LBB122_820:
	s_mov_b64 s[10:11], 0
	s_cbranch_execz .LBB122_819
; %bb.821:
	s_cmp_lt_i32 s17, 5
	s_mov_b64 s[4:5], -1
	s_cbranch_scc1 .LBB122_842
; %bb.822:
	s_cmp_lt_i32 s17, 8
	s_cbranch_scc1 .LBB122_832
; %bb.823:
	s_cmp_lt_i32 s17, 9
	s_cbranch_scc1 .LBB122_829
; %bb.824:
	s_cmp_gt_i32 s17, 9
	s_cbranch_scc0 .LBB122_826
; %bb.825:
	v_lshlrev_b32_e32 v3, 16, v25
	v_cvt_f64_f32_e32 v[3:4], v3
	v_mov_b32_e32 v5, 0
	v_mov_b32_e32 v6, v5
	s_mov_b64 s[4:5], 0
	global_store_dwordx4 v[1:2], v[3:6], off
.LBB122_826:
	s_andn2_b64 vcc, exec, s[4:5]
	s_cbranch_vccnz .LBB122_828
; %bb.827:
	v_lshlrev_b32_e32 v3, 16, v25
	v_mov_b32_e32 v4, 0
	global_store_dwordx2 v[1:2], v[3:4], off
.LBB122_828:
	s_mov_b64 s[4:5], 0
.LBB122_829:
	s_andn2_b64 vcc, exec, s[4:5]
	s_cbranch_vccnz .LBB122_831
; %bb.830:
	v_lshlrev_b32_e32 v3, 16, v25
	v_cvt_f16_f32_e32 v3, v3
	global_store_dword v[1:2], v3, off
.LBB122_831:
	s_mov_b64 s[4:5], 0
.LBB122_832:
	s_andn2_b64 vcc, exec, s[4:5]
	s_cbranch_vccnz .LBB122_841
; %bb.833:
	s_cmp_lt_i32 s17, 6
	s_mov_b64 s[4:5], -1
	s_cbranch_scc1 .LBB122_839
; %bb.834:
	s_cmp_gt_i32 s17, 6
	s_cbranch_scc0 .LBB122_836
; %bb.835:
	v_lshlrev_b32_e32 v3, 16, v25
	v_cvt_f64_f32_e32 v[3:4], v3
	s_mov_b64 s[4:5], 0
	global_store_dwordx2 v[1:2], v[3:4], off
.LBB122_836:
	s_andn2_b64 vcc, exec, s[4:5]
	s_cbranch_vccnz .LBB122_838
; %bb.837:
	v_lshlrev_b32_e32 v3, 16, v25
	global_store_dword v[1:2], v3, off
.LBB122_838:
	s_mov_b64 s[4:5], 0
.LBB122_839:
	s_andn2_b64 vcc, exec, s[4:5]
	s_cbranch_vccnz .LBB122_841
; %bb.840:
	v_lshlrev_b32_e32 v3, 16, v25
	v_cvt_f16_f32_e32 v3, v3
	global_store_short v[1:2], v3, off
.LBB122_841:
	s_mov_b64 s[4:5], 0
.LBB122_842:
	s_andn2_b64 vcc, exec, s[4:5]
	s_cbranch_vccnz .LBB122_858
; %bb.843:
	s_cmp_lt_i32 s17, 2
	s_mov_b64 s[4:5], -1
	s_cbranch_scc1 .LBB122_853
; %bb.844:
	s_cmp_lt_i32 s17, 3
	s_cbranch_scc1 .LBB122_850
; %bb.845:
	s_cmp_gt_i32 s17, 3
	s_cbranch_scc0 .LBB122_847
; %bb.846:
	v_lshlrev_b32_e32 v3, 16, v25
	v_trunc_f32_e32 v3, v3
	s_mov_b32 s4, 0x2f800000
	v_mul_f32_e64 v4, |v3|, s4
	v_floor_f32_e32 v4, v4
	s_mov_b32 s4, 0xcf800000
	v_cvt_u32_f32_e32 v5, v4
	v_fma_f32 v4, v4, s4, |v3|
	v_cvt_u32_f32_e32 v4, v4
	v_ashrrev_i32_e32 v6, 31, v3
	v_xor_b32_e32 v5, v5, v6
	s_mov_b64 s[4:5], 0
	v_xor_b32_e32 v3, v4, v6
	v_sub_co_u32_e32 v3, vcc, v3, v6
	v_subb_co_u32_e32 v4, vcc, v5, v6, vcc
	global_store_dwordx2 v[1:2], v[3:4], off
.LBB122_847:
	s_andn2_b64 vcc, exec, s[4:5]
	s_cbranch_vccnz .LBB122_849
; %bb.848:
	v_lshlrev_b32_e32 v3, 16, v25
	v_cvt_i32_f32_e32 v3, v3
	global_store_dword v[1:2], v3, off
.LBB122_849:
	s_mov_b64 s[4:5], 0
.LBB122_850:
	s_andn2_b64 vcc, exec, s[4:5]
	s_cbranch_vccnz .LBB122_852
; %bb.851:
	v_lshlrev_b32_e32 v3, 16, v25
	v_cvt_i32_f32_e32 v3, v3
	global_store_short v[1:2], v3, off
.LBB122_852:
	s_mov_b64 s[4:5], 0
.LBB122_853:
	s_andn2_b64 vcc, exec, s[4:5]
	s_cbranch_vccnz .LBB122_858
; %bb.854:
	s_cmp_gt_i32 s17, 0
	s_mov_b64 s[4:5], -1
	s_cbranch_scc0 .LBB122_856
; %bb.855:
	v_lshlrev_b32_e32 v3, 16, v25
	v_cvt_i32_f32_e32 v3, v3
	s_mov_b64 s[4:5], 0
	global_store_byte v[1:2], v3, off
.LBB122_856:
	s_andn2_b64 vcc, exec, s[4:5]
	s_cbranch_vccnz .LBB122_858
; %bb.857:
	v_lshlrev_b32_e32 v3, 16, v25
	v_trunc_f32_e32 v3, v3
	s_mov_b32 s4, 0x2f800000
	v_mul_f32_e64 v4, |v3|, s4
	v_floor_f32_e32 v4, v4
	s_mov_b32 s4, 0xcf800000
	v_fma_f32 v4, v4, s4, |v3|
	v_cvt_u32_f32_e32 v4, v4
	v_ashrrev_i32_e32 v3, 31, v3
	v_xor_b32_e32 v4, v4, v3
	v_sub_u32_e32 v3, v4, v3
	global_store_byte v[1:2], v3, off
.LBB122_858:
.LBB122_859:
	v_mov_b32_e32 v2, s37
	v_add_co_u32_e32 v1, vcc, s36, v29
	s_cmp_lt_i32 s17, 11
	v_addc_co_u32_e32 v2, vcc, 0, v2, vcc
	s_cbranch_scc1 .LBB122_1014
; %bb.860:
	s_mov_b64 s[12:13], -1
	s_mov_b64 s[8:9], 0
	s_cmp_gt_i32 s17, 25
	s_mov_b64 s[10:11], 0
	s_mov_b64 s[4:5], 0
	s_cbranch_scc0 .LBB122_893
; %bb.861:
	s_cmp_gt_i32 s17, 28
	s_cbranch_scc0 .LBB122_876
; %bb.862:
	s_cmp_gt_i32 s17, 43
	;; [unrolled: 3-line block ×3, first 2 shown]
	s_cbranch_scc0 .LBB122_866
; %bb.864:
	s_mov_b64 s[4:5], -1
	s_mov_b64 s[12:13], 0
	s_cmp_eq_u32 s17, 46
	s_cbranch_scc0 .LBB122_866
; %bb.865:
	v_and_b32_e32 v3, 0xffff, v22
	global_store_dword v[1:2], v3, off
	s_mov_b64 s[4:5], 0
	s_mov_b64 s[10:11], -1
.LBB122_866:
	s_and_b64 vcc, exec, s[12:13]
	s_cbranch_vccz .LBB122_871
; %bb.867:
	s_cmp_eq_u32 s17, 44
	s_mov_b64 s[4:5], -1
	s_cbranch_scc0 .LBB122_871
; %bb.868:
	v_and_b32_e32 v4, 0xffff, v22
	v_bfe_u32 v3, v4, 7, 8
	s_movk_i32 s4, 0xff
	v_cmp_ne_u32_e32 vcc, s4, v3
	v_mov_b32_e32 v5, 0xff
	s_and_saveexec_b64 s[10:11], vcc
	s_cbranch_execz .LBB122_870
; %bb.869:
	v_lshlrev_b32_e32 v6, 16, v4
	s_mov_b32 s4, 0x3f0000
	v_lshrrev_b32_e32 v5, 7, v4
	v_and_b32_e32 v4, 64, v4
	v_and_or_b32 v3, v6, s4, v3
	v_cmp_ne_u32_e32 vcc, 0, v4
	v_cmp_ne_u32_e64 s[4:5], 0, v3
	s_and_b64 s[4:5], vcc, s[4:5]
	v_cndmask_b32_e64 v3, 0, 1, s[4:5]
	v_add_u32_e32 v5, v5, v3
.LBB122_870:
	s_or_b64 exec, exec, s[10:11]
	s_mov_b64 s[4:5], 0
	s_mov_b64 s[10:11], -1
	global_store_byte v[1:2], v5, off
.LBB122_871:
	s_mov_b64 s[12:13], 0
.LBB122_872:
	s_and_b64 vcc, exec, s[12:13]
	s_cbranch_vccz .LBB122_875
; %bb.873:
	s_cmp_eq_u32 s17, 29
	s_mov_b64 s[4:5], -1
	s_cbranch_scc0 .LBB122_875
; %bb.874:
	v_lshlrev_b32_e32 v3, 16, v22
	v_trunc_f32_e32 v3, v3
	v_mul_f32_e32 v4, 0x2f800000, v3
	v_floor_f32_e32 v5, v4
	v_fmac_f32_e32 v3, 0xcf800000, v5
	v_cvt_u32_f32_e32 v4, v5
	v_cvt_u32_f32_e32 v3, v3
	s_mov_b64 s[4:5], 0
	s_mov_b64 s[10:11], -1
	global_store_dwordx2 v[1:2], v[3:4], off
.LBB122_875:
	s_mov_b64 s[12:13], 0
.LBB122_876:
	s_and_b64 vcc, exec, s[12:13]
	s_cbranch_vccz .LBB122_892
; %bb.877:
	s_cmp_lt_i32 s17, 27
	s_mov_b64 s[10:11], -1
	s_cbranch_scc1 .LBB122_883
; %bb.878:
	s_cmp_gt_i32 s17, 27
	s_cbranch_scc0 .LBB122_880
; %bb.879:
	v_lshlrev_b32_e32 v3, 16, v22
	v_cvt_u32_f32_e32 v3, v3
	s_mov_b64 s[10:11], 0
	global_store_dword v[1:2], v3, off
.LBB122_880:
	s_andn2_b64 vcc, exec, s[10:11]
	s_cbranch_vccnz .LBB122_882
; %bb.881:
	v_lshlrev_b32_e32 v3, 16, v22
	v_cvt_u32_f32_e32 v3, v3
	global_store_short v[1:2], v3, off
.LBB122_882:
	s_mov_b64 s[10:11], 0
.LBB122_883:
	s_andn2_b64 vcc, exec, s[10:11]
	s_cbranch_vccnz .LBB122_891
; %bb.884:
	v_lshlrev_b32_e32 v5, 16, v22
	v_and_b32_e32 v4, 0x7fffffff, v5
	s_mov_b32 s10, 0x43800000
	v_cmp_gt_u32_e32 vcc, s10, v4
	v_mov_b32_e32 v6, 0x80
	s_and_saveexec_b64 s[10:11], vcc
	s_cbranch_execz .LBB122_890
; %bb.885:
	s_mov_b32 s12, 0x3bffffff
	v_and_b32_e32 v3, 0xffff, v22
	v_cmp_lt_u32_e32 vcc, s12, v4
	s_mov_b64 s[12:13], 0
                                        ; implicit-def: $vgpr4
	s_and_saveexec_b64 s[14:15], vcc
	s_xor_b64 s[14:15], exec, s[14:15]
	s_cbranch_execz .LBB122_1109
; %bb.886:
	v_bfe_u32 v4, v3, 4, 1
	s_mov_b32 s18, 0x487ffff
	v_add3_u32 v4, v5, v4, s18
	s_mov_b64 s[12:13], exec
	v_lshrrev_b32_e32 v4, 20, v4
                                        ; implicit-def: $vgpr5
	s_andn2_saveexec_b64 s[14:15], s[14:15]
	s_cbranch_execnz .LBB122_1110
.LBB122_887:
	s_or_b64 exec, exec, s[14:15]
	v_mov_b32_e32 v6, 0
	s_and_saveexec_b64 s[14:15], s[12:13]
.LBB122_888:
	v_lshrrev_b32_e32 v3, 8, v3
	s_movk_i32 s12, 0x80
	v_and_or_b32 v6, v3, s12, v4
.LBB122_889:
	s_or_b64 exec, exec, s[14:15]
.LBB122_890:
	s_or_b64 exec, exec, s[10:11]
	global_store_byte v[1:2], v6, off
.LBB122_891:
	s_mov_b64 s[10:11], -1
.LBB122_892:
	s_mov_b64 s[12:13], 0
.LBB122_893:
	s_and_b64 vcc, exec, s[12:13]
	s_cbranch_vccz .LBB122_933
; %bb.894:
	s_cmp_gt_i32 s17, 22
	s_mov_b64 s[8:9], -1
	s_cbranch_scc0 .LBB122_926
; %bb.895:
	s_cmp_lt_i32 s17, 24
	s_cbranch_scc1 .LBB122_915
; %bb.896:
	s_cmp_gt_i32 s17, 24
	s_cbranch_scc0 .LBB122_904
; %bb.897:
	v_lshlrev_b32_e32 v5, 16, v22
	v_and_b32_e32 v4, 0x7fffffff, v5
	s_mov_b32 s8, 0x47800000
	v_cmp_gt_u32_e32 vcc, s8, v4
	v_mov_b32_e32 v6, 0x80
	s_and_saveexec_b64 s[8:9], vcc
	s_cbranch_execz .LBB122_903
; %bb.898:
	s_mov_b32 s10, 0x37ffffff
	v_and_b32_e32 v3, 0xffff, v22
	v_cmp_lt_u32_e32 vcc, s10, v4
	s_mov_b64 s[10:11], 0
                                        ; implicit-def: $vgpr4
	s_and_saveexec_b64 s[12:13], vcc
	s_xor_b64 s[12:13], exec, s[12:13]
	s_cbranch_execz .LBB122_1114
; %bb.899:
	v_bfe_u32 v4, v3, 5, 1
	s_mov_b32 s14, 0x88fffff
	v_add3_u32 v4, v5, v4, s14
	s_mov_b64 s[10:11], exec
	v_lshrrev_b32_e32 v4, 21, v4
                                        ; implicit-def: $vgpr5
	s_andn2_saveexec_b64 s[12:13], s[12:13]
	s_cbranch_execnz .LBB122_1115
.LBB122_900:
	s_or_b64 exec, exec, s[12:13]
	v_mov_b32_e32 v6, 0
	s_and_saveexec_b64 s[12:13], s[10:11]
.LBB122_901:
	v_lshrrev_b32_e32 v3, 8, v3
	s_movk_i32 s10, 0x80
	v_and_or_b32 v6, v3, s10, v4
.LBB122_902:
	s_or_b64 exec, exec, s[12:13]
.LBB122_903:
	s_or_b64 exec, exec, s[8:9]
	s_mov_b64 s[8:9], 0
	global_store_byte v[1:2], v6, off
.LBB122_904:
	s_and_b64 vcc, exec, s[8:9]
	s_cbranch_vccz .LBB122_914
; %bb.905:
	v_lshlrev_b32_e32 v5, 16, v22
	v_and_b32_e32 v6, 0x7fffffff, v5
	s_mov_b32 s8, 0x43f00000
	v_and_b32_e32 v3, 0xffff, v22
	v_cmp_gt_u32_e32 vcc, s8, v6
                                        ; implicit-def: $vgpr4
	s_and_saveexec_b64 s[8:9], vcc
	s_xor_b64 s[8:9], exec, s[8:9]
	s_cbranch_execz .LBB122_911
; %bb.906:
	s_mov_b32 s10, 0x3c7fffff
	v_cmp_lt_u32_e32 vcc, s10, v6
                                        ; implicit-def: $vgpr4
	s_and_saveexec_b64 s[10:11], vcc
	s_xor_b64 s[10:11], exec, s[10:11]
; %bb.907:
	v_bfe_u32 v4, v3, 4, 1
	s_mov_b32 s12, 0x407ffff
	v_add3_u32 v4, v5, v4, s12
	v_lshrrev_b32_e32 v5, 20, v4
	v_and_b32_e32 v4, 0xff00000, v4
	s_mov_b32 s12, 0x7f00000
	v_mov_b32_e32 v6, 0x7e
	v_cmp_ne_u32_e32 vcc, s12, v4
	v_cndmask_b32_e32 v4, v6, v5, vcc
                                        ; implicit-def: $vgpr5
; %bb.908:
	s_andn2_saveexec_b64 s[10:11], s[10:11]
; %bb.909:
	s_mov_b32 s12, 0x46800000
	v_add_f32_e64 v4, |v5|, s12
; %bb.910:
	s_or_b64 exec, exec, s[10:11]
                                        ; implicit-def: $vgpr6
.LBB122_911:
	s_andn2_saveexec_b64 s[8:9], s[8:9]
; %bb.912:
	s_mov_b32 s10, 0x7f800000
	v_mov_b32_e32 v4, 0x7e
	v_mov_b32_e32 v5, 0x7f
	v_cmp_lt_u32_e32 vcc, s10, v6
	v_cndmask_b32_e32 v4, v4, v5, vcc
; %bb.913:
	s_or_b64 exec, exec, s[8:9]
	v_lshrrev_b32_e32 v3, 8, v3
	s_movk_i32 s8, 0x80
	v_and_or_b32 v3, v3, s8, v4
	global_store_byte v[1:2], v3, off
.LBB122_914:
	s_mov_b64 s[8:9], 0
.LBB122_915:
	s_andn2_b64 vcc, exec, s[8:9]
	s_cbranch_vccnz .LBB122_925
; %bb.916:
	v_lshlrev_b32_e32 v5, 16, v22
	v_and_b32_e32 v6, 0x7fffffff, v5
	s_mov_b32 s8, 0x47800000
	v_and_b32_e32 v3, 0xffff, v22
	v_cmp_gt_u32_e32 vcc, s8, v6
                                        ; implicit-def: $vgpr4
	s_and_saveexec_b64 s[8:9], vcc
	s_xor_b64 s[8:9], exec, s[8:9]
	s_cbranch_execz .LBB122_922
; %bb.917:
	s_mov_b32 s10, 0x387fffff
	v_cmp_lt_u32_e32 vcc, s10, v6
                                        ; implicit-def: $vgpr4
	s_and_saveexec_b64 s[10:11], vcc
	s_xor_b64 s[10:11], exec, s[10:11]
; %bb.918:
	v_bfe_u32 v4, v3, 5, 1
	s_mov_b32 s12, 0x80fffff
	v_add3_u32 v4, v5, v4, s12
	v_lshrrev_b32_e32 v4, 21, v4
                                        ; implicit-def: $vgpr5
; %bb.919:
	s_andn2_saveexec_b64 s[10:11], s[10:11]
; %bb.920:
	s_mov_b32 s12, 0x43000000
	v_add_f32_e64 v4, |v5|, s12
; %bb.921:
	s_or_b64 exec, exec, s[10:11]
                                        ; implicit-def: $vgpr6
.LBB122_922:
	s_andn2_saveexec_b64 s[8:9], s[8:9]
; %bb.923:
	s_mov_b32 s10, 0x7f800000
	v_mov_b32_e32 v4, 0x7c
	v_mov_b32_e32 v5, 0x7f
	v_cmp_lt_u32_e32 vcc, s10, v6
	v_cndmask_b32_e32 v4, v4, v5, vcc
; %bb.924:
	s_or_b64 exec, exec, s[8:9]
	v_lshrrev_b32_e32 v3, 8, v3
	s_movk_i32 s8, 0x80
	v_and_or_b32 v3, v3, s8, v4
	global_store_byte v[1:2], v3, off
.LBB122_925:
	s_mov_b64 s[8:9], 0
	s_mov_b64 s[10:11], -1
.LBB122_926:
	s_andn2_b64 vcc, exec, s[8:9]
	s_mov_b64 s[8:9], 0
	s_cbranch_vccnz .LBB122_933
; %bb.927:
	s_cmp_gt_i32 s17, 14
	s_mov_b64 s[12:13], -1
	s_cbranch_scc0 .LBB122_931
; %bb.928:
	s_cmp_eq_u32 s17, 15
	s_mov_b64 s[4:5], -1
	s_cbranch_scc0 .LBB122_930
; %bb.929:
	global_store_short v[1:2], v22, off
	s_mov_b64 s[4:5], 0
	s_mov_b64 s[10:11], -1
.LBB122_930:
	s_mov_b64 s[12:13], 0
.LBB122_931:
	s_and_b64 vcc, exec, s[12:13]
	s_cbranch_vccz .LBB122_933
; %bb.932:
	s_cmp_lg_u32 s17, 11
	s_mov_b64 s[8:9], -1
	s_cselect_b64 s[4:5], -1, 0
.LBB122_933:
	s_and_b64 vcc, exec, s[4:5]
	s_cbranch_vccnz .LBB122_1111
; %bb.934:
	s_andn2_b64 vcc, exec, s[8:9]
	s_cbranch_vccnz .LBB122_936
.LBB122_935:
	v_and_b32_e32 v3, 0x7fff, v22
	v_cmp_ne_u16_e32 vcc, 0, v3
	v_cndmask_b32_e64 v3, 0, 1, vcc
	s_mov_b64 s[10:11], -1
	global_store_byte v[1:2], v3, off
.LBB122_936:
.LBB122_937:
	s_andn2_b64 vcc, exec, s[10:11]
	s_cbranch_vccnz .LBB122_1053
.LBB122_938:
	v_mov_b32_e32 v2, s37
	v_add_co_u32_e32 v1, vcc, s36, v27
	s_cmp_lt_i32 s17, 11
	v_addc_co_u32_e32 v2, vcc, 0, v2, vcc
	s_cbranch_scc1 .LBB122_1098
; %bb.939:
	s_mov_b64 s[10:11], -1
	s_mov_b64 s[8:9], 0
	s_cmp_gt_i32 s17, 25
	s_mov_b64 s[4:5], 0
	s_cbranch_scc0 .LBB122_972
; %bb.940:
	s_cmp_gt_i32 s17, 28
	s_cbranch_scc0 .LBB122_956
; %bb.941:
	s_cmp_gt_i32 s17, 43
	;; [unrolled: 3-line block ×3, first 2 shown]
	s_cbranch_scc0 .LBB122_946
; %bb.943:
	s_cmp_eq_u32 s17, 46
	s_mov_b64 s[4:5], -1
	s_cbranch_scc0 .LBB122_945
; %bb.944:
	v_and_b32_e32 v3, 0xffff, v0
	global_store_dword v[1:2], v3, off
	s_mov_b64 s[4:5], 0
.LBB122_945:
	s_mov_b64 s[10:11], 0
.LBB122_946:
	s_and_b64 vcc, exec, s[10:11]
	s_cbranch_vccz .LBB122_951
; %bb.947:
	s_cmp_eq_u32 s17, 44
	s_mov_b64 s[4:5], -1
	s_cbranch_scc0 .LBB122_951
; %bb.948:
	v_and_b32_e32 v4, 0xffff, v0
	v_bfe_u32 v3, v4, 7, 8
	s_movk_i32 s4, 0xff
	v_cmp_ne_u32_e32 vcc, s4, v3
	v_mov_b32_e32 v5, 0xff
	s_and_saveexec_b64 s[10:11], vcc
	s_cbranch_execz .LBB122_950
; %bb.949:
	v_lshlrev_b32_e32 v6, 16, v4
	s_mov_b32 s4, 0x3f0000
	v_lshrrev_b32_e32 v5, 7, v4
	v_and_b32_e32 v4, 64, v4
	v_and_or_b32 v3, v6, s4, v3
	v_cmp_ne_u32_e32 vcc, 0, v4
	v_cmp_ne_u32_e64 s[4:5], 0, v3
	s_and_b64 s[4:5], vcc, s[4:5]
	v_cndmask_b32_e64 v3, 0, 1, s[4:5]
	v_add_u32_e32 v5, v5, v3
.LBB122_950:
	s_or_b64 exec, exec, s[10:11]
	s_mov_b64 s[4:5], 0
	global_store_byte v[1:2], v5, off
.LBB122_951:
	s_mov_b64 s[10:11], 0
.LBB122_952:
	s_and_b64 vcc, exec, s[10:11]
	s_cbranch_vccz .LBB122_955
; %bb.953:
	s_cmp_eq_u32 s17, 29
	s_mov_b64 s[4:5], -1
	s_cbranch_scc0 .LBB122_955
; %bb.954:
	v_lshlrev_b32_e32 v3, 16, v0
	v_trunc_f32_e32 v3, v3
	v_mul_f32_e32 v4, 0x2f800000, v3
	v_floor_f32_e32 v5, v4
	v_fmac_f32_e32 v3, 0xcf800000, v5
	v_cvt_u32_f32_e32 v4, v5
	v_cvt_u32_f32_e32 v3, v3
	s_mov_b64 s[4:5], 0
	global_store_dwordx2 v[1:2], v[3:4], off
.LBB122_955:
	s_mov_b64 s[10:11], 0
.LBB122_956:
	s_and_b64 vcc, exec, s[10:11]
	s_cbranch_vccz .LBB122_971
; %bb.957:
	s_cmp_lt_i32 s17, 27
	s_mov_b64 s[10:11], -1
	s_cbranch_scc1 .LBB122_963
; %bb.958:
	s_cmp_gt_i32 s17, 27
	s_cbranch_scc0 .LBB122_960
; %bb.959:
	v_lshlrev_b32_e32 v3, 16, v0
	v_cvt_u32_f32_e32 v3, v3
	s_mov_b64 s[10:11], 0
	global_store_dword v[1:2], v3, off
.LBB122_960:
	s_andn2_b64 vcc, exec, s[10:11]
	s_cbranch_vccnz .LBB122_962
; %bb.961:
	v_lshlrev_b32_e32 v3, 16, v0
	v_cvt_u32_f32_e32 v3, v3
	global_store_short v[1:2], v3, off
.LBB122_962:
	s_mov_b64 s[10:11], 0
.LBB122_963:
	s_andn2_b64 vcc, exec, s[10:11]
	s_cbranch_vccnz .LBB122_971
; %bb.964:
	v_lshlrev_b32_e32 v5, 16, v0
	v_and_b32_e32 v4, 0x7fffffff, v5
	s_mov_b32 s10, 0x43800000
	v_cmp_gt_u32_e32 vcc, s10, v4
	v_mov_b32_e32 v6, 0x80
	s_and_saveexec_b64 s[10:11], vcc
	s_cbranch_execz .LBB122_970
; %bb.965:
	s_mov_b32 s12, 0x3bffffff
	v_and_b32_e32 v3, 0xffff, v0
	v_cmp_lt_u32_e32 vcc, s12, v4
	s_mov_b64 s[12:13], 0
                                        ; implicit-def: $vgpr4
	s_and_saveexec_b64 s[14:15], vcc
	s_xor_b64 s[14:15], exec, s[14:15]
	s_cbranch_execz .LBB122_1116
; %bb.966:
	v_bfe_u32 v4, v3, 4, 1
	s_mov_b32 s18, 0x487ffff
	v_add3_u32 v4, v5, v4, s18
	s_mov_b64 s[12:13], exec
	v_lshrrev_b32_e32 v4, 20, v4
                                        ; implicit-def: $vgpr5
	s_andn2_saveexec_b64 s[14:15], s[14:15]
	s_cbranch_execnz .LBB122_1117
.LBB122_967:
	s_or_b64 exec, exec, s[14:15]
	v_mov_b32_e32 v6, 0
	s_and_saveexec_b64 s[14:15], s[12:13]
.LBB122_968:
	v_lshrrev_b32_e32 v3, 8, v3
	s_movk_i32 s12, 0x80
	v_and_or_b32 v6, v3, s12, v4
.LBB122_969:
	s_or_b64 exec, exec, s[14:15]
.LBB122_970:
	s_or_b64 exec, exec, s[10:11]
	global_store_byte v[1:2], v6, off
.LBB122_971:
	s_mov_b64 s[10:11], 0
.LBB122_972:
	s_and_b64 vcc, exec, s[10:11]
	s_cbranch_vccz .LBB122_1012
; %bb.973:
	s_cmp_gt_i32 s17, 22
	s_mov_b64 s[8:9], -1
	s_cbranch_scc0 .LBB122_1005
; %bb.974:
	s_cmp_lt_i32 s17, 24
	s_cbranch_scc1 .LBB122_994
; %bb.975:
	s_cmp_gt_i32 s17, 24
	s_cbranch_scc0 .LBB122_983
; %bb.976:
	v_lshlrev_b32_e32 v5, 16, v0
	v_and_b32_e32 v4, 0x7fffffff, v5
	s_mov_b32 s8, 0x47800000
	v_cmp_gt_u32_e32 vcc, s8, v4
	v_mov_b32_e32 v6, 0x80
	s_and_saveexec_b64 s[8:9], vcc
	s_cbranch_execz .LBB122_982
; %bb.977:
	s_mov_b32 s10, 0x37ffffff
	v_and_b32_e32 v3, 0xffff, v0
	v_cmp_lt_u32_e32 vcc, s10, v4
	s_mov_b64 s[10:11], 0
                                        ; implicit-def: $vgpr4
	s_and_saveexec_b64 s[12:13], vcc
	s_xor_b64 s[12:13], exec, s[12:13]
	s_cbranch_execz .LBB122_1123
; %bb.978:
	v_bfe_u32 v4, v3, 5, 1
	s_mov_b32 s14, 0x88fffff
	v_add3_u32 v4, v5, v4, s14
	s_mov_b64 s[10:11], exec
	v_lshrrev_b32_e32 v4, 21, v4
                                        ; implicit-def: $vgpr5
	s_andn2_saveexec_b64 s[12:13], s[12:13]
	s_cbranch_execnz .LBB122_1124
.LBB122_979:
	s_or_b64 exec, exec, s[12:13]
	v_mov_b32_e32 v6, 0
	s_and_saveexec_b64 s[12:13], s[10:11]
.LBB122_980:
	v_lshrrev_b32_e32 v3, 8, v3
	s_movk_i32 s10, 0x80
	v_and_or_b32 v6, v3, s10, v4
.LBB122_981:
	s_or_b64 exec, exec, s[12:13]
.LBB122_982:
	s_or_b64 exec, exec, s[8:9]
	s_mov_b64 s[8:9], 0
	global_store_byte v[1:2], v6, off
.LBB122_983:
	s_and_b64 vcc, exec, s[8:9]
	s_cbranch_vccz .LBB122_993
; %bb.984:
	v_lshlrev_b32_e32 v5, 16, v0
	v_and_b32_e32 v6, 0x7fffffff, v5
	s_mov_b32 s8, 0x43f00000
	v_and_b32_e32 v3, 0xffff, v0
	v_cmp_gt_u32_e32 vcc, s8, v6
                                        ; implicit-def: $vgpr4
	s_and_saveexec_b64 s[8:9], vcc
	s_xor_b64 s[8:9], exec, s[8:9]
	s_cbranch_execz .LBB122_990
; %bb.985:
	s_mov_b32 s10, 0x3c7fffff
	v_cmp_lt_u32_e32 vcc, s10, v6
                                        ; implicit-def: $vgpr4
	s_and_saveexec_b64 s[10:11], vcc
	s_xor_b64 s[10:11], exec, s[10:11]
; %bb.986:
	v_bfe_u32 v4, v3, 4, 1
	s_mov_b32 s12, 0x407ffff
	v_add3_u32 v4, v5, v4, s12
	v_lshrrev_b32_e32 v5, 20, v4
	v_and_b32_e32 v4, 0xff00000, v4
	s_mov_b32 s12, 0x7f00000
	v_mov_b32_e32 v6, 0x7e
	v_cmp_ne_u32_e32 vcc, s12, v4
	v_cndmask_b32_e32 v4, v6, v5, vcc
                                        ; implicit-def: $vgpr5
; %bb.987:
	s_andn2_saveexec_b64 s[10:11], s[10:11]
; %bb.988:
	s_mov_b32 s12, 0x46800000
	v_add_f32_e64 v4, |v5|, s12
; %bb.989:
	s_or_b64 exec, exec, s[10:11]
                                        ; implicit-def: $vgpr6
.LBB122_990:
	s_andn2_saveexec_b64 s[8:9], s[8:9]
; %bb.991:
	s_mov_b32 s10, 0x7f800000
	v_mov_b32_e32 v4, 0x7e
	v_mov_b32_e32 v5, 0x7f
	v_cmp_lt_u32_e32 vcc, s10, v6
	v_cndmask_b32_e32 v4, v4, v5, vcc
; %bb.992:
	s_or_b64 exec, exec, s[8:9]
	v_lshrrev_b32_e32 v3, 8, v3
	s_movk_i32 s8, 0x80
	v_and_or_b32 v3, v3, s8, v4
	global_store_byte v[1:2], v3, off
.LBB122_993:
	s_mov_b64 s[8:9], 0
.LBB122_994:
	s_andn2_b64 vcc, exec, s[8:9]
	s_cbranch_vccnz .LBB122_1004
; %bb.995:
	v_lshlrev_b32_e32 v5, 16, v0
	v_and_b32_e32 v6, 0x7fffffff, v5
	s_mov_b32 s8, 0x47800000
	v_and_b32_e32 v3, 0xffff, v0
	v_cmp_gt_u32_e32 vcc, s8, v6
                                        ; implicit-def: $vgpr4
	s_and_saveexec_b64 s[8:9], vcc
	s_xor_b64 s[8:9], exec, s[8:9]
	s_cbranch_execz .LBB122_1001
; %bb.996:
	s_mov_b32 s10, 0x387fffff
	v_cmp_lt_u32_e32 vcc, s10, v6
                                        ; implicit-def: $vgpr4
	s_and_saveexec_b64 s[10:11], vcc
	s_xor_b64 s[10:11], exec, s[10:11]
; %bb.997:
	v_bfe_u32 v4, v3, 5, 1
	s_mov_b32 s12, 0x80fffff
	v_add3_u32 v4, v5, v4, s12
	v_lshrrev_b32_e32 v4, 21, v4
                                        ; implicit-def: $vgpr5
; %bb.998:
	s_andn2_saveexec_b64 s[10:11], s[10:11]
; %bb.999:
	s_mov_b32 s12, 0x43000000
	v_add_f32_e64 v4, |v5|, s12
; %bb.1000:
	s_or_b64 exec, exec, s[10:11]
                                        ; implicit-def: $vgpr6
.LBB122_1001:
	s_andn2_saveexec_b64 s[8:9], s[8:9]
; %bb.1002:
	s_mov_b32 s10, 0x7f800000
	v_mov_b32_e32 v4, 0x7c
	v_mov_b32_e32 v5, 0x7f
	v_cmp_lt_u32_e32 vcc, s10, v6
	v_cndmask_b32_e32 v4, v4, v5, vcc
; %bb.1003:
	s_or_b64 exec, exec, s[8:9]
	v_lshrrev_b32_e32 v3, 8, v3
	s_movk_i32 s8, 0x80
	v_and_or_b32 v3, v3, s8, v4
	global_store_byte v[1:2], v3, off
.LBB122_1004:
	s_mov_b64 s[8:9], 0
.LBB122_1005:
	s_andn2_b64 vcc, exec, s[8:9]
	s_mov_b64 s[8:9], 0
	s_cbranch_vccnz .LBB122_1012
; %bb.1006:
	s_cmp_gt_i32 s17, 14
	s_mov_b64 s[10:11], -1
	s_cbranch_scc0 .LBB122_1010
; %bb.1007:
	s_cmp_eq_u32 s17, 15
	s_mov_b64 s[4:5], -1
	s_cbranch_scc0 .LBB122_1009
; %bb.1008:
	global_store_short v[1:2], v0, off
	s_mov_b64 s[4:5], 0
.LBB122_1009:
	s_mov_b64 s[10:11], 0
.LBB122_1010:
	s_and_b64 vcc, exec, s[10:11]
	s_cbranch_vccz .LBB122_1012
; %bb.1011:
	s_cmp_lg_u32 s17, 11
	s_mov_b64 s[8:9], -1
	s_cselect_b64 s[4:5], -1, 0
.LBB122_1012:
	s_and_b64 vcc, exec, s[4:5]
	s_cbranch_vccnz .LBB122_1118
.LBB122_1013:
	s_mov_b64 s[4:5], 0
	s_branch .LBB122_1054
.LBB122_1014:
	s_mov_b64 s[10:11], 0
	s_cbranch_execz .LBB122_937
; %bb.1015:
	s_cmp_lt_i32 s17, 5
	s_mov_b64 s[4:5], -1
	s_cbranch_scc1 .LBB122_1036
; %bb.1016:
	s_cmp_lt_i32 s17, 8
	s_cbranch_scc1 .LBB122_1026
; %bb.1017:
	s_cmp_lt_i32 s17, 9
	s_cbranch_scc1 .LBB122_1023
; %bb.1018:
	s_cmp_gt_i32 s17, 9
	s_cbranch_scc0 .LBB122_1020
; %bb.1019:
	v_lshlrev_b32_e32 v3, 16, v22
	v_cvt_f64_f32_e32 v[3:4], v3
	v_mov_b32_e32 v5, 0
	v_mov_b32_e32 v6, v5
	s_mov_b64 s[4:5], 0
	global_store_dwordx4 v[1:2], v[3:6], off
.LBB122_1020:
	s_andn2_b64 vcc, exec, s[4:5]
	s_cbranch_vccnz .LBB122_1022
; %bb.1021:
	v_lshlrev_b32_e32 v3, 16, v22
	v_mov_b32_e32 v4, 0
	global_store_dwordx2 v[1:2], v[3:4], off
.LBB122_1022:
	s_mov_b64 s[4:5], 0
.LBB122_1023:
	s_andn2_b64 vcc, exec, s[4:5]
	s_cbranch_vccnz .LBB122_1025
; %bb.1024:
	v_lshlrev_b32_e32 v3, 16, v22
	v_cvt_f16_f32_e32 v3, v3
	global_store_dword v[1:2], v3, off
.LBB122_1025:
	s_mov_b64 s[4:5], 0
.LBB122_1026:
	s_andn2_b64 vcc, exec, s[4:5]
	s_cbranch_vccnz .LBB122_1035
; %bb.1027:
	s_cmp_lt_i32 s17, 6
	s_mov_b64 s[4:5], -1
	s_cbranch_scc1 .LBB122_1033
; %bb.1028:
	s_cmp_gt_i32 s17, 6
	s_cbranch_scc0 .LBB122_1030
; %bb.1029:
	v_lshlrev_b32_e32 v3, 16, v22
	v_cvt_f64_f32_e32 v[3:4], v3
	s_mov_b64 s[4:5], 0
	global_store_dwordx2 v[1:2], v[3:4], off
.LBB122_1030:
	s_andn2_b64 vcc, exec, s[4:5]
	s_cbranch_vccnz .LBB122_1032
; %bb.1031:
	v_lshlrev_b32_e32 v3, 16, v22
	global_store_dword v[1:2], v3, off
.LBB122_1032:
	s_mov_b64 s[4:5], 0
.LBB122_1033:
	s_andn2_b64 vcc, exec, s[4:5]
	s_cbranch_vccnz .LBB122_1035
; %bb.1034:
	v_lshlrev_b32_e32 v3, 16, v22
	v_cvt_f16_f32_e32 v3, v3
	global_store_short v[1:2], v3, off
.LBB122_1035:
	s_mov_b64 s[4:5], 0
.LBB122_1036:
	s_andn2_b64 vcc, exec, s[4:5]
	s_cbranch_vccnz .LBB122_1052
; %bb.1037:
	s_cmp_lt_i32 s17, 2
	s_mov_b64 s[4:5], -1
	s_cbranch_scc1 .LBB122_1047
; %bb.1038:
	s_cmp_lt_i32 s17, 3
	s_cbranch_scc1 .LBB122_1044
; %bb.1039:
	s_cmp_gt_i32 s17, 3
	s_cbranch_scc0 .LBB122_1041
; %bb.1040:
	v_lshlrev_b32_e32 v3, 16, v22
	v_trunc_f32_e32 v3, v3
	s_mov_b32 s4, 0x2f800000
	v_mul_f32_e64 v4, |v3|, s4
	v_floor_f32_e32 v4, v4
	s_mov_b32 s4, 0xcf800000
	v_cvt_u32_f32_e32 v5, v4
	v_fma_f32 v4, v4, s4, |v3|
	v_cvt_u32_f32_e32 v4, v4
	v_ashrrev_i32_e32 v6, 31, v3
	v_xor_b32_e32 v5, v5, v6
	s_mov_b64 s[4:5], 0
	v_xor_b32_e32 v3, v4, v6
	v_sub_co_u32_e32 v3, vcc, v3, v6
	v_subb_co_u32_e32 v4, vcc, v5, v6, vcc
	global_store_dwordx2 v[1:2], v[3:4], off
.LBB122_1041:
	s_andn2_b64 vcc, exec, s[4:5]
	s_cbranch_vccnz .LBB122_1043
; %bb.1042:
	v_lshlrev_b32_e32 v3, 16, v22
	v_cvt_i32_f32_e32 v3, v3
	global_store_dword v[1:2], v3, off
.LBB122_1043:
	s_mov_b64 s[4:5], 0
.LBB122_1044:
	s_andn2_b64 vcc, exec, s[4:5]
	s_cbranch_vccnz .LBB122_1046
; %bb.1045:
	v_lshlrev_b32_e32 v3, 16, v22
	v_cvt_i32_f32_e32 v3, v3
	global_store_short v[1:2], v3, off
.LBB122_1046:
	s_mov_b64 s[4:5], 0
.LBB122_1047:
	s_andn2_b64 vcc, exec, s[4:5]
	s_cbranch_vccnz .LBB122_1052
; %bb.1048:
	s_cmp_gt_i32 s17, 0
	s_mov_b64 s[4:5], -1
	s_cbranch_scc0 .LBB122_1050
; %bb.1049:
	v_lshlrev_b32_e32 v3, 16, v22
	v_cvt_i32_f32_e32 v3, v3
	s_mov_b64 s[4:5], 0
	global_store_byte v[1:2], v3, off
.LBB122_1050:
	s_andn2_b64 vcc, exec, s[4:5]
	s_cbranch_vccnz .LBB122_1052
; %bb.1051:
	v_lshlrev_b32_e32 v3, 16, v22
	v_trunc_f32_e32 v3, v3
	s_mov_b32 s4, 0x2f800000
	v_mul_f32_e64 v4, |v3|, s4
	v_floor_f32_e32 v4, v4
	s_mov_b32 s4, 0xcf800000
	v_fma_f32 v4, v4, s4, |v3|
	v_cvt_u32_f32_e32 v4, v4
	v_ashrrev_i32_e32 v3, 31, v3
	v_xor_b32_e32 v4, v4, v3
	v_sub_u32_e32 v3, v4, v3
	global_store_byte v[1:2], v3, off
.LBB122_1052:
	s_branch .LBB122_938
.LBB122_1053:
	s_mov_b64 s[4:5], 0
	s_mov_b64 s[8:9], 0
                                        ; implicit-def: $sgpr16
                                        ; implicit-def: $vgpr1_vgpr2
.LBB122_1054:
	s_and_b64 s[60:61], s[8:9], exec
	s_andn2_b64 s[8:9], s[48:49], exec
	s_and_b64 s[6:7], s[6:7], exec
	s_and_b64 s[4:5], s[4:5], exec
	s_or_b64 s[48:49], s[8:9], s[6:7]
.LBB122_1055:
	s_or_b64 exec, exec, s[50:51]
	s_and_saveexec_b64 s[6:7], s[48:49]
	s_cbranch_execz .LBB122_1058
; %bb.1056:
	; divergent unreachable
	s_or_b64 exec, exec, s[6:7]
	s_and_saveexec_b64 s[6:7], s[60:61]
	s_xor_b64 s[6:7], exec, s[6:7]
	s_cbranch_execnz .LBB122_1059
.LBB122_1057:
	s_or_b64 exec, exec, s[6:7]
	s_and_saveexec_b64 s[6:7], s[4:5]
	s_cbranch_execnz .LBB122_1060
	s_branch .LBB122_1097
.LBB122_1058:
	s_or_b64 exec, exec, s[6:7]
	s_and_saveexec_b64 s[6:7], s[60:61]
	s_xor_b64 s[6:7], exec, s[6:7]
	s_cbranch_execz .LBB122_1057
.LBB122_1059:
	v_and_b32_e32 v3, 0x7fff, v0
	v_cmp_ne_u16_e32 vcc, 0, v3
	v_cndmask_b32_e64 v3, 0, 1, vcc
	global_store_byte v[1:2], v3, off
	s_or_b64 exec, exec, s[6:7]
	s_and_saveexec_b64 s[6:7], s[4:5]
	s_cbranch_execz .LBB122_1097
.LBB122_1060:
	s_sext_i32_i16 s6, s16
	s_cmp_lt_i32 s6, 5
	s_mov_b64 s[4:5], -1
	s_cbranch_scc1 .LBB122_1081
; %bb.1061:
	s_cmp_lt_i32 s6, 8
	s_cbranch_scc1 .LBB122_1071
; %bb.1062:
	s_cmp_lt_i32 s6, 9
	s_cbranch_scc1 .LBB122_1068
; %bb.1063:
	s_cmp_gt_i32 s6, 9
	s_cbranch_scc0 .LBB122_1065
; %bb.1064:
	v_lshlrev_b32_e32 v3, 16, v0
	v_cvt_f64_f32_e32 v[3:4], v3
	v_mov_b32_e32 v5, 0
	v_mov_b32_e32 v6, v5
	s_mov_b64 s[4:5], 0
	global_store_dwordx4 v[1:2], v[3:6], off
.LBB122_1065:
	s_andn2_b64 vcc, exec, s[4:5]
	s_cbranch_vccnz .LBB122_1067
; %bb.1066:
	v_lshlrev_b32_e32 v3, 16, v0
	v_mov_b32_e32 v4, 0
	global_store_dwordx2 v[1:2], v[3:4], off
.LBB122_1067:
	s_mov_b64 s[4:5], 0
.LBB122_1068:
	s_andn2_b64 vcc, exec, s[4:5]
	s_cbranch_vccnz .LBB122_1070
; %bb.1069:
	v_lshlrev_b32_e32 v3, 16, v0
	v_cvt_f16_f32_e32 v3, v3
	global_store_dword v[1:2], v3, off
.LBB122_1070:
	s_mov_b64 s[4:5], 0
.LBB122_1071:
	s_andn2_b64 vcc, exec, s[4:5]
	s_cbranch_vccnz .LBB122_1080
; %bb.1072:
	s_sext_i32_i16 s6, s16
	s_cmp_lt_i32 s6, 6
	s_mov_b64 s[4:5], -1
	s_cbranch_scc1 .LBB122_1078
; %bb.1073:
	s_cmp_gt_i32 s6, 6
	s_cbranch_scc0 .LBB122_1075
; %bb.1074:
	v_lshlrev_b32_e32 v3, 16, v0
	v_cvt_f64_f32_e32 v[3:4], v3
	s_mov_b64 s[4:5], 0
	global_store_dwordx2 v[1:2], v[3:4], off
.LBB122_1075:
	s_andn2_b64 vcc, exec, s[4:5]
	s_cbranch_vccnz .LBB122_1077
; %bb.1076:
	v_lshlrev_b32_e32 v3, 16, v0
	global_store_dword v[1:2], v3, off
.LBB122_1077:
	s_mov_b64 s[4:5], 0
.LBB122_1078:
	s_andn2_b64 vcc, exec, s[4:5]
	s_cbranch_vccnz .LBB122_1080
; %bb.1079:
	v_lshlrev_b32_e32 v3, 16, v0
	v_cvt_f16_f32_e32 v3, v3
	global_store_short v[1:2], v3, off
.LBB122_1080:
	s_mov_b64 s[4:5], 0
.LBB122_1081:
	s_andn2_b64 vcc, exec, s[4:5]
	s_cbranch_vccnz .LBB122_1097
; %bb.1082:
	s_sext_i32_i16 s6, s16
	s_cmp_lt_i32 s6, 2
	s_mov_b64 s[4:5], -1
	s_cbranch_scc1 .LBB122_1092
; %bb.1083:
	s_cmp_lt_i32 s6, 3
	s_cbranch_scc1 .LBB122_1089
; %bb.1084:
	s_cmp_gt_i32 s6, 3
	s_cbranch_scc0 .LBB122_1086
; %bb.1085:
	v_lshlrev_b32_e32 v3, 16, v0
	v_trunc_f32_e32 v3, v3
	s_mov_b32 s4, 0x2f800000
	v_mul_f32_e64 v4, |v3|, s4
	v_floor_f32_e32 v4, v4
	s_mov_b32 s4, 0xcf800000
	v_cvt_u32_f32_e32 v5, v4
	v_fma_f32 v4, v4, s4, |v3|
	v_cvt_u32_f32_e32 v4, v4
	v_ashrrev_i32_e32 v6, 31, v3
	v_xor_b32_e32 v5, v5, v6
	s_mov_b64 s[4:5], 0
	v_xor_b32_e32 v3, v4, v6
	v_sub_co_u32_e32 v3, vcc, v3, v6
	v_subb_co_u32_e32 v4, vcc, v5, v6, vcc
	global_store_dwordx2 v[1:2], v[3:4], off
.LBB122_1086:
	s_andn2_b64 vcc, exec, s[4:5]
	s_cbranch_vccnz .LBB122_1088
; %bb.1087:
	v_lshlrev_b32_e32 v3, 16, v0
	v_cvt_i32_f32_e32 v3, v3
	global_store_dword v[1:2], v3, off
.LBB122_1088:
	s_mov_b64 s[4:5], 0
.LBB122_1089:
	s_andn2_b64 vcc, exec, s[4:5]
	s_cbranch_vccnz .LBB122_1091
; %bb.1090:
	v_lshlrev_b32_e32 v3, 16, v0
	v_cvt_i32_f32_e32 v3, v3
	global_store_short v[1:2], v3, off
.LBB122_1091:
	s_mov_b64 s[4:5], 0
.LBB122_1092:
	s_andn2_b64 vcc, exec, s[4:5]
	s_cbranch_vccnz .LBB122_1097
; %bb.1093:
	s_sext_i32_i16 s4, s16
	s_cmp_gt_i32 s4, 0
	s_mov_b64 s[4:5], -1
	s_cbranch_scc0 .LBB122_1095
; %bb.1094:
	v_lshlrev_b32_e32 v3, 16, v0
	v_cvt_i32_f32_e32 v3, v3
	s_mov_b64 s[4:5], 0
	global_store_byte v[1:2], v3, off
.LBB122_1095:
	s_andn2_b64 vcc, exec, s[4:5]
	s_cbranch_vccnz .LBB122_1097
; %bb.1096:
	v_lshlrev_b32_e32 v0, 16, v0
	v_trunc_f32_e32 v0, v0
	s_mov_b32 s4, 0x2f800000
	v_mul_f32_e64 v3, |v0|, s4
	v_floor_f32_e32 v3, v3
	s_mov_b32 s4, 0xcf800000
	v_fma_f32 v3, v3, s4, |v0|
	v_cvt_u32_f32_e32 v3, v3
	v_ashrrev_i32_e32 v0, 31, v0
	v_xor_b32_e32 v3, v3, v0
	v_sub_u32_e32 v0, v3, v0
	global_store_byte v[1:2], v0, off
	s_endpgm
.LBB122_1097:
	s_endpgm
.LBB122_1098:
	s_mov_b64 s[8:9], 0
	s_mov_b64 s[4:5], -1
	s_branch .LBB122_1054
.LBB122_1099:
	s_andn2_saveexec_b64 s[12:13], s[12:13]
	s_cbranch_execz .LBB122_651
.LBB122_1100:
	s_mov_b32 s15, 0x46000000
	v_add_f32_e64 v4, |v5|, s15
	v_and_b32_e32 v4, 0xff, v4
	v_cmp_ne_u32_e32 vcc, 0, v4
	s_andn2_b64 s[10:11], s[10:11], exec
	s_and_b64 s[18:19], vcc, exec
	s_or_b64 s[10:11], s[10:11], s[18:19]
	s_or_b64 exec, exec, s[12:13]
	v_mov_b32_e32 v6, 0
	s_and_saveexec_b64 s[12:13], s[10:11]
	s_cbranch_execnz .LBB122_652
	s_branch .LBB122_653
.LBB122_1101:
	s_or_b64 s[6:7], s[48:49], exec
	s_trap 2
	s_cbranch_execz .LBB122_699
	s_branch .LBB122_700
.LBB122_1102:
	s_andn2_saveexec_b64 s[10:11], s[10:11]
	s_cbranch_execz .LBB122_664
.LBB122_1103:
	s_mov_b32 s12, 0x42800000
	v_add_f32_e64 v4, |v5|, s12
	v_and_b32_e32 v4, 0xff, v4
	v_cmp_ne_u32_e32 vcc, 0, v4
	s_andn2_b64 s[8:9], s[8:9], exec
	s_and_b64 s[12:13], vcc, exec
	s_or_b64 s[8:9], s[8:9], s[12:13]
	s_or_b64 exec, exec, s[10:11]
	v_mov_b32_e32 v6, 0
	s_and_saveexec_b64 s[10:11], s[8:9]
	s_cbranch_execnz .LBB122_665
	s_branch .LBB122_666
.LBB122_1104:
	s_andn2_saveexec_b64 s[14:15], s[14:15]
	s_cbranch_execz .LBB122_769
.LBB122_1105:
	s_mov_b32 s18, 0x46000000
	v_add_f32_e64 v4, |v5|, s18
	v_and_b32_e32 v4, 0xff, v4
	v_cmp_ne_u32_e32 vcc, 0, v4
	s_andn2_b64 s[12:13], s[12:13], exec
	s_and_b64 s[18:19], vcc, exec
	s_or_b64 s[12:13], s[12:13], s[18:19]
	s_or_b64 exec, exec, s[14:15]
	v_mov_b32_e32 v6, 0
	s_and_saveexec_b64 s[14:15], s[12:13]
	s_cbranch_execnz .LBB122_770
	s_branch .LBB122_771
.LBB122_1106:
	s_trap 2
	s_or_b64 s[6:7], s[6:7], exec
	s_cbranch_execz .LBB122_817
	s_branch .LBB122_818
.LBB122_1107:
	s_andn2_saveexec_b64 s[12:13], s[12:13]
	s_cbranch_execz .LBB122_782
.LBB122_1108:
	s_mov_b32 s14, 0x42800000
	v_add_f32_e64 v4, |v5|, s14
	v_and_b32_e32 v4, 0xff, v4
	v_cmp_ne_u32_e32 vcc, 0, v4
	s_andn2_b64 s[10:11], s[10:11], exec
	s_and_b64 s[14:15], vcc, exec
	s_or_b64 s[10:11], s[10:11], s[14:15]
	s_or_b64 exec, exec, s[12:13]
	v_mov_b32_e32 v6, 0
	s_and_saveexec_b64 s[12:13], s[10:11]
	s_cbranch_execnz .LBB122_783
	s_branch .LBB122_784
.LBB122_1109:
	s_andn2_saveexec_b64 s[14:15], s[14:15]
	s_cbranch_execz .LBB122_887
.LBB122_1110:
	s_mov_b32 s18, 0x46000000
	v_add_f32_e64 v4, |v5|, s18
	v_and_b32_e32 v4, 0xff, v4
	v_cmp_ne_u32_e32 vcc, 0, v4
	s_andn2_b64 s[12:13], s[12:13], exec
	s_and_b64 s[18:19], vcc, exec
	s_or_b64 s[12:13], s[12:13], s[18:19]
	s_or_b64 exec, exec, s[14:15]
	v_mov_b32_e32 v6, 0
	s_and_saveexec_b64 s[14:15], s[12:13]
	s_cbranch_execnz .LBB122_888
	s_branch .LBB122_889
.LBB122_1111:
	s_trap 2
	s_or_b64 s[6:7], s[6:7], exec
	s_cbranch_execz .LBB122_935
	s_branch .LBB122_936
.LBB122_1112:
	s_andn2_saveexec_b64 s[10:11], s[10:11]
	s_cbranch_execz .LBB122_338
.LBB122_1113:
	s_mov_b32 s14, 0x46000000
	v_add_f32_e64 v4, |v5|, s14
	v_and_b32_e32 v4, 0xff, v4
	v_cmp_ne_u32_e32 vcc, 0, v4
	s_andn2_b64 s[8:9], s[8:9], exec
	s_and_b64 s[14:15], vcc, exec
	s_or_b64 s[8:9], s[8:9], s[14:15]
	s_or_b64 exec, exec, s[10:11]
	v_mov_b32_e32 v6, 0
	s_and_saveexec_b64 s[10:11], s[8:9]
	s_cbranch_execnz .LBB122_339
	s_branch .LBB122_340
.LBB122_1114:
	s_andn2_saveexec_b64 s[12:13], s[12:13]
	s_cbranch_execz .LBB122_900
.LBB122_1115:
	s_mov_b32 s14, 0x42800000
	v_add_f32_e64 v4, |v5|, s14
	v_and_b32_e32 v4, 0xff, v4
	v_cmp_ne_u32_e32 vcc, 0, v4
	s_andn2_b64 s[10:11], s[10:11], exec
	s_and_b64 s[14:15], vcc, exec
	s_or_b64 s[10:11], s[10:11], s[14:15]
	s_or_b64 exec, exec, s[12:13]
	v_mov_b32_e32 v6, 0
	s_and_saveexec_b64 s[12:13], s[10:11]
	s_cbranch_execnz .LBB122_901
	s_branch .LBB122_902
.LBB122_1116:
	s_andn2_saveexec_b64 s[14:15], s[14:15]
	s_cbranch_execz .LBB122_967
.LBB122_1117:
	s_mov_b32 s18, 0x46000000
	v_add_f32_e64 v4, |v5|, s18
	v_and_b32_e32 v4, 0xff, v4
	v_cmp_ne_u32_e32 vcc, 0, v4
	s_andn2_b64 s[12:13], s[12:13], exec
	s_and_b64 s[18:19], vcc, exec
	s_or_b64 s[12:13], s[12:13], s[18:19]
	s_or_b64 exec, exec, s[14:15]
	v_mov_b32_e32 v6, 0
	s_and_saveexec_b64 s[14:15], s[12:13]
	s_cbranch_execnz .LBB122_968
	s_branch .LBB122_969
.LBB122_1118:
	s_mov_b64 s[8:9], 0
	s_or_b64 s[6:7], s[6:7], exec
	s_trap 2
	s_branch .LBB122_1013
.LBB122_1119:
	s_andn2_saveexec_b64 s[10:11], s[10:11]
	s_cbranch_execz .LBB122_351
.LBB122_1120:
	s_mov_b32 s14, 0x42800000
	v_add_f32_e64 v4, |v5|, s14
	v_and_b32_e32 v4, 0xff, v4
	v_cmp_ne_u32_e32 vcc, 0, v4
	s_andn2_b64 s[8:9], s[8:9], exec
	s_and_b64 s[14:15], vcc, exec
	s_or_b64 s[8:9], s[8:9], s[14:15]
	s_or_b64 exec, exec, s[10:11]
	v_mov_b32_e32 v6, 0
	s_and_saveexec_b64 s[10:11], s[8:9]
	s_cbranch_execnz .LBB122_352
	s_branch .LBB122_353
.LBB122_1121:
	s_andn2_saveexec_b64 s[10:11], s[10:11]
	s_cbranch_execz .LBB122_476
.LBB122_1122:
	s_mov_b32 s12, 0x46000000
	v_add_f32_e64 v4, |v5|, s12
	v_and_b32_e32 v4, 0xff, v4
	v_cmp_ne_u32_e32 vcc, 0, v4
	s_andn2_b64 s[8:9], s[8:9], exec
	s_and_b64 s[12:13], vcc, exec
	s_or_b64 s[8:9], s[8:9], s[12:13]
	s_or_b64 exec, exec, s[10:11]
	v_mov_b32_e32 v6, 0
	s_and_saveexec_b64 s[10:11], s[8:9]
	s_cbranch_execnz .LBB122_477
	s_branch .LBB122_478
.LBB122_1123:
	s_andn2_saveexec_b64 s[12:13], s[12:13]
	s_cbranch_execz .LBB122_979
.LBB122_1124:
	s_mov_b32 s14, 0x42800000
	v_add_f32_e64 v4, |v5|, s14
	v_and_b32_e32 v4, 0xff, v4
	v_cmp_ne_u32_e32 vcc, 0, v4
	s_andn2_b64 s[10:11], s[10:11], exec
	s_and_b64 s[14:15], vcc, exec
	s_or_b64 s[10:11], s[10:11], s[14:15]
	s_or_b64 exec, exec, s[12:13]
	v_mov_b32_e32 v6, 0
	s_and_saveexec_b64 s[12:13], s[10:11]
	s_cbranch_execnz .LBB122_980
	s_branch .LBB122_981
.LBB122_1125:
	s_andn2_saveexec_b64 s[12:13], s[12:13]
	s_cbranch_execz .LBB122_488
.LBB122_1126:
	s_mov_b32 s16, 0x42800000
	v_add_f32_e64 v4, |v5|, s16
	v_and_b32_e32 v4, 0xff, v4
	v_cmp_ne_u32_e32 vcc, 0, v4
	s_andn2_b64 s[10:11], s[10:11], exec
	s_and_b64 s[16:17], vcc, exec
	s_or_b64 s[10:11], s[10:11], s[16:17]
	s_or_b64 exec, exec, s[12:13]
	v_mov_b32_e32 v6, 0
	s_and_saveexec_b64 s[12:13], s[10:11]
	s_cbranch_execnz .LBB122_489
	s_branch .LBB122_490
	.section	.rodata,"a",@progbits
	.p2align	6, 0x0
	.amdhsa_kernel _ZN2at6native32elementwise_kernel_manual_unrollILi128ELi4EZNS0_15gpu_kernel_implIZZZNS0_21polygamma_kernel_cudaERNS_18TensorIteratorBaseElENKUlvE_clEvENKUlvE2_clEvEUlN3c108BFloat16EE_EEvS4_RKT_EUlibE0_EEviT1_
		.amdhsa_group_segment_fixed_size 0
		.amdhsa_private_segment_fixed_size 0
		.amdhsa_kernarg_size 368
		.amdhsa_user_sgpr_count 6
		.amdhsa_user_sgpr_private_segment_buffer 1
		.amdhsa_user_sgpr_dispatch_ptr 0
		.amdhsa_user_sgpr_queue_ptr 0
		.amdhsa_user_sgpr_kernarg_segment_ptr 1
		.amdhsa_user_sgpr_dispatch_id 0
		.amdhsa_user_sgpr_flat_scratch_init 0
		.amdhsa_user_sgpr_private_segment_size 0
		.amdhsa_uses_dynamic_stack 0
		.amdhsa_system_sgpr_private_segment_wavefront_offset 0
		.amdhsa_system_sgpr_workgroup_id_x 1
		.amdhsa_system_sgpr_workgroup_id_y 0
		.amdhsa_system_sgpr_workgroup_id_z 0
		.amdhsa_system_sgpr_workgroup_info 0
		.amdhsa_system_vgpr_workitem_id 0
		.amdhsa_next_free_vgpr 35
		.amdhsa_next_free_sgpr 94
		.amdhsa_reserve_vcc 1
		.amdhsa_reserve_flat_scratch 0
		.amdhsa_float_round_mode_32 0
		.amdhsa_float_round_mode_16_64 0
		.amdhsa_float_denorm_mode_32 3
		.amdhsa_float_denorm_mode_16_64 3
		.amdhsa_dx10_clamp 1
		.amdhsa_ieee_mode 1
		.amdhsa_fp16_overflow 0
		.amdhsa_exception_fp_ieee_invalid_op 0
		.amdhsa_exception_fp_denorm_src 0
		.amdhsa_exception_fp_ieee_div_zero 0
		.amdhsa_exception_fp_ieee_overflow 0
		.amdhsa_exception_fp_ieee_underflow 0
		.amdhsa_exception_fp_ieee_inexact 0
		.amdhsa_exception_int_div_zero 0
	.end_amdhsa_kernel
	.section	.text._ZN2at6native32elementwise_kernel_manual_unrollILi128ELi4EZNS0_15gpu_kernel_implIZZZNS0_21polygamma_kernel_cudaERNS_18TensorIteratorBaseElENKUlvE_clEvENKUlvE2_clEvEUlN3c108BFloat16EE_EEvS4_RKT_EUlibE0_EEviT1_,"axG",@progbits,_ZN2at6native32elementwise_kernel_manual_unrollILi128ELi4EZNS0_15gpu_kernel_implIZZZNS0_21polygamma_kernel_cudaERNS_18TensorIteratorBaseElENKUlvE_clEvENKUlvE2_clEvEUlN3c108BFloat16EE_EEvS4_RKT_EUlibE0_EEviT1_,comdat
.Lfunc_end122:
	.size	_ZN2at6native32elementwise_kernel_manual_unrollILi128ELi4EZNS0_15gpu_kernel_implIZZZNS0_21polygamma_kernel_cudaERNS_18TensorIteratorBaseElENKUlvE_clEvENKUlvE2_clEvEUlN3c108BFloat16EE_EEvS4_RKT_EUlibE0_EEviT1_, .Lfunc_end122-_ZN2at6native32elementwise_kernel_manual_unrollILi128ELi4EZNS0_15gpu_kernel_implIZZZNS0_21polygamma_kernel_cudaERNS_18TensorIteratorBaseElENKUlvE_clEvENKUlvE2_clEvEUlN3c108BFloat16EE_EEvS4_RKT_EUlibE0_EEviT1_
                                        ; -- End function
	.set _ZN2at6native32elementwise_kernel_manual_unrollILi128ELi4EZNS0_15gpu_kernel_implIZZZNS0_21polygamma_kernel_cudaERNS_18TensorIteratorBaseElENKUlvE_clEvENKUlvE2_clEvEUlN3c108BFloat16EE_EEvS4_RKT_EUlibE0_EEviT1_.num_vgpr, max(35, .L_ZN2at6native6invokeIZZZNS0_21polygamma_kernel_cudaERNS_18TensorIteratorBaseElENKUlvE_clEvENKUlvE2_clEvEUlN3c108BFloat16EE_j15function_traitsIS8_EEENT1_11result_typeERKT_PrKPcPKT0_PKNS6_10ScalarTypeEi.num_vgpr)
	.set _ZN2at6native32elementwise_kernel_manual_unrollILi128ELi4EZNS0_15gpu_kernel_implIZZZNS0_21polygamma_kernel_cudaERNS_18TensorIteratorBaseElENKUlvE_clEvENKUlvE2_clEvEUlN3c108BFloat16EE_EEvS4_RKT_EUlibE0_EEviT1_.num_agpr, max(0, .L_ZN2at6native6invokeIZZZNS0_21polygamma_kernel_cudaERNS_18TensorIteratorBaseElENKUlvE_clEvENKUlvE2_clEvEUlN3c108BFloat16EE_j15function_traitsIS8_EEENT1_11result_typeERKT_PrKPcPKT0_PKNS6_10ScalarTypeEi.num_agpr)
	.set _ZN2at6native32elementwise_kernel_manual_unrollILi128ELi4EZNS0_15gpu_kernel_implIZZZNS0_21polygamma_kernel_cudaERNS_18TensorIteratorBaseElENKUlvE_clEvENKUlvE2_clEvEUlN3c108BFloat16EE_EEvS4_RKT_EUlibE0_EEviT1_.numbered_sgpr, max(94, .L_ZN2at6native6invokeIZZZNS0_21polygamma_kernel_cudaERNS_18TensorIteratorBaseElENKUlvE_clEvENKUlvE2_clEvEUlN3c108BFloat16EE_j15function_traitsIS8_EEENT1_11result_typeERKT_PrKPcPKT0_PKNS6_10ScalarTypeEi.numbered_sgpr)
	.set _ZN2at6native32elementwise_kernel_manual_unrollILi128ELi4EZNS0_15gpu_kernel_implIZZZNS0_21polygamma_kernel_cudaERNS_18TensorIteratorBaseElENKUlvE_clEvENKUlvE2_clEvEUlN3c108BFloat16EE_EEvS4_RKT_EUlibE0_EEviT1_.num_named_barrier, max(0, .L_ZN2at6native6invokeIZZZNS0_21polygamma_kernel_cudaERNS_18TensorIteratorBaseElENKUlvE_clEvENKUlvE2_clEvEUlN3c108BFloat16EE_j15function_traitsIS8_EEENT1_11result_typeERKT_PrKPcPKT0_PKNS6_10ScalarTypeEi.num_named_barrier)
	.set _ZN2at6native32elementwise_kernel_manual_unrollILi128ELi4EZNS0_15gpu_kernel_implIZZZNS0_21polygamma_kernel_cudaERNS_18TensorIteratorBaseElENKUlvE_clEvENKUlvE2_clEvEUlN3c108BFloat16EE_EEvS4_RKT_EUlibE0_EEviT1_.private_seg_size, 0+max(.L_ZN2at6native6invokeIZZZNS0_21polygamma_kernel_cudaERNS_18TensorIteratorBaseElENKUlvE_clEvENKUlvE2_clEvEUlN3c108BFloat16EE_j15function_traitsIS8_EEENT1_11result_typeERKT_PrKPcPKT0_PKNS6_10ScalarTypeEi.private_seg_size)
	.set _ZN2at6native32elementwise_kernel_manual_unrollILi128ELi4EZNS0_15gpu_kernel_implIZZZNS0_21polygamma_kernel_cudaERNS_18TensorIteratorBaseElENKUlvE_clEvENKUlvE2_clEvEUlN3c108BFloat16EE_EEvS4_RKT_EUlibE0_EEviT1_.uses_vcc, or(1, .L_ZN2at6native6invokeIZZZNS0_21polygamma_kernel_cudaERNS_18TensorIteratorBaseElENKUlvE_clEvENKUlvE2_clEvEUlN3c108BFloat16EE_j15function_traitsIS8_EEENT1_11result_typeERKT_PrKPcPKT0_PKNS6_10ScalarTypeEi.uses_vcc)
	.set _ZN2at6native32elementwise_kernel_manual_unrollILi128ELi4EZNS0_15gpu_kernel_implIZZZNS0_21polygamma_kernel_cudaERNS_18TensorIteratorBaseElENKUlvE_clEvENKUlvE2_clEvEUlN3c108BFloat16EE_EEvS4_RKT_EUlibE0_EEviT1_.uses_flat_scratch, or(0, .L_ZN2at6native6invokeIZZZNS0_21polygamma_kernel_cudaERNS_18TensorIteratorBaseElENKUlvE_clEvENKUlvE2_clEvEUlN3c108BFloat16EE_j15function_traitsIS8_EEENT1_11result_typeERKT_PrKPcPKT0_PKNS6_10ScalarTypeEi.uses_flat_scratch)
	.set _ZN2at6native32elementwise_kernel_manual_unrollILi128ELi4EZNS0_15gpu_kernel_implIZZZNS0_21polygamma_kernel_cudaERNS_18TensorIteratorBaseElENKUlvE_clEvENKUlvE2_clEvEUlN3c108BFloat16EE_EEvS4_RKT_EUlibE0_EEviT1_.has_dyn_sized_stack, or(0, .L_ZN2at6native6invokeIZZZNS0_21polygamma_kernel_cudaERNS_18TensorIteratorBaseElENKUlvE_clEvENKUlvE2_clEvEUlN3c108BFloat16EE_j15function_traitsIS8_EEENT1_11result_typeERKT_PrKPcPKT0_PKNS6_10ScalarTypeEi.has_dyn_sized_stack)
	.set _ZN2at6native32elementwise_kernel_manual_unrollILi128ELi4EZNS0_15gpu_kernel_implIZZZNS0_21polygamma_kernel_cudaERNS_18TensorIteratorBaseElENKUlvE_clEvENKUlvE2_clEvEUlN3c108BFloat16EE_EEvS4_RKT_EUlibE0_EEviT1_.has_recursion, or(0, .L_ZN2at6native6invokeIZZZNS0_21polygamma_kernel_cudaERNS_18TensorIteratorBaseElENKUlvE_clEvENKUlvE2_clEvEUlN3c108BFloat16EE_j15function_traitsIS8_EEENT1_11result_typeERKT_PrKPcPKT0_PKNS6_10ScalarTypeEi.has_recursion)
	.set _ZN2at6native32elementwise_kernel_manual_unrollILi128ELi4EZNS0_15gpu_kernel_implIZZZNS0_21polygamma_kernel_cudaERNS_18TensorIteratorBaseElENKUlvE_clEvENKUlvE2_clEvEUlN3c108BFloat16EE_EEvS4_RKT_EUlibE0_EEviT1_.has_indirect_call, or(0, .L_ZN2at6native6invokeIZZZNS0_21polygamma_kernel_cudaERNS_18TensorIteratorBaseElENKUlvE_clEvENKUlvE2_clEvEUlN3c108BFloat16EE_j15function_traitsIS8_EEENT1_11result_typeERKT_PrKPcPKT0_PKNS6_10ScalarTypeEi.has_indirect_call)
	.section	.AMDGPU.csdata,"",@progbits
; Kernel info:
; codeLenInByte = 22552
; TotalNumSgprs: 98
; NumVgprs: 35
; ScratchSize: 0
; MemoryBound: 0
; FloatMode: 240
; IeeeMode: 1
; LDSByteSize: 0 bytes/workgroup (compile time only)
; SGPRBlocks: 12
; VGPRBlocks: 8
; NumSGPRsForWavesPerEU: 98
; NumVGPRsForWavesPerEU: 35
; Occupancy: 7
; WaveLimiterHint : 1
; COMPUTE_PGM_RSRC2:SCRATCH_EN: 0
; COMPUTE_PGM_RSRC2:USER_SGPR: 6
; COMPUTE_PGM_RSRC2:TRAP_HANDLER: 0
; COMPUTE_PGM_RSRC2:TGID_X_EN: 1
; COMPUTE_PGM_RSRC2:TGID_Y_EN: 0
; COMPUTE_PGM_RSRC2:TGID_Z_EN: 0
; COMPUTE_PGM_RSRC2:TIDIG_COMP_CNT: 0
	.text
	.p2align	2                               ; -- Begin function _ZN3c104guts5applyIRZZZN2at6native18lgamma_kernel_cudaERNS2_18TensorIteratorBaseEENKUlvE_clEvENKUlvE_clEvEUldE_RSt5tupleIJdEEEEDaOT_OT0_
	.type	_ZN3c104guts5applyIRZZZN2at6native18lgamma_kernel_cudaERNS2_18TensorIteratorBaseEENKUlvE_clEvENKUlvE_clEvEUldE_RSt5tupleIJdEEEEDaOT_OT0_,@function
_ZN3c104guts5applyIRZZZN2at6native18lgamma_kernel_cudaERNS2_18TensorIteratorBaseEENKUlvE_clEvENKUlvE_clEvEUldE_RSt5tupleIJdEEEEDaOT_OT0_: ; @_ZN3c104guts5applyIRZZZN2at6native18lgamma_kernel_cudaERNS2_18TensorIteratorBaseEENKUlvE_clEvENKUlvE_clEvEUldE_RSt5tupleIJdEEEEDaOT_OT0_
; %bb.0:
	s_waitcnt vmcnt(0) expcnt(0) lgkmcnt(0)
	v_and_b32_e32 v3, 0x7fffffff, v1
	s_mov_b32 s4, 0x3f6fffff
	v_mov_b32_e32 v2, v0
	v_cmp_lt_u32_e32 vcc, s4, v3
                                        ; implicit-def: $vgpr4_vgpr5
	s_and_saveexec_b64 s[4:5], vcc
	s_xor_b64 s[8:9], exec, s[4:5]
	s_cbranch_execz .LBB123_26
; %bb.1:
	s_brev_b32 s4, -4
	v_cmp_lt_u32_e32 vcc, s4, v3
                                        ; implicit-def: $vgpr4_vgpr5
	s_and_saveexec_b64 s[4:5], vcc
	s_xor_b64 s[6:7], exec, s[4:5]
	s_cbranch_execz .LBB123_11
; %bb.2:
	s_mov_b32 s4, 0x401fffff
	v_cmp_lt_u32_e32 vcc, s4, v3
                                        ; implicit-def: $vgpr4_vgpr5
	s_and_saveexec_b64 s[4:5], vcc
	s_xor_b64 s[10:11], exec, s[4:5]
	s_cbranch_execz .LBB123_8
; %bb.3:
	s_mov_b32 s4, 0x438fffff
	v_cmp_lt_u32_e32 vcc, s4, v3
                                        ; implicit-def: $vgpr4_vgpr5
	s_and_saveexec_b64 s[4:5], vcc
	s_xor_b64 s[12:13], exec, s[4:5]
	s_cbranch_execz .LBB123_5
; %bb.4:
	v_frexp_mant_f64_e64 v[4:5], |v[0:1]|
	s_mov_b32 s5, 0x3fe55555
	s_mov_b32 s4, 0x55555555
	;; [unrolled: 1-line block ×4, first 2 shown]
	v_cmp_gt_f64_e32 vcc, s[4:5], v[4:5]
	s_mov_b32 s4, 0x55555780
	v_cndmask_b32_e64 v2, 0, 1, vcc
	v_ldexp_f64 v[4:5], v[4:5], v2
	v_frexp_exp_i32_f64_e32 v2, v[0:1]
	v_add_f64 v[6:7], v[4:5], 1.0
	v_add_f64 v[12:13], v[4:5], -1.0
	v_subbrev_co_u32_e32 v2, vcc, 0, v2, vcc
	v_rcp_f64_e32 v[8:9], v[6:7]
	v_add_f64 v[14:15], v[6:7], -1.0
	v_add_f64 v[4:5], v[4:5], -v[14:15]
	v_fma_f64 v[10:11], -v[6:7], v[8:9], 1.0
	v_fma_f64 v[8:9], v[10:11], v[8:9], v[8:9]
	v_fma_f64 v[10:11], -v[6:7], v[8:9], 1.0
	v_fma_f64 v[8:9], v[10:11], v[8:9], v[8:9]
	v_mul_f64 v[10:11], v[12:13], v[8:9]
	v_mul_f64 v[16:17], v[6:7], v[10:11]
	v_fma_f64 v[6:7], v[10:11], v[6:7], -v[16:17]
	v_fma_f64 v[4:5], v[10:11], v[4:5], v[6:7]
	v_add_f64 v[6:7], v[16:17], v[4:5]
	v_add_f64 v[14:15], v[12:13], -v[6:7]
	v_add_f64 v[16:17], v[6:7], -v[16:17]
	;; [unrolled: 1-line block ×5, first 2 shown]
	v_mov_b32_e32 v12, 0x6b47b09a
	v_mov_b32_e32 v13, 0x3fc38538
	v_add_f64 v[4:5], v[4:5], v[6:7]
	v_add_f64 v[4:5], v[14:15], v[4:5]
	v_mul_f64 v[4:5], v[8:9], v[4:5]
	v_add_f64 v[6:7], v[10:11], v[4:5]
	v_mul_f64 v[8:9], v[6:7], v[6:7]
	v_fma_f64 v[12:13], v[8:9], s[14:15], v[12:13]
	s_mov_b32 s14, 0xd7f4df2e
	s_mov_b32 s15, 0x3fc7474d
	v_mul_f64 v[14:15], v[6:7], v[8:9]
	v_fma_f64 v[12:13], v[8:9], v[12:13], s[14:15]
	s_mov_b32 s14, 0x16291751
	s_mov_b32 s15, 0x3fcc71c0
	v_fma_f64 v[12:13], v[8:9], v[12:13], s[14:15]
	s_mov_b32 s14, 0x9b27acf1
	s_mov_b32 s15, 0x3fd24924
	;; [unrolled: 3-line block ×3, first 2 shown]
	v_fma_f64 v[12:13], v[8:9], v[12:13], s[14:15]
	v_fma_f64 v[8:9], v[8:9], v[12:13], s[4:5]
	v_ldexp_f64 v[12:13], v[6:7], 1
	v_add_f64 v[6:7], v[6:7], -v[10:11]
	s_mov_b32 s4, 0xfefa39ef
	s_mov_b32 s5, 0x3fe62e42
	v_mul_f64 v[8:9], v[14:15], v[8:9]
	v_cvt_f64_i32_e32 v[14:15], v2
	v_add_f64 v[4:5], v[4:5], -v[6:7]
	v_mov_b32_e32 v2, 0x7ff00000
	v_mul_f64 v[16:17], v[14:15], s[4:5]
	v_add_f64 v[10:11], v[12:13], v[8:9]
	v_ldexp_f64 v[4:5], v[4:5], 1
	v_add_f64 v[6:7], v[10:11], -v[12:13]
	v_fma_f64 v[12:13], v[14:15], s[4:5], -v[16:17]
	s_mov_b32 s4, 0x3b39803f
	s_mov_b32 s5, 0x3c7abc9e
	v_add_f64 v[6:7], v[8:9], -v[6:7]
	v_fma_f64 v[8:9], v[14:15], s[4:5], v[12:13]
	s_mov_b32 s4, 0
	s_mov_b32 s5, 0x7ff00000
	v_cmp_neq_f64_e64 vcc, |v[0:1]|, s[4:5]
	v_cmp_neq_f64_e64 s[4:5], 0, v[0:1]
	v_add_f64 v[4:5], v[4:5], v[6:7]
	v_add_f64 v[6:7], v[16:17], v[8:9]
	v_add_f64 v[12:13], v[10:11], v[4:5]
	v_add_f64 v[16:17], v[6:7], -v[16:17]
	v_add_f64 v[14:15], v[6:7], v[12:13]
	v_add_f64 v[10:11], v[12:13], -v[10:11]
	v_add_f64 v[8:9], v[8:9], -v[16:17]
	;; [unrolled: 1-line block ×6, first 2 shown]
	v_add_f64 v[12:13], v[8:9], v[4:5]
	v_add_f64 v[6:7], v[6:7], -v[20:21]
	v_add_f64 v[6:7], v[10:11], v[6:7]
	v_add_f64 v[10:11], v[12:13], -v[8:9]
	;; [unrolled: 2-line block ×3, first 2 shown]
	v_add_f64 v[4:5], v[4:5], -v[10:11]
	v_add_f64 v[16:17], v[14:15], v[6:7]
	v_add_f64 v[8:9], v[8:9], -v[12:13]
	v_add_f64 v[10:11], v[16:17], -v[14:15]
	v_add_f64 v[4:5], v[4:5], v[8:9]
	v_add_f64 v[6:7], v[6:7], -v[10:11]
	v_add_f64 v[4:5], v[4:5], v[6:7]
	v_mov_b32_e32 v6, 0xfff00000
	v_add_f64 v[4:5], v[16:17], v[4:5]
	v_cndmask_b32_e32 v2, v2, v5, vcc
	s_and_b64 vcc, s[4:5], vcc
	v_cndmask_b32_e64 v5, v6, v2, s[4:5]
	v_cndmask_b32_e32 v4, 0, v4, vcc
	v_fma_f64 v[4:5], |v[0:1]|, v[4:5], -|v[0:1]|
.LBB123_5:
	s_andn2_saveexec_b64 s[12:13], s[12:13]
	s_cbranch_execz .LBB123_7
; %bb.6:
	v_and_b32_e32 v5, 0x7fffffff, v1
	v_mov_b32_e32 v4, v0
	v_div_scale_f64 v[6:7], s[4:5], v[4:5], v[4:5], 1.0
	v_div_scale_f64 v[4:5], vcc, 1.0, v[4:5], 1.0
	s_mov_b32 s4, 0xb9e43e4
	s_mov_b32 s5, 0xbf5ab89d
	;; [unrolled: 1-line block ×4, first 2 shown]
	v_frexp_exp_i32_f64_e32 v2, v[0:1]
	v_rcp_f64_e32 v[8:9], v[6:7]
	v_fma_f64 v[10:11], -v[6:7], v[8:9], 1.0
	v_fma_f64 v[8:9], v[8:9], v[10:11], v[8:9]
	v_fma_f64 v[10:11], -v[6:7], v[8:9], 1.0
	v_fma_f64 v[8:9], v[8:9], v[10:11], v[8:9]
	v_mul_f64 v[10:11], v[4:5], v[8:9]
	v_fma_f64 v[4:5], -v[6:7], v[10:11], v[4:5]
	v_div_fmas_f64 v[4:5], v[4:5], v[8:9], v[10:11]
	v_mov_b32_e32 v8, 0x4cdad5d1
	v_mov_b32_e32 v9, 0x3f4b67ba
	v_div_fixup_f64 v[4:5], v[4:5], |v[0:1]|, 1.0
	v_mul_f64 v[6:7], v[4:5], v[4:5]
	v_fma_f64 v[8:9], v[6:7], s[4:5], v[8:9]
	s_mov_b32 s4, 0x8c0fe741
	s_mov_b32 s5, 0xbf4380cb
	v_fma_f64 v[8:9], v[6:7], v[8:9], s[4:5]
	s_mov_b32 s4, 0x98cf38b6
	s_mov_b32 s5, 0x3f4a019f
	;; [unrolled: 3-line block ×4, first 2 shown]
	v_fma_f64 v[6:7], v[6:7], v[8:9], s[4:5]
	v_frexp_mant_f64_e64 v[8:9], |v[0:1]|
	s_mov_b32 s4, 0x90c97d69
	s_mov_b32 s5, 0x3fdacfe3
	v_fma_f64 v[4:5], v[4:5], v[6:7], s[4:5]
	s_mov_b32 s5, 0x3fe55555
	s_mov_b32 s4, 0x55555555
	v_cmp_gt_f64_e32 vcc, s[4:5], v[8:9]
	s_mov_b32 s4, 0x55555780
	v_add_f64 v[6:7], |v[0:1]|, -0.5
	v_cndmask_b32_e64 v10, 0, 1, vcc
	v_ldexp_f64 v[8:9], v[8:9], v10
	v_subbrev_co_u32_e32 v2, vcc, 0, v2, vcc
	v_add_f64 v[12:13], v[8:9], 1.0
	v_add_f64 v[10:11], v[8:9], -1.0
	v_add_f64 v[14:15], v[12:13], -1.0
	v_add_f64 v[8:9], v[8:9], -v[14:15]
	v_rcp_f64_e32 v[14:15], v[12:13]
	v_fma_f64 v[16:17], -v[12:13], v[14:15], 1.0
	v_fma_f64 v[14:15], v[16:17], v[14:15], v[14:15]
	v_fma_f64 v[16:17], -v[12:13], v[14:15], 1.0
	v_fma_f64 v[14:15], v[16:17], v[14:15], v[14:15]
	v_mul_f64 v[16:17], v[10:11], v[14:15]
	v_mul_f64 v[18:19], v[12:13], v[16:17]
	v_fma_f64 v[12:13], v[16:17], v[12:13], -v[18:19]
	v_fma_f64 v[8:9], v[16:17], v[8:9], v[12:13]
	v_add_f64 v[12:13], v[18:19], v[8:9]
	v_add_f64 v[20:21], v[10:11], -v[12:13]
	v_add_f64 v[18:19], v[12:13], -v[18:19]
	;; [unrolled: 1-line block ×5, first 2 shown]
	v_add_f64 v[8:9], v[8:9], v[10:11]
	v_add_f64 v[8:9], v[20:21], v[8:9]
	v_mul_f64 v[8:9], v[14:15], v[8:9]
	v_mov_b32_e32 v14, 0x6b47b09a
	v_mov_b32_e32 v15, 0x3fc38538
	v_add_f64 v[10:11], v[16:17], v[8:9]
	v_add_f64 v[12:13], v[10:11], -v[16:17]
	v_ldexp_f64 v[16:17], v[10:11], 1
	v_add_f64 v[8:9], v[8:9], -v[12:13]
	v_mul_f64 v[12:13], v[10:11], v[10:11]
	v_ldexp_f64 v[8:9], v[8:9], 1
	v_fma_f64 v[14:15], v[12:13], s[14:15], v[14:15]
	s_mov_b32 s14, 0xd7f4df2e
	s_mov_b32 s15, 0x3fc7474d
	v_mul_f64 v[10:11], v[10:11], v[12:13]
	v_fma_f64 v[14:15], v[12:13], v[14:15], s[14:15]
	s_mov_b32 s14, 0x16291751
	s_mov_b32 s15, 0x3fcc71c0
	v_fma_f64 v[14:15], v[12:13], v[14:15], s[14:15]
	s_mov_b32 s14, 0x9b27acf1
	s_mov_b32 s15, 0x3fd24924
	v_fma_f64 v[14:15], v[12:13], v[14:15], s[14:15]
	s_mov_b32 s14, 0x998ef7b6
	s_mov_b32 s15, 0x3fd99999
	v_fma_f64 v[14:15], v[12:13], v[14:15], s[14:15]
	v_fma_f64 v[14:15], v[12:13], v[14:15], s[4:5]
	s_mov_b32 s4, 0xfefa39ef
	s_mov_b32 s5, 0x3fe62e42
	v_mul_f64 v[10:11], v[10:11], v[14:15]
	v_add_f64 v[12:13], v[16:17], v[10:11]
	v_add_f64 v[14:15], v[12:13], -v[16:17]
	v_add_f64 v[10:11], v[10:11], -v[14:15]
	v_add_f64 v[8:9], v[8:9], v[10:11]
	v_add_f64 v[10:11], v[12:13], v[8:9]
	v_add_f64 v[12:13], v[10:11], -v[12:13]
	v_add_f64 v[8:9], v[8:9], -v[12:13]
	v_cvt_f64_i32_e32 v[12:13], v2
	v_mov_b32_e32 v2, 0x7ff00000
	v_mul_f64 v[14:15], v[12:13], s[4:5]
	v_fma_f64 v[16:17], v[12:13], s[4:5], -v[14:15]
	s_mov_b32 s4, 0x3b39803f
	s_mov_b32 s5, 0x3c7abc9e
	v_fma_f64 v[12:13], v[12:13], s[4:5], v[16:17]
	s_mov_b32 s4, 0
	s_mov_b32 s5, 0x7ff00000
	v_cmp_neq_f64_e64 vcc, |v[0:1]|, s[4:5]
	v_cmp_neq_f64_e64 s[4:5], 0, v[0:1]
	v_add_f64 v[16:17], v[14:15], v[12:13]
	v_add_f64 v[14:15], v[16:17], -v[14:15]
	v_add_f64 v[12:13], v[12:13], -v[14:15]
	v_add_f64 v[14:15], v[16:17], v[10:11]
	v_add_f64 v[18:19], v[14:15], -v[16:17]
	v_add_f64 v[20:21], v[14:15], -v[18:19]
	;; [unrolled: 1-line block ×4, first 2 shown]
	v_add_f64 v[10:11], v[10:11], v[16:17]
	v_add_f64 v[16:17], v[12:13], v[8:9]
	v_add_f64 v[18:19], v[16:17], -v[12:13]
	v_add_f64 v[10:11], v[16:17], v[10:11]
	v_add_f64 v[20:21], v[16:17], -v[18:19]
	v_add_f64 v[8:9], v[8:9], -v[18:19]
	;; [unrolled: 1-line block ×3, first 2 shown]
	v_add_f64 v[8:9], v[8:9], v[12:13]
	v_add_f64 v[12:13], v[14:15], v[10:11]
	v_add_f64 v[14:15], v[12:13], -v[14:15]
	v_add_f64 v[10:11], v[10:11], -v[14:15]
	v_add_f64 v[8:9], v[8:9], v[10:11]
	v_add_f64 v[8:9], v[12:13], v[8:9]
	v_add_f64 v[8:9], v[8:9], -1.0
	v_cndmask_b32_e32 v2, v2, v9, vcc
	s_and_b64 vcc, s[4:5], vcc
	v_mov_b32_e32 v9, 0xfff00000
	v_cndmask_b32_e32 v8, 0, v8, vcc
	v_cndmask_b32_e64 v9, v9, v2, s[4:5]
	v_fma_f64 v[4:5], v[6:7], v[8:9], v[4:5]
.LBB123_7:
	s_or_b64 exec, exec, s[12:13]
.LBB123_8:
	s_andn2_saveexec_b64 s[4:5], s[10:11]
	s_cbranch_execz .LBB123_10
; %bb.9:
	v_cvt_i32_f64_e32 v2, v[2:3]
	s_mov_b32 s10, 0xdd17e945
	v_mov_b32_e32 v6, 0x7368f239
	v_mov_b32_e32 v7, 0x3f5e26b6
	v_cvt_f64_i32_e32 v[4:5], v2
	s_mov_b32 s11, 0x3f00bfec
	v_mov_b32_e32 v8, 0xca41a95b
	v_mov_b32_e32 v9, 0x3f497dda
	v_add_f64 v[4:5], |v[0:1]|, -v[4:5]
	s_mov_b32 s12, 0xbf559e2b
	s_mov_b32 s13, 0x3fc3ab76
	v_fma_f64 v[6:7], v[4:5], s[10:11], v[6:7]
	s_mov_b32 s10, 0x7e939961
	s_mov_b32 s11, 0x3f9b481c
	v_fma_f64 v[6:7], v[4:5], v[6:7], s[10:11]
	;; [unrolled: 3-line block ×7, first 2 shown]
	s_mov_b32 s10, 0x742ed475
	s_mov_b32 s11, 0x3f9317ea
	v_mul_f64 v[6:7], v[4:5], v[6:7]
	v_fma_f64 v[8:9], v[4:5], v[8:9], s[10:11]
	s_mov_b32 s10, 0xccfbdf27
	s_mov_b32 s11, 0x3fc601ed
	v_fma_f64 v[8:9], v[4:5], v[8:9], s[10:11]
	s_mov_b32 s10, 0x93d3dcdc
	s_mov_b32 s11, 0x3fe71a18
	;; [unrolled: 3-line block ×3, first 2 shown]
	v_fma_f64 v[8:9], v[4:5], v[8:9], s[10:11]
	v_fma_f64 v[8:9], v[4:5], v[8:9], 1.0
	v_div_scale_f64 v[10:11], s[10:11], v[8:9], v[8:9], v[6:7]
	s_mov_b32 s10, 0
	s_mov_b32 s11, 0x40080000
	v_rcp_f64_e32 v[12:13], v[10:11]
	v_fma_f64 v[14:15], -v[10:11], v[12:13], 1.0
	v_fma_f64 v[12:13], v[12:13], v[14:15], v[12:13]
	v_fma_f64 v[14:15], -v[10:11], v[12:13], 1.0
	v_fma_f64 v[12:13], v[12:13], v[14:15], v[12:13]
	v_div_scale_f64 v[14:15], vcc, v[6:7], v[8:9], v[6:7]
	v_mul_f64 v[16:17], v[14:15], v[12:13]
	v_fma_f64 v[10:11], -v[10:11], v[16:17], v[14:15]
	s_nop 1
	v_div_fmas_f64 v[10:11], v[10:11], v[12:13], v[16:17]
	v_cmp_lt_i32_e32 vcc, 2, v2
	v_mov_b32_e32 v16, 0x3ff00000
	v_add_f64 v[12:13], v[4:5], 4.0
	v_div_fixup_f64 v[6:7], v[10:11], v[8:9], v[6:7]
	v_add_f64 v[8:9], v[4:5], 2.0
	v_add_f64 v[10:11], v[4:5], s[10:11]
	s_mov_b32 s10, 0
	s_mov_b32 s11, 0x40140000
	v_add_f64 v[14:15], v[4:5], s[10:11]
	s_mov_b32 s10, 0
	s_mov_b32 s11, 0x40180000
	v_fma_f64 v[6:7], v[4:5], 0.5, v[6:7]
	v_cndmask_b32_e32 v9, v16, v9, vcc
	v_cndmask_b32_e32 v8, 0, v8, vcc
	v_cmp_lt_i32_e32 vcc, 3, v2
	v_cndmask_b32_e32 v11, v16, v11, vcc
	v_cndmask_b32_e32 v10, 0, v10, vcc
	v_mul_f64 v[8:9], v[8:9], v[10:11]
	v_cmp_lt_i32_e32 vcc, 4, v2
	v_cndmask_b32_e32 v11, v16, v13, vcc
	v_cndmask_b32_e32 v10, 0, v12, vcc
	v_cmp_lt_i32_e32 vcc, 5, v2
	v_add_f64 v[4:5], v[4:5], s[10:11]
	s_mov_b32 s11, 0x3fe55555
	s_mov_b32 s10, 0x55555555
	v_mul_f64 v[8:9], v[10:11], v[8:9]
	v_cndmask_b32_e32 v11, v16, v15, vcc
	v_cndmask_b32_e32 v10, 0, v14, vcc
	v_cmp_lt_i32_e32 vcc, 6, v2
	v_cndmask_b32_e32 v5, v16, v5, vcc
	v_cndmask_b32_e32 v4, 0, v4, vcc
	v_mul_f64 v[8:9], v[10:11], v[8:9]
	v_mul_f64 v[4:5], v[4:5], v[8:9]
	v_frexp_mant_f64_e32 v[8:9], v[4:5]
	v_frexp_exp_i32_f64_e32 v2, v[4:5]
	v_cmp_gt_f64_e32 vcc, s[10:11], v[8:9]
	s_mov_b32 s10, 0x55555780
	v_cndmask_b32_e64 v10, 0, 1, vcc
	v_ldexp_f64 v[8:9], v[8:9], v10
	v_subbrev_co_u32_e32 v2, vcc, 0, v2, vcc
	v_add_f64 v[12:13], v[8:9], 1.0
	v_add_f64 v[10:11], v[8:9], -1.0
	v_add_f64 v[14:15], v[12:13], -1.0
	v_add_f64 v[8:9], v[8:9], -v[14:15]
	v_rcp_f64_e32 v[14:15], v[12:13]
	v_fma_f64 v[16:17], -v[12:13], v[14:15], 1.0
	v_fma_f64 v[14:15], v[16:17], v[14:15], v[14:15]
	v_fma_f64 v[16:17], -v[12:13], v[14:15], 1.0
	v_fma_f64 v[14:15], v[16:17], v[14:15], v[14:15]
	v_mul_f64 v[16:17], v[10:11], v[14:15]
	v_mul_f64 v[18:19], v[12:13], v[16:17]
	v_fma_f64 v[12:13], v[16:17], v[12:13], -v[18:19]
	v_fma_f64 v[8:9], v[16:17], v[8:9], v[12:13]
	v_add_f64 v[12:13], v[18:19], v[8:9]
	v_add_f64 v[20:21], v[10:11], -v[12:13]
	v_add_f64 v[18:19], v[12:13], -v[18:19]
	;; [unrolled: 1-line block ×5, first 2 shown]
	v_add_f64 v[8:9], v[8:9], v[10:11]
	v_add_f64 v[8:9], v[20:21], v[8:9]
	v_mul_f64 v[8:9], v[14:15], v[8:9]
	v_mov_b32_e32 v14, 0x6b47b09a
	v_mov_b32_e32 v15, 0x3fc38538
	v_add_f64 v[10:11], v[16:17], v[8:9]
	v_add_f64 v[12:13], v[10:11], -v[16:17]
	v_ldexp_f64 v[16:17], v[10:11], 1
	v_add_f64 v[8:9], v[8:9], -v[12:13]
	v_mul_f64 v[12:13], v[10:11], v[10:11]
	v_ldexp_f64 v[8:9], v[8:9], 1
	v_fma_f64 v[14:15], v[12:13], s[12:13], v[14:15]
	s_mov_b32 s12, 0xd7f4df2e
	s_mov_b32 s13, 0x3fc7474d
	v_mul_f64 v[10:11], v[10:11], v[12:13]
	v_fma_f64 v[14:15], v[12:13], v[14:15], s[12:13]
	s_mov_b32 s12, 0x16291751
	s_mov_b32 s13, 0x3fcc71c0
	v_fma_f64 v[14:15], v[12:13], v[14:15], s[12:13]
	s_mov_b32 s12, 0x9b27acf1
	s_mov_b32 s13, 0x3fd24924
	;; [unrolled: 3-line block ×3, first 2 shown]
	v_fma_f64 v[14:15], v[12:13], v[14:15], s[12:13]
	v_fma_f64 v[14:15], v[12:13], v[14:15], s[10:11]
	s_mov_b32 s10, 0xfefa39ef
	s_mov_b32 s11, 0x3fe62e42
	v_mul_f64 v[10:11], v[10:11], v[14:15]
	v_add_f64 v[12:13], v[16:17], v[10:11]
	v_add_f64 v[14:15], v[12:13], -v[16:17]
	v_add_f64 v[10:11], v[10:11], -v[14:15]
	v_add_f64 v[8:9], v[8:9], v[10:11]
	v_add_f64 v[10:11], v[12:13], v[8:9]
	v_add_f64 v[12:13], v[10:11], -v[12:13]
	v_add_f64 v[8:9], v[8:9], -v[12:13]
	v_cvt_f64_i32_e32 v[12:13], v2
	v_mul_f64 v[14:15], v[12:13], s[10:11]
	v_fma_f64 v[16:17], v[12:13], s[10:11], -v[14:15]
	s_mov_b32 s10, 0x3b39803f
	s_mov_b32 s11, 0x3c7abc9e
	v_fma_f64 v[12:13], v[12:13], s[10:11], v[16:17]
	s_movk_i32 s10, 0x204
	v_cmp_class_f64_e64 vcc, v[4:5], s10
	v_add_f64 v[16:17], v[14:15], v[12:13]
	v_add_f64 v[14:15], v[16:17], -v[14:15]
	v_add_f64 v[12:13], v[12:13], -v[14:15]
	v_add_f64 v[14:15], v[16:17], v[10:11]
	v_add_f64 v[18:19], v[14:15], -v[16:17]
	v_add_f64 v[20:21], v[14:15], -v[18:19]
	;; [unrolled: 1-line block ×4, first 2 shown]
	v_add_f64 v[10:11], v[10:11], v[16:17]
	v_add_f64 v[16:17], v[12:13], v[8:9]
	v_add_f64 v[18:19], v[16:17], -v[12:13]
	v_add_f64 v[10:11], v[16:17], v[10:11]
	v_add_f64 v[20:21], v[16:17], -v[18:19]
	v_add_f64 v[8:9], v[8:9], -v[18:19]
	;; [unrolled: 1-line block ×3, first 2 shown]
	v_add_f64 v[8:9], v[8:9], v[12:13]
	v_add_f64 v[12:13], v[14:15], v[10:11]
	v_add_f64 v[14:15], v[12:13], -v[14:15]
	v_add_f64 v[10:11], v[10:11], -v[14:15]
	v_add_f64 v[8:9], v[8:9], v[10:11]
	v_add_f64 v[8:9], v[12:13], v[8:9]
	v_cndmask_b32_e32 v2, v8, v4, vcc
	v_cndmask_b32_e32 v8, v9, v5, vcc
	v_cmp_ngt_f64_e32 vcc, 0, v[4:5]
	v_mov_b32_e32 v9, 0x7ff80000
	v_cndmask_b32_e32 v9, v9, v8, vcc
	v_cmp_nge_f64_e32 vcc, 0, v[4:5]
	v_cndmask_b32_e32 v8, 0, v2, vcc
	v_cmp_neq_f64_e32 vcc, 0, v[4:5]
	v_mov_b32_e32 v2, 0xfff00000
	v_cndmask_b32_e32 v9, v2, v9, vcc
	v_add_f64 v[4:5], v[6:7], v[8:9]
.LBB123_10:
	s_or_b64 exec, exec, s[4:5]
.LBB123_11:
	s_andn2_saveexec_b64 s[10:11], s[6:7]
	s_cbranch_execz .LBB123_25
; %bb.12:
	s_mov_b32 s4, 0x3feccccc
	v_cmp_lt_u32_e32 vcc, s4, v3
                                        ; implicit-def: $vgpr2
                                        ; implicit-def: $vgpr6_vgpr7
	s_and_saveexec_b64 s[4:5], vcc
	s_xor_b64 s[4:5], exec, s[4:5]
	s_cbranch_execz .LBB123_14
; %bb.13:
	s_mov_b32 s6, 0x6356be3f
	s_mov_b32 s7, 0xbff762d8
	v_add_f64 v[4:5], -|v[0:1]|, 2.0
	v_add_f64 v[6:7], |v[0:1]|, s[6:7]
	v_add_f64 v[8:9], |v[0:1]|, -1.0
	s_mov_b32 s6, 0x3ffbb4c3
	v_cmp_gt_u32_e32 vcc, s6, v3
	s_mov_b32 s6, 0x3ff3b4c4
	v_cndmask_b32_e32 v2, v4, v6, vcc
	v_cndmask_b32_e32 v4, v5, v7, vcc
	v_cndmask_b32_e64 v5, 0, 1, vcc
	v_cmp_gt_u32_e32 vcc, s6, v3
	v_cndmask_b32_e32 v7, v4, v9, vcc
	v_cndmask_b32_e32 v6, v2, v8, vcc
	v_cndmask_b32_e64 v2, v5, 2, vcc
.LBB123_14:
	s_or_saveexec_b64 s[12:13], s[4:5]
	v_mov_b32_e32 v4, 0
	v_mov_b32_e32 v5, 0
	s_xor_b64 exec, exec, s[12:13]
	s_cbranch_execz .LBB123_16
; %bb.15:
	v_frexp_mant_f64_e64 v[4:5], |v[0:1]|
	s_mov_b32 s5, 0x3fe55555
	s_mov_b32 s4, 0x55555555
	;; [unrolled: 1-line block ×5, first 2 shown]
	v_cmp_gt_f64_e32 vcc, s[4:5], v[4:5]
	s_mov_b32 s4, 0x55555780
	v_cndmask_b32_e64 v2, 0, 1, vcc
	v_ldexp_f64 v[4:5], v[4:5], v2
	v_frexp_exp_i32_f64_e32 v2, v[0:1]
	v_add_f64 v[6:7], v[4:5], 1.0
	v_add_f64 v[12:13], v[4:5], -1.0
	v_subbrev_co_u32_e32 v2, vcc, 0, v2, vcc
	v_rcp_f64_e32 v[8:9], v[6:7]
	v_add_f64 v[14:15], v[6:7], -1.0
	v_add_f64 v[4:5], v[4:5], -v[14:15]
	v_fma_f64 v[10:11], -v[6:7], v[8:9], 1.0
	v_fma_f64 v[8:9], v[10:11], v[8:9], v[8:9]
	v_fma_f64 v[10:11], -v[6:7], v[8:9], 1.0
	v_fma_f64 v[8:9], v[10:11], v[8:9], v[8:9]
	v_mul_f64 v[10:11], v[12:13], v[8:9]
	v_mul_f64 v[16:17], v[6:7], v[10:11]
	v_fma_f64 v[6:7], v[10:11], v[6:7], -v[16:17]
	v_fma_f64 v[4:5], v[10:11], v[4:5], v[6:7]
	v_add_f64 v[6:7], v[16:17], v[4:5]
	v_add_f64 v[14:15], v[12:13], -v[6:7]
	v_add_f64 v[16:17], v[6:7], -v[16:17]
	;; [unrolled: 1-line block ×5, first 2 shown]
	v_mov_b32_e32 v12, 0x6b47b09a
	v_mov_b32_e32 v13, 0x3fc38538
	v_add_f64 v[4:5], v[4:5], v[6:7]
	v_add_f64 v[4:5], v[14:15], v[4:5]
	v_mul_f64 v[4:5], v[8:9], v[4:5]
	v_add_f64 v[6:7], v[10:11], v[4:5]
	v_mul_f64 v[8:9], v[6:7], v[6:7]
	v_fma_f64 v[12:13], v[8:9], s[6:7], v[12:13]
	s_mov_b32 s6, 0xd7f4df2e
	s_mov_b32 s7, 0x3fc7474d
	v_mul_f64 v[14:15], v[6:7], v[8:9]
	v_fma_f64 v[12:13], v[8:9], v[12:13], s[6:7]
	s_mov_b32 s6, 0x16291751
	s_mov_b32 s7, 0x3fcc71c0
	v_fma_f64 v[12:13], v[8:9], v[12:13], s[6:7]
	s_mov_b32 s6, 0x9b27acf1
	s_mov_b32 s7, 0x3fd24924
	;; [unrolled: 3-line block ×4, first 2 shown]
	v_fma_f64 v[8:9], v[8:9], v[12:13], s[4:5]
	v_ldexp_f64 v[12:13], v[6:7], 1
	v_add_f64 v[6:7], v[6:7], -v[10:11]
	s_mov_b32 s4, 0xfefa39ef
	s_mov_b32 s5, 0x3fe62e42
	v_mul_f64 v[8:9], v[14:15], v[8:9]
	v_cvt_f64_i32_e32 v[14:15], v2
	v_add_f64 v[4:5], v[4:5], -v[6:7]
	v_and_b32_e32 v2, 0x7fffffff, v1
	v_mul_f64 v[16:17], v[14:15], s[4:5]
	v_add_f64 v[10:11], v[12:13], v[8:9]
	v_ldexp_f64 v[4:5], v[4:5], 1
	v_add_f64 v[6:7], v[10:11], -v[12:13]
	v_fma_f64 v[12:13], v[14:15], s[4:5], -v[16:17]
	s_mov_b32 s4, 0x3b39803f
	s_mov_b32 s5, 0x3c7abc9e
	v_add_f64 v[6:7], v[8:9], -v[6:7]
	v_fma_f64 v[8:9], v[14:15], s[4:5], v[12:13]
	s_mov_b32 s4, 0
	s_mov_b32 s5, 0x7ff00000
	v_cmp_neq_f64_e64 vcc, |v[0:1]|, s[4:5]
	v_cmp_neq_f64_e64 s[4:5], 0, v[0:1]
	v_add_f64 v[4:5], v[4:5], v[6:7]
	v_add_f64 v[6:7], v[16:17], v[8:9]
	;; [unrolled: 1-line block ×3, first 2 shown]
	v_add_f64 v[16:17], v[6:7], -v[16:17]
	v_add_f64 v[14:15], v[6:7], v[12:13]
	v_add_f64 v[10:11], v[12:13], -v[10:11]
	v_add_f64 v[8:9], v[8:9], -v[16:17]
	;; [unrolled: 1-line block ×6, first 2 shown]
	v_add_f64 v[12:13], v[8:9], v[4:5]
	v_add_f64 v[6:7], v[6:7], -v[16:17]
	v_add_f64 v[6:7], v[10:11], v[6:7]
	v_add_f64 v[10:11], v[12:13], -v[8:9]
	;; [unrolled: 2-line block ×3, first 2 shown]
	v_add_f64 v[4:5], v[4:5], -v[10:11]
	v_add_f64 v[16:17], v[14:15], v[6:7]
	v_add_f64 v[8:9], v[8:9], -v[12:13]
	v_add_f64 v[10:11], v[16:17], -v[14:15]
	v_add_f64 v[4:5], v[4:5], v[8:9]
	v_add_f64 v[8:9], |v[0:1]|, s[6:7]
	s_mov_b32 s6, 0x3fe76944
	v_cmp_gt_u32_e64 s[6:7], s6, v3
	v_add_f64 v[6:7], v[6:7], -v[10:11]
	v_mov_b32_e32 v10, 0xfff00000
	v_mov_b32_e32 v11, 0x7ff00000
	v_add_f64 v[4:5], v[4:5], v[6:7]
	v_add_f64 v[6:7], -|v[0:1]|, 1.0
	v_add_f64 v[4:5], v[16:17], v[4:5]
	v_cndmask_b32_e64 v6, v6, v8, s[6:7]
	v_cndmask_b32_e64 v7, v7, v9, s[6:7]
	;; [unrolled: 1-line block ×3, first 2 shown]
	v_cmp_gt_u32_e64 s[6:7], s14, v3
	v_cndmask_b32_e64 v7, v7, v2, s[6:7]
	v_cndmask_b32_e64 v6, v6, v0, s[6:7]
	;; [unrolled: 1-line block ×3, first 2 shown]
	v_xor_b32_e32 v5, 0x80000000, v5
	v_cndmask_b32_e32 v5, v10, v5, vcc
	s_and_b64 vcc, s[4:5], vcc
	v_cndmask_b32_e64 v5, v11, v5, s[4:5]
	v_cndmask_b32_e32 v4, 0, v4, vcc
.LBB123_16:
	s_or_b64 exec, exec, s[12:13]
	v_cmp_lt_i32_e32 vcc, 1, v2
                                        ; implicit-def: $vgpr10_vgpr11
	s_and_saveexec_b64 s[4:5], vcc
	s_xor_b64 s[4:5], exec, s[4:5]
	s_cbranch_execz .LBB123_18
; %bb.17:
	s_mov_b32 s6, 0xbf2bab09
	v_mov_b32_e32 v8, 0xf6010924
	v_mov_b32_e32 v9, 0x3fcd4eae
	s_mov_b32 s7, 0x3f8b678b
	v_fma_f64 v[8:9], v[6:7], s[6:7], v[8:9]
	s_mov_b32 s6, 0x44ea8450
	s_mov_b32 s12, 0x57d0cf61
	;; [unrolled: 1-line block ×3, first 2 shown]
	v_mov_b32_e32 v10, 0xd6537c88
	v_mov_b32_e32 v11, 0x3fbaae55
	s_mov_b32 s13, 0x3f6a5abb
	v_fma_f64 v[10:11], v[6:7], s[12:13], v[10:11]
	v_fma_f64 v[8:9], v[6:7], v[8:9], s[6:7]
	s_mov_b32 s6, 0xd119bd6f
	s_mov_b32 s12, 0xe45050af
	;; [unrolled: 1-line block ×4, first 2 shown]
                                        ; implicit-def: $vgpr2
	v_fma_f64 v[10:11], v[6:7], v[10:11], s[12:13]
	v_fma_f64 v[8:9], v[6:7], v[8:9], s[6:7]
	s_mov_b32 s6, 0x8b005dff
	s_mov_b32 s12, 0xa42b18f5
	s_mov_b32 s7, 0x3fe4401e
	s_mov_b32 s13, 0x40010725
	v_fma_f64 v[10:11], v[6:7], v[10:11], s[12:13]
	v_fma_f64 v[8:9], v[6:7], v[8:9], s[6:7]
	s_mov_b32 s6, 0xe37db0c8
	s_mov_b32 s12, 0xc2bd619c
	;; [unrolled: 1-line block ×4, first 2 shown]
	v_fma_f64 v[10:11], v[6:7], v[10:11], s[12:13]
	v_fma_f64 v[8:9], v[6:7], v[8:9], s[6:7]
	v_fma_f64 v[10:11], v[6:7], v[10:11], 1.0
	v_mul_f64 v[8:9], v[6:7], v[8:9]
	v_div_scale_f64 v[12:13], s[6:7], v[10:11], v[10:11], v[8:9]
	v_div_scale_f64 v[18:19], vcc, v[8:9], v[10:11], v[8:9]
	v_rcp_f64_e32 v[14:15], v[12:13]
	v_fma_f64 v[16:17], -v[12:13], v[14:15], 1.0
	v_fma_f64 v[14:15], v[14:15], v[16:17], v[14:15]
	v_fma_f64 v[16:17], -v[12:13], v[14:15], 1.0
	v_fma_f64 v[14:15], v[14:15], v[16:17], v[14:15]
	v_mul_f64 v[16:17], v[18:19], v[14:15]
	v_fma_f64 v[12:13], -v[12:13], v[16:17], v[18:19]
	v_div_fmas_f64 v[12:13], v[12:13], v[14:15], v[16:17]
	v_div_fixup_f64 v[8:9], v[12:13], v[10:11], v[8:9]
	v_fma_f64 v[10:11], v[6:7], -0.5, v[8:9]
                                        ; implicit-def: $vgpr6_vgpr7
.LBB123_18:
	s_andn2_saveexec_b64 s[4:5], s[4:5]
	s_cbranch_execz .LBB123_24
; %bb.19:
	v_mul_f64 v[8:9], v[6:7], v[6:7]
	v_cmp_ne_u32_e32 vcc, 1, v2
                                        ; implicit-def: $vgpr10_vgpr11
	s_and_saveexec_b64 s[6:7], vcc
	s_xor_b64 s[6:7], exec, s[6:7]
	s_cbranch_execz .LBB123_21
; %bb.20:
	s_mov_b32 s12, 0x90a45837
	v_mov_b32_e32 v10, 0x987dfb07
	v_mov_b32_e32 v11, 0x3f1c5088
	s_mov_b32 s13, 0x3f07858e
	v_fma_f64 v[10:11], v[8:9], s[12:13], v[10:11]
	s_mov_b32 s12, 0x428cfa52
	v_mov_b32_e32 v12, 0xed10e54d
	v_mov_b32_e32 v13, 0x3f2cf2ec
	s_mov_b32 s13, 0x3efa7074
	v_fma_f64 v[12:13], v[8:9], s[12:13], v[12:13]
	s_mov_b32 s12, 0x89b99c00
	s_mov_b32 s13, 0x3f40b6c6
	v_fma_f64 v[10:11], v[8:9], v[10:11], s[12:13]
	s_mov_b32 s12, 0x116f3f5d
	;; [unrolled: 3-line block ×8, first 2 shown]
	s_mov_b32 s13, 0x3fb3c467
	v_fma_f64 v[12:13], v[8:9], v[12:13], s[12:13]
	v_mul_f64 v[8:9], v[8:9], v[10:11]
	v_fma_f64 v[8:9], v[6:7], v[12:13], v[8:9]
	v_fma_f64 v[10:11], v[6:7], -0.5, v[8:9]
                                        ; implicit-def: $vgpr6_vgpr7
                                        ; implicit-def: $vgpr8_vgpr9
.LBB123_21:
	s_andn2_saveexec_b64 s[6:7], s[6:7]
	s_cbranch_execz .LBB123_23
; %bb.22:
	v_mul_f64 v[10:11], v[6:7], v[8:9]
	s_mov_b32 s12, 0xecc38c38
	v_mov_b32_e32 v14, 0xef61a8e9
	v_mov_b32_e32 v15, 0x3f4cdf0c
	s_mov_b32 s13, 0xbf347f24
	v_mov_b32_e32 v16, 0x9c73e0ec
	v_mov_b32_e32 v17, 0xbf41a610
	s_mov_b32 s14, 0xb3e914d7
	v_fma_f64 v[14:15], v[10:11], s[12:13], v[14:15]
	s_mov_b32 s12, 0xe8c2d3f4
	s_mov_b32 s13, 0x3f35fd3e
	v_fma_f64 v[16:17], v[10:11], s[12:13], v[16:17]
	s_mov_b32 s15, 0xbf6e2eff
	s_mov_b32 s12, 0x6c0ebbf7
	v_mov_b32_e32 v12, 0xbf2d1af1
	v_mov_b32_e32 v13, 0xbf56fe8e
	v_fma_f64 v[14:15], v[10:11], v[14:15], s[14:15]
	s_mov_b32 s14, 0x2e15c915
	s_mov_b32 s15, 0x3f6282d3
	v_fma_f64 v[16:17], v[10:11], v[16:17], s[14:15]
	s_mov_b32 s13, 0x3f34af6d
	v_fma_f64 v[12:13], v[10:11], s[12:13], v[12:13]
	s_mov_b32 s14, 0x970af9ec
	s_mov_b32 s15, 0x3f9266e7
	v_fma_f64 v[14:15], v[10:11], v[14:15], s[14:15]
	s_mov_b32 s14, 0xba91ec6a
	s_mov_b32 s15, 0xbf851f9f
	v_fma_f64 v[16:17], v[10:11], v[16:17], s[14:15]
	s_mov_b32 s12, 0xe370e344
	s_mov_b32 s13, 0x3f78fce0
	v_fma_f64 v[12:13], v[10:11], v[12:13], s[12:13]
	s_mov_b32 s12, 0x8dc6c509
	s_mov_b32 s13, 0xbfc2e427
	v_fma_f64 v[14:15], v[10:11], v[14:15], s[12:13]
	s_mov_b32 s12, 0x94d5419b
	s_mov_b32 s13, 0x3fb08b42
	v_fma_f64 v[16:17], v[10:11], v[16:17], s[12:13]
	s_mov_b32 s12, 0xdf35b713
	s_mov_b32 s13, 0xbfa0c9a8
	v_fma_f64 v[12:13], v[10:11], v[12:13], s[12:13]
	s_mov_b32 s12, 0xc8ee38a2
	s_mov_b32 s13, 0x3fdef72b
	v_fma_f64 v[6:7], v[6:7], v[16:17], v[14:15]
	v_fma_f64 v[12:13], v[10:11], v[12:13], s[12:13]
	s_mov_b32 s12, 0xa48a971f
	s_mov_b32 s13, 0xbc50c7ca
	v_fma_f64 v[6:7], v[10:11], -v[6:7], s[12:13]
	s_mov_b32 s12, 0xbcc38a42
	s_mov_b32 s13, 0xbfbf19b9
	v_fma_f64 v[6:7], v[8:9], v[12:13], -v[6:7]
	v_add_f64 v[10:11], v[6:7], s[12:13]
.LBB123_23:
	s_or_b64 exec, exec, s[6:7]
.LBB123_24:
	s_or_b64 exec, exec, s[4:5]
	v_add_f64 v[4:5], v[4:5], v[10:11]
.LBB123_25:
	s_or_b64 exec, exec, s[10:11]
.LBB123_26:
	s_andn2_saveexec_b64 s[6:7], s[8:9]
	s_cbranch_execz .LBB123_28
; %bb.27:
	v_frexp_mant_f64_e64 v[4:5], |v[0:1]|
	s_mov_b32 s5, 0x3fe55555
	s_mov_b32 s4, 0x55555555
	;; [unrolled: 1-line block ×6, first 2 shown]
	v_cmp_gt_f64_e32 vcc, s[4:5], v[4:5]
	s_mov_b32 s4, 0x55555780
	v_cndmask_b32_e64 v2, 0, 1, vcc
	v_ldexp_f64 v[4:5], v[4:5], v2
	v_frexp_exp_i32_f64_e32 v2, v[0:1]
	v_add_f64 v[6:7], v[4:5], 1.0
	v_add_f64 v[12:13], v[4:5], -1.0
	v_subbrev_co_u32_e32 v2, vcc, 0, v2, vcc
	v_cmp_neq_f64_e64 vcc, |v[0:1]|, s[10:11]
	v_rcp_f64_e32 v[8:9], v[6:7]
	v_add_f64 v[14:15], v[6:7], -1.0
	v_add_f64 v[4:5], v[4:5], -v[14:15]
	v_fma_f64 v[10:11], -v[6:7], v[8:9], 1.0
	v_fma_f64 v[8:9], v[10:11], v[8:9], v[8:9]
	v_fma_f64 v[10:11], -v[6:7], v[8:9], 1.0
	v_fma_f64 v[8:9], v[10:11], v[8:9], v[8:9]
	v_mul_f64 v[10:11], v[12:13], v[8:9]
	v_mul_f64 v[16:17], v[6:7], v[10:11]
	v_fma_f64 v[6:7], v[10:11], v[6:7], -v[16:17]
	v_fma_f64 v[4:5], v[10:11], v[4:5], v[6:7]
	v_add_f64 v[6:7], v[16:17], v[4:5]
	v_add_f64 v[14:15], v[12:13], -v[6:7]
	v_add_f64 v[16:17], v[6:7], -v[16:17]
	;; [unrolled: 1-line block ×5, first 2 shown]
	v_mov_b32_e32 v12, 0x6b47b09a
	v_mov_b32_e32 v13, 0x3fc38538
	v_add_f64 v[4:5], v[4:5], v[6:7]
	v_add_f64 v[4:5], v[14:15], v[4:5]
	v_mul_f64 v[4:5], v[8:9], v[4:5]
	v_add_f64 v[6:7], v[10:11], v[4:5]
	v_mul_f64 v[8:9], v[6:7], v[6:7]
	v_fma_f64 v[12:13], v[8:9], s[8:9], v[12:13]
	s_mov_b32 s8, 0xd7f4df2e
	s_mov_b32 s9, 0x3fc7474d
	v_mul_f64 v[14:15], v[6:7], v[8:9]
	v_fma_f64 v[12:13], v[8:9], v[12:13], s[8:9]
	s_mov_b32 s8, 0x16291751
	s_mov_b32 s9, 0x3fcc71c0
	v_fma_f64 v[12:13], v[8:9], v[12:13], s[8:9]
	s_mov_b32 s8, 0x9b27acf1
	s_mov_b32 s9, 0x3fd24924
	;; [unrolled: 3-line block ×4, first 2 shown]
	v_fma_f64 v[8:9], v[8:9], v[12:13], s[4:5]
	v_ldexp_f64 v[12:13], v[6:7], 1
	v_add_f64 v[6:7], v[6:7], -v[10:11]
	s_mov_b32 s4, 0xfefa39ef
	s_mov_b32 s5, 0x3fe62e42
	v_mul_f64 v[8:9], v[14:15], v[8:9]
	v_cvt_f64_i32_e32 v[14:15], v2
	v_add_f64 v[4:5], v[4:5], -v[6:7]
	v_mov_b32_e32 v2, 0xfff00000
	v_mul_f64 v[16:17], v[14:15], s[4:5]
	v_add_f64 v[10:11], v[12:13], v[8:9]
	v_ldexp_f64 v[4:5], v[4:5], 1
	v_add_f64 v[6:7], v[10:11], -v[12:13]
	v_fma_f64 v[12:13], v[14:15], s[4:5], -v[16:17]
	s_mov_b32 s4, 0x3b39803f
	s_mov_b32 s5, 0x3c7abc9e
	v_add_f64 v[6:7], v[8:9], -v[6:7]
	v_fma_f64 v[8:9], v[14:15], s[4:5], v[12:13]
	s_mov_b32 s4, 0x17aa6149
	s_mov_b32 s5, 0xbfca8b9c
	v_add_f64 v[4:5], v[4:5], v[6:7]
	v_add_f64 v[6:7], v[16:17], v[8:9]
	;; [unrolled: 1-line block ×3, first 2 shown]
	v_add_f64 v[16:17], v[6:7], -v[16:17]
	v_add_f64 v[14:15], v[6:7], v[12:13]
	v_add_f64 v[10:11], v[12:13], -v[10:11]
	v_add_f64 v[8:9], v[8:9], -v[16:17]
	;; [unrolled: 1-line block ×6, first 2 shown]
	v_add_f64 v[12:13], v[8:9], v[4:5]
	v_add_f64 v[6:7], v[6:7], -v[20:21]
	v_add_f64 v[6:7], v[10:11], v[6:7]
	v_add_f64 v[10:11], v[12:13], -v[8:9]
	;; [unrolled: 2-line block ×3, first 2 shown]
	v_add_f64 v[4:5], v[4:5], -v[10:11]
	v_add_f64 v[16:17], v[14:15], v[6:7]
	v_add_f64 v[8:9], v[8:9], -v[12:13]
	v_add_f64 v[10:11], v[16:17], -v[14:15]
	v_add_f64 v[4:5], v[4:5], v[8:9]
	v_mov_b32_e32 v8, 0x2ac7d848
	v_mov_b32_e32 v9, 0x3fd15132
	v_fma_f64 v[8:9], |v[0:1]|, s[4:5], v[8:9]
	s_mov_b32 s4, 0x5beab2d7
	s_mov_b32 s5, 0xbfd9a4d5
	v_add_f64 v[6:7], v[6:7], -v[10:11]
	v_add_f64 v[4:5], v[4:5], v[6:7]
	v_fma_f64 v[6:7], |v[0:1]|, v[8:9], s[4:5]
	s_mov_b32 s4, 0x625307d3
	s_mov_b32 s5, 0x3fea51a6
	v_mov_b32_e32 v8, 0x7ff00000
	v_add_f64 v[4:5], v[16:17], v[4:5]
	v_fma_f64 v[6:7], |v[0:1]|, v[6:7], s[4:5]
	v_cmp_neq_f64_e64 s[4:5], 0, v[0:1]
	v_xor_b32_e32 v5, 0x80000000, v5
	v_cndmask_b32_e32 v2, v2, v5, vcc
	v_fma_f64 v[5:6], |v[0:1]|, v[6:7], s[8:9]
	s_and_b64 vcc, s[4:5], vcc
	v_cndmask_b32_e64 v8, v8, v2, s[4:5]
	v_cndmask_b32_e32 v7, 0, v4, vcc
	v_fma_f64 v[4:5], |v[0:1]|, v[5:6], v[7:8]
.LBB123_28:
	s_or_b64 exec, exec, s[6:7]
	v_cmp_le_f64_e32 vcc, 0, v[0:1]
	s_and_saveexec_b64 s[4:5], vcc
	s_xor_b64 s[6:7], exec, s[4:5]
	s_cbranch_execz .LBB123_30
; %bb.29:
	v_cmp_eq_f64_e32 vcc, 1.0, v[0:1]
	v_cmp_eq_f64_e64 s[4:5], 2.0, v[0:1]
	s_or_b64 s[4:5], vcc, s[4:5]
	v_cndmask_b32_e64 v5, v5, 0, s[4:5]
	v_cndmask_b32_e64 v4, v4, 0, s[4:5]
.LBB123_30:
	s_andn2_saveexec_b64 s[6:7], s[6:7]
	s_cbranch_execz .LBB123_34
; %bb.31:
	v_add_u32_e32 v2, 0xc32fffff, v3
	s_mov_b32 s4, 0x65fffff
	v_cmp_gt_u32_e32 vcc, s4, v2
	s_and_saveexec_b64 s[8:9], vcc
	s_cbranch_execz .LBB123_33
; %bb.32:
	v_mul_f64 v[6:7], |v[0:1]|, 0.5
	s_mov_b32 s4, 0
	s_mov_b32 s5, 0x7ff00000
	v_and_b32_e32 v2, 0x7fffffff, v1
	s_mov_b32 s10, 0x2e21c33
	v_mov_b32_e32 v10, 0x6fdffd2b
	v_mov_b32_e32 v11, 0xbf7e2fe7
	;; [unrolled: 1-line block ×3, first 2 shown]
	v_fract_f64_e32 v[8:9], v[6:7]
	v_cmp_neq_f64_e64 vcc, |v[6:7]|, s[4:5]
	s_mov_b32 s4, 0xf99eb0bb
	s_mov_b32 s5, 0x3f3e357e
	v_mov_b32_e32 v15, 0x3f5f9c89
	s_mov_b32 s11, 0xbf1b1673
	v_add_f64 v[8:9], v[8:9], v[8:9]
	v_cndmask_b32_e32 v6, 0, v8, vcc
	v_cndmask_b32_e32 v7, 0, v9, vcc
	v_cmp_gt_f64_e64 vcc, |v[0:1]|, 1.0
	v_cndmask_b32_e32 v7, v2, v7, vcc
	v_cndmask_b32_e32 v6, v0, v6, vcc
	v_add_f64 v[8:9], v[6:7], v[6:7]
	v_rndne_f64_e32 v[8:9], v[8:9]
	v_fma_f64 v[6:7], v[8:9], -0.5, v[6:7]
	v_cvt_i32_f64_e32 v2, v[8:9]
	v_and_b32_e32 v8, 1, v2
	v_lshlrev_b32_e32 v2, 30, v2
	v_cmp_eq_u32_e32 vcc, 0, v8
	v_mul_f64 v[12:13], v[6:7], v[6:7]
	v_xor_b32_e32 v2, v2, v1
	v_and_b32_e32 v2, 0x80000000, v2
	v_mov_b32_e32 v8, 0x7ff80000
	v_fma_f64 v[10:11], v[12:13], s[4:5], v[10:11]
	v_fma_f64 v[14:15], v[12:13], s[10:11], v[14:15]
	s_mov_b32 s4, 0xd5f14825
	s_mov_b32 s10, 0x7294bff9
	;; [unrolled: 1-line block ×4, first 2 shown]
	v_mul_f64 v[16:17], v[6:7], v[12:13]
	v_fma_f64 v[10:11], v[12:13], v[10:11], s[4:5]
	v_fma_f64 v[14:15], v[12:13], v[14:15], s[10:11]
	s_mov_b32 s4, 0xcdfe9424
	s_mov_b32 s10, 0x67b90b37
	s_mov_b32 s5, 0xbfe32d2c
	s_mov_b32 s11, 0x3fce1f50
	v_fma_f64 v[10:11], v[12:13], v[10:11], s[4:5]
	v_fma_f64 v[14:15], v[12:13], v[14:15], s[10:11]
	s_mov_b32 s4, 0x67754fff
	s_mov_b32 s10, 0x7e3c325b
	s_mov_b32 s5, 0x400466bc
	s_mov_b32 s11, 0xbff55d3c
	;; [unrolled: 6-line block ×4, first 2 shown]
	v_mul_f64 v[10:11], v[16:17], v[10:11]
	v_fma_f64 v[14:15], v[12:13], v[14:15], s[4:5]
	s_movk_i32 s4, 0x1f8
	v_cmp_class_f64_e64 s[4:5], v[0:1], s4
	v_fma_f64 v[6:7], v[6:7], s[10:11], v[10:11]
	v_fma_f64 v[10:11], v[12:13], v[14:15], 1.0
	v_cndmask_b32_e32 v7, v11, v7, vcc
	v_cndmask_b32_e32 v6, v10, v6, vcc
	v_xor_b32_e32 v2, v7, v2
	v_cndmask_b32_e64 v6, 0, v6, s[4:5]
	v_cndmask_b32_e64 v7, v8, v2, s[4:5]
	v_mul_f64 v[6:7], v[0:1], v[6:7]
	v_and_b32_e32 v9, 0x7fffffff, v7
	v_mov_b32_e32 v8, v6
	v_div_scale_f64 v[10:11], s[4:5], v[8:9], v[8:9], s[10:11]
	v_div_scale_f64 v[8:9], vcc, s[10:11], v[8:9], s[10:11]
	s_mov_b32 s5, 0x3fe55555
	s_mov_b32 s4, 0x55555555
	v_rcp_f64_e32 v[12:13], v[10:11]
	v_fma_f64 v[14:15], -v[10:11], v[12:13], 1.0
	v_fma_f64 v[12:13], v[12:13], v[14:15], v[12:13]
	v_fma_f64 v[14:15], -v[10:11], v[12:13], 1.0
	v_fma_f64 v[12:13], v[12:13], v[14:15], v[12:13]
	v_mul_f64 v[14:15], v[8:9], v[12:13]
	v_fma_f64 v[8:9], -v[10:11], v[14:15], v[8:9]
	v_div_fmas_f64 v[8:9], v[8:9], v[12:13], v[14:15]
	v_div_fixup_f64 v[6:7], v[8:9], |v[6:7]|, s[10:11]
	s_mov_b32 s10, 0xbf559e2b
	s_mov_b32 s11, 0x3fc3ab76
	v_frexp_mant_f64_e32 v[8:9], v[6:7]
	v_cmp_gt_f64_e32 vcc, s[4:5], v[8:9]
	s_mov_b32 s4, 0x55555780
	v_cndmask_b32_e64 v2, 0, 1, vcc
	v_ldexp_f64 v[8:9], v[8:9], v2
	v_frexp_exp_i32_f64_e32 v2, v[6:7]
	v_add_f64 v[10:11], v[8:9], 1.0
	v_add_f64 v[16:17], v[8:9], -1.0
	v_subbrev_co_u32_e32 v2, vcc, 0, v2, vcc
	v_rcp_f64_e32 v[12:13], v[10:11]
	v_add_f64 v[18:19], v[10:11], -1.0
	v_add_f64 v[8:9], v[8:9], -v[18:19]
	v_fma_f64 v[14:15], -v[10:11], v[12:13], 1.0
	v_fma_f64 v[12:13], v[14:15], v[12:13], v[12:13]
	v_fma_f64 v[14:15], -v[10:11], v[12:13], 1.0
	v_fma_f64 v[12:13], v[14:15], v[12:13], v[12:13]
	v_mul_f64 v[14:15], v[16:17], v[12:13]
	v_mul_f64 v[20:21], v[10:11], v[14:15]
	v_fma_f64 v[10:11], v[14:15], v[10:11], -v[20:21]
	v_fma_f64 v[8:9], v[14:15], v[8:9], v[10:11]
	v_add_f64 v[10:11], v[20:21], v[8:9]
	v_add_f64 v[18:19], v[16:17], -v[10:11]
	v_add_f64 v[20:21], v[10:11], -v[20:21]
	;; [unrolled: 1-line block ×5, first 2 shown]
	v_mov_b32_e32 v16, 0x6b47b09a
	v_mov_b32_e32 v17, 0x3fc38538
	v_add_f64 v[8:9], v[8:9], v[10:11]
	v_add_f64 v[8:9], v[18:19], v[8:9]
	v_mul_f64 v[8:9], v[12:13], v[8:9]
	v_add_f64 v[10:11], v[14:15], v[8:9]
	v_mul_f64 v[12:13], v[10:11], v[10:11]
	v_fma_f64 v[16:17], v[12:13], s[10:11], v[16:17]
	s_mov_b32 s10, 0xd7f4df2e
	s_mov_b32 s11, 0x3fc7474d
	v_mul_f64 v[18:19], v[10:11], v[12:13]
	v_fma_f64 v[16:17], v[12:13], v[16:17], s[10:11]
	s_mov_b32 s10, 0x16291751
	s_mov_b32 s11, 0x3fcc71c0
	v_fma_f64 v[16:17], v[12:13], v[16:17], s[10:11]
	s_mov_b32 s10, 0x9b27acf1
	s_mov_b32 s11, 0x3fd24924
	;; [unrolled: 3-line block ×3, first 2 shown]
	v_fma_f64 v[16:17], v[12:13], v[16:17], s[10:11]
	v_fma_f64 v[12:13], v[12:13], v[16:17], s[4:5]
	v_ldexp_f64 v[16:17], v[10:11], 1
	v_add_f64 v[10:11], v[10:11], -v[14:15]
	s_mov_b32 s4, 0xfefa39ef
	s_mov_b32 s5, 0x3fe62e42
	v_mul_f64 v[12:13], v[18:19], v[12:13]
	v_cvt_f64_i32_e32 v[18:19], v2
	v_add_f64 v[8:9], v[8:9], -v[10:11]
	v_mov_b32_e32 v2, 0xfff00000
	v_mul_f64 v[20:21], v[18:19], s[4:5]
	v_add_f64 v[14:15], v[16:17], v[12:13]
	v_ldexp_f64 v[8:9], v[8:9], 1
	v_add_f64 v[10:11], v[14:15], -v[16:17]
	v_fma_f64 v[16:17], v[18:19], s[4:5], -v[20:21]
	s_mov_b32 s4, 0x3b39803f
	s_mov_b32 s5, 0x3c7abc9e
	v_add_f64 v[10:11], v[12:13], -v[10:11]
	v_fma_f64 v[12:13], v[18:19], s[4:5], v[16:17]
	s_movk_i32 s4, 0x204
	v_cmp_class_f64_e64 vcc, v[6:7], s4
	v_cmp_class_f64_e64 s[10:11], v[0:1], s4
	v_add_f64 v[8:9], v[8:9], v[10:11]
	v_add_f64 v[10:11], v[20:21], v[12:13]
	;; [unrolled: 1-line block ×3, first 2 shown]
	v_add_f64 v[18:19], v[10:11], -v[20:21]
	v_add_f64 v[20:21], v[10:11], v[16:17]
	v_add_f64 v[12:13], v[12:13], -v[18:19]
	v_add_f64 v[14:15], v[16:17], -v[14:15]
	v_add_f64 v[18:19], v[20:21], -v[10:11]
	v_add_f64 v[8:9], v[8:9], -v[14:15]
	v_add_f64 v[14:15], v[20:21], -v[18:19]
	v_add_f64 v[16:17], v[16:17], -v[18:19]
	v_add_f64 v[10:11], v[10:11], -v[14:15]
	v_add_f64 v[14:15], v[12:13], v[8:9]
	v_add_f64 v[10:11], v[16:17], v[10:11]
	v_add_f64 v[16:17], v[14:15], -v[12:13]
	v_add_f64 v[10:11], v[14:15], v[10:11]
	v_add_f64 v[14:15], v[14:15], -v[16:17]
	v_add_f64 v[8:9], v[8:9], -v[16:17]
	v_add_f64 v[18:19], v[20:21], v[10:11]
	v_add_f64 v[12:13], v[12:13], -v[14:15]
	;; [unrolled: 3-line block ×3, first 2 shown]
	v_add_f64 v[8:9], v[8:9], v[10:11]
	v_fract_f64_e32 v[10:11], v[0:1]
	v_add_f64 v[8:9], v[18:19], v[8:9]
	v_cmp_eq_f64_e64 s[4:5], 0, v[10:11]
	v_cndmask_b32_e32 v8, v8, v6, vcc
	v_cndmask_b32_e32 v9, v9, v7, vcc
	v_cmp_neq_f64_e32 vcc, 0, v[6:7]
	v_cndmask_b32_e32 v7, v2, v9, vcc
	v_cndmask_b32_e32 v6, 0, v8, vcc
	v_add_f64 v[4:5], v[6:7], -v[4:5]
	v_mov_b32_e32 v2, 0x7ff00000
	s_or_b64 vcc, s[10:11], s[4:5]
	v_cndmask_b32_e32 v5, v5, v2, vcc
	v_cndmask_b32_e64 v4, v4, 0, vcc
.LBB123_33:
	s_or_b64 exec, exec, s[8:9]
.LBB123_34:
	s_or_b64 exec, exec, s[6:7]
	v_mov_b32_e32 v2, 0x264
	v_cmp_gt_f64_e32 vcc, 0, v[0:1]
	v_cmp_class_f64_e64 s[4:5], v[0:1], v2
	s_mov_b32 s6, 0x432fffff
	v_cmp_lt_u32_e64 s[6:7], s6, v3
	v_mov_b32_e32 v2, 0x7ff00000
	s_and_b64 s[6:7], vcc, s[6:7]
	s_or_b64 vcc, s[4:5], s[6:7]
	v_cndmask_b32_e32 v2, v5, v2, vcc
	v_cndmask_b32_e64 v3, v4, 0, vcc
	v_cmp_u_f64_e32 vcc, v[0:1], v[0:1]
	v_cndmask_b32_e32 v0, v3, v0, vcc
	v_cndmask_b32_e32 v1, v2, v1, vcc
	s_setpc_b64 s[30:31]
.Lfunc_end123:
	.size	_ZN3c104guts5applyIRZZZN2at6native18lgamma_kernel_cudaERNS2_18TensorIteratorBaseEENKUlvE_clEvENKUlvE_clEvEUldE_RSt5tupleIJdEEEEDaOT_OT0_, .Lfunc_end123-_ZN3c104guts5applyIRZZZN2at6native18lgamma_kernel_cudaERNS2_18TensorIteratorBaseEENKUlvE_clEvENKUlvE_clEvEUldE_RSt5tupleIJdEEEEDaOT_OT0_
                                        ; -- End function
	.set .L_ZN3c104guts5applyIRZZZN2at6native18lgamma_kernel_cudaERNS2_18TensorIteratorBaseEENKUlvE_clEvENKUlvE_clEvEUldE_RSt5tupleIJdEEEEDaOT_OT0_.num_vgpr, 22
	.set .L_ZN3c104guts5applyIRZZZN2at6native18lgamma_kernel_cudaERNS2_18TensorIteratorBaseEENKUlvE_clEvENKUlvE_clEvEUldE_RSt5tupleIJdEEEEDaOT_OT0_.num_agpr, 0
	.set .L_ZN3c104guts5applyIRZZZN2at6native18lgamma_kernel_cudaERNS2_18TensorIteratorBaseEENKUlvE_clEvENKUlvE_clEvEUldE_RSt5tupleIJdEEEEDaOT_OT0_.numbered_sgpr, 32
	.set .L_ZN3c104guts5applyIRZZZN2at6native18lgamma_kernel_cudaERNS2_18TensorIteratorBaseEENKUlvE_clEvENKUlvE_clEvEUldE_RSt5tupleIJdEEEEDaOT_OT0_.num_named_barrier, 0
	.set .L_ZN3c104guts5applyIRZZZN2at6native18lgamma_kernel_cudaERNS2_18TensorIteratorBaseEENKUlvE_clEvENKUlvE_clEvEUldE_RSt5tupleIJdEEEEDaOT_OT0_.private_seg_size, 0
	.set .L_ZN3c104guts5applyIRZZZN2at6native18lgamma_kernel_cudaERNS2_18TensorIteratorBaseEENKUlvE_clEvENKUlvE_clEvEUldE_RSt5tupleIJdEEEEDaOT_OT0_.uses_vcc, 1
	.set .L_ZN3c104guts5applyIRZZZN2at6native18lgamma_kernel_cudaERNS2_18TensorIteratorBaseEENKUlvE_clEvENKUlvE_clEvEUldE_RSt5tupleIJdEEEEDaOT_OT0_.uses_flat_scratch, 0
	.set .L_ZN3c104guts5applyIRZZZN2at6native18lgamma_kernel_cudaERNS2_18TensorIteratorBaseEENKUlvE_clEvENKUlvE_clEvEUldE_RSt5tupleIJdEEEEDaOT_OT0_.has_dyn_sized_stack, 0
	.set .L_ZN3c104guts5applyIRZZZN2at6native18lgamma_kernel_cudaERNS2_18TensorIteratorBaseEENKUlvE_clEvENKUlvE_clEvEUldE_RSt5tupleIJdEEEEDaOT_OT0_.has_recursion, 0
	.set .L_ZN3c104guts5applyIRZZZN2at6native18lgamma_kernel_cudaERNS2_18TensorIteratorBaseEENKUlvE_clEvENKUlvE_clEvEUldE_RSt5tupleIJdEEEEDaOT_OT0_.has_indirect_call, 0
	.section	.AMDGPU.csdata,"",@progbits
; Function info:
; codeLenInByte = 8132
; TotalNumSgprs: 36
; NumVgprs: 22
; ScratchSize: 0
; MemoryBound: 0
	.section	.text._ZN2at6native29vectorized_elementwise_kernelILi16EZZZNS0_18lgamma_kernel_cudaERNS_18TensorIteratorBaseEENKUlvE_clEvENKUlvE_clEvEUldE_St5arrayIPcLm2EEEEviT0_T1_,"axG",@progbits,_ZN2at6native29vectorized_elementwise_kernelILi16EZZZNS0_18lgamma_kernel_cudaERNS_18TensorIteratorBaseEENKUlvE_clEvENKUlvE_clEvEUldE_St5arrayIPcLm2EEEEviT0_T1_,comdat
	.globl	_ZN2at6native29vectorized_elementwise_kernelILi16EZZZNS0_18lgamma_kernel_cudaERNS_18TensorIteratorBaseEENKUlvE_clEvENKUlvE_clEvEUldE_St5arrayIPcLm2EEEEviT0_T1_ ; -- Begin function _ZN2at6native29vectorized_elementwise_kernelILi16EZZZNS0_18lgamma_kernel_cudaERNS_18TensorIteratorBaseEENKUlvE_clEvENKUlvE_clEvEUldE_St5arrayIPcLm2EEEEviT0_T1_
	.p2align	8
	.type	_ZN2at6native29vectorized_elementwise_kernelILi16EZZZNS0_18lgamma_kernel_cudaERNS_18TensorIteratorBaseEENKUlvE_clEvENKUlvE_clEvEUldE_St5arrayIPcLm2EEEEviT0_T1_,@function
_ZN2at6native29vectorized_elementwise_kernelILi16EZZZNS0_18lgamma_kernel_cudaERNS_18TensorIteratorBaseEENKUlvE_clEvENKUlvE_clEvEUldE_St5arrayIPcLm2EEEEviT0_T1_: ; @_ZN2at6native29vectorized_elementwise_kernelILi16EZZZNS0_18lgamma_kernel_cudaERNS_18TensorIteratorBaseEENKUlvE_clEvENKUlvE_clEvEUldE_St5arrayIPcLm2EEEEviT0_T1_
; %bb.0:
	s_add_u32 s0, s0, s7
	s_load_dword s7, s[4:5], 0x0
	s_load_dwordx4 s[20:23], s[4:5], 0x8
	s_addc_u32 s1, s1, 0
	s_lshl_b32 s18, s6, 10
	v_mov_b32_e32 v28, v0
	s_waitcnt lgkmcnt(0)
	s_sub_i32 s24, s7, s18
	s_cmpk_gt_i32 s24, 0x3ff
	s_mov_b64 s[4:5], -1
	s_mov_b32 s32, 0
	s_cbranch_scc0 .LBB124_2
; %bb.1:
	s_ashr_i32 s19, s18, 31
	s_lshl_b64 s[16:17], s[18:19], 3
	s_add_u32 s4, s22, s16
	s_addc_u32 s5, s23, s17
	v_lshlrev_b32_e32 v26, 5, v28
	global_load_dwordx4 v[22:25], v26, s[4:5]
	global_load_dwordx4 v[29:32], v26, s[4:5] offset:16
	s_getpc_b64 s[26:27]
	s_add_u32 s26, s26, _ZN3c104guts5applyIRZZZN2at6native18lgamma_kernel_cudaERNS2_18TensorIteratorBaseEENKUlvE_clEvENKUlvE_clEvEUldE_RSt5tupleIJdEEEEDaOT_OT0_@rel32@lo+4
	s_addc_u32 s27, s27, _ZN3c104guts5applyIRZZZN2at6native18lgamma_kernel_cudaERNS2_18TensorIteratorBaseEENKUlvE_clEvENKUlvE_clEvEUldE_RSt5tupleIJdEEEEDaOT_OT0_@rel32@hi+12
	s_waitcnt vmcnt(1)
	v_mov_b32_e32 v0, v22
	v_mov_b32_e32 v1, v23
	s_swappc_b64 s[30:31], s[26:27]
	v_mov_b32_e32 v22, v0
	v_mov_b32_e32 v23, v1
	v_mov_b32_e32 v0, v24
	v_mov_b32_e32 v1, v25
	s_swappc_b64 s[30:31], s[26:27]
	v_mov_b32_e32 v24, v0
	v_mov_b32_e32 v25, v1
	;; [unrolled: 5-line block ×3, first 2 shown]
	v_mov_b32_e32 v0, v31
	v_mov_b32_e32 v1, v32
	s_swappc_b64 s[30:31], s[26:27]
	s_add_u32 s4, s20, s16
	s_addc_u32 s5, s21, s17
	v_mov_b32_e32 v31, v0
	v_mov_b32_e32 v32, v1
	global_store_dwordx4 v26, v[22:25], s[4:5]
	global_store_dwordx4 v26, v[29:32], s[4:5] offset:16
	s_mov_b64 s[4:5], 0
.LBB124_2:
	s_andn2_b64 vcc, exec, s[4:5]
	s_cbranch_vccnz .LBB124_23
; %bb.3:
	v_mov_b32_e32 v22, 0
	v_mov_b32_e32 v0, 0
	v_cmp_gt_i32_e64 s[16:17], s24, v28
	v_mov_b32_e32 v23, 0
	v_or_b32_e32 v37, s18, v28
	v_mov_b32_e32 v1, 0
	v_mov_b32_e32 v2, v28
	s_and_saveexec_b64 s[4:5], s[16:17]
	s_cbranch_execz .LBB124_5
; %bb.4:
	v_mov_b32_e32 v38, 0
	v_lshlrev_b64 v[0:1], 3, v[37:38]
	v_mov_b32_e32 v2, s23
	v_add_co_u32_e32 v0, vcc, s22, v0
	v_addc_co_u32_e32 v1, vcc, v2, v1, vcc
	global_load_dwordx2 v[0:1], v[0:1], off
	v_or_b32_e32 v2, 0x100, v28
.LBB124_5:
	s_or_b64 exec, exec, s[4:5]
	v_cmp_gt_i32_e32 vcc, s24, v2
	s_and_saveexec_b64 s[4:5], vcc
	s_cbranch_execz .LBB124_7
; %bb.6:
	v_add_u32_e32 v3, s18, v2
	v_mov_b32_e32 v4, 0
	v_lshlrev_b64 v[3:4], 3, v[3:4]
	v_mov_b32_e32 v5, s23
	v_add_co_u32_e32 v3, vcc, s22, v3
	v_addc_co_u32_e32 v4, vcc, v5, v4, vcc
	global_load_dwordx2 v[22:23], v[3:4], off
	v_add_u32_e32 v2, 0x100, v2
.LBB124_7:
	s_or_b64 exec, exec, s[4:5]
	v_mov_b32_e32 v24, 0
	v_mov_b32_e32 v26, 0
	;; [unrolled: 1-line block ×4, first 2 shown]
	v_cmp_gt_i32_e32 vcc, s24, v2
	s_and_saveexec_b64 s[4:5], vcc
	s_cbranch_execz .LBB124_9
; %bb.8:
	v_add_u32_e32 v3, s18, v2
	v_mov_b32_e32 v4, 0
	v_lshlrev_b64 v[3:4], 3, v[3:4]
	v_mov_b32_e32 v5, s23
	v_add_co_u32_e32 v3, vcc, s22, v3
	v_addc_co_u32_e32 v4, vcc, v5, v4, vcc
	global_load_dwordx2 v[26:27], v[3:4], off
	v_add_u32_e32 v2, 0x100, v2
.LBB124_9:
	s_or_b64 exec, exec, s[4:5]
	v_cmp_gt_i32_e32 vcc, s24, v2
	s_and_saveexec_b64 s[4:5], vcc
	s_cbranch_execz .LBB124_11
; %bb.10:
	v_add_u32_e32 v2, s18, v2
	v_mov_b32_e32 v3, 0
	v_lshlrev_b64 v[2:3], 3, v[2:3]
	v_mov_b32_e32 v4, s23
	v_add_co_u32_e32 v2, vcc, s22, v2
	v_addc_co_u32_e32 v3, vcc, v4, v3, vcc
	global_load_dwordx2 v[24:25], v[2:3], off
.LBB124_11:
	s_or_b64 exec, exec, s[4:5]
	v_mov_b32_e32 v29, 0
	v_mov_b32_e32 v30, v29
	v_mov_b32_e32 v31, v29
	v_mov_b32_e32 v32, v29
	v_mov_b32_e32 v33, v29
	v_mov_b32_e32 v34, v29
	v_mov_b32_e32 v35, v29
	v_mov_b32_e32 v36, v29
	s_and_saveexec_b64 s[22:23], s[16:17]
	s_cbranch_execz .LBB124_13
; %bb.12:
	s_getpc_b64 s[4:5]
	s_add_u32 s4, s4, _ZN3c104guts5applyIRZZZN2at6native18lgamma_kernel_cudaERNS2_18TensorIteratorBaseEENKUlvE_clEvENKUlvE_clEvEUldE_RSt5tupleIJdEEEEDaOT_OT0_@rel32@lo+4
	s_addc_u32 s5, s5, _ZN3c104guts5applyIRZZZN2at6native18lgamma_kernel_cudaERNS2_18TensorIteratorBaseEENKUlvE_clEvENKUlvE_clEvEUldE_RSt5tupleIJdEEEEDaOT_OT0_@rel32@hi+12
	s_swappc_b64 s[30:31], s[4:5]
	v_mov_b32_e32 v7, v29
	v_mov_b32_e32 v2, v29
	v_mov_b32_e32 v3, v29
	v_mov_b32_e32 v4, v29
	v_mov_b32_e32 v5, v29
	v_mov_b32_e32 v6, v29
	v_mov_b32_e32 v36, v7
	v_mov_b32_e32 v35, v6
	v_mov_b32_e32 v34, v5
	v_mov_b32_e32 v33, v4
	v_mov_b32_e32 v32, v3
	v_mov_b32_e32 v31, v2
	v_mov_b32_e32 v30, v1
	v_mov_b32_e32 v29, v0
.LBB124_13:
	s_or_b64 exec, exec, s[22:23]
	v_or_b32_e32 v39, 0x100, v28
	v_cmp_gt_i32_e32 vcc, s24, v39
	s_and_saveexec_b64 s[22:23], vcc
	s_cbranch_execz .LBB124_15
; %bb.14:
	s_getpc_b64 s[4:5]
	s_add_u32 s4, s4, _ZN3c104guts5applyIRZZZN2at6native18lgamma_kernel_cudaERNS2_18TensorIteratorBaseEENKUlvE_clEvENKUlvE_clEvEUldE_RSt5tupleIJdEEEEDaOT_OT0_@rel32@lo+4
	s_addc_u32 s5, s5, _ZN3c104guts5applyIRZZZN2at6native18lgamma_kernel_cudaERNS2_18TensorIteratorBaseEENKUlvE_clEvENKUlvE_clEvEUldE_RSt5tupleIJdEEEEDaOT_OT0_@rel32@hi+12
	s_waitcnt vmcnt(0)
	v_mov_b32_e32 v0, v22
	v_mov_b32_e32 v1, v23
	s_swappc_b64 s[30:31], s[4:5]
	v_mov_b32_e32 v31, v0
	v_mov_b32_e32 v32, v1
.LBB124_15:
	s_or_b64 exec, exec, s[22:23]
	s_waitcnt vmcnt(0)
	v_or_b32_e32 v0, 0x200, v28
	v_cmp_gt_i32_e32 vcc, s24, v0
	s_and_saveexec_b64 s[22:23], vcc
	s_cbranch_execz .LBB124_17
; %bb.16:
	s_getpc_b64 s[4:5]
	s_add_u32 s4, s4, _ZN3c104guts5applyIRZZZN2at6native18lgamma_kernel_cudaERNS2_18TensorIteratorBaseEENKUlvE_clEvENKUlvE_clEvEUldE_RSt5tupleIJdEEEEDaOT_OT0_@rel32@lo+4
	s_addc_u32 s5, s5, _ZN3c104guts5applyIRZZZN2at6native18lgamma_kernel_cudaERNS2_18TensorIteratorBaseEENKUlvE_clEvENKUlvE_clEvEUldE_RSt5tupleIJdEEEEDaOT_OT0_@rel32@hi+12
	v_mov_b32_e32 v0, v26
	v_mov_b32_e32 v1, v27
	s_swappc_b64 s[30:31], s[4:5]
	v_mov_b32_e32 v33, v0
	v_mov_b32_e32 v34, v1
.LBB124_17:
	s_or_b64 exec, exec, s[22:23]
	v_or_b32_e32 v0, 0x300, v28
	v_cmp_gt_i32_e32 vcc, s24, v0
	s_and_saveexec_b64 s[22:23], vcc
	s_cbranch_execnz .LBB124_24
; %bb.18:
	s_or_b64 exec, exec, s[22:23]
	s_and_saveexec_b64 s[4:5], s[16:17]
	s_xor_b64 s[4:5], exec, s[4:5]
	s_cbranch_execnz .LBB124_25
.LBB124_19:
	s_or_b64 exec, exec, s[4:5]
	v_cmp_gt_i32_e32 vcc, s24, v28
	s_and_saveexec_b64 s[4:5], vcc
	s_cbranch_execnz .LBB124_26
.LBB124_20:
	s_or_b64 exec, exec, s[4:5]
	v_cmp_gt_i32_e32 vcc, s24, v28
	s_and_saveexec_b64 s[4:5], vcc
	s_cbranch_execnz .LBB124_27
.LBB124_21:
	s_or_b64 exec, exec, s[4:5]
	v_cmp_gt_i32_e32 vcc, s24, v28
	s_and_saveexec_b64 s[4:5], vcc
	s_cbranch_execz .LBB124_23
.LBB124_22:
	v_add_u32_e32 v0, s18, v28
	v_mov_b32_e32 v1, 0
	v_lshlrev_b64 v[0:1], 3, v[0:1]
	v_mov_b32_e32 v2, s21
	v_add_co_u32_e32 v0, vcc, s20, v0
	v_addc_co_u32_e32 v1, vcc, v2, v1, vcc
	global_store_dwordx2 v[0:1], v[35:36], off
.LBB124_23:
	s_endpgm
.LBB124_24:
	s_getpc_b64 s[4:5]
	s_add_u32 s4, s4, _ZN3c104guts5applyIRZZZN2at6native18lgamma_kernel_cudaERNS2_18TensorIteratorBaseEENKUlvE_clEvENKUlvE_clEvEUldE_RSt5tupleIJdEEEEDaOT_OT0_@rel32@lo+4
	s_addc_u32 s5, s5, _ZN3c104guts5applyIRZZZN2at6native18lgamma_kernel_cudaERNS2_18TensorIteratorBaseEENKUlvE_clEvENKUlvE_clEvEUldE_RSt5tupleIJdEEEEDaOT_OT0_@rel32@hi+12
	v_mov_b32_e32 v0, v24
	v_mov_b32_e32 v1, v25
	s_swappc_b64 s[30:31], s[4:5]
	v_mov_b32_e32 v35, v0
	v_mov_b32_e32 v36, v1
	s_or_b64 exec, exec, s[22:23]
	s_and_saveexec_b64 s[4:5], s[16:17]
	s_xor_b64 s[4:5], exec, s[4:5]
	s_cbranch_execz .LBB124_19
.LBB124_25:
	v_mov_b32_e32 v38, 0
	v_lshlrev_b64 v[0:1], 3, v[37:38]
	v_mov_b32_e32 v2, s21
	v_add_co_u32_e32 v0, vcc, s20, v0
	v_addc_co_u32_e32 v1, vcc, v2, v1, vcc
	v_mov_b32_e32 v28, v39
	global_store_dwordx2 v[0:1], v[29:30], off
	s_or_b64 exec, exec, s[4:5]
	v_cmp_gt_i32_e32 vcc, s24, v28
	s_and_saveexec_b64 s[4:5], vcc
	s_cbranch_execz .LBB124_20
.LBB124_26:
	v_add_u32_e32 v0, s18, v28
	v_mov_b32_e32 v1, 0
	v_lshlrev_b64 v[0:1], 3, v[0:1]
	v_mov_b32_e32 v2, s21
	v_add_co_u32_e32 v0, vcc, s20, v0
	v_addc_co_u32_e32 v1, vcc, v2, v1, vcc
	v_add_u32_e32 v28, 0x100, v28
	global_store_dwordx2 v[0:1], v[31:32], off
	s_or_b64 exec, exec, s[4:5]
	v_cmp_gt_i32_e32 vcc, s24, v28
	s_and_saveexec_b64 s[4:5], vcc
	s_cbranch_execz .LBB124_21
.LBB124_27:
	v_add_u32_e32 v0, s18, v28
	v_mov_b32_e32 v1, 0
	v_lshlrev_b64 v[0:1], 3, v[0:1]
	v_mov_b32_e32 v2, s21
	v_add_co_u32_e32 v0, vcc, s20, v0
	v_addc_co_u32_e32 v1, vcc, v2, v1, vcc
	v_add_u32_e32 v28, 0x100, v28
	global_store_dwordx2 v[0:1], v[33:34], off
	s_or_b64 exec, exec, s[4:5]
	v_cmp_gt_i32_e32 vcc, s24, v28
	s_and_saveexec_b64 s[4:5], vcc
	s_cbranch_execnz .LBB124_22
	s_branch .LBB124_23
	.section	.rodata,"a",@progbits
	.p2align	6, 0x0
	.amdhsa_kernel _ZN2at6native29vectorized_elementwise_kernelILi16EZZZNS0_18lgamma_kernel_cudaERNS_18TensorIteratorBaseEENKUlvE_clEvENKUlvE_clEvEUldE_St5arrayIPcLm2EEEEviT0_T1_
		.amdhsa_group_segment_fixed_size 0
		.amdhsa_private_segment_fixed_size 0
		.amdhsa_kernarg_size 24
		.amdhsa_user_sgpr_count 6
		.amdhsa_user_sgpr_private_segment_buffer 1
		.amdhsa_user_sgpr_dispatch_ptr 0
		.amdhsa_user_sgpr_queue_ptr 0
		.amdhsa_user_sgpr_kernarg_segment_ptr 1
		.amdhsa_user_sgpr_dispatch_id 0
		.amdhsa_user_sgpr_flat_scratch_init 0
		.amdhsa_user_sgpr_private_segment_size 0
		.amdhsa_uses_dynamic_stack 0
		.amdhsa_system_sgpr_private_segment_wavefront_offset 0
		.amdhsa_system_sgpr_workgroup_id_x 1
		.amdhsa_system_sgpr_workgroup_id_y 0
		.amdhsa_system_sgpr_workgroup_id_z 0
		.amdhsa_system_sgpr_workgroup_info 0
		.amdhsa_system_vgpr_workitem_id 0
		.amdhsa_next_free_vgpr 40
		.amdhsa_next_free_sgpr 33
		.amdhsa_reserve_vcc 1
		.amdhsa_reserve_flat_scratch 0
		.amdhsa_float_round_mode_32 0
		.amdhsa_float_round_mode_16_64 0
		.amdhsa_float_denorm_mode_32 3
		.amdhsa_float_denorm_mode_16_64 3
		.amdhsa_dx10_clamp 1
		.amdhsa_ieee_mode 1
		.amdhsa_fp16_overflow 0
		.amdhsa_exception_fp_ieee_invalid_op 0
		.amdhsa_exception_fp_denorm_src 0
		.amdhsa_exception_fp_ieee_div_zero 0
		.amdhsa_exception_fp_ieee_overflow 0
		.amdhsa_exception_fp_ieee_underflow 0
		.amdhsa_exception_fp_ieee_inexact 0
		.amdhsa_exception_int_div_zero 0
	.end_amdhsa_kernel
	.section	.text._ZN2at6native29vectorized_elementwise_kernelILi16EZZZNS0_18lgamma_kernel_cudaERNS_18TensorIteratorBaseEENKUlvE_clEvENKUlvE_clEvEUldE_St5arrayIPcLm2EEEEviT0_T1_,"axG",@progbits,_ZN2at6native29vectorized_elementwise_kernelILi16EZZZNS0_18lgamma_kernel_cudaERNS_18TensorIteratorBaseEENKUlvE_clEvENKUlvE_clEvEUldE_St5arrayIPcLm2EEEEviT0_T1_,comdat
.Lfunc_end124:
	.size	_ZN2at6native29vectorized_elementwise_kernelILi16EZZZNS0_18lgamma_kernel_cudaERNS_18TensorIteratorBaseEENKUlvE_clEvENKUlvE_clEvEUldE_St5arrayIPcLm2EEEEviT0_T1_, .Lfunc_end124-_ZN2at6native29vectorized_elementwise_kernelILi16EZZZNS0_18lgamma_kernel_cudaERNS_18TensorIteratorBaseEENKUlvE_clEvENKUlvE_clEvEUldE_St5arrayIPcLm2EEEEviT0_T1_
                                        ; -- End function
	.set _ZN2at6native29vectorized_elementwise_kernelILi16EZZZNS0_18lgamma_kernel_cudaERNS_18TensorIteratorBaseEENKUlvE_clEvENKUlvE_clEvEUldE_St5arrayIPcLm2EEEEviT0_T1_.num_vgpr, max(40, .L_ZN3c104guts5applyIRZZZN2at6native18lgamma_kernel_cudaERNS2_18TensorIteratorBaseEENKUlvE_clEvENKUlvE_clEvEUldE_RSt5tupleIJdEEEEDaOT_OT0_.num_vgpr)
	.set _ZN2at6native29vectorized_elementwise_kernelILi16EZZZNS0_18lgamma_kernel_cudaERNS_18TensorIteratorBaseEENKUlvE_clEvENKUlvE_clEvEUldE_St5arrayIPcLm2EEEEviT0_T1_.num_agpr, max(0, .L_ZN3c104guts5applyIRZZZN2at6native18lgamma_kernel_cudaERNS2_18TensorIteratorBaseEENKUlvE_clEvENKUlvE_clEvEUldE_RSt5tupleIJdEEEEDaOT_OT0_.num_agpr)
	.set _ZN2at6native29vectorized_elementwise_kernelILi16EZZZNS0_18lgamma_kernel_cudaERNS_18TensorIteratorBaseEENKUlvE_clEvENKUlvE_clEvEUldE_St5arrayIPcLm2EEEEviT0_T1_.numbered_sgpr, max(33, .L_ZN3c104guts5applyIRZZZN2at6native18lgamma_kernel_cudaERNS2_18TensorIteratorBaseEENKUlvE_clEvENKUlvE_clEvEUldE_RSt5tupleIJdEEEEDaOT_OT0_.numbered_sgpr)
	.set _ZN2at6native29vectorized_elementwise_kernelILi16EZZZNS0_18lgamma_kernel_cudaERNS_18TensorIteratorBaseEENKUlvE_clEvENKUlvE_clEvEUldE_St5arrayIPcLm2EEEEviT0_T1_.num_named_barrier, max(0, .L_ZN3c104guts5applyIRZZZN2at6native18lgamma_kernel_cudaERNS2_18TensorIteratorBaseEENKUlvE_clEvENKUlvE_clEvEUldE_RSt5tupleIJdEEEEDaOT_OT0_.num_named_barrier)
	.set _ZN2at6native29vectorized_elementwise_kernelILi16EZZZNS0_18lgamma_kernel_cudaERNS_18TensorIteratorBaseEENKUlvE_clEvENKUlvE_clEvEUldE_St5arrayIPcLm2EEEEviT0_T1_.private_seg_size, 0+max(.L_ZN3c104guts5applyIRZZZN2at6native18lgamma_kernel_cudaERNS2_18TensorIteratorBaseEENKUlvE_clEvENKUlvE_clEvEUldE_RSt5tupleIJdEEEEDaOT_OT0_.private_seg_size)
	.set _ZN2at6native29vectorized_elementwise_kernelILi16EZZZNS0_18lgamma_kernel_cudaERNS_18TensorIteratorBaseEENKUlvE_clEvENKUlvE_clEvEUldE_St5arrayIPcLm2EEEEviT0_T1_.uses_vcc, or(1, .L_ZN3c104guts5applyIRZZZN2at6native18lgamma_kernel_cudaERNS2_18TensorIteratorBaseEENKUlvE_clEvENKUlvE_clEvEUldE_RSt5tupleIJdEEEEDaOT_OT0_.uses_vcc)
	.set _ZN2at6native29vectorized_elementwise_kernelILi16EZZZNS0_18lgamma_kernel_cudaERNS_18TensorIteratorBaseEENKUlvE_clEvENKUlvE_clEvEUldE_St5arrayIPcLm2EEEEviT0_T1_.uses_flat_scratch, or(0, .L_ZN3c104guts5applyIRZZZN2at6native18lgamma_kernel_cudaERNS2_18TensorIteratorBaseEENKUlvE_clEvENKUlvE_clEvEUldE_RSt5tupleIJdEEEEDaOT_OT0_.uses_flat_scratch)
	.set _ZN2at6native29vectorized_elementwise_kernelILi16EZZZNS0_18lgamma_kernel_cudaERNS_18TensorIteratorBaseEENKUlvE_clEvENKUlvE_clEvEUldE_St5arrayIPcLm2EEEEviT0_T1_.has_dyn_sized_stack, or(0, .L_ZN3c104guts5applyIRZZZN2at6native18lgamma_kernel_cudaERNS2_18TensorIteratorBaseEENKUlvE_clEvENKUlvE_clEvEUldE_RSt5tupleIJdEEEEDaOT_OT0_.has_dyn_sized_stack)
	.set _ZN2at6native29vectorized_elementwise_kernelILi16EZZZNS0_18lgamma_kernel_cudaERNS_18TensorIteratorBaseEENKUlvE_clEvENKUlvE_clEvEUldE_St5arrayIPcLm2EEEEviT0_T1_.has_recursion, or(0, .L_ZN3c104guts5applyIRZZZN2at6native18lgamma_kernel_cudaERNS2_18TensorIteratorBaseEENKUlvE_clEvENKUlvE_clEvEUldE_RSt5tupleIJdEEEEDaOT_OT0_.has_recursion)
	.set _ZN2at6native29vectorized_elementwise_kernelILi16EZZZNS0_18lgamma_kernel_cudaERNS_18TensorIteratorBaseEENKUlvE_clEvENKUlvE_clEvEUldE_St5arrayIPcLm2EEEEviT0_T1_.has_indirect_call, or(0, .L_ZN3c104guts5applyIRZZZN2at6native18lgamma_kernel_cudaERNS2_18TensorIteratorBaseEENKUlvE_clEvENKUlvE_clEvEUldE_RSt5tupleIJdEEEEDaOT_OT0_.has_indirect_call)
	.section	.AMDGPU.csdata,"",@progbits
; Kernel info:
; codeLenInByte = 1120
; TotalNumSgprs: 37
; NumVgprs: 40
; ScratchSize: 0
; MemoryBound: 0
; FloatMode: 240
; IeeeMode: 1
; LDSByteSize: 0 bytes/workgroup (compile time only)
; SGPRBlocks: 4
; VGPRBlocks: 9
; NumSGPRsForWavesPerEU: 37
; NumVGPRsForWavesPerEU: 40
; Occupancy: 6
; WaveLimiterHint : 0
; COMPUTE_PGM_RSRC2:SCRATCH_EN: 0
; COMPUTE_PGM_RSRC2:USER_SGPR: 6
; COMPUTE_PGM_RSRC2:TRAP_HANDLER: 0
; COMPUTE_PGM_RSRC2:TGID_X_EN: 1
; COMPUTE_PGM_RSRC2:TGID_Y_EN: 0
; COMPUTE_PGM_RSRC2:TGID_Z_EN: 0
; COMPUTE_PGM_RSRC2:TIDIG_COMP_CNT: 0
	.section	.text._ZN2at6native29vectorized_elementwise_kernelILi8EZZZNS0_18lgamma_kernel_cudaERNS_18TensorIteratorBaseEENKUlvE_clEvENKUlvE_clEvEUldE_St5arrayIPcLm2EEEEviT0_T1_,"axG",@progbits,_ZN2at6native29vectorized_elementwise_kernelILi8EZZZNS0_18lgamma_kernel_cudaERNS_18TensorIteratorBaseEENKUlvE_clEvENKUlvE_clEvEUldE_St5arrayIPcLm2EEEEviT0_T1_,comdat
	.globl	_ZN2at6native29vectorized_elementwise_kernelILi8EZZZNS0_18lgamma_kernel_cudaERNS_18TensorIteratorBaseEENKUlvE_clEvENKUlvE_clEvEUldE_St5arrayIPcLm2EEEEviT0_T1_ ; -- Begin function _ZN2at6native29vectorized_elementwise_kernelILi8EZZZNS0_18lgamma_kernel_cudaERNS_18TensorIteratorBaseEENKUlvE_clEvENKUlvE_clEvEUldE_St5arrayIPcLm2EEEEviT0_T1_
	.p2align	8
	.type	_ZN2at6native29vectorized_elementwise_kernelILi8EZZZNS0_18lgamma_kernel_cudaERNS_18TensorIteratorBaseEENKUlvE_clEvENKUlvE_clEvEUldE_St5arrayIPcLm2EEEEviT0_T1_,@function
_ZN2at6native29vectorized_elementwise_kernelILi8EZZZNS0_18lgamma_kernel_cudaERNS_18TensorIteratorBaseEENKUlvE_clEvENKUlvE_clEvEUldE_St5arrayIPcLm2EEEEviT0_T1_: ; @_ZN2at6native29vectorized_elementwise_kernelILi8EZZZNS0_18lgamma_kernel_cudaERNS_18TensorIteratorBaseEENKUlvE_clEvENKUlvE_clEvEUldE_St5arrayIPcLm2EEEEviT0_T1_
; %bb.0:
	s_add_u32 s0, s0, s7
	s_load_dword s7, s[4:5], 0x0
	s_load_dwordx4 s[20:23], s[4:5], 0x8
	s_addc_u32 s1, s1, 0
	s_lshl_b32 s18, s6, 10
	v_mov_b32_e32 v28, v0
	s_waitcnt lgkmcnt(0)
	s_sub_i32 s24, s7, s18
	s_cmpk_gt_i32 s24, 0x3ff
	s_mov_b64 s[4:5], -1
	s_mov_b32 s32, 0
	s_cbranch_scc0 .LBB125_2
; %bb.1:
	s_ashr_i32 s19, s18, 31
	s_lshl_b64 s[16:17], s[18:19], 3
	s_add_u32 s4, s22, s16
	s_addc_u32 s5, s23, s17
	v_lshlrev_b32_e32 v26, 5, v28
	global_load_dwordx4 v[22:25], v26, s[4:5]
	global_load_dwordx4 v[29:32], v26, s[4:5] offset:16
	s_getpc_b64 s[26:27]
	s_add_u32 s26, s26, _ZN3c104guts5applyIRZZZN2at6native18lgamma_kernel_cudaERNS2_18TensorIteratorBaseEENKUlvE_clEvENKUlvE_clEvEUldE_RSt5tupleIJdEEEEDaOT_OT0_@rel32@lo+4
	s_addc_u32 s27, s27, _ZN3c104guts5applyIRZZZN2at6native18lgamma_kernel_cudaERNS2_18TensorIteratorBaseEENKUlvE_clEvENKUlvE_clEvEUldE_RSt5tupleIJdEEEEDaOT_OT0_@rel32@hi+12
	s_waitcnt vmcnt(1)
	v_mov_b32_e32 v0, v22
	v_mov_b32_e32 v1, v23
	s_swappc_b64 s[30:31], s[26:27]
	v_mov_b32_e32 v22, v0
	v_mov_b32_e32 v23, v1
	v_mov_b32_e32 v0, v24
	v_mov_b32_e32 v1, v25
	s_swappc_b64 s[30:31], s[26:27]
	v_mov_b32_e32 v24, v0
	v_mov_b32_e32 v25, v1
	;; [unrolled: 5-line block ×3, first 2 shown]
	v_mov_b32_e32 v0, v31
	v_mov_b32_e32 v1, v32
	s_swappc_b64 s[30:31], s[26:27]
	s_add_u32 s4, s20, s16
	s_addc_u32 s5, s21, s17
	v_mov_b32_e32 v31, v0
	v_mov_b32_e32 v32, v1
	global_store_dwordx4 v26, v[22:25], s[4:5]
	global_store_dwordx4 v26, v[29:32], s[4:5] offset:16
	s_mov_b64 s[4:5], 0
.LBB125_2:
	s_andn2_b64 vcc, exec, s[4:5]
	s_cbranch_vccnz .LBB125_23
; %bb.3:
	v_mov_b32_e32 v22, 0
	v_mov_b32_e32 v0, 0
	v_cmp_gt_i32_e64 s[16:17], s24, v28
	v_mov_b32_e32 v23, 0
	v_or_b32_e32 v37, s18, v28
	v_mov_b32_e32 v1, 0
	v_mov_b32_e32 v2, v28
	s_and_saveexec_b64 s[4:5], s[16:17]
	s_cbranch_execz .LBB125_5
; %bb.4:
	v_mov_b32_e32 v38, 0
	v_lshlrev_b64 v[0:1], 3, v[37:38]
	v_mov_b32_e32 v2, s23
	v_add_co_u32_e32 v0, vcc, s22, v0
	v_addc_co_u32_e32 v1, vcc, v2, v1, vcc
	global_load_dwordx2 v[0:1], v[0:1], off
	v_or_b32_e32 v2, 0x100, v28
.LBB125_5:
	s_or_b64 exec, exec, s[4:5]
	v_cmp_gt_i32_e32 vcc, s24, v2
	s_and_saveexec_b64 s[4:5], vcc
	s_cbranch_execz .LBB125_7
; %bb.6:
	v_add_u32_e32 v3, s18, v2
	v_mov_b32_e32 v4, 0
	v_lshlrev_b64 v[3:4], 3, v[3:4]
	v_mov_b32_e32 v5, s23
	v_add_co_u32_e32 v3, vcc, s22, v3
	v_addc_co_u32_e32 v4, vcc, v5, v4, vcc
	global_load_dwordx2 v[22:23], v[3:4], off
	v_add_u32_e32 v2, 0x100, v2
.LBB125_7:
	s_or_b64 exec, exec, s[4:5]
	v_mov_b32_e32 v24, 0
	v_mov_b32_e32 v26, 0
	;; [unrolled: 1-line block ×4, first 2 shown]
	v_cmp_gt_i32_e32 vcc, s24, v2
	s_and_saveexec_b64 s[4:5], vcc
	s_cbranch_execz .LBB125_9
; %bb.8:
	v_add_u32_e32 v3, s18, v2
	v_mov_b32_e32 v4, 0
	v_lshlrev_b64 v[3:4], 3, v[3:4]
	v_mov_b32_e32 v5, s23
	v_add_co_u32_e32 v3, vcc, s22, v3
	v_addc_co_u32_e32 v4, vcc, v5, v4, vcc
	global_load_dwordx2 v[26:27], v[3:4], off
	v_add_u32_e32 v2, 0x100, v2
.LBB125_9:
	s_or_b64 exec, exec, s[4:5]
	v_cmp_gt_i32_e32 vcc, s24, v2
	s_and_saveexec_b64 s[4:5], vcc
	s_cbranch_execz .LBB125_11
; %bb.10:
	v_add_u32_e32 v2, s18, v2
	v_mov_b32_e32 v3, 0
	v_lshlrev_b64 v[2:3], 3, v[2:3]
	v_mov_b32_e32 v4, s23
	v_add_co_u32_e32 v2, vcc, s22, v2
	v_addc_co_u32_e32 v3, vcc, v4, v3, vcc
	global_load_dwordx2 v[24:25], v[2:3], off
.LBB125_11:
	s_or_b64 exec, exec, s[4:5]
	v_mov_b32_e32 v29, 0
	v_mov_b32_e32 v30, v29
	;; [unrolled: 1-line block ×8, first 2 shown]
	s_and_saveexec_b64 s[22:23], s[16:17]
	s_cbranch_execz .LBB125_13
; %bb.12:
	s_getpc_b64 s[4:5]
	s_add_u32 s4, s4, _ZN3c104guts5applyIRZZZN2at6native18lgamma_kernel_cudaERNS2_18TensorIteratorBaseEENKUlvE_clEvENKUlvE_clEvEUldE_RSt5tupleIJdEEEEDaOT_OT0_@rel32@lo+4
	s_addc_u32 s5, s5, _ZN3c104guts5applyIRZZZN2at6native18lgamma_kernel_cudaERNS2_18TensorIteratorBaseEENKUlvE_clEvENKUlvE_clEvEUldE_RSt5tupleIJdEEEEDaOT_OT0_@rel32@hi+12
	s_swappc_b64 s[30:31], s[4:5]
	v_mov_b32_e32 v7, v29
	v_mov_b32_e32 v2, v29
	;; [unrolled: 1-line block ×14, first 2 shown]
.LBB125_13:
	s_or_b64 exec, exec, s[22:23]
	v_or_b32_e32 v39, 0x100, v28
	v_cmp_gt_i32_e32 vcc, s24, v39
	s_and_saveexec_b64 s[22:23], vcc
	s_cbranch_execz .LBB125_15
; %bb.14:
	s_getpc_b64 s[4:5]
	s_add_u32 s4, s4, _ZN3c104guts5applyIRZZZN2at6native18lgamma_kernel_cudaERNS2_18TensorIteratorBaseEENKUlvE_clEvENKUlvE_clEvEUldE_RSt5tupleIJdEEEEDaOT_OT0_@rel32@lo+4
	s_addc_u32 s5, s5, _ZN3c104guts5applyIRZZZN2at6native18lgamma_kernel_cudaERNS2_18TensorIteratorBaseEENKUlvE_clEvENKUlvE_clEvEUldE_RSt5tupleIJdEEEEDaOT_OT0_@rel32@hi+12
	s_waitcnt vmcnt(0)
	v_mov_b32_e32 v0, v22
	v_mov_b32_e32 v1, v23
	s_swappc_b64 s[30:31], s[4:5]
	v_mov_b32_e32 v31, v0
	v_mov_b32_e32 v32, v1
.LBB125_15:
	s_or_b64 exec, exec, s[22:23]
	s_waitcnt vmcnt(0)
	v_or_b32_e32 v0, 0x200, v28
	v_cmp_gt_i32_e32 vcc, s24, v0
	s_and_saveexec_b64 s[22:23], vcc
	s_cbranch_execz .LBB125_17
; %bb.16:
	s_getpc_b64 s[4:5]
	s_add_u32 s4, s4, _ZN3c104guts5applyIRZZZN2at6native18lgamma_kernel_cudaERNS2_18TensorIteratorBaseEENKUlvE_clEvENKUlvE_clEvEUldE_RSt5tupleIJdEEEEDaOT_OT0_@rel32@lo+4
	s_addc_u32 s5, s5, _ZN3c104guts5applyIRZZZN2at6native18lgamma_kernel_cudaERNS2_18TensorIteratorBaseEENKUlvE_clEvENKUlvE_clEvEUldE_RSt5tupleIJdEEEEDaOT_OT0_@rel32@hi+12
	v_mov_b32_e32 v0, v26
	v_mov_b32_e32 v1, v27
	s_swappc_b64 s[30:31], s[4:5]
	v_mov_b32_e32 v33, v0
	v_mov_b32_e32 v34, v1
.LBB125_17:
	s_or_b64 exec, exec, s[22:23]
	v_or_b32_e32 v0, 0x300, v28
	v_cmp_gt_i32_e32 vcc, s24, v0
	s_and_saveexec_b64 s[22:23], vcc
	s_cbranch_execnz .LBB125_24
; %bb.18:
	s_or_b64 exec, exec, s[22:23]
	s_and_saveexec_b64 s[4:5], s[16:17]
	s_xor_b64 s[4:5], exec, s[4:5]
	s_cbranch_execnz .LBB125_25
.LBB125_19:
	s_or_b64 exec, exec, s[4:5]
	v_cmp_gt_i32_e32 vcc, s24, v28
	s_and_saveexec_b64 s[4:5], vcc
	s_cbranch_execnz .LBB125_26
.LBB125_20:
	s_or_b64 exec, exec, s[4:5]
	v_cmp_gt_i32_e32 vcc, s24, v28
	s_and_saveexec_b64 s[4:5], vcc
	s_cbranch_execnz .LBB125_27
.LBB125_21:
	s_or_b64 exec, exec, s[4:5]
	v_cmp_gt_i32_e32 vcc, s24, v28
	s_and_saveexec_b64 s[4:5], vcc
	s_cbranch_execz .LBB125_23
.LBB125_22:
	v_add_u32_e32 v0, s18, v28
	v_mov_b32_e32 v1, 0
	v_lshlrev_b64 v[0:1], 3, v[0:1]
	v_mov_b32_e32 v2, s21
	v_add_co_u32_e32 v0, vcc, s20, v0
	v_addc_co_u32_e32 v1, vcc, v2, v1, vcc
	global_store_dwordx2 v[0:1], v[35:36], off
.LBB125_23:
	s_endpgm
.LBB125_24:
	s_getpc_b64 s[4:5]
	s_add_u32 s4, s4, _ZN3c104guts5applyIRZZZN2at6native18lgamma_kernel_cudaERNS2_18TensorIteratorBaseEENKUlvE_clEvENKUlvE_clEvEUldE_RSt5tupleIJdEEEEDaOT_OT0_@rel32@lo+4
	s_addc_u32 s5, s5, _ZN3c104guts5applyIRZZZN2at6native18lgamma_kernel_cudaERNS2_18TensorIteratorBaseEENKUlvE_clEvENKUlvE_clEvEUldE_RSt5tupleIJdEEEEDaOT_OT0_@rel32@hi+12
	v_mov_b32_e32 v0, v24
	v_mov_b32_e32 v1, v25
	s_swappc_b64 s[30:31], s[4:5]
	v_mov_b32_e32 v35, v0
	v_mov_b32_e32 v36, v1
	s_or_b64 exec, exec, s[22:23]
	s_and_saveexec_b64 s[4:5], s[16:17]
	s_xor_b64 s[4:5], exec, s[4:5]
	s_cbranch_execz .LBB125_19
.LBB125_25:
	v_mov_b32_e32 v38, 0
	v_lshlrev_b64 v[0:1], 3, v[37:38]
	v_mov_b32_e32 v2, s21
	v_add_co_u32_e32 v0, vcc, s20, v0
	v_addc_co_u32_e32 v1, vcc, v2, v1, vcc
	v_mov_b32_e32 v28, v39
	global_store_dwordx2 v[0:1], v[29:30], off
	s_or_b64 exec, exec, s[4:5]
	v_cmp_gt_i32_e32 vcc, s24, v28
	s_and_saveexec_b64 s[4:5], vcc
	s_cbranch_execz .LBB125_20
.LBB125_26:
	v_add_u32_e32 v0, s18, v28
	v_mov_b32_e32 v1, 0
	v_lshlrev_b64 v[0:1], 3, v[0:1]
	v_mov_b32_e32 v2, s21
	v_add_co_u32_e32 v0, vcc, s20, v0
	v_addc_co_u32_e32 v1, vcc, v2, v1, vcc
	v_add_u32_e32 v28, 0x100, v28
	global_store_dwordx2 v[0:1], v[31:32], off
	s_or_b64 exec, exec, s[4:5]
	v_cmp_gt_i32_e32 vcc, s24, v28
	s_and_saveexec_b64 s[4:5], vcc
	s_cbranch_execz .LBB125_21
.LBB125_27:
	v_add_u32_e32 v0, s18, v28
	v_mov_b32_e32 v1, 0
	v_lshlrev_b64 v[0:1], 3, v[0:1]
	v_mov_b32_e32 v2, s21
	v_add_co_u32_e32 v0, vcc, s20, v0
	v_addc_co_u32_e32 v1, vcc, v2, v1, vcc
	v_add_u32_e32 v28, 0x100, v28
	global_store_dwordx2 v[0:1], v[33:34], off
	s_or_b64 exec, exec, s[4:5]
	v_cmp_gt_i32_e32 vcc, s24, v28
	s_and_saveexec_b64 s[4:5], vcc
	s_cbranch_execnz .LBB125_22
	s_branch .LBB125_23
	.section	.rodata,"a",@progbits
	.p2align	6, 0x0
	.amdhsa_kernel _ZN2at6native29vectorized_elementwise_kernelILi8EZZZNS0_18lgamma_kernel_cudaERNS_18TensorIteratorBaseEENKUlvE_clEvENKUlvE_clEvEUldE_St5arrayIPcLm2EEEEviT0_T1_
		.amdhsa_group_segment_fixed_size 0
		.amdhsa_private_segment_fixed_size 0
		.amdhsa_kernarg_size 24
		.amdhsa_user_sgpr_count 6
		.amdhsa_user_sgpr_private_segment_buffer 1
		.amdhsa_user_sgpr_dispatch_ptr 0
		.amdhsa_user_sgpr_queue_ptr 0
		.amdhsa_user_sgpr_kernarg_segment_ptr 1
		.amdhsa_user_sgpr_dispatch_id 0
		.amdhsa_user_sgpr_flat_scratch_init 0
		.amdhsa_user_sgpr_private_segment_size 0
		.amdhsa_uses_dynamic_stack 0
		.amdhsa_system_sgpr_private_segment_wavefront_offset 0
		.amdhsa_system_sgpr_workgroup_id_x 1
		.amdhsa_system_sgpr_workgroup_id_y 0
		.amdhsa_system_sgpr_workgroup_id_z 0
		.amdhsa_system_sgpr_workgroup_info 0
		.amdhsa_system_vgpr_workitem_id 0
		.amdhsa_next_free_vgpr 40
		.amdhsa_next_free_sgpr 33
		.amdhsa_reserve_vcc 1
		.amdhsa_reserve_flat_scratch 0
		.amdhsa_float_round_mode_32 0
		.amdhsa_float_round_mode_16_64 0
		.amdhsa_float_denorm_mode_32 3
		.amdhsa_float_denorm_mode_16_64 3
		.amdhsa_dx10_clamp 1
		.amdhsa_ieee_mode 1
		.amdhsa_fp16_overflow 0
		.amdhsa_exception_fp_ieee_invalid_op 0
		.amdhsa_exception_fp_denorm_src 0
		.amdhsa_exception_fp_ieee_div_zero 0
		.amdhsa_exception_fp_ieee_overflow 0
		.amdhsa_exception_fp_ieee_underflow 0
		.amdhsa_exception_fp_ieee_inexact 0
		.amdhsa_exception_int_div_zero 0
	.end_amdhsa_kernel
	.section	.text._ZN2at6native29vectorized_elementwise_kernelILi8EZZZNS0_18lgamma_kernel_cudaERNS_18TensorIteratorBaseEENKUlvE_clEvENKUlvE_clEvEUldE_St5arrayIPcLm2EEEEviT0_T1_,"axG",@progbits,_ZN2at6native29vectorized_elementwise_kernelILi8EZZZNS0_18lgamma_kernel_cudaERNS_18TensorIteratorBaseEENKUlvE_clEvENKUlvE_clEvEUldE_St5arrayIPcLm2EEEEviT0_T1_,comdat
.Lfunc_end125:
	.size	_ZN2at6native29vectorized_elementwise_kernelILi8EZZZNS0_18lgamma_kernel_cudaERNS_18TensorIteratorBaseEENKUlvE_clEvENKUlvE_clEvEUldE_St5arrayIPcLm2EEEEviT0_T1_, .Lfunc_end125-_ZN2at6native29vectorized_elementwise_kernelILi8EZZZNS0_18lgamma_kernel_cudaERNS_18TensorIteratorBaseEENKUlvE_clEvENKUlvE_clEvEUldE_St5arrayIPcLm2EEEEviT0_T1_
                                        ; -- End function
	.set _ZN2at6native29vectorized_elementwise_kernelILi8EZZZNS0_18lgamma_kernel_cudaERNS_18TensorIteratorBaseEENKUlvE_clEvENKUlvE_clEvEUldE_St5arrayIPcLm2EEEEviT0_T1_.num_vgpr, max(40, .L_ZN3c104guts5applyIRZZZN2at6native18lgamma_kernel_cudaERNS2_18TensorIteratorBaseEENKUlvE_clEvENKUlvE_clEvEUldE_RSt5tupleIJdEEEEDaOT_OT0_.num_vgpr)
	.set _ZN2at6native29vectorized_elementwise_kernelILi8EZZZNS0_18lgamma_kernel_cudaERNS_18TensorIteratorBaseEENKUlvE_clEvENKUlvE_clEvEUldE_St5arrayIPcLm2EEEEviT0_T1_.num_agpr, max(0, .L_ZN3c104guts5applyIRZZZN2at6native18lgamma_kernel_cudaERNS2_18TensorIteratorBaseEENKUlvE_clEvENKUlvE_clEvEUldE_RSt5tupleIJdEEEEDaOT_OT0_.num_agpr)
	.set _ZN2at6native29vectorized_elementwise_kernelILi8EZZZNS0_18lgamma_kernel_cudaERNS_18TensorIteratorBaseEENKUlvE_clEvENKUlvE_clEvEUldE_St5arrayIPcLm2EEEEviT0_T1_.numbered_sgpr, max(33, .L_ZN3c104guts5applyIRZZZN2at6native18lgamma_kernel_cudaERNS2_18TensorIteratorBaseEENKUlvE_clEvENKUlvE_clEvEUldE_RSt5tupleIJdEEEEDaOT_OT0_.numbered_sgpr)
	.set _ZN2at6native29vectorized_elementwise_kernelILi8EZZZNS0_18lgamma_kernel_cudaERNS_18TensorIteratorBaseEENKUlvE_clEvENKUlvE_clEvEUldE_St5arrayIPcLm2EEEEviT0_T1_.num_named_barrier, max(0, .L_ZN3c104guts5applyIRZZZN2at6native18lgamma_kernel_cudaERNS2_18TensorIteratorBaseEENKUlvE_clEvENKUlvE_clEvEUldE_RSt5tupleIJdEEEEDaOT_OT0_.num_named_barrier)
	.set _ZN2at6native29vectorized_elementwise_kernelILi8EZZZNS0_18lgamma_kernel_cudaERNS_18TensorIteratorBaseEENKUlvE_clEvENKUlvE_clEvEUldE_St5arrayIPcLm2EEEEviT0_T1_.private_seg_size, 0+max(.L_ZN3c104guts5applyIRZZZN2at6native18lgamma_kernel_cudaERNS2_18TensorIteratorBaseEENKUlvE_clEvENKUlvE_clEvEUldE_RSt5tupleIJdEEEEDaOT_OT0_.private_seg_size)
	.set _ZN2at6native29vectorized_elementwise_kernelILi8EZZZNS0_18lgamma_kernel_cudaERNS_18TensorIteratorBaseEENKUlvE_clEvENKUlvE_clEvEUldE_St5arrayIPcLm2EEEEviT0_T1_.uses_vcc, or(1, .L_ZN3c104guts5applyIRZZZN2at6native18lgamma_kernel_cudaERNS2_18TensorIteratorBaseEENKUlvE_clEvENKUlvE_clEvEUldE_RSt5tupleIJdEEEEDaOT_OT0_.uses_vcc)
	.set _ZN2at6native29vectorized_elementwise_kernelILi8EZZZNS0_18lgamma_kernel_cudaERNS_18TensorIteratorBaseEENKUlvE_clEvENKUlvE_clEvEUldE_St5arrayIPcLm2EEEEviT0_T1_.uses_flat_scratch, or(0, .L_ZN3c104guts5applyIRZZZN2at6native18lgamma_kernel_cudaERNS2_18TensorIteratorBaseEENKUlvE_clEvENKUlvE_clEvEUldE_RSt5tupleIJdEEEEDaOT_OT0_.uses_flat_scratch)
	.set _ZN2at6native29vectorized_elementwise_kernelILi8EZZZNS0_18lgamma_kernel_cudaERNS_18TensorIteratorBaseEENKUlvE_clEvENKUlvE_clEvEUldE_St5arrayIPcLm2EEEEviT0_T1_.has_dyn_sized_stack, or(0, .L_ZN3c104guts5applyIRZZZN2at6native18lgamma_kernel_cudaERNS2_18TensorIteratorBaseEENKUlvE_clEvENKUlvE_clEvEUldE_RSt5tupleIJdEEEEDaOT_OT0_.has_dyn_sized_stack)
	.set _ZN2at6native29vectorized_elementwise_kernelILi8EZZZNS0_18lgamma_kernel_cudaERNS_18TensorIteratorBaseEENKUlvE_clEvENKUlvE_clEvEUldE_St5arrayIPcLm2EEEEviT0_T1_.has_recursion, or(0, .L_ZN3c104guts5applyIRZZZN2at6native18lgamma_kernel_cudaERNS2_18TensorIteratorBaseEENKUlvE_clEvENKUlvE_clEvEUldE_RSt5tupleIJdEEEEDaOT_OT0_.has_recursion)
	.set _ZN2at6native29vectorized_elementwise_kernelILi8EZZZNS0_18lgamma_kernel_cudaERNS_18TensorIteratorBaseEENKUlvE_clEvENKUlvE_clEvEUldE_St5arrayIPcLm2EEEEviT0_T1_.has_indirect_call, or(0, .L_ZN3c104guts5applyIRZZZN2at6native18lgamma_kernel_cudaERNS2_18TensorIteratorBaseEENKUlvE_clEvENKUlvE_clEvEUldE_RSt5tupleIJdEEEEDaOT_OT0_.has_indirect_call)
	.section	.AMDGPU.csdata,"",@progbits
; Kernel info:
; codeLenInByte = 1120
; TotalNumSgprs: 37
; NumVgprs: 40
; ScratchSize: 0
; MemoryBound: 0
; FloatMode: 240
; IeeeMode: 1
; LDSByteSize: 0 bytes/workgroup (compile time only)
; SGPRBlocks: 4
; VGPRBlocks: 9
; NumSGPRsForWavesPerEU: 37
; NumVGPRsForWavesPerEU: 40
; Occupancy: 6
; WaveLimiterHint : 0
; COMPUTE_PGM_RSRC2:SCRATCH_EN: 0
; COMPUTE_PGM_RSRC2:USER_SGPR: 6
; COMPUTE_PGM_RSRC2:TRAP_HANDLER: 0
; COMPUTE_PGM_RSRC2:TGID_X_EN: 1
; COMPUTE_PGM_RSRC2:TGID_Y_EN: 0
; COMPUTE_PGM_RSRC2:TGID_Z_EN: 0
; COMPUTE_PGM_RSRC2:TIDIG_COMP_CNT: 0
	.section	.text._ZN2at6native29vectorized_elementwise_kernelILi4EZZZNS0_18lgamma_kernel_cudaERNS_18TensorIteratorBaseEENKUlvE_clEvENKUlvE_clEvEUldE_St5arrayIPcLm2EEEEviT0_T1_,"axG",@progbits,_ZN2at6native29vectorized_elementwise_kernelILi4EZZZNS0_18lgamma_kernel_cudaERNS_18TensorIteratorBaseEENKUlvE_clEvENKUlvE_clEvEUldE_St5arrayIPcLm2EEEEviT0_T1_,comdat
	.globl	_ZN2at6native29vectorized_elementwise_kernelILi4EZZZNS0_18lgamma_kernel_cudaERNS_18TensorIteratorBaseEENKUlvE_clEvENKUlvE_clEvEUldE_St5arrayIPcLm2EEEEviT0_T1_ ; -- Begin function _ZN2at6native29vectorized_elementwise_kernelILi4EZZZNS0_18lgamma_kernel_cudaERNS_18TensorIteratorBaseEENKUlvE_clEvENKUlvE_clEvEUldE_St5arrayIPcLm2EEEEviT0_T1_
	.p2align	8
	.type	_ZN2at6native29vectorized_elementwise_kernelILi4EZZZNS0_18lgamma_kernel_cudaERNS_18TensorIteratorBaseEENKUlvE_clEvENKUlvE_clEvEUldE_St5arrayIPcLm2EEEEviT0_T1_,@function
_ZN2at6native29vectorized_elementwise_kernelILi4EZZZNS0_18lgamma_kernel_cudaERNS_18TensorIteratorBaseEENKUlvE_clEvENKUlvE_clEvEUldE_St5arrayIPcLm2EEEEviT0_T1_: ; @_ZN2at6native29vectorized_elementwise_kernelILi4EZZZNS0_18lgamma_kernel_cudaERNS_18TensorIteratorBaseEENKUlvE_clEvENKUlvE_clEvEUldE_St5arrayIPcLm2EEEEviT0_T1_
; %bb.0:
	s_add_u32 s0, s0, s7
	s_load_dword s7, s[4:5], 0x0
	s_load_dwordx4 s[20:23], s[4:5], 0x8
	s_addc_u32 s1, s1, 0
	s_lshl_b32 s18, s6, 10
	v_mov_b32_e32 v28, v0
	s_waitcnt lgkmcnt(0)
	s_sub_i32 s24, s7, s18
	s_cmpk_gt_i32 s24, 0x3ff
	s_mov_b64 s[4:5], -1
	s_mov_b32 s32, 0
	s_cbranch_scc0 .LBB126_2
; %bb.1:
	s_ashr_i32 s19, s18, 31
	s_lshl_b64 s[16:17], s[18:19], 3
	s_add_u32 s4, s22, s16
	s_addc_u32 s5, s23, s17
	v_lshlrev_b32_e32 v26, 5, v28
	global_load_dwordx4 v[22:25], v26, s[4:5]
	global_load_dwordx4 v[29:32], v26, s[4:5] offset:16
	s_getpc_b64 s[26:27]
	s_add_u32 s26, s26, _ZN3c104guts5applyIRZZZN2at6native18lgamma_kernel_cudaERNS2_18TensorIteratorBaseEENKUlvE_clEvENKUlvE_clEvEUldE_RSt5tupleIJdEEEEDaOT_OT0_@rel32@lo+4
	s_addc_u32 s27, s27, _ZN3c104guts5applyIRZZZN2at6native18lgamma_kernel_cudaERNS2_18TensorIteratorBaseEENKUlvE_clEvENKUlvE_clEvEUldE_RSt5tupleIJdEEEEDaOT_OT0_@rel32@hi+12
	s_waitcnt vmcnt(1)
	v_mov_b32_e32 v0, v22
	v_mov_b32_e32 v1, v23
	s_swappc_b64 s[30:31], s[26:27]
	v_mov_b32_e32 v22, v0
	v_mov_b32_e32 v23, v1
	v_mov_b32_e32 v0, v24
	v_mov_b32_e32 v1, v25
	s_swappc_b64 s[30:31], s[26:27]
	v_mov_b32_e32 v24, v0
	v_mov_b32_e32 v25, v1
	v_mov_b32_e32 v0, v29
	v_mov_b32_e32 v1, v30
	s_swappc_b64 s[30:31], s[26:27]
	v_mov_b32_e32 v29, v0
	v_mov_b32_e32 v30, v1
	v_mov_b32_e32 v0, v31
	v_mov_b32_e32 v1, v32
	s_swappc_b64 s[30:31], s[26:27]
	s_add_u32 s4, s20, s16
	s_addc_u32 s5, s21, s17
	v_mov_b32_e32 v31, v0
	v_mov_b32_e32 v32, v1
	global_store_dwordx4 v26, v[22:25], s[4:5]
	global_store_dwordx4 v26, v[29:32], s[4:5] offset:16
	s_mov_b64 s[4:5], 0
.LBB126_2:
	s_andn2_b64 vcc, exec, s[4:5]
	s_cbranch_vccnz .LBB126_23
; %bb.3:
	v_mov_b32_e32 v22, 0
	v_mov_b32_e32 v0, 0
	v_cmp_gt_i32_e64 s[16:17], s24, v28
	v_mov_b32_e32 v23, 0
	v_or_b32_e32 v37, s18, v28
	v_mov_b32_e32 v1, 0
	v_mov_b32_e32 v2, v28
	s_and_saveexec_b64 s[4:5], s[16:17]
	s_cbranch_execz .LBB126_5
; %bb.4:
	v_mov_b32_e32 v38, 0
	v_lshlrev_b64 v[0:1], 3, v[37:38]
	v_mov_b32_e32 v2, s23
	v_add_co_u32_e32 v0, vcc, s22, v0
	v_addc_co_u32_e32 v1, vcc, v2, v1, vcc
	global_load_dwordx2 v[0:1], v[0:1], off
	v_or_b32_e32 v2, 0x100, v28
.LBB126_5:
	s_or_b64 exec, exec, s[4:5]
	v_cmp_gt_i32_e32 vcc, s24, v2
	s_and_saveexec_b64 s[4:5], vcc
	s_cbranch_execz .LBB126_7
; %bb.6:
	v_add_u32_e32 v3, s18, v2
	v_mov_b32_e32 v4, 0
	v_lshlrev_b64 v[3:4], 3, v[3:4]
	v_mov_b32_e32 v5, s23
	v_add_co_u32_e32 v3, vcc, s22, v3
	v_addc_co_u32_e32 v4, vcc, v5, v4, vcc
	global_load_dwordx2 v[22:23], v[3:4], off
	v_add_u32_e32 v2, 0x100, v2
.LBB126_7:
	s_or_b64 exec, exec, s[4:5]
	v_mov_b32_e32 v24, 0
	v_mov_b32_e32 v26, 0
	v_mov_b32_e32 v25, 0
	v_mov_b32_e32 v27, 0
	v_cmp_gt_i32_e32 vcc, s24, v2
	s_and_saveexec_b64 s[4:5], vcc
	s_cbranch_execz .LBB126_9
; %bb.8:
	v_add_u32_e32 v3, s18, v2
	v_mov_b32_e32 v4, 0
	v_lshlrev_b64 v[3:4], 3, v[3:4]
	v_mov_b32_e32 v5, s23
	v_add_co_u32_e32 v3, vcc, s22, v3
	v_addc_co_u32_e32 v4, vcc, v5, v4, vcc
	global_load_dwordx2 v[26:27], v[3:4], off
	v_add_u32_e32 v2, 0x100, v2
.LBB126_9:
	s_or_b64 exec, exec, s[4:5]
	v_cmp_gt_i32_e32 vcc, s24, v2
	s_and_saveexec_b64 s[4:5], vcc
	s_cbranch_execz .LBB126_11
; %bb.10:
	v_add_u32_e32 v2, s18, v2
	v_mov_b32_e32 v3, 0
	v_lshlrev_b64 v[2:3], 3, v[2:3]
	v_mov_b32_e32 v4, s23
	v_add_co_u32_e32 v2, vcc, s22, v2
	v_addc_co_u32_e32 v3, vcc, v4, v3, vcc
	global_load_dwordx2 v[24:25], v[2:3], off
.LBB126_11:
	s_or_b64 exec, exec, s[4:5]
	v_mov_b32_e32 v29, 0
	v_mov_b32_e32 v30, v29
	;; [unrolled: 1-line block ×8, first 2 shown]
	s_and_saveexec_b64 s[22:23], s[16:17]
	s_cbranch_execz .LBB126_13
; %bb.12:
	s_getpc_b64 s[4:5]
	s_add_u32 s4, s4, _ZN3c104guts5applyIRZZZN2at6native18lgamma_kernel_cudaERNS2_18TensorIteratorBaseEENKUlvE_clEvENKUlvE_clEvEUldE_RSt5tupleIJdEEEEDaOT_OT0_@rel32@lo+4
	s_addc_u32 s5, s5, _ZN3c104guts5applyIRZZZN2at6native18lgamma_kernel_cudaERNS2_18TensorIteratorBaseEENKUlvE_clEvENKUlvE_clEvEUldE_RSt5tupleIJdEEEEDaOT_OT0_@rel32@hi+12
	s_swappc_b64 s[30:31], s[4:5]
	v_mov_b32_e32 v7, v29
	v_mov_b32_e32 v2, v29
	v_mov_b32_e32 v3, v29
	v_mov_b32_e32 v4, v29
	v_mov_b32_e32 v5, v29
	v_mov_b32_e32 v6, v29
	v_mov_b32_e32 v36, v7
	v_mov_b32_e32 v35, v6
	v_mov_b32_e32 v34, v5
	v_mov_b32_e32 v33, v4
	v_mov_b32_e32 v32, v3
	v_mov_b32_e32 v31, v2
	v_mov_b32_e32 v30, v1
	v_mov_b32_e32 v29, v0
.LBB126_13:
	s_or_b64 exec, exec, s[22:23]
	v_or_b32_e32 v39, 0x100, v28
	v_cmp_gt_i32_e32 vcc, s24, v39
	s_and_saveexec_b64 s[22:23], vcc
	s_cbranch_execz .LBB126_15
; %bb.14:
	s_getpc_b64 s[4:5]
	s_add_u32 s4, s4, _ZN3c104guts5applyIRZZZN2at6native18lgamma_kernel_cudaERNS2_18TensorIteratorBaseEENKUlvE_clEvENKUlvE_clEvEUldE_RSt5tupleIJdEEEEDaOT_OT0_@rel32@lo+4
	s_addc_u32 s5, s5, _ZN3c104guts5applyIRZZZN2at6native18lgamma_kernel_cudaERNS2_18TensorIteratorBaseEENKUlvE_clEvENKUlvE_clEvEUldE_RSt5tupleIJdEEEEDaOT_OT0_@rel32@hi+12
	s_waitcnt vmcnt(0)
	v_mov_b32_e32 v0, v22
	v_mov_b32_e32 v1, v23
	s_swappc_b64 s[30:31], s[4:5]
	v_mov_b32_e32 v31, v0
	v_mov_b32_e32 v32, v1
.LBB126_15:
	s_or_b64 exec, exec, s[22:23]
	s_waitcnt vmcnt(0)
	v_or_b32_e32 v0, 0x200, v28
	v_cmp_gt_i32_e32 vcc, s24, v0
	s_and_saveexec_b64 s[22:23], vcc
	s_cbranch_execz .LBB126_17
; %bb.16:
	s_getpc_b64 s[4:5]
	s_add_u32 s4, s4, _ZN3c104guts5applyIRZZZN2at6native18lgamma_kernel_cudaERNS2_18TensorIteratorBaseEENKUlvE_clEvENKUlvE_clEvEUldE_RSt5tupleIJdEEEEDaOT_OT0_@rel32@lo+4
	s_addc_u32 s5, s5, _ZN3c104guts5applyIRZZZN2at6native18lgamma_kernel_cudaERNS2_18TensorIteratorBaseEENKUlvE_clEvENKUlvE_clEvEUldE_RSt5tupleIJdEEEEDaOT_OT0_@rel32@hi+12
	v_mov_b32_e32 v0, v26
	v_mov_b32_e32 v1, v27
	s_swappc_b64 s[30:31], s[4:5]
	v_mov_b32_e32 v33, v0
	v_mov_b32_e32 v34, v1
.LBB126_17:
	s_or_b64 exec, exec, s[22:23]
	v_or_b32_e32 v0, 0x300, v28
	v_cmp_gt_i32_e32 vcc, s24, v0
	s_and_saveexec_b64 s[22:23], vcc
	s_cbranch_execnz .LBB126_24
; %bb.18:
	s_or_b64 exec, exec, s[22:23]
	s_and_saveexec_b64 s[4:5], s[16:17]
	s_xor_b64 s[4:5], exec, s[4:5]
	s_cbranch_execnz .LBB126_25
.LBB126_19:
	s_or_b64 exec, exec, s[4:5]
	v_cmp_gt_i32_e32 vcc, s24, v28
	s_and_saveexec_b64 s[4:5], vcc
	s_cbranch_execnz .LBB126_26
.LBB126_20:
	s_or_b64 exec, exec, s[4:5]
	v_cmp_gt_i32_e32 vcc, s24, v28
	s_and_saveexec_b64 s[4:5], vcc
	s_cbranch_execnz .LBB126_27
.LBB126_21:
	s_or_b64 exec, exec, s[4:5]
	v_cmp_gt_i32_e32 vcc, s24, v28
	s_and_saveexec_b64 s[4:5], vcc
	s_cbranch_execz .LBB126_23
.LBB126_22:
	v_add_u32_e32 v0, s18, v28
	v_mov_b32_e32 v1, 0
	v_lshlrev_b64 v[0:1], 3, v[0:1]
	v_mov_b32_e32 v2, s21
	v_add_co_u32_e32 v0, vcc, s20, v0
	v_addc_co_u32_e32 v1, vcc, v2, v1, vcc
	global_store_dwordx2 v[0:1], v[35:36], off
.LBB126_23:
	s_endpgm
.LBB126_24:
	s_getpc_b64 s[4:5]
	s_add_u32 s4, s4, _ZN3c104guts5applyIRZZZN2at6native18lgamma_kernel_cudaERNS2_18TensorIteratorBaseEENKUlvE_clEvENKUlvE_clEvEUldE_RSt5tupleIJdEEEEDaOT_OT0_@rel32@lo+4
	s_addc_u32 s5, s5, _ZN3c104guts5applyIRZZZN2at6native18lgamma_kernel_cudaERNS2_18TensorIteratorBaseEENKUlvE_clEvENKUlvE_clEvEUldE_RSt5tupleIJdEEEEDaOT_OT0_@rel32@hi+12
	v_mov_b32_e32 v0, v24
	v_mov_b32_e32 v1, v25
	s_swappc_b64 s[30:31], s[4:5]
	v_mov_b32_e32 v35, v0
	v_mov_b32_e32 v36, v1
	s_or_b64 exec, exec, s[22:23]
	s_and_saveexec_b64 s[4:5], s[16:17]
	s_xor_b64 s[4:5], exec, s[4:5]
	s_cbranch_execz .LBB126_19
.LBB126_25:
	v_mov_b32_e32 v38, 0
	v_lshlrev_b64 v[0:1], 3, v[37:38]
	v_mov_b32_e32 v2, s21
	v_add_co_u32_e32 v0, vcc, s20, v0
	v_addc_co_u32_e32 v1, vcc, v2, v1, vcc
	v_mov_b32_e32 v28, v39
	global_store_dwordx2 v[0:1], v[29:30], off
	s_or_b64 exec, exec, s[4:5]
	v_cmp_gt_i32_e32 vcc, s24, v28
	s_and_saveexec_b64 s[4:5], vcc
	s_cbranch_execz .LBB126_20
.LBB126_26:
	v_add_u32_e32 v0, s18, v28
	v_mov_b32_e32 v1, 0
	v_lshlrev_b64 v[0:1], 3, v[0:1]
	v_mov_b32_e32 v2, s21
	v_add_co_u32_e32 v0, vcc, s20, v0
	v_addc_co_u32_e32 v1, vcc, v2, v1, vcc
	v_add_u32_e32 v28, 0x100, v28
	global_store_dwordx2 v[0:1], v[31:32], off
	s_or_b64 exec, exec, s[4:5]
	v_cmp_gt_i32_e32 vcc, s24, v28
	s_and_saveexec_b64 s[4:5], vcc
	s_cbranch_execz .LBB126_21
.LBB126_27:
	v_add_u32_e32 v0, s18, v28
	v_mov_b32_e32 v1, 0
	v_lshlrev_b64 v[0:1], 3, v[0:1]
	v_mov_b32_e32 v2, s21
	v_add_co_u32_e32 v0, vcc, s20, v0
	v_addc_co_u32_e32 v1, vcc, v2, v1, vcc
	v_add_u32_e32 v28, 0x100, v28
	global_store_dwordx2 v[0:1], v[33:34], off
	s_or_b64 exec, exec, s[4:5]
	v_cmp_gt_i32_e32 vcc, s24, v28
	s_and_saveexec_b64 s[4:5], vcc
	s_cbranch_execnz .LBB126_22
	s_branch .LBB126_23
	.section	.rodata,"a",@progbits
	.p2align	6, 0x0
	.amdhsa_kernel _ZN2at6native29vectorized_elementwise_kernelILi4EZZZNS0_18lgamma_kernel_cudaERNS_18TensorIteratorBaseEENKUlvE_clEvENKUlvE_clEvEUldE_St5arrayIPcLm2EEEEviT0_T1_
		.amdhsa_group_segment_fixed_size 0
		.amdhsa_private_segment_fixed_size 0
		.amdhsa_kernarg_size 24
		.amdhsa_user_sgpr_count 6
		.amdhsa_user_sgpr_private_segment_buffer 1
		.amdhsa_user_sgpr_dispatch_ptr 0
		.amdhsa_user_sgpr_queue_ptr 0
		.amdhsa_user_sgpr_kernarg_segment_ptr 1
		.amdhsa_user_sgpr_dispatch_id 0
		.amdhsa_user_sgpr_flat_scratch_init 0
		.amdhsa_user_sgpr_private_segment_size 0
		.amdhsa_uses_dynamic_stack 0
		.amdhsa_system_sgpr_private_segment_wavefront_offset 0
		.amdhsa_system_sgpr_workgroup_id_x 1
		.amdhsa_system_sgpr_workgroup_id_y 0
		.amdhsa_system_sgpr_workgroup_id_z 0
		.amdhsa_system_sgpr_workgroup_info 0
		.amdhsa_system_vgpr_workitem_id 0
		.amdhsa_next_free_vgpr 40
		.amdhsa_next_free_sgpr 33
		.amdhsa_reserve_vcc 1
		.amdhsa_reserve_flat_scratch 0
		.amdhsa_float_round_mode_32 0
		.amdhsa_float_round_mode_16_64 0
		.amdhsa_float_denorm_mode_32 3
		.amdhsa_float_denorm_mode_16_64 3
		.amdhsa_dx10_clamp 1
		.amdhsa_ieee_mode 1
		.amdhsa_fp16_overflow 0
		.amdhsa_exception_fp_ieee_invalid_op 0
		.amdhsa_exception_fp_denorm_src 0
		.amdhsa_exception_fp_ieee_div_zero 0
		.amdhsa_exception_fp_ieee_overflow 0
		.amdhsa_exception_fp_ieee_underflow 0
		.amdhsa_exception_fp_ieee_inexact 0
		.amdhsa_exception_int_div_zero 0
	.end_amdhsa_kernel
	.section	.text._ZN2at6native29vectorized_elementwise_kernelILi4EZZZNS0_18lgamma_kernel_cudaERNS_18TensorIteratorBaseEENKUlvE_clEvENKUlvE_clEvEUldE_St5arrayIPcLm2EEEEviT0_T1_,"axG",@progbits,_ZN2at6native29vectorized_elementwise_kernelILi4EZZZNS0_18lgamma_kernel_cudaERNS_18TensorIteratorBaseEENKUlvE_clEvENKUlvE_clEvEUldE_St5arrayIPcLm2EEEEviT0_T1_,comdat
.Lfunc_end126:
	.size	_ZN2at6native29vectorized_elementwise_kernelILi4EZZZNS0_18lgamma_kernel_cudaERNS_18TensorIteratorBaseEENKUlvE_clEvENKUlvE_clEvEUldE_St5arrayIPcLm2EEEEviT0_T1_, .Lfunc_end126-_ZN2at6native29vectorized_elementwise_kernelILi4EZZZNS0_18lgamma_kernel_cudaERNS_18TensorIteratorBaseEENKUlvE_clEvENKUlvE_clEvEUldE_St5arrayIPcLm2EEEEviT0_T1_
                                        ; -- End function
	.set _ZN2at6native29vectorized_elementwise_kernelILi4EZZZNS0_18lgamma_kernel_cudaERNS_18TensorIteratorBaseEENKUlvE_clEvENKUlvE_clEvEUldE_St5arrayIPcLm2EEEEviT0_T1_.num_vgpr, max(40, .L_ZN3c104guts5applyIRZZZN2at6native18lgamma_kernel_cudaERNS2_18TensorIteratorBaseEENKUlvE_clEvENKUlvE_clEvEUldE_RSt5tupleIJdEEEEDaOT_OT0_.num_vgpr)
	.set _ZN2at6native29vectorized_elementwise_kernelILi4EZZZNS0_18lgamma_kernel_cudaERNS_18TensorIteratorBaseEENKUlvE_clEvENKUlvE_clEvEUldE_St5arrayIPcLm2EEEEviT0_T1_.num_agpr, max(0, .L_ZN3c104guts5applyIRZZZN2at6native18lgamma_kernel_cudaERNS2_18TensorIteratorBaseEENKUlvE_clEvENKUlvE_clEvEUldE_RSt5tupleIJdEEEEDaOT_OT0_.num_agpr)
	.set _ZN2at6native29vectorized_elementwise_kernelILi4EZZZNS0_18lgamma_kernel_cudaERNS_18TensorIteratorBaseEENKUlvE_clEvENKUlvE_clEvEUldE_St5arrayIPcLm2EEEEviT0_T1_.numbered_sgpr, max(33, .L_ZN3c104guts5applyIRZZZN2at6native18lgamma_kernel_cudaERNS2_18TensorIteratorBaseEENKUlvE_clEvENKUlvE_clEvEUldE_RSt5tupleIJdEEEEDaOT_OT0_.numbered_sgpr)
	.set _ZN2at6native29vectorized_elementwise_kernelILi4EZZZNS0_18lgamma_kernel_cudaERNS_18TensorIteratorBaseEENKUlvE_clEvENKUlvE_clEvEUldE_St5arrayIPcLm2EEEEviT0_T1_.num_named_barrier, max(0, .L_ZN3c104guts5applyIRZZZN2at6native18lgamma_kernel_cudaERNS2_18TensorIteratorBaseEENKUlvE_clEvENKUlvE_clEvEUldE_RSt5tupleIJdEEEEDaOT_OT0_.num_named_barrier)
	.set _ZN2at6native29vectorized_elementwise_kernelILi4EZZZNS0_18lgamma_kernel_cudaERNS_18TensorIteratorBaseEENKUlvE_clEvENKUlvE_clEvEUldE_St5arrayIPcLm2EEEEviT0_T1_.private_seg_size, 0+max(.L_ZN3c104guts5applyIRZZZN2at6native18lgamma_kernel_cudaERNS2_18TensorIteratorBaseEENKUlvE_clEvENKUlvE_clEvEUldE_RSt5tupleIJdEEEEDaOT_OT0_.private_seg_size)
	.set _ZN2at6native29vectorized_elementwise_kernelILi4EZZZNS0_18lgamma_kernel_cudaERNS_18TensorIteratorBaseEENKUlvE_clEvENKUlvE_clEvEUldE_St5arrayIPcLm2EEEEviT0_T1_.uses_vcc, or(1, .L_ZN3c104guts5applyIRZZZN2at6native18lgamma_kernel_cudaERNS2_18TensorIteratorBaseEENKUlvE_clEvENKUlvE_clEvEUldE_RSt5tupleIJdEEEEDaOT_OT0_.uses_vcc)
	.set _ZN2at6native29vectorized_elementwise_kernelILi4EZZZNS0_18lgamma_kernel_cudaERNS_18TensorIteratorBaseEENKUlvE_clEvENKUlvE_clEvEUldE_St5arrayIPcLm2EEEEviT0_T1_.uses_flat_scratch, or(0, .L_ZN3c104guts5applyIRZZZN2at6native18lgamma_kernel_cudaERNS2_18TensorIteratorBaseEENKUlvE_clEvENKUlvE_clEvEUldE_RSt5tupleIJdEEEEDaOT_OT0_.uses_flat_scratch)
	.set _ZN2at6native29vectorized_elementwise_kernelILi4EZZZNS0_18lgamma_kernel_cudaERNS_18TensorIteratorBaseEENKUlvE_clEvENKUlvE_clEvEUldE_St5arrayIPcLm2EEEEviT0_T1_.has_dyn_sized_stack, or(0, .L_ZN3c104guts5applyIRZZZN2at6native18lgamma_kernel_cudaERNS2_18TensorIteratorBaseEENKUlvE_clEvENKUlvE_clEvEUldE_RSt5tupleIJdEEEEDaOT_OT0_.has_dyn_sized_stack)
	.set _ZN2at6native29vectorized_elementwise_kernelILi4EZZZNS0_18lgamma_kernel_cudaERNS_18TensorIteratorBaseEENKUlvE_clEvENKUlvE_clEvEUldE_St5arrayIPcLm2EEEEviT0_T1_.has_recursion, or(0, .L_ZN3c104guts5applyIRZZZN2at6native18lgamma_kernel_cudaERNS2_18TensorIteratorBaseEENKUlvE_clEvENKUlvE_clEvEUldE_RSt5tupleIJdEEEEDaOT_OT0_.has_recursion)
	.set _ZN2at6native29vectorized_elementwise_kernelILi4EZZZNS0_18lgamma_kernel_cudaERNS_18TensorIteratorBaseEENKUlvE_clEvENKUlvE_clEvEUldE_St5arrayIPcLm2EEEEviT0_T1_.has_indirect_call, or(0, .L_ZN3c104guts5applyIRZZZN2at6native18lgamma_kernel_cudaERNS2_18TensorIteratorBaseEENKUlvE_clEvENKUlvE_clEvEUldE_RSt5tupleIJdEEEEDaOT_OT0_.has_indirect_call)
	.section	.AMDGPU.csdata,"",@progbits
; Kernel info:
; codeLenInByte = 1120
; TotalNumSgprs: 37
; NumVgprs: 40
; ScratchSize: 0
; MemoryBound: 0
; FloatMode: 240
; IeeeMode: 1
; LDSByteSize: 0 bytes/workgroup (compile time only)
; SGPRBlocks: 4
; VGPRBlocks: 9
; NumSGPRsForWavesPerEU: 37
; NumVGPRsForWavesPerEU: 40
; Occupancy: 6
; WaveLimiterHint : 0
; COMPUTE_PGM_RSRC2:SCRATCH_EN: 0
; COMPUTE_PGM_RSRC2:USER_SGPR: 6
; COMPUTE_PGM_RSRC2:TRAP_HANDLER: 0
; COMPUTE_PGM_RSRC2:TGID_X_EN: 1
; COMPUTE_PGM_RSRC2:TGID_Y_EN: 0
; COMPUTE_PGM_RSRC2:TGID_Z_EN: 0
; COMPUTE_PGM_RSRC2:TIDIG_COMP_CNT: 0
	.section	.text._ZN2at6native29vectorized_elementwise_kernelILi2EZZZNS0_18lgamma_kernel_cudaERNS_18TensorIteratorBaseEENKUlvE_clEvENKUlvE_clEvEUldE_St5arrayIPcLm2EEEEviT0_T1_,"axG",@progbits,_ZN2at6native29vectorized_elementwise_kernelILi2EZZZNS0_18lgamma_kernel_cudaERNS_18TensorIteratorBaseEENKUlvE_clEvENKUlvE_clEvEUldE_St5arrayIPcLm2EEEEviT0_T1_,comdat
	.globl	_ZN2at6native29vectorized_elementwise_kernelILi2EZZZNS0_18lgamma_kernel_cudaERNS_18TensorIteratorBaseEENKUlvE_clEvENKUlvE_clEvEUldE_St5arrayIPcLm2EEEEviT0_T1_ ; -- Begin function _ZN2at6native29vectorized_elementwise_kernelILi2EZZZNS0_18lgamma_kernel_cudaERNS_18TensorIteratorBaseEENKUlvE_clEvENKUlvE_clEvEUldE_St5arrayIPcLm2EEEEviT0_T1_
	.p2align	8
	.type	_ZN2at6native29vectorized_elementwise_kernelILi2EZZZNS0_18lgamma_kernel_cudaERNS_18TensorIteratorBaseEENKUlvE_clEvENKUlvE_clEvEUldE_St5arrayIPcLm2EEEEviT0_T1_,@function
_ZN2at6native29vectorized_elementwise_kernelILi2EZZZNS0_18lgamma_kernel_cudaERNS_18TensorIteratorBaseEENKUlvE_clEvENKUlvE_clEvEUldE_St5arrayIPcLm2EEEEviT0_T1_: ; @_ZN2at6native29vectorized_elementwise_kernelILi2EZZZNS0_18lgamma_kernel_cudaERNS_18TensorIteratorBaseEENKUlvE_clEvENKUlvE_clEvEUldE_St5arrayIPcLm2EEEEviT0_T1_
; %bb.0:
	s_add_u32 s0, s0, s7
	s_load_dword s7, s[4:5], 0x0
	s_load_dwordx4 s[20:23], s[4:5], 0x8
	s_addc_u32 s1, s1, 0
	s_lshl_b32 s18, s6, 10
	v_mov_b32_e32 v28, v0
	s_waitcnt lgkmcnt(0)
	s_sub_i32 s24, s7, s18
	s_cmpk_gt_i32 s24, 0x3ff
	s_mov_b64 s[4:5], -1
	s_mov_b32 s32, 0
	s_cbranch_scc0 .LBB127_2
; %bb.1:
	s_ashr_i32 s19, s18, 31
	s_lshl_b64 s[16:17], s[18:19], 3
	s_add_u32 s4, s22, s16
	s_addc_u32 s5, s23, s17
	v_lshlrev_b32_e32 v26, 4, v28
	v_mov_b32_e32 v0, s5
	v_add_co_u32_e32 v1, vcc, s4, v26
	v_addc_co_u32_e32 v2, vcc, 0, v0, vcc
	global_load_dwordx4 v[22:25], v26, s[4:5]
	v_add_co_u32_e32 v0, vcc, 0x1000, v1
	v_addc_co_u32_e32 v1, vcc, 0, v2, vcc
	global_load_dwordx4 v[29:32], v[0:1], off
	s_getpc_b64 s[26:27]
	s_add_u32 s26, s26, _ZN3c104guts5applyIRZZZN2at6native18lgamma_kernel_cudaERNS2_18TensorIteratorBaseEENKUlvE_clEvENKUlvE_clEvEUldE_RSt5tupleIJdEEEEDaOT_OT0_@rel32@lo+4
	s_addc_u32 s27, s27, _ZN3c104guts5applyIRZZZN2at6native18lgamma_kernel_cudaERNS2_18TensorIteratorBaseEENKUlvE_clEvENKUlvE_clEvEUldE_RSt5tupleIJdEEEEDaOT_OT0_@rel32@hi+12
	s_waitcnt vmcnt(1)
	v_mov_b32_e32 v0, v22
	v_mov_b32_e32 v1, v23
	s_swappc_b64 s[30:31], s[26:27]
	v_mov_b32_e32 v22, v0
	v_mov_b32_e32 v23, v1
	v_mov_b32_e32 v0, v24
	v_mov_b32_e32 v1, v25
	s_swappc_b64 s[30:31], s[26:27]
	v_mov_b32_e32 v24, v0
	v_mov_b32_e32 v25, v1
	;; [unrolled: 5-line block ×3, first 2 shown]
	v_mov_b32_e32 v0, v31
	v_mov_b32_e32 v1, v32
	s_swappc_b64 s[30:31], s[26:27]
	s_add_u32 s4, s20, s16
	s_addc_u32 s5, s21, s17
	v_mov_b32_e32 v31, v0
	v_mov_b32_e32 v32, v1
	;; [unrolled: 1-line block ×3, first 2 shown]
	v_add_co_u32_e32 v1, vcc, s4, v26
	v_addc_co_u32_e32 v2, vcc, 0, v0, vcc
	v_add_co_u32_e32 v0, vcc, 0x1000, v1
	v_addc_co_u32_e32 v1, vcc, 0, v2, vcc
	global_store_dwordx4 v26, v[22:25], s[4:5]
	global_store_dwordx4 v[0:1], v[29:32], off
	s_mov_b64 s[4:5], 0
.LBB127_2:
	s_andn2_b64 vcc, exec, s[4:5]
	s_cbranch_vccnz .LBB127_23
; %bb.3:
	v_mov_b32_e32 v22, 0
	v_mov_b32_e32 v0, 0
	v_cmp_gt_i32_e64 s[16:17], s24, v28
	v_mov_b32_e32 v23, 0
	v_or_b32_e32 v37, s18, v28
	v_mov_b32_e32 v1, 0
	v_mov_b32_e32 v2, v28
	s_and_saveexec_b64 s[4:5], s[16:17]
	s_cbranch_execz .LBB127_5
; %bb.4:
	v_mov_b32_e32 v38, 0
	v_lshlrev_b64 v[0:1], 3, v[37:38]
	v_mov_b32_e32 v2, s23
	v_add_co_u32_e32 v0, vcc, s22, v0
	v_addc_co_u32_e32 v1, vcc, v2, v1, vcc
	global_load_dwordx2 v[0:1], v[0:1], off
	v_or_b32_e32 v2, 0x100, v28
.LBB127_5:
	s_or_b64 exec, exec, s[4:5]
	v_cmp_gt_i32_e32 vcc, s24, v2
	s_and_saveexec_b64 s[4:5], vcc
	s_cbranch_execz .LBB127_7
; %bb.6:
	v_add_u32_e32 v3, s18, v2
	v_mov_b32_e32 v4, 0
	v_lshlrev_b64 v[3:4], 3, v[3:4]
	v_mov_b32_e32 v5, s23
	v_add_co_u32_e32 v3, vcc, s22, v3
	v_addc_co_u32_e32 v4, vcc, v5, v4, vcc
	global_load_dwordx2 v[22:23], v[3:4], off
	v_add_u32_e32 v2, 0x100, v2
.LBB127_7:
	s_or_b64 exec, exec, s[4:5]
	v_mov_b32_e32 v24, 0
	v_mov_b32_e32 v26, 0
	v_mov_b32_e32 v25, 0
	v_mov_b32_e32 v27, 0
	v_cmp_gt_i32_e32 vcc, s24, v2
	s_and_saveexec_b64 s[4:5], vcc
	s_cbranch_execz .LBB127_9
; %bb.8:
	v_add_u32_e32 v3, s18, v2
	v_mov_b32_e32 v4, 0
	v_lshlrev_b64 v[3:4], 3, v[3:4]
	v_mov_b32_e32 v5, s23
	v_add_co_u32_e32 v3, vcc, s22, v3
	v_addc_co_u32_e32 v4, vcc, v5, v4, vcc
	global_load_dwordx2 v[26:27], v[3:4], off
	v_add_u32_e32 v2, 0x100, v2
.LBB127_9:
	s_or_b64 exec, exec, s[4:5]
	v_cmp_gt_i32_e32 vcc, s24, v2
	s_and_saveexec_b64 s[4:5], vcc
	s_cbranch_execz .LBB127_11
; %bb.10:
	v_add_u32_e32 v2, s18, v2
	v_mov_b32_e32 v3, 0
	v_lshlrev_b64 v[2:3], 3, v[2:3]
	v_mov_b32_e32 v4, s23
	v_add_co_u32_e32 v2, vcc, s22, v2
	v_addc_co_u32_e32 v3, vcc, v4, v3, vcc
	global_load_dwordx2 v[24:25], v[2:3], off
.LBB127_11:
	s_or_b64 exec, exec, s[4:5]
	v_mov_b32_e32 v29, 0
	v_mov_b32_e32 v30, v29
	;; [unrolled: 1-line block ×8, first 2 shown]
	s_and_saveexec_b64 s[22:23], s[16:17]
	s_cbranch_execz .LBB127_13
; %bb.12:
	s_getpc_b64 s[4:5]
	s_add_u32 s4, s4, _ZN3c104guts5applyIRZZZN2at6native18lgamma_kernel_cudaERNS2_18TensorIteratorBaseEENKUlvE_clEvENKUlvE_clEvEUldE_RSt5tupleIJdEEEEDaOT_OT0_@rel32@lo+4
	s_addc_u32 s5, s5, _ZN3c104guts5applyIRZZZN2at6native18lgamma_kernel_cudaERNS2_18TensorIteratorBaseEENKUlvE_clEvENKUlvE_clEvEUldE_RSt5tupleIJdEEEEDaOT_OT0_@rel32@hi+12
	s_swappc_b64 s[30:31], s[4:5]
	v_mov_b32_e32 v7, v29
	v_mov_b32_e32 v2, v29
	;; [unrolled: 1-line block ×14, first 2 shown]
.LBB127_13:
	s_or_b64 exec, exec, s[22:23]
	v_or_b32_e32 v39, 0x100, v28
	v_cmp_gt_i32_e32 vcc, s24, v39
	s_and_saveexec_b64 s[22:23], vcc
	s_cbranch_execz .LBB127_15
; %bb.14:
	s_getpc_b64 s[4:5]
	s_add_u32 s4, s4, _ZN3c104guts5applyIRZZZN2at6native18lgamma_kernel_cudaERNS2_18TensorIteratorBaseEENKUlvE_clEvENKUlvE_clEvEUldE_RSt5tupleIJdEEEEDaOT_OT0_@rel32@lo+4
	s_addc_u32 s5, s5, _ZN3c104guts5applyIRZZZN2at6native18lgamma_kernel_cudaERNS2_18TensorIteratorBaseEENKUlvE_clEvENKUlvE_clEvEUldE_RSt5tupleIJdEEEEDaOT_OT0_@rel32@hi+12
	s_waitcnt vmcnt(0)
	v_mov_b32_e32 v0, v22
	v_mov_b32_e32 v1, v23
	s_swappc_b64 s[30:31], s[4:5]
	v_mov_b32_e32 v31, v0
	v_mov_b32_e32 v32, v1
.LBB127_15:
	s_or_b64 exec, exec, s[22:23]
	s_waitcnt vmcnt(0)
	v_or_b32_e32 v0, 0x200, v28
	v_cmp_gt_i32_e32 vcc, s24, v0
	s_and_saveexec_b64 s[22:23], vcc
	s_cbranch_execz .LBB127_17
; %bb.16:
	s_getpc_b64 s[4:5]
	s_add_u32 s4, s4, _ZN3c104guts5applyIRZZZN2at6native18lgamma_kernel_cudaERNS2_18TensorIteratorBaseEENKUlvE_clEvENKUlvE_clEvEUldE_RSt5tupleIJdEEEEDaOT_OT0_@rel32@lo+4
	s_addc_u32 s5, s5, _ZN3c104guts5applyIRZZZN2at6native18lgamma_kernel_cudaERNS2_18TensorIteratorBaseEENKUlvE_clEvENKUlvE_clEvEUldE_RSt5tupleIJdEEEEDaOT_OT0_@rel32@hi+12
	v_mov_b32_e32 v0, v26
	v_mov_b32_e32 v1, v27
	s_swappc_b64 s[30:31], s[4:5]
	v_mov_b32_e32 v33, v0
	v_mov_b32_e32 v34, v1
.LBB127_17:
	s_or_b64 exec, exec, s[22:23]
	v_or_b32_e32 v0, 0x300, v28
	v_cmp_gt_i32_e32 vcc, s24, v0
	s_and_saveexec_b64 s[22:23], vcc
	s_cbranch_execnz .LBB127_24
; %bb.18:
	s_or_b64 exec, exec, s[22:23]
	s_and_saveexec_b64 s[4:5], s[16:17]
	s_xor_b64 s[4:5], exec, s[4:5]
	s_cbranch_execnz .LBB127_25
.LBB127_19:
	s_or_b64 exec, exec, s[4:5]
	v_cmp_gt_i32_e32 vcc, s24, v28
	s_and_saveexec_b64 s[4:5], vcc
	s_cbranch_execnz .LBB127_26
.LBB127_20:
	s_or_b64 exec, exec, s[4:5]
	v_cmp_gt_i32_e32 vcc, s24, v28
	s_and_saveexec_b64 s[4:5], vcc
	s_cbranch_execnz .LBB127_27
.LBB127_21:
	s_or_b64 exec, exec, s[4:5]
	v_cmp_gt_i32_e32 vcc, s24, v28
	s_and_saveexec_b64 s[4:5], vcc
	s_cbranch_execz .LBB127_23
.LBB127_22:
	v_add_u32_e32 v0, s18, v28
	v_mov_b32_e32 v1, 0
	v_lshlrev_b64 v[0:1], 3, v[0:1]
	v_mov_b32_e32 v2, s21
	v_add_co_u32_e32 v0, vcc, s20, v0
	v_addc_co_u32_e32 v1, vcc, v2, v1, vcc
	global_store_dwordx2 v[0:1], v[35:36], off
.LBB127_23:
	s_endpgm
.LBB127_24:
	s_getpc_b64 s[4:5]
	s_add_u32 s4, s4, _ZN3c104guts5applyIRZZZN2at6native18lgamma_kernel_cudaERNS2_18TensorIteratorBaseEENKUlvE_clEvENKUlvE_clEvEUldE_RSt5tupleIJdEEEEDaOT_OT0_@rel32@lo+4
	s_addc_u32 s5, s5, _ZN3c104guts5applyIRZZZN2at6native18lgamma_kernel_cudaERNS2_18TensorIteratorBaseEENKUlvE_clEvENKUlvE_clEvEUldE_RSt5tupleIJdEEEEDaOT_OT0_@rel32@hi+12
	v_mov_b32_e32 v0, v24
	v_mov_b32_e32 v1, v25
	s_swappc_b64 s[30:31], s[4:5]
	v_mov_b32_e32 v35, v0
	v_mov_b32_e32 v36, v1
	s_or_b64 exec, exec, s[22:23]
	s_and_saveexec_b64 s[4:5], s[16:17]
	s_xor_b64 s[4:5], exec, s[4:5]
	s_cbranch_execz .LBB127_19
.LBB127_25:
	v_mov_b32_e32 v38, 0
	v_lshlrev_b64 v[0:1], 3, v[37:38]
	v_mov_b32_e32 v2, s21
	v_add_co_u32_e32 v0, vcc, s20, v0
	v_addc_co_u32_e32 v1, vcc, v2, v1, vcc
	v_mov_b32_e32 v28, v39
	global_store_dwordx2 v[0:1], v[29:30], off
	s_or_b64 exec, exec, s[4:5]
	v_cmp_gt_i32_e32 vcc, s24, v28
	s_and_saveexec_b64 s[4:5], vcc
	s_cbranch_execz .LBB127_20
.LBB127_26:
	v_add_u32_e32 v0, s18, v28
	v_mov_b32_e32 v1, 0
	v_lshlrev_b64 v[0:1], 3, v[0:1]
	v_mov_b32_e32 v2, s21
	v_add_co_u32_e32 v0, vcc, s20, v0
	v_addc_co_u32_e32 v1, vcc, v2, v1, vcc
	v_add_u32_e32 v28, 0x100, v28
	global_store_dwordx2 v[0:1], v[31:32], off
	s_or_b64 exec, exec, s[4:5]
	v_cmp_gt_i32_e32 vcc, s24, v28
	s_and_saveexec_b64 s[4:5], vcc
	s_cbranch_execz .LBB127_21
.LBB127_27:
	v_add_u32_e32 v0, s18, v28
	v_mov_b32_e32 v1, 0
	v_lshlrev_b64 v[0:1], 3, v[0:1]
	v_mov_b32_e32 v2, s21
	v_add_co_u32_e32 v0, vcc, s20, v0
	v_addc_co_u32_e32 v1, vcc, v2, v1, vcc
	v_add_u32_e32 v28, 0x100, v28
	global_store_dwordx2 v[0:1], v[33:34], off
	s_or_b64 exec, exec, s[4:5]
	v_cmp_gt_i32_e32 vcc, s24, v28
	s_and_saveexec_b64 s[4:5], vcc
	s_cbranch_execnz .LBB127_22
	s_branch .LBB127_23
	.section	.rodata,"a",@progbits
	.p2align	6, 0x0
	.amdhsa_kernel _ZN2at6native29vectorized_elementwise_kernelILi2EZZZNS0_18lgamma_kernel_cudaERNS_18TensorIteratorBaseEENKUlvE_clEvENKUlvE_clEvEUldE_St5arrayIPcLm2EEEEviT0_T1_
		.amdhsa_group_segment_fixed_size 0
		.amdhsa_private_segment_fixed_size 0
		.amdhsa_kernarg_size 24
		.amdhsa_user_sgpr_count 6
		.amdhsa_user_sgpr_private_segment_buffer 1
		.amdhsa_user_sgpr_dispatch_ptr 0
		.amdhsa_user_sgpr_queue_ptr 0
		.amdhsa_user_sgpr_kernarg_segment_ptr 1
		.amdhsa_user_sgpr_dispatch_id 0
		.amdhsa_user_sgpr_flat_scratch_init 0
		.amdhsa_user_sgpr_private_segment_size 0
		.amdhsa_uses_dynamic_stack 0
		.amdhsa_system_sgpr_private_segment_wavefront_offset 0
		.amdhsa_system_sgpr_workgroup_id_x 1
		.amdhsa_system_sgpr_workgroup_id_y 0
		.amdhsa_system_sgpr_workgroup_id_z 0
		.amdhsa_system_sgpr_workgroup_info 0
		.amdhsa_system_vgpr_workitem_id 0
		.amdhsa_next_free_vgpr 40
		.amdhsa_next_free_sgpr 33
		.amdhsa_reserve_vcc 1
		.amdhsa_reserve_flat_scratch 0
		.amdhsa_float_round_mode_32 0
		.amdhsa_float_round_mode_16_64 0
		.amdhsa_float_denorm_mode_32 3
		.amdhsa_float_denorm_mode_16_64 3
		.amdhsa_dx10_clamp 1
		.amdhsa_ieee_mode 1
		.amdhsa_fp16_overflow 0
		.amdhsa_exception_fp_ieee_invalid_op 0
		.amdhsa_exception_fp_denorm_src 0
		.amdhsa_exception_fp_ieee_div_zero 0
		.amdhsa_exception_fp_ieee_overflow 0
		.amdhsa_exception_fp_ieee_underflow 0
		.amdhsa_exception_fp_ieee_inexact 0
		.amdhsa_exception_int_div_zero 0
	.end_amdhsa_kernel
	.section	.text._ZN2at6native29vectorized_elementwise_kernelILi2EZZZNS0_18lgamma_kernel_cudaERNS_18TensorIteratorBaseEENKUlvE_clEvENKUlvE_clEvEUldE_St5arrayIPcLm2EEEEviT0_T1_,"axG",@progbits,_ZN2at6native29vectorized_elementwise_kernelILi2EZZZNS0_18lgamma_kernel_cudaERNS_18TensorIteratorBaseEENKUlvE_clEvENKUlvE_clEvEUldE_St5arrayIPcLm2EEEEviT0_T1_,comdat
.Lfunc_end127:
	.size	_ZN2at6native29vectorized_elementwise_kernelILi2EZZZNS0_18lgamma_kernel_cudaERNS_18TensorIteratorBaseEENKUlvE_clEvENKUlvE_clEvEUldE_St5arrayIPcLm2EEEEviT0_T1_, .Lfunc_end127-_ZN2at6native29vectorized_elementwise_kernelILi2EZZZNS0_18lgamma_kernel_cudaERNS_18TensorIteratorBaseEENKUlvE_clEvENKUlvE_clEvEUldE_St5arrayIPcLm2EEEEviT0_T1_
                                        ; -- End function
	.set _ZN2at6native29vectorized_elementwise_kernelILi2EZZZNS0_18lgamma_kernel_cudaERNS_18TensorIteratorBaseEENKUlvE_clEvENKUlvE_clEvEUldE_St5arrayIPcLm2EEEEviT0_T1_.num_vgpr, max(40, .L_ZN3c104guts5applyIRZZZN2at6native18lgamma_kernel_cudaERNS2_18TensorIteratorBaseEENKUlvE_clEvENKUlvE_clEvEUldE_RSt5tupleIJdEEEEDaOT_OT0_.num_vgpr)
	.set _ZN2at6native29vectorized_elementwise_kernelILi2EZZZNS0_18lgamma_kernel_cudaERNS_18TensorIteratorBaseEENKUlvE_clEvENKUlvE_clEvEUldE_St5arrayIPcLm2EEEEviT0_T1_.num_agpr, max(0, .L_ZN3c104guts5applyIRZZZN2at6native18lgamma_kernel_cudaERNS2_18TensorIteratorBaseEENKUlvE_clEvENKUlvE_clEvEUldE_RSt5tupleIJdEEEEDaOT_OT0_.num_agpr)
	.set _ZN2at6native29vectorized_elementwise_kernelILi2EZZZNS0_18lgamma_kernel_cudaERNS_18TensorIteratorBaseEENKUlvE_clEvENKUlvE_clEvEUldE_St5arrayIPcLm2EEEEviT0_T1_.numbered_sgpr, max(33, .L_ZN3c104guts5applyIRZZZN2at6native18lgamma_kernel_cudaERNS2_18TensorIteratorBaseEENKUlvE_clEvENKUlvE_clEvEUldE_RSt5tupleIJdEEEEDaOT_OT0_.numbered_sgpr)
	.set _ZN2at6native29vectorized_elementwise_kernelILi2EZZZNS0_18lgamma_kernel_cudaERNS_18TensorIteratorBaseEENKUlvE_clEvENKUlvE_clEvEUldE_St5arrayIPcLm2EEEEviT0_T1_.num_named_barrier, max(0, .L_ZN3c104guts5applyIRZZZN2at6native18lgamma_kernel_cudaERNS2_18TensorIteratorBaseEENKUlvE_clEvENKUlvE_clEvEUldE_RSt5tupleIJdEEEEDaOT_OT0_.num_named_barrier)
	.set _ZN2at6native29vectorized_elementwise_kernelILi2EZZZNS0_18lgamma_kernel_cudaERNS_18TensorIteratorBaseEENKUlvE_clEvENKUlvE_clEvEUldE_St5arrayIPcLm2EEEEviT0_T1_.private_seg_size, 0+max(.L_ZN3c104guts5applyIRZZZN2at6native18lgamma_kernel_cudaERNS2_18TensorIteratorBaseEENKUlvE_clEvENKUlvE_clEvEUldE_RSt5tupleIJdEEEEDaOT_OT0_.private_seg_size)
	.set _ZN2at6native29vectorized_elementwise_kernelILi2EZZZNS0_18lgamma_kernel_cudaERNS_18TensorIteratorBaseEENKUlvE_clEvENKUlvE_clEvEUldE_St5arrayIPcLm2EEEEviT0_T1_.uses_vcc, or(1, .L_ZN3c104guts5applyIRZZZN2at6native18lgamma_kernel_cudaERNS2_18TensorIteratorBaseEENKUlvE_clEvENKUlvE_clEvEUldE_RSt5tupleIJdEEEEDaOT_OT0_.uses_vcc)
	.set _ZN2at6native29vectorized_elementwise_kernelILi2EZZZNS0_18lgamma_kernel_cudaERNS_18TensorIteratorBaseEENKUlvE_clEvENKUlvE_clEvEUldE_St5arrayIPcLm2EEEEviT0_T1_.uses_flat_scratch, or(0, .L_ZN3c104guts5applyIRZZZN2at6native18lgamma_kernel_cudaERNS2_18TensorIteratorBaseEENKUlvE_clEvENKUlvE_clEvEUldE_RSt5tupleIJdEEEEDaOT_OT0_.uses_flat_scratch)
	.set _ZN2at6native29vectorized_elementwise_kernelILi2EZZZNS0_18lgamma_kernel_cudaERNS_18TensorIteratorBaseEENKUlvE_clEvENKUlvE_clEvEUldE_St5arrayIPcLm2EEEEviT0_T1_.has_dyn_sized_stack, or(0, .L_ZN3c104guts5applyIRZZZN2at6native18lgamma_kernel_cudaERNS2_18TensorIteratorBaseEENKUlvE_clEvENKUlvE_clEvEUldE_RSt5tupleIJdEEEEDaOT_OT0_.has_dyn_sized_stack)
	.set _ZN2at6native29vectorized_elementwise_kernelILi2EZZZNS0_18lgamma_kernel_cudaERNS_18TensorIteratorBaseEENKUlvE_clEvENKUlvE_clEvEUldE_St5arrayIPcLm2EEEEviT0_T1_.has_recursion, or(0, .L_ZN3c104guts5applyIRZZZN2at6native18lgamma_kernel_cudaERNS2_18TensorIteratorBaseEENKUlvE_clEvENKUlvE_clEvEUldE_RSt5tupleIJdEEEEDaOT_OT0_.has_recursion)
	.set _ZN2at6native29vectorized_elementwise_kernelILi2EZZZNS0_18lgamma_kernel_cudaERNS_18TensorIteratorBaseEENKUlvE_clEvENKUlvE_clEvEUldE_St5arrayIPcLm2EEEEviT0_T1_.has_indirect_call, or(0, .L_ZN3c104guts5applyIRZZZN2at6native18lgamma_kernel_cudaERNS2_18TensorIteratorBaseEENKUlvE_clEvENKUlvE_clEvEUldE_RSt5tupleIJdEEEEDaOT_OT0_.has_indirect_call)
	.section	.AMDGPU.csdata,"",@progbits
; Kernel info:
; codeLenInByte = 1168
; TotalNumSgprs: 37
; NumVgprs: 40
; ScratchSize: 0
; MemoryBound: 0
; FloatMode: 240
; IeeeMode: 1
; LDSByteSize: 0 bytes/workgroup (compile time only)
; SGPRBlocks: 4
; VGPRBlocks: 9
; NumSGPRsForWavesPerEU: 37
; NumVGPRsForWavesPerEU: 40
; Occupancy: 6
; WaveLimiterHint : 1
; COMPUTE_PGM_RSRC2:SCRATCH_EN: 0
; COMPUTE_PGM_RSRC2:USER_SGPR: 6
; COMPUTE_PGM_RSRC2:TRAP_HANDLER: 0
; COMPUTE_PGM_RSRC2:TGID_X_EN: 1
; COMPUTE_PGM_RSRC2:TGID_Y_EN: 0
; COMPUTE_PGM_RSRC2:TGID_Z_EN: 0
; COMPUTE_PGM_RSRC2:TIDIG_COMP_CNT: 0
	.section	.text._ZN2at6native27unrolled_elementwise_kernelIZZZNS0_18lgamma_kernel_cudaERNS_18TensorIteratorBaseEENKUlvE_clEvENKUlvE_clEvEUldE_St5arrayIPcLm2EELi4E23TrivialOffsetCalculatorILi1EjESB_NS0_6memory15LoadWithoutCastENSC_16StoreWithoutCastEEEviT_T0_T2_T3_T4_T5_,"axG",@progbits,_ZN2at6native27unrolled_elementwise_kernelIZZZNS0_18lgamma_kernel_cudaERNS_18TensorIteratorBaseEENKUlvE_clEvENKUlvE_clEvEUldE_St5arrayIPcLm2EELi4E23TrivialOffsetCalculatorILi1EjESB_NS0_6memory15LoadWithoutCastENSC_16StoreWithoutCastEEEviT_T0_T2_T3_T4_T5_,comdat
	.globl	_ZN2at6native27unrolled_elementwise_kernelIZZZNS0_18lgamma_kernel_cudaERNS_18TensorIteratorBaseEENKUlvE_clEvENKUlvE_clEvEUldE_St5arrayIPcLm2EELi4E23TrivialOffsetCalculatorILi1EjESB_NS0_6memory15LoadWithoutCastENSC_16StoreWithoutCastEEEviT_T0_T2_T3_T4_T5_ ; -- Begin function _ZN2at6native27unrolled_elementwise_kernelIZZZNS0_18lgamma_kernel_cudaERNS_18TensorIteratorBaseEENKUlvE_clEvENKUlvE_clEvEUldE_St5arrayIPcLm2EELi4E23TrivialOffsetCalculatorILi1EjESB_NS0_6memory15LoadWithoutCastENSC_16StoreWithoutCastEEEviT_T0_T2_T3_T4_T5_
	.p2align	8
	.type	_ZN2at6native27unrolled_elementwise_kernelIZZZNS0_18lgamma_kernel_cudaERNS_18TensorIteratorBaseEENKUlvE_clEvENKUlvE_clEvEUldE_St5arrayIPcLm2EELi4E23TrivialOffsetCalculatorILi1EjESB_NS0_6memory15LoadWithoutCastENSC_16StoreWithoutCastEEEviT_T0_T2_T3_T4_T5_,@function
_ZN2at6native27unrolled_elementwise_kernelIZZZNS0_18lgamma_kernel_cudaERNS_18TensorIteratorBaseEENKUlvE_clEvENKUlvE_clEvEUldE_St5arrayIPcLm2EELi4E23TrivialOffsetCalculatorILi1EjESB_NS0_6memory15LoadWithoutCastENSC_16StoreWithoutCastEEEviT_T0_T2_T3_T4_T5_: ; @_ZN2at6native27unrolled_elementwise_kernelIZZZNS0_18lgamma_kernel_cudaERNS_18TensorIteratorBaseEENKUlvE_clEvENKUlvE_clEvEUldE_St5arrayIPcLm2EELi4E23TrivialOffsetCalculatorILi1EjESB_NS0_6memory15LoadWithoutCastENSC_16StoreWithoutCastEEEviT_T0_T2_T3_T4_T5_
; %bb.0:
	s_add_u32 s0, s0, s7
	s_load_dword s7, s[4:5], 0x0
	s_load_dwordx4 s[20:23], s[4:5], 0x8
	s_addc_u32 s1, s1, 0
	s_lshl_b32 s24, s6, 10
	v_mov_b32_e32 v28, v0
	s_waitcnt lgkmcnt(0)
	s_sub_i32 s25, s7, s24
	v_mov_b32_e32 v22, 0
	v_mov_b32_e32 v0, 0
	v_cmp_gt_i32_e64 s[16:17], s25, v28
	v_mov_b32_e32 v23, 0
	v_or_b32_e32 v37, s24, v28
	v_mov_b32_e32 v1, 0
	v_mov_b32_e32 v2, v28
	s_mov_b32 s32, 0
	s_and_saveexec_b64 s[4:5], s[16:17]
	s_cbranch_execz .LBB128_2
; %bb.1:
	v_mov_b32_e32 v38, 0
	v_lshlrev_b64 v[0:1], 3, v[37:38]
	v_mov_b32_e32 v2, s23
	v_add_co_u32_e32 v0, vcc, s22, v0
	v_addc_co_u32_e32 v1, vcc, v2, v1, vcc
	global_load_dwordx2 v[0:1], v[0:1], off
	v_or_b32_e32 v2, 0x100, v28
.LBB128_2:
	s_or_b64 exec, exec, s[4:5]
	v_cmp_gt_i32_e32 vcc, s25, v2
	s_and_saveexec_b64 s[4:5], vcc
	s_cbranch_execz .LBB128_4
; %bb.3:
	v_add_u32_e32 v3, s24, v2
	v_mov_b32_e32 v4, 0
	v_lshlrev_b64 v[3:4], 3, v[3:4]
	v_mov_b32_e32 v5, s23
	v_add_co_u32_e32 v3, vcc, s22, v3
	v_addc_co_u32_e32 v4, vcc, v5, v4, vcc
	global_load_dwordx2 v[22:23], v[3:4], off
	v_add_u32_e32 v2, 0x100, v2
.LBB128_4:
	s_or_b64 exec, exec, s[4:5]
	v_mov_b32_e32 v24, 0
	v_mov_b32_e32 v26, 0
	;; [unrolled: 1-line block ×4, first 2 shown]
	v_cmp_gt_i32_e32 vcc, s25, v2
	s_and_saveexec_b64 s[4:5], vcc
	s_cbranch_execz .LBB128_6
; %bb.5:
	v_add_u32_e32 v3, s24, v2
	v_mov_b32_e32 v4, 0
	v_lshlrev_b64 v[3:4], 3, v[3:4]
	v_mov_b32_e32 v5, s23
	v_add_co_u32_e32 v3, vcc, s22, v3
	v_addc_co_u32_e32 v4, vcc, v5, v4, vcc
	global_load_dwordx2 v[26:27], v[3:4], off
	v_add_u32_e32 v2, 0x100, v2
.LBB128_6:
	s_or_b64 exec, exec, s[4:5]
	v_cmp_gt_i32_e32 vcc, s25, v2
	s_and_saveexec_b64 s[4:5], vcc
	s_cbranch_execz .LBB128_8
; %bb.7:
	v_add_u32_e32 v2, s24, v2
	v_mov_b32_e32 v3, 0
	v_lshlrev_b64 v[2:3], 3, v[2:3]
	v_mov_b32_e32 v4, s23
	v_add_co_u32_e32 v2, vcc, s22, v2
	v_addc_co_u32_e32 v3, vcc, v4, v3, vcc
	global_load_dwordx2 v[24:25], v[2:3], off
.LBB128_8:
	s_or_b64 exec, exec, s[4:5]
	v_mov_b32_e32 v29, 0
	v_mov_b32_e32 v30, v29
	v_mov_b32_e32 v31, v29
	v_mov_b32_e32 v32, v29
	v_mov_b32_e32 v33, v29
	v_mov_b32_e32 v34, v29
	v_mov_b32_e32 v35, v29
	v_mov_b32_e32 v36, v29
	s_and_saveexec_b64 s[18:19], s[16:17]
	s_cbranch_execz .LBB128_10
; %bb.9:
	s_getpc_b64 s[4:5]
	s_add_u32 s4, s4, _ZN3c104guts5applyIRZZZN2at6native18lgamma_kernel_cudaERNS2_18TensorIteratorBaseEENKUlvE_clEvENKUlvE_clEvEUldE_RSt5tupleIJdEEEEDaOT_OT0_@rel32@lo+4
	s_addc_u32 s5, s5, _ZN3c104guts5applyIRZZZN2at6native18lgamma_kernel_cudaERNS2_18TensorIteratorBaseEENKUlvE_clEvENKUlvE_clEvEUldE_RSt5tupleIJdEEEEDaOT_OT0_@rel32@hi+12
	s_swappc_b64 s[30:31], s[4:5]
	v_mov_b32_e32 v7, v29
	v_mov_b32_e32 v2, v29
	;; [unrolled: 1-line block ×14, first 2 shown]
.LBB128_10:
	s_or_b64 exec, exec, s[18:19]
	v_or_b32_e32 v39, 0x100, v28
	v_cmp_gt_i32_e32 vcc, s25, v39
	s_and_saveexec_b64 s[18:19], vcc
	s_cbranch_execz .LBB128_12
; %bb.11:
	s_getpc_b64 s[4:5]
	s_add_u32 s4, s4, _ZN3c104guts5applyIRZZZN2at6native18lgamma_kernel_cudaERNS2_18TensorIteratorBaseEENKUlvE_clEvENKUlvE_clEvEUldE_RSt5tupleIJdEEEEDaOT_OT0_@rel32@lo+4
	s_addc_u32 s5, s5, _ZN3c104guts5applyIRZZZN2at6native18lgamma_kernel_cudaERNS2_18TensorIteratorBaseEENKUlvE_clEvENKUlvE_clEvEUldE_RSt5tupleIJdEEEEDaOT_OT0_@rel32@hi+12
	s_waitcnt vmcnt(0)
	v_mov_b32_e32 v0, v22
	v_mov_b32_e32 v1, v23
	s_swappc_b64 s[30:31], s[4:5]
	v_mov_b32_e32 v31, v0
	v_mov_b32_e32 v32, v1
.LBB128_12:
	s_or_b64 exec, exec, s[18:19]
	s_waitcnt vmcnt(0)
	v_or_b32_e32 v0, 0x200, v28
	v_cmp_gt_i32_e32 vcc, s25, v0
	s_and_saveexec_b64 s[18:19], vcc
	s_cbranch_execz .LBB128_14
; %bb.13:
	s_getpc_b64 s[4:5]
	s_add_u32 s4, s4, _ZN3c104guts5applyIRZZZN2at6native18lgamma_kernel_cudaERNS2_18TensorIteratorBaseEENKUlvE_clEvENKUlvE_clEvEUldE_RSt5tupleIJdEEEEDaOT_OT0_@rel32@lo+4
	s_addc_u32 s5, s5, _ZN3c104guts5applyIRZZZN2at6native18lgamma_kernel_cudaERNS2_18TensorIteratorBaseEENKUlvE_clEvENKUlvE_clEvEUldE_RSt5tupleIJdEEEEDaOT_OT0_@rel32@hi+12
	v_mov_b32_e32 v0, v26
	v_mov_b32_e32 v1, v27
	s_swappc_b64 s[30:31], s[4:5]
	v_mov_b32_e32 v33, v0
	v_mov_b32_e32 v34, v1
.LBB128_14:
	s_or_b64 exec, exec, s[18:19]
	v_or_b32_e32 v0, 0x300, v28
	v_cmp_gt_i32_e32 vcc, s25, v0
	s_and_saveexec_b64 s[18:19], vcc
	s_cbranch_execnz .LBB128_20
; %bb.15:
	s_or_b64 exec, exec, s[18:19]
	s_and_saveexec_b64 s[4:5], s[16:17]
	s_xor_b64 s[4:5], exec, s[4:5]
	s_cbranch_execnz .LBB128_21
.LBB128_16:
	s_or_b64 exec, exec, s[4:5]
	v_cmp_gt_i32_e32 vcc, s25, v28
	s_and_saveexec_b64 s[4:5], vcc
	s_cbranch_execnz .LBB128_22
.LBB128_17:
	s_or_b64 exec, exec, s[4:5]
	v_cmp_gt_i32_e32 vcc, s25, v28
	s_and_saveexec_b64 s[4:5], vcc
	s_cbranch_execnz .LBB128_23
.LBB128_18:
	s_or_b64 exec, exec, s[4:5]
	v_cmp_gt_i32_e32 vcc, s25, v28
	s_and_saveexec_b64 s[4:5], vcc
	s_cbranch_execnz .LBB128_24
.LBB128_19:
	s_endpgm
.LBB128_20:
	s_getpc_b64 s[4:5]
	s_add_u32 s4, s4, _ZN3c104guts5applyIRZZZN2at6native18lgamma_kernel_cudaERNS2_18TensorIteratorBaseEENKUlvE_clEvENKUlvE_clEvEUldE_RSt5tupleIJdEEEEDaOT_OT0_@rel32@lo+4
	s_addc_u32 s5, s5, _ZN3c104guts5applyIRZZZN2at6native18lgamma_kernel_cudaERNS2_18TensorIteratorBaseEENKUlvE_clEvENKUlvE_clEvEUldE_RSt5tupleIJdEEEEDaOT_OT0_@rel32@hi+12
	v_mov_b32_e32 v0, v24
	v_mov_b32_e32 v1, v25
	s_swappc_b64 s[30:31], s[4:5]
	v_mov_b32_e32 v35, v0
	v_mov_b32_e32 v36, v1
	s_or_b64 exec, exec, s[18:19]
	s_and_saveexec_b64 s[4:5], s[16:17]
	s_xor_b64 s[4:5], exec, s[4:5]
	s_cbranch_execz .LBB128_16
.LBB128_21:
	v_mov_b32_e32 v38, 0
	v_lshlrev_b64 v[0:1], 3, v[37:38]
	v_mov_b32_e32 v2, s21
	v_add_co_u32_e32 v0, vcc, s20, v0
	v_addc_co_u32_e32 v1, vcc, v2, v1, vcc
	v_mov_b32_e32 v28, v39
	global_store_dwordx2 v[0:1], v[29:30], off
	s_or_b64 exec, exec, s[4:5]
	v_cmp_gt_i32_e32 vcc, s25, v28
	s_and_saveexec_b64 s[4:5], vcc
	s_cbranch_execz .LBB128_17
.LBB128_22:
	v_add_u32_e32 v0, s24, v28
	v_mov_b32_e32 v1, 0
	v_lshlrev_b64 v[0:1], 3, v[0:1]
	v_add_u32_e32 v2, 0x100, v28
	v_mov_b32_e32 v3, s21
	v_add_co_u32_e32 v0, vcc, s20, v0
	v_addc_co_u32_e32 v1, vcc, v3, v1, vcc
	v_mov_b32_e32 v28, v2
	global_store_dwordx2 v[0:1], v[31:32], off
	s_or_b64 exec, exec, s[4:5]
	v_cmp_gt_i32_e32 vcc, s25, v28
	s_and_saveexec_b64 s[4:5], vcc
	s_cbranch_execz .LBB128_18
.LBB128_23:
	v_add_u32_e32 v0, s24, v28
	v_mov_b32_e32 v1, 0
	v_lshlrev_b64 v[0:1], 3, v[0:1]
	v_add_u32_e32 v2, 0x100, v28
	v_mov_b32_e32 v3, s21
	v_add_co_u32_e32 v0, vcc, s20, v0
	v_addc_co_u32_e32 v1, vcc, v3, v1, vcc
	v_mov_b32_e32 v28, v2
	global_store_dwordx2 v[0:1], v[33:34], off
	s_or_b64 exec, exec, s[4:5]
	v_cmp_gt_i32_e32 vcc, s25, v28
	s_and_saveexec_b64 s[4:5], vcc
	s_cbranch_execz .LBB128_19
.LBB128_24:
	v_add_u32_e32 v0, s24, v28
	v_mov_b32_e32 v1, 0
	v_lshlrev_b64 v[0:1], 3, v[0:1]
	v_mov_b32_e32 v2, s21
	v_add_co_u32_e32 v0, vcc, s20, v0
	v_addc_co_u32_e32 v1, vcc, v2, v1, vcc
	global_store_dwordx2 v[0:1], v[35:36], off
	s_endpgm
	.section	.rodata,"a",@progbits
	.p2align	6, 0x0
	.amdhsa_kernel _ZN2at6native27unrolled_elementwise_kernelIZZZNS0_18lgamma_kernel_cudaERNS_18TensorIteratorBaseEENKUlvE_clEvENKUlvE_clEvEUldE_St5arrayIPcLm2EELi4E23TrivialOffsetCalculatorILi1EjESB_NS0_6memory15LoadWithoutCastENSC_16StoreWithoutCastEEEviT_T0_T2_T3_T4_T5_
		.amdhsa_group_segment_fixed_size 0
		.amdhsa_private_segment_fixed_size 0
		.amdhsa_kernarg_size 28
		.amdhsa_user_sgpr_count 6
		.amdhsa_user_sgpr_private_segment_buffer 1
		.amdhsa_user_sgpr_dispatch_ptr 0
		.amdhsa_user_sgpr_queue_ptr 0
		.amdhsa_user_sgpr_kernarg_segment_ptr 1
		.amdhsa_user_sgpr_dispatch_id 0
		.amdhsa_user_sgpr_flat_scratch_init 0
		.amdhsa_user_sgpr_private_segment_size 0
		.amdhsa_uses_dynamic_stack 0
		.amdhsa_system_sgpr_private_segment_wavefront_offset 0
		.amdhsa_system_sgpr_workgroup_id_x 1
		.amdhsa_system_sgpr_workgroup_id_y 0
		.amdhsa_system_sgpr_workgroup_id_z 0
		.amdhsa_system_sgpr_workgroup_info 0
		.amdhsa_system_vgpr_workitem_id 0
		.amdhsa_next_free_vgpr 40
		.amdhsa_next_free_sgpr 33
		.amdhsa_reserve_vcc 1
		.amdhsa_reserve_flat_scratch 0
		.amdhsa_float_round_mode_32 0
		.amdhsa_float_round_mode_16_64 0
		.amdhsa_float_denorm_mode_32 3
		.amdhsa_float_denorm_mode_16_64 3
		.amdhsa_dx10_clamp 1
		.amdhsa_ieee_mode 1
		.amdhsa_fp16_overflow 0
		.amdhsa_exception_fp_ieee_invalid_op 0
		.amdhsa_exception_fp_denorm_src 0
		.amdhsa_exception_fp_ieee_div_zero 0
		.amdhsa_exception_fp_ieee_overflow 0
		.amdhsa_exception_fp_ieee_underflow 0
		.amdhsa_exception_fp_ieee_inexact 0
		.amdhsa_exception_int_div_zero 0
	.end_amdhsa_kernel
	.section	.text._ZN2at6native27unrolled_elementwise_kernelIZZZNS0_18lgamma_kernel_cudaERNS_18TensorIteratorBaseEENKUlvE_clEvENKUlvE_clEvEUldE_St5arrayIPcLm2EELi4E23TrivialOffsetCalculatorILi1EjESB_NS0_6memory15LoadWithoutCastENSC_16StoreWithoutCastEEEviT_T0_T2_T3_T4_T5_,"axG",@progbits,_ZN2at6native27unrolled_elementwise_kernelIZZZNS0_18lgamma_kernel_cudaERNS_18TensorIteratorBaseEENKUlvE_clEvENKUlvE_clEvEUldE_St5arrayIPcLm2EELi4E23TrivialOffsetCalculatorILi1EjESB_NS0_6memory15LoadWithoutCastENSC_16StoreWithoutCastEEEviT_T0_T2_T3_T4_T5_,comdat
.Lfunc_end128:
	.size	_ZN2at6native27unrolled_elementwise_kernelIZZZNS0_18lgamma_kernel_cudaERNS_18TensorIteratorBaseEENKUlvE_clEvENKUlvE_clEvEUldE_St5arrayIPcLm2EELi4E23TrivialOffsetCalculatorILi1EjESB_NS0_6memory15LoadWithoutCastENSC_16StoreWithoutCastEEEviT_T0_T2_T3_T4_T5_, .Lfunc_end128-_ZN2at6native27unrolled_elementwise_kernelIZZZNS0_18lgamma_kernel_cudaERNS_18TensorIteratorBaseEENKUlvE_clEvENKUlvE_clEvEUldE_St5arrayIPcLm2EELi4E23TrivialOffsetCalculatorILi1EjESB_NS0_6memory15LoadWithoutCastENSC_16StoreWithoutCastEEEviT_T0_T2_T3_T4_T5_
                                        ; -- End function
	.set _ZN2at6native27unrolled_elementwise_kernelIZZZNS0_18lgamma_kernel_cudaERNS_18TensorIteratorBaseEENKUlvE_clEvENKUlvE_clEvEUldE_St5arrayIPcLm2EELi4E23TrivialOffsetCalculatorILi1EjESB_NS0_6memory15LoadWithoutCastENSC_16StoreWithoutCastEEEviT_T0_T2_T3_T4_T5_.num_vgpr, max(40, .L_ZN3c104guts5applyIRZZZN2at6native18lgamma_kernel_cudaERNS2_18TensorIteratorBaseEENKUlvE_clEvENKUlvE_clEvEUldE_RSt5tupleIJdEEEEDaOT_OT0_.num_vgpr)
	.set _ZN2at6native27unrolled_elementwise_kernelIZZZNS0_18lgamma_kernel_cudaERNS_18TensorIteratorBaseEENKUlvE_clEvENKUlvE_clEvEUldE_St5arrayIPcLm2EELi4E23TrivialOffsetCalculatorILi1EjESB_NS0_6memory15LoadWithoutCastENSC_16StoreWithoutCastEEEviT_T0_T2_T3_T4_T5_.num_agpr, max(0, .L_ZN3c104guts5applyIRZZZN2at6native18lgamma_kernel_cudaERNS2_18TensorIteratorBaseEENKUlvE_clEvENKUlvE_clEvEUldE_RSt5tupleIJdEEEEDaOT_OT0_.num_agpr)
	.set _ZN2at6native27unrolled_elementwise_kernelIZZZNS0_18lgamma_kernel_cudaERNS_18TensorIteratorBaseEENKUlvE_clEvENKUlvE_clEvEUldE_St5arrayIPcLm2EELi4E23TrivialOffsetCalculatorILi1EjESB_NS0_6memory15LoadWithoutCastENSC_16StoreWithoutCastEEEviT_T0_T2_T3_T4_T5_.numbered_sgpr, max(33, .L_ZN3c104guts5applyIRZZZN2at6native18lgamma_kernel_cudaERNS2_18TensorIteratorBaseEENKUlvE_clEvENKUlvE_clEvEUldE_RSt5tupleIJdEEEEDaOT_OT0_.numbered_sgpr)
	.set _ZN2at6native27unrolled_elementwise_kernelIZZZNS0_18lgamma_kernel_cudaERNS_18TensorIteratorBaseEENKUlvE_clEvENKUlvE_clEvEUldE_St5arrayIPcLm2EELi4E23TrivialOffsetCalculatorILi1EjESB_NS0_6memory15LoadWithoutCastENSC_16StoreWithoutCastEEEviT_T0_T2_T3_T4_T5_.num_named_barrier, max(0, .L_ZN3c104guts5applyIRZZZN2at6native18lgamma_kernel_cudaERNS2_18TensorIteratorBaseEENKUlvE_clEvENKUlvE_clEvEUldE_RSt5tupleIJdEEEEDaOT_OT0_.num_named_barrier)
	.set _ZN2at6native27unrolled_elementwise_kernelIZZZNS0_18lgamma_kernel_cudaERNS_18TensorIteratorBaseEENKUlvE_clEvENKUlvE_clEvEUldE_St5arrayIPcLm2EELi4E23TrivialOffsetCalculatorILi1EjESB_NS0_6memory15LoadWithoutCastENSC_16StoreWithoutCastEEEviT_T0_T2_T3_T4_T5_.private_seg_size, 0+max(.L_ZN3c104guts5applyIRZZZN2at6native18lgamma_kernel_cudaERNS2_18TensorIteratorBaseEENKUlvE_clEvENKUlvE_clEvEUldE_RSt5tupleIJdEEEEDaOT_OT0_.private_seg_size)
	.set _ZN2at6native27unrolled_elementwise_kernelIZZZNS0_18lgamma_kernel_cudaERNS_18TensorIteratorBaseEENKUlvE_clEvENKUlvE_clEvEUldE_St5arrayIPcLm2EELi4E23TrivialOffsetCalculatorILi1EjESB_NS0_6memory15LoadWithoutCastENSC_16StoreWithoutCastEEEviT_T0_T2_T3_T4_T5_.uses_vcc, or(1, .L_ZN3c104guts5applyIRZZZN2at6native18lgamma_kernel_cudaERNS2_18TensorIteratorBaseEENKUlvE_clEvENKUlvE_clEvEUldE_RSt5tupleIJdEEEEDaOT_OT0_.uses_vcc)
	.set _ZN2at6native27unrolled_elementwise_kernelIZZZNS0_18lgamma_kernel_cudaERNS_18TensorIteratorBaseEENKUlvE_clEvENKUlvE_clEvEUldE_St5arrayIPcLm2EELi4E23TrivialOffsetCalculatorILi1EjESB_NS0_6memory15LoadWithoutCastENSC_16StoreWithoutCastEEEviT_T0_T2_T3_T4_T5_.uses_flat_scratch, or(0, .L_ZN3c104guts5applyIRZZZN2at6native18lgamma_kernel_cudaERNS2_18TensorIteratorBaseEENKUlvE_clEvENKUlvE_clEvEUldE_RSt5tupleIJdEEEEDaOT_OT0_.uses_flat_scratch)
	.set _ZN2at6native27unrolled_elementwise_kernelIZZZNS0_18lgamma_kernel_cudaERNS_18TensorIteratorBaseEENKUlvE_clEvENKUlvE_clEvEUldE_St5arrayIPcLm2EELi4E23TrivialOffsetCalculatorILi1EjESB_NS0_6memory15LoadWithoutCastENSC_16StoreWithoutCastEEEviT_T0_T2_T3_T4_T5_.has_dyn_sized_stack, or(0, .L_ZN3c104guts5applyIRZZZN2at6native18lgamma_kernel_cudaERNS2_18TensorIteratorBaseEENKUlvE_clEvENKUlvE_clEvEUldE_RSt5tupleIJdEEEEDaOT_OT0_.has_dyn_sized_stack)
	.set _ZN2at6native27unrolled_elementwise_kernelIZZZNS0_18lgamma_kernel_cudaERNS_18TensorIteratorBaseEENKUlvE_clEvENKUlvE_clEvEUldE_St5arrayIPcLm2EELi4E23TrivialOffsetCalculatorILi1EjESB_NS0_6memory15LoadWithoutCastENSC_16StoreWithoutCastEEEviT_T0_T2_T3_T4_T5_.has_recursion, or(0, .L_ZN3c104guts5applyIRZZZN2at6native18lgamma_kernel_cudaERNS2_18TensorIteratorBaseEENKUlvE_clEvENKUlvE_clEvEUldE_RSt5tupleIJdEEEEDaOT_OT0_.has_recursion)
	.set _ZN2at6native27unrolled_elementwise_kernelIZZZNS0_18lgamma_kernel_cudaERNS_18TensorIteratorBaseEENKUlvE_clEvENKUlvE_clEvEUldE_St5arrayIPcLm2EELi4E23TrivialOffsetCalculatorILi1EjESB_NS0_6memory15LoadWithoutCastENSC_16StoreWithoutCastEEEviT_T0_T2_T3_T4_T5_.has_indirect_call, or(0, .L_ZN3c104guts5applyIRZZZN2at6native18lgamma_kernel_cudaERNS2_18TensorIteratorBaseEENKUlvE_clEvENKUlvE_clEvEUldE_RSt5tupleIJdEEEEDaOT_OT0_.has_indirect_call)
	.section	.AMDGPU.csdata,"",@progbits
; Kernel info:
; codeLenInByte = 940
; TotalNumSgprs: 37
; NumVgprs: 40
; ScratchSize: 0
; MemoryBound: 0
; FloatMode: 240
; IeeeMode: 1
; LDSByteSize: 0 bytes/workgroup (compile time only)
; SGPRBlocks: 4
; VGPRBlocks: 9
; NumSGPRsForWavesPerEU: 37
; NumVGPRsForWavesPerEU: 40
; Occupancy: 6
; WaveLimiterHint : 0
; COMPUTE_PGM_RSRC2:SCRATCH_EN: 0
; COMPUTE_PGM_RSRC2:USER_SGPR: 6
; COMPUTE_PGM_RSRC2:TRAP_HANDLER: 0
; COMPUTE_PGM_RSRC2:TGID_X_EN: 1
; COMPUTE_PGM_RSRC2:TGID_Y_EN: 0
; COMPUTE_PGM_RSRC2:TGID_Z_EN: 0
; COMPUTE_PGM_RSRC2:TIDIG_COMP_CNT: 0
	.text
	.p2align	2                               ; -- Begin function _ZN2at6native6invokeIZZZNS0_18lgamma_kernel_cudaERNS_18TensorIteratorBaseEENKUlvE_clEvENKUlvE_clEvEUldE_j15function_traitsIS6_EEENT1_11result_typeERKT_PrKPcPKT0_i
	.type	_ZN2at6native6invokeIZZZNS0_18lgamma_kernel_cudaERNS_18TensorIteratorBaseEENKUlvE_clEvENKUlvE_clEvEUldE_j15function_traitsIS6_EEENT1_11result_typeERKT_PrKPcPKT0_i,@function
_ZN2at6native6invokeIZZZNS0_18lgamma_kernel_cudaERNS_18TensorIteratorBaseEENKUlvE_clEvENKUlvE_clEvEUldE_j15function_traitsIS6_EEENT1_11result_typeERKT_PrKPcPKT0_i: ; @_ZN2at6native6invokeIZZZNS0_18lgamma_kernel_cudaERNS_18TensorIteratorBaseEENKUlvE_clEvENKUlvE_clEvEUldE_j15function_traitsIS6_EEENT1_11result_typeERKT_PrKPcPKT0_i
; %bb.0:
	s_waitcnt vmcnt(0) expcnt(0) lgkmcnt(0)
	v_add_co_u32_e32 v0, vcc, v0, v2
	v_addc_co_u32_e32 v1, vcc, 0, v1, vcc
	flat_load_dwordx2 v[0:1], v[0:1]
	s_mov_b32 s4, 0x3f6fffff
                                        ; implicit-def: $vgpr4_vgpr5
	s_waitcnt vmcnt(0) lgkmcnt(0)
	v_and_b32_e32 v3, 0x7fffffff, v1
	v_mov_b32_e32 v2, v0
	v_cmp_lt_u32_e32 vcc, s4, v3
	s_and_saveexec_b64 s[4:5], vcc
	s_xor_b64 s[8:9], exec, s[4:5]
	s_cbranch_execz .LBB129_26
; %bb.1:
	s_brev_b32 s4, -4
	v_cmp_lt_u32_e32 vcc, s4, v3
                                        ; implicit-def: $vgpr4_vgpr5
	s_and_saveexec_b64 s[4:5], vcc
	s_xor_b64 s[6:7], exec, s[4:5]
	s_cbranch_execz .LBB129_11
; %bb.2:
	s_mov_b32 s4, 0x401fffff
	v_cmp_lt_u32_e32 vcc, s4, v3
                                        ; implicit-def: $vgpr4_vgpr5
	s_and_saveexec_b64 s[4:5], vcc
	s_xor_b64 s[10:11], exec, s[4:5]
	s_cbranch_execz .LBB129_8
; %bb.3:
	s_mov_b32 s4, 0x438fffff
	v_cmp_lt_u32_e32 vcc, s4, v3
                                        ; implicit-def: $vgpr4_vgpr5
	s_and_saveexec_b64 s[4:5], vcc
	s_xor_b64 s[12:13], exec, s[4:5]
	s_cbranch_execz .LBB129_5
; %bb.4:
	v_frexp_mant_f64_e64 v[4:5], |v[0:1]|
	s_mov_b32 s5, 0x3fe55555
	s_mov_b32 s4, 0x55555555
	;; [unrolled: 1-line block ×4, first 2 shown]
	v_cmp_gt_f64_e32 vcc, s[4:5], v[4:5]
	s_mov_b32 s4, 0x55555780
	v_cndmask_b32_e64 v2, 0, 1, vcc
	v_ldexp_f64 v[4:5], v[4:5], v2
	v_frexp_exp_i32_f64_e32 v2, v[0:1]
	v_add_f64 v[6:7], v[4:5], 1.0
	v_add_f64 v[12:13], v[4:5], -1.0
	v_subbrev_co_u32_e32 v2, vcc, 0, v2, vcc
	v_rcp_f64_e32 v[8:9], v[6:7]
	v_add_f64 v[14:15], v[6:7], -1.0
	v_add_f64 v[4:5], v[4:5], -v[14:15]
	v_fma_f64 v[10:11], -v[6:7], v[8:9], 1.0
	v_fma_f64 v[8:9], v[10:11], v[8:9], v[8:9]
	v_fma_f64 v[10:11], -v[6:7], v[8:9], 1.0
	v_fma_f64 v[8:9], v[10:11], v[8:9], v[8:9]
	v_mul_f64 v[10:11], v[12:13], v[8:9]
	v_mul_f64 v[16:17], v[6:7], v[10:11]
	v_fma_f64 v[6:7], v[10:11], v[6:7], -v[16:17]
	v_fma_f64 v[4:5], v[10:11], v[4:5], v[6:7]
	v_add_f64 v[6:7], v[16:17], v[4:5]
	v_add_f64 v[14:15], v[12:13], -v[6:7]
	v_add_f64 v[16:17], v[6:7], -v[16:17]
	;; [unrolled: 1-line block ×5, first 2 shown]
	v_mov_b32_e32 v12, 0x6b47b09a
	v_mov_b32_e32 v13, 0x3fc38538
	v_add_f64 v[4:5], v[4:5], v[6:7]
	v_add_f64 v[4:5], v[14:15], v[4:5]
	v_mul_f64 v[4:5], v[8:9], v[4:5]
	v_add_f64 v[6:7], v[10:11], v[4:5]
	v_mul_f64 v[8:9], v[6:7], v[6:7]
	v_fma_f64 v[12:13], v[8:9], s[14:15], v[12:13]
	s_mov_b32 s14, 0xd7f4df2e
	s_mov_b32 s15, 0x3fc7474d
	v_mul_f64 v[14:15], v[6:7], v[8:9]
	v_fma_f64 v[12:13], v[8:9], v[12:13], s[14:15]
	s_mov_b32 s14, 0x16291751
	s_mov_b32 s15, 0x3fcc71c0
	v_fma_f64 v[12:13], v[8:9], v[12:13], s[14:15]
	s_mov_b32 s14, 0x9b27acf1
	s_mov_b32 s15, 0x3fd24924
	;; [unrolled: 3-line block ×3, first 2 shown]
	v_fma_f64 v[12:13], v[8:9], v[12:13], s[14:15]
	v_fma_f64 v[8:9], v[8:9], v[12:13], s[4:5]
	v_ldexp_f64 v[12:13], v[6:7], 1
	v_add_f64 v[6:7], v[6:7], -v[10:11]
	s_mov_b32 s4, 0xfefa39ef
	s_mov_b32 s5, 0x3fe62e42
	v_mul_f64 v[8:9], v[14:15], v[8:9]
	v_cvt_f64_i32_e32 v[14:15], v2
	v_add_f64 v[4:5], v[4:5], -v[6:7]
	v_mov_b32_e32 v2, 0x7ff00000
	v_mul_f64 v[16:17], v[14:15], s[4:5]
	v_add_f64 v[10:11], v[12:13], v[8:9]
	v_ldexp_f64 v[4:5], v[4:5], 1
	v_add_f64 v[6:7], v[10:11], -v[12:13]
	v_fma_f64 v[12:13], v[14:15], s[4:5], -v[16:17]
	s_mov_b32 s4, 0x3b39803f
	s_mov_b32 s5, 0x3c7abc9e
	v_add_f64 v[6:7], v[8:9], -v[6:7]
	v_fma_f64 v[8:9], v[14:15], s[4:5], v[12:13]
	s_mov_b32 s4, 0
	s_mov_b32 s5, 0x7ff00000
	v_cmp_neq_f64_e64 vcc, |v[0:1]|, s[4:5]
	v_cmp_neq_f64_e64 s[4:5], 0, v[0:1]
	v_add_f64 v[4:5], v[4:5], v[6:7]
	v_add_f64 v[6:7], v[16:17], v[8:9]
	v_add_f64 v[12:13], v[10:11], v[4:5]
	v_add_f64 v[16:17], v[6:7], -v[16:17]
	v_add_f64 v[14:15], v[6:7], v[12:13]
	v_add_f64 v[10:11], v[12:13], -v[10:11]
	v_add_f64 v[8:9], v[8:9], -v[16:17]
	;; [unrolled: 1-line block ×6, first 2 shown]
	v_add_f64 v[12:13], v[8:9], v[4:5]
	v_add_f64 v[6:7], v[6:7], -v[20:21]
	v_add_f64 v[6:7], v[10:11], v[6:7]
	v_add_f64 v[10:11], v[12:13], -v[8:9]
	;; [unrolled: 2-line block ×3, first 2 shown]
	v_add_f64 v[4:5], v[4:5], -v[10:11]
	v_add_f64 v[16:17], v[14:15], v[6:7]
	v_add_f64 v[8:9], v[8:9], -v[12:13]
	v_add_f64 v[10:11], v[16:17], -v[14:15]
	v_add_f64 v[4:5], v[4:5], v[8:9]
	v_add_f64 v[6:7], v[6:7], -v[10:11]
	v_add_f64 v[4:5], v[4:5], v[6:7]
	v_mov_b32_e32 v6, 0xfff00000
	v_add_f64 v[4:5], v[16:17], v[4:5]
	v_cndmask_b32_e32 v2, v2, v5, vcc
	s_and_b64 vcc, s[4:5], vcc
	v_cndmask_b32_e64 v5, v6, v2, s[4:5]
	v_cndmask_b32_e32 v4, 0, v4, vcc
	v_fma_f64 v[4:5], |v[0:1]|, v[4:5], -|v[0:1]|
.LBB129_5:
	s_andn2_saveexec_b64 s[12:13], s[12:13]
	s_cbranch_execz .LBB129_7
; %bb.6:
	v_and_b32_e32 v5, 0x7fffffff, v1
	v_mov_b32_e32 v4, v0
	v_div_scale_f64 v[6:7], s[4:5], v[4:5], v[4:5], 1.0
	v_div_scale_f64 v[4:5], vcc, 1.0, v[4:5], 1.0
	s_mov_b32 s4, 0xb9e43e4
	s_mov_b32 s5, 0xbf5ab89d
	;; [unrolled: 1-line block ×4, first 2 shown]
	v_frexp_exp_i32_f64_e32 v2, v[0:1]
	v_rcp_f64_e32 v[8:9], v[6:7]
	v_fma_f64 v[10:11], -v[6:7], v[8:9], 1.0
	v_fma_f64 v[8:9], v[8:9], v[10:11], v[8:9]
	v_fma_f64 v[10:11], -v[6:7], v[8:9], 1.0
	v_fma_f64 v[8:9], v[8:9], v[10:11], v[8:9]
	v_mul_f64 v[10:11], v[4:5], v[8:9]
	v_fma_f64 v[4:5], -v[6:7], v[10:11], v[4:5]
	v_div_fmas_f64 v[4:5], v[4:5], v[8:9], v[10:11]
	v_mov_b32_e32 v8, 0x4cdad5d1
	v_mov_b32_e32 v9, 0x3f4b67ba
	v_div_fixup_f64 v[4:5], v[4:5], |v[0:1]|, 1.0
	v_mul_f64 v[6:7], v[4:5], v[4:5]
	v_fma_f64 v[8:9], v[6:7], s[4:5], v[8:9]
	s_mov_b32 s4, 0x8c0fe741
	s_mov_b32 s5, 0xbf4380cb
	v_fma_f64 v[8:9], v[6:7], v[8:9], s[4:5]
	s_mov_b32 s4, 0x98cf38b6
	s_mov_b32 s5, 0x3f4a019f
	v_fma_f64 v[8:9], v[6:7], v[8:9], s[4:5]
	s_mov_b32 s4, 0x16b02e5c
	s_mov_b32 s5, 0xbf66c16c
	v_fma_f64 v[8:9], v[6:7], v[8:9], s[4:5]
	s_mov_b32 s4, 0x5555553b
	s_mov_b32 s5, 0x3fb55555
	v_fma_f64 v[6:7], v[6:7], v[8:9], s[4:5]
	v_frexp_mant_f64_e64 v[8:9], |v[0:1]|
	s_mov_b32 s4, 0x90c97d69
	s_mov_b32 s5, 0x3fdacfe3
	v_fma_f64 v[4:5], v[4:5], v[6:7], s[4:5]
	s_mov_b32 s5, 0x3fe55555
	s_mov_b32 s4, 0x55555555
	v_cmp_gt_f64_e32 vcc, s[4:5], v[8:9]
	s_mov_b32 s4, 0x55555780
	v_add_f64 v[6:7], |v[0:1]|, -0.5
	v_cndmask_b32_e64 v10, 0, 1, vcc
	v_ldexp_f64 v[8:9], v[8:9], v10
	v_subbrev_co_u32_e32 v2, vcc, 0, v2, vcc
	v_add_f64 v[12:13], v[8:9], 1.0
	v_add_f64 v[10:11], v[8:9], -1.0
	v_add_f64 v[14:15], v[12:13], -1.0
	v_add_f64 v[8:9], v[8:9], -v[14:15]
	v_rcp_f64_e32 v[14:15], v[12:13]
	v_fma_f64 v[16:17], -v[12:13], v[14:15], 1.0
	v_fma_f64 v[14:15], v[16:17], v[14:15], v[14:15]
	v_fma_f64 v[16:17], -v[12:13], v[14:15], 1.0
	v_fma_f64 v[14:15], v[16:17], v[14:15], v[14:15]
	v_mul_f64 v[16:17], v[10:11], v[14:15]
	v_mul_f64 v[18:19], v[12:13], v[16:17]
	v_fma_f64 v[12:13], v[16:17], v[12:13], -v[18:19]
	v_fma_f64 v[8:9], v[16:17], v[8:9], v[12:13]
	v_add_f64 v[12:13], v[18:19], v[8:9]
	v_add_f64 v[20:21], v[10:11], -v[12:13]
	v_add_f64 v[18:19], v[12:13], -v[18:19]
	;; [unrolled: 1-line block ×5, first 2 shown]
	v_add_f64 v[8:9], v[8:9], v[10:11]
	v_add_f64 v[8:9], v[20:21], v[8:9]
	v_mul_f64 v[8:9], v[14:15], v[8:9]
	v_mov_b32_e32 v14, 0x6b47b09a
	v_mov_b32_e32 v15, 0x3fc38538
	v_add_f64 v[10:11], v[16:17], v[8:9]
	v_add_f64 v[12:13], v[10:11], -v[16:17]
	v_ldexp_f64 v[16:17], v[10:11], 1
	v_add_f64 v[8:9], v[8:9], -v[12:13]
	v_mul_f64 v[12:13], v[10:11], v[10:11]
	v_ldexp_f64 v[8:9], v[8:9], 1
	v_fma_f64 v[14:15], v[12:13], s[14:15], v[14:15]
	s_mov_b32 s14, 0xd7f4df2e
	s_mov_b32 s15, 0x3fc7474d
	v_mul_f64 v[10:11], v[10:11], v[12:13]
	v_fma_f64 v[14:15], v[12:13], v[14:15], s[14:15]
	s_mov_b32 s14, 0x16291751
	s_mov_b32 s15, 0x3fcc71c0
	v_fma_f64 v[14:15], v[12:13], v[14:15], s[14:15]
	s_mov_b32 s14, 0x9b27acf1
	s_mov_b32 s15, 0x3fd24924
	;; [unrolled: 3-line block ×3, first 2 shown]
	v_fma_f64 v[14:15], v[12:13], v[14:15], s[14:15]
	v_fma_f64 v[14:15], v[12:13], v[14:15], s[4:5]
	s_mov_b32 s4, 0xfefa39ef
	s_mov_b32 s5, 0x3fe62e42
	v_mul_f64 v[10:11], v[10:11], v[14:15]
	v_add_f64 v[12:13], v[16:17], v[10:11]
	v_add_f64 v[14:15], v[12:13], -v[16:17]
	v_add_f64 v[10:11], v[10:11], -v[14:15]
	v_add_f64 v[8:9], v[8:9], v[10:11]
	v_add_f64 v[10:11], v[12:13], v[8:9]
	v_add_f64 v[12:13], v[10:11], -v[12:13]
	v_add_f64 v[8:9], v[8:9], -v[12:13]
	v_cvt_f64_i32_e32 v[12:13], v2
	v_mov_b32_e32 v2, 0x7ff00000
	v_mul_f64 v[14:15], v[12:13], s[4:5]
	v_fma_f64 v[16:17], v[12:13], s[4:5], -v[14:15]
	s_mov_b32 s4, 0x3b39803f
	s_mov_b32 s5, 0x3c7abc9e
	v_fma_f64 v[12:13], v[12:13], s[4:5], v[16:17]
	s_mov_b32 s4, 0
	s_mov_b32 s5, 0x7ff00000
	v_cmp_neq_f64_e64 vcc, |v[0:1]|, s[4:5]
	v_cmp_neq_f64_e64 s[4:5], 0, v[0:1]
	v_add_f64 v[16:17], v[14:15], v[12:13]
	v_add_f64 v[14:15], v[16:17], -v[14:15]
	v_add_f64 v[12:13], v[12:13], -v[14:15]
	v_add_f64 v[14:15], v[16:17], v[10:11]
	v_add_f64 v[18:19], v[14:15], -v[16:17]
	v_add_f64 v[20:21], v[14:15], -v[18:19]
	;; [unrolled: 1-line block ×4, first 2 shown]
	v_add_f64 v[10:11], v[10:11], v[16:17]
	v_add_f64 v[16:17], v[12:13], v[8:9]
	v_add_f64 v[18:19], v[16:17], -v[12:13]
	v_add_f64 v[10:11], v[16:17], v[10:11]
	v_add_f64 v[20:21], v[16:17], -v[18:19]
	v_add_f64 v[8:9], v[8:9], -v[18:19]
	;; [unrolled: 1-line block ×3, first 2 shown]
	v_add_f64 v[8:9], v[8:9], v[12:13]
	v_add_f64 v[12:13], v[14:15], v[10:11]
	v_add_f64 v[14:15], v[12:13], -v[14:15]
	v_add_f64 v[10:11], v[10:11], -v[14:15]
	v_add_f64 v[8:9], v[8:9], v[10:11]
	v_add_f64 v[8:9], v[12:13], v[8:9]
	v_add_f64 v[8:9], v[8:9], -1.0
	v_cndmask_b32_e32 v2, v2, v9, vcc
	s_and_b64 vcc, s[4:5], vcc
	v_mov_b32_e32 v9, 0xfff00000
	v_cndmask_b32_e32 v8, 0, v8, vcc
	v_cndmask_b32_e64 v9, v9, v2, s[4:5]
	v_fma_f64 v[4:5], v[6:7], v[8:9], v[4:5]
.LBB129_7:
	s_or_b64 exec, exec, s[12:13]
.LBB129_8:
	s_andn2_saveexec_b64 s[4:5], s[10:11]
	s_cbranch_execz .LBB129_10
; %bb.9:
	v_cvt_i32_f64_e32 v2, v[2:3]
	s_mov_b32 s10, 0xdd17e945
	s_mov_b32 s11, 0x3f00bfec
	v_mov_b32_e32 v8, 0xca41a95b
	v_cvt_f64_i32_e32 v[4:5], v2
	v_mov_b32_e32 v9, 0x3f497dda
	s_mov_b32 s12, 0xbf559e2b
	s_mov_b32 s13, 0x3fc3ab76
	v_add_f64 v[6:7], |v[0:1]|, -v[4:5]
	v_mov_b32_e32 v4, 0x7368f239
	v_mov_b32_e32 v5, 0x3f5e26b6
	v_fma_f64 v[4:5], v[6:7], s[10:11], v[4:5]
	s_mov_b32 s10, 0x7e939961
	s_mov_b32 s11, 0x3f9b481c
	v_fma_f64 v[4:5], v[6:7], v[4:5], s[10:11]
	s_mov_b32 s10, 0xbee5f2f7
	s_mov_b32 s11, 0x3fc2bb9c
	;; [unrolled: 3-line block ×7, first 2 shown]
	v_mul_f64 v[4:5], v[6:7], v[4:5]
	v_fma_f64 v[8:9], v[6:7], v[8:9], s[10:11]
	s_mov_b32 s10, 0xccfbdf27
	s_mov_b32 s11, 0x3fc601ed
	v_fma_f64 v[8:9], v[6:7], v[8:9], s[10:11]
	s_mov_b32 s10, 0x93d3dcdc
	s_mov_b32 s11, 0x3fe71a18
	;; [unrolled: 3-line block ×3, first 2 shown]
	v_fma_f64 v[8:9], v[6:7], v[8:9], s[10:11]
	v_fma_f64 v[8:9], v[6:7], v[8:9], 1.0
	v_div_scale_f64 v[10:11], s[10:11], v[8:9], v[8:9], v[4:5]
	s_mov_b32 s10, 0
	s_mov_b32 s11, 0x40080000
	v_rcp_f64_e32 v[12:13], v[10:11]
	v_fma_f64 v[14:15], -v[10:11], v[12:13], 1.0
	v_fma_f64 v[12:13], v[12:13], v[14:15], v[12:13]
	v_fma_f64 v[14:15], -v[10:11], v[12:13], 1.0
	v_fma_f64 v[12:13], v[12:13], v[14:15], v[12:13]
	v_div_scale_f64 v[14:15], vcc, v[4:5], v[8:9], v[4:5]
	v_mul_f64 v[16:17], v[14:15], v[12:13]
	v_fma_f64 v[10:11], -v[10:11], v[16:17], v[14:15]
	s_nop 1
	v_div_fmas_f64 v[10:11], v[10:11], v[12:13], v[16:17]
	v_cmp_lt_i32_e32 vcc, 2, v2
	v_mov_b32_e32 v16, 0x3ff00000
	v_add_f64 v[12:13], v[6:7], 4.0
	v_div_fixup_f64 v[4:5], v[10:11], v[8:9], v[4:5]
	v_add_f64 v[8:9], v[6:7], 2.0
	v_add_f64 v[10:11], v[6:7], s[10:11]
	s_mov_b32 s10, 0
	s_mov_b32 s11, 0x40140000
	v_add_f64 v[14:15], v[6:7], s[10:11]
	s_mov_b32 s10, 0
	s_mov_b32 s11, 0x40180000
	v_fma_f64 v[4:5], v[6:7], 0.5, v[4:5]
	v_cndmask_b32_e32 v9, v16, v9, vcc
	v_cndmask_b32_e32 v8, 0, v8, vcc
	v_cmp_lt_i32_e32 vcc, 3, v2
	v_cndmask_b32_e32 v11, v16, v11, vcc
	v_cndmask_b32_e32 v10, 0, v10, vcc
	v_mul_f64 v[8:9], v[8:9], v[10:11]
	v_cmp_lt_i32_e32 vcc, 4, v2
	v_cndmask_b32_e32 v11, v16, v13, vcc
	v_cndmask_b32_e32 v10, 0, v12, vcc
	v_cmp_lt_i32_e32 vcc, 5, v2
	v_add_f64 v[6:7], v[6:7], s[10:11]
	s_mov_b32 s11, 0x3fe55555
	s_mov_b32 s10, 0x55555555
	v_mul_f64 v[8:9], v[10:11], v[8:9]
	v_cndmask_b32_e32 v11, v16, v15, vcc
	v_cndmask_b32_e32 v10, 0, v14, vcc
	v_cmp_lt_i32_e32 vcc, 6, v2
	v_cndmask_b32_e32 v7, v16, v7, vcc
	v_cndmask_b32_e32 v6, 0, v6, vcc
	v_mul_f64 v[8:9], v[10:11], v[8:9]
	v_mul_f64 v[6:7], v[6:7], v[8:9]
	v_frexp_mant_f64_e32 v[8:9], v[6:7]
	v_frexp_exp_i32_f64_e32 v2, v[6:7]
	v_cmp_gt_f64_e32 vcc, s[10:11], v[8:9]
	s_mov_b32 s10, 0x55555780
	v_cndmask_b32_e64 v10, 0, 1, vcc
	v_ldexp_f64 v[8:9], v[8:9], v10
	v_subbrev_co_u32_e32 v2, vcc, 0, v2, vcc
	v_add_f64 v[12:13], v[8:9], 1.0
	v_add_f64 v[10:11], v[8:9], -1.0
	v_add_f64 v[14:15], v[12:13], -1.0
	v_add_f64 v[8:9], v[8:9], -v[14:15]
	v_rcp_f64_e32 v[14:15], v[12:13]
	v_fma_f64 v[16:17], -v[12:13], v[14:15], 1.0
	v_fma_f64 v[14:15], v[16:17], v[14:15], v[14:15]
	v_fma_f64 v[16:17], -v[12:13], v[14:15], 1.0
	v_fma_f64 v[14:15], v[16:17], v[14:15], v[14:15]
	v_mul_f64 v[16:17], v[10:11], v[14:15]
	v_mul_f64 v[18:19], v[12:13], v[16:17]
	v_fma_f64 v[12:13], v[16:17], v[12:13], -v[18:19]
	v_fma_f64 v[8:9], v[16:17], v[8:9], v[12:13]
	v_add_f64 v[12:13], v[18:19], v[8:9]
	v_add_f64 v[20:21], v[10:11], -v[12:13]
	v_add_f64 v[18:19], v[12:13], -v[18:19]
	;; [unrolled: 1-line block ×5, first 2 shown]
	v_add_f64 v[8:9], v[8:9], v[10:11]
	v_add_f64 v[8:9], v[20:21], v[8:9]
	v_mul_f64 v[8:9], v[14:15], v[8:9]
	v_mov_b32_e32 v14, 0x6b47b09a
	v_mov_b32_e32 v15, 0x3fc38538
	v_add_f64 v[10:11], v[16:17], v[8:9]
	v_add_f64 v[12:13], v[10:11], -v[16:17]
	v_ldexp_f64 v[16:17], v[10:11], 1
	v_add_f64 v[8:9], v[8:9], -v[12:13]
	v_mul_f64 v[12:13], v[10:11], v[10:11]
	v_ldexp_f64 v[8:9], v[8:9], 1
	v_fma_f64 v[14:15], v[12:13], s[12:13], v[14:15]
	s_mov_b32 s12, 0xd7f4df2e
	s_mov_b32 s13, 0x3fc7474d
	v_mul_f64 v[10:11], v[10:11], v[12:13]
	v_fma_f64 v[14:15], v[12:13], v[14:15], s[12:13]
	s_mov_b32 s12, 0x16291751
	s_mov_b32 s13, 0x3fcc71c0
	v_fma_f64 v[14:15], v[12:13], v[14:15], s[12:13]
	s_mov_b32 s12, 0x9b27acf1
	s_mov_b32 s13, 0x3fd24924
	;; [unrolled: 3-line block ×3, first 2 shown]
	v_fma_f64 v[14:15], v[12:13], v[14:15], s[12:13]
	v_fma_f64 v[14:15], v[12:13], v[14:15], s[10:11]
	s_mov_b32 s10, 0xfefa39ef
	s_mov_b32 s11, 0x3fe62e42
	v_mul_f64 v[10:11], v[10:11], v[14:15]
	v_add_f64 v[12:13], v[16:17], v[10:11]
	v_add_f64 v[14:15], v[12:13], -v[16:17]
	v_add_f64 v[10:11], v[10:11], -v[14:15]
	v_add_f64 v[8:9], v[8:9], v[10:11]
	v_add_f64 v[10:11], v[12:13], v[8:9]
	v_add_f64 v[12:13], v[10:11], -v[12:13]
	v_add_f64 v[8:9], v[8:9], -v[12:13]
	v_cvt_f64_i32_e32 v[12:13], v2
	v_mul_f64 v[14:15], v[12:13], s[10:11]
	v_fma_f64 v[16:17], v[12:13], s[10:11], -v[14:15]
	s_mov_b32 s10, 0x3b39803f
	s_mov_b32 s11, 0x3c7abc9e
	v_fma_f64 v[12:13], v[12:13], s[10:11], v[16:17]
	s_movk_i32 s10, 0x204
	v_cmp_class_f64_e64 vcc, v[6:7], s10
	v_add_f64 v[16:17], v[14:15], v[12:13]
	v_add_f64 v[14:15], v[16:17], -v[14:15]
	v_add_f64 v[12:13], v[12:13], -v[14:15]
	v_add_f64 v[14:15], v[16:17], v[10:11]
	v_add_f64 v[18:19], v[14:15], -v[16:17]
	v_add_f64 v[20:21], v[14:15], -v[18:19]
	v_add_f64 v[10:11], v[10:11], -v[18:19]
	v_add_f64 v[16:17], v[16:17], -v[20:21]
	v_add_f64 v[10:11], v[10:11], v[16:17]
	v_add_f64 v[16:17], v[12:13], v[8:9]
	v_add_f64 v[18:19], v[16:17], -v[12:13]
	v_add_f64 v[10:11], v[16:17], v[10:11]
	v_add_f64 v[20:21], v[16:17], -v[18:19]
	v_add_f64 v[8:9], v[8:9], -v[18:19]
	;; [unrolled: 1-line block ×3, first 2 shown]
	v_add_f64 v[8:9], v[8:9], v[12:13]
	v_add_f64 v[12:13], v[14:15], v[10:11]
	v_add_f64 v[14:15], v[12:13], -v[14:15]
	v_add_f64 v[10:11], v[10:11], -v[14:15]
	v_add_f64 v[8:9], v[8:9], v[10:11]
	v_add_f64 v[8:9], v[12:13], v[8:9]
	v_cndmask_b32_e32 v2, v8, v6, vcc
	v_cndmask_b32_e32 v8, v9, v7, vcc
	v_cmp_ngt_f64_e32 vcc, 0, v[6:7]
	v_mov_b32_e32 v9, 0x7ff80000
	v_cndmask_b32_e32 v9, v9, v8, vcc
	v_cmp_nge_f64_e32 vcc, 0, v[6:7]
	v_cndmask_b32_e32 v8, 0, v2, vcc
	v_cmp_neq_f64_e32 vcc, 0, v[6:7]
	v_mov_b32_e32 v2, 0xfff00000
	v_cndmask_b32_e32 v9, v2, v9, vcc
	v_add_f64 v[4:5], v[4:5], v[8:9]
.LBB129_10:
	s_or_b64 exec, exec, s[4:5]
.LBB129_11:
	s_andn2_saveexec_b64 s[10:11], s[6:7]
	s_cbranch_execz .LBB129_25
; %bb.12:
	s_mov_b32 s4, 0x3feccccc
	v_cmp_lt_u32_e32 vcc, s4, v3
                                        ; implicit-def: $vgpr2
                                        ; implicit-def: $vgpr6_vgpr7
	s_and_saveexec_b64 s[4:5], vcc
	s_xor_b64 s[4:5], exec, s[4:5]
	s_cbranch_execz .LBB129_14
; %bb.13:
	s_mov_b32 s6, 0x6356be3f
	s_mov_b32 s7, 0xbff762d8
	v_add_f64 v[4:5], -|v[0:1]|, 2.0
	v_add_f64 v[6:7], |v[0:1]|, s[6:7]
	v_add_f64 v[8:9], |v[0:1]|, -1.0
	s_mov_b32 s6, 0x3ffbb4c3
	v_cmp_gt_u32_e32 vcc, s6, v3
	s_mov_b32 s6, 0x3ff3b4c4
	v_cndmask_b32_e32 v2, v4, v6, vcc
	v_cndmask_b32_e32 v4, v5, v7, vcc
	v_cndmask_b32_e64 v5, 0, 1, vcc
	v_cmp_gt_u32_e32 vcc, s6, v3
	v_cndmask_b32_e32 v7, v4, v9, vcc
	v_cndmask_b32_e32 v6, v2, v8, vcc
	v_cndmask_b32_e64 v2, v5, 2, vcc
.LBB129_14:
	s_or_saveexec_b64 s[12:13], s[4:5]
	v_mov_b32_e32 v4, 0
	v_mov_b32_e32 v5, 0
	s_xor_b64 exec, exec, s[12:13]
	s_cbranch_execz .LBB129_16
; %bb.15:
	v_frexp_mant_f64_e64 v[4:5], |v[0:1]|
	s_mov_b32 s5, 0x3fe55555
	s_mov_b32 s4, 0x55555555
	s_mov_b32 s6, 0xbf559e2b
	s_mov_b32 s7, 0x3fc3ab76
	s_mov_b32 s14, 0x3fcda661
	v_cmp_gt_f64_e32 vcc, s[4:5], v[4:5]
	s_mov_b32 s4, 0x55555780
	v_cndmask_b32_e64 v2, 0, 1, vcc
	v_ldexp_f64 v[4:5], v[4:5], v2
	v_frexp_exp_i32_f64_e32 v2, v[0:1]
	v_add_f64 v[6:7], v[4:5], 1.0
	v_add_f64 v[12:13], v[4:5], -1.0
	v_subbrev_co_u32_e32 v2, vcc, 0, v2, vcc
	v_rcp_f64_e32 v[8:9], v[6:7]
	v_add_f64 v[14:15], v[6:7], -1.0
	v_add_f64 v[4:5], v[4:5], -v[14:15]
	v_fma_f64 v[10:11], -v[6:7], v[8:9], 1.0
	v_fma_f64 v[8:9], v[10:11], v[8:9], v[8:9]
	v_fma_f64 v[10:11], -v[6:7], v[8:9], 1.0
	v_fma_f64 v[8:9], v[10:11], v[8:9], v[8:9]
	v_mul_f64 v[10:11], v[12:13], v[8:9]
	v_mul_f64 v[16:17], v[6:7], v[10:11]
	v_fma_f64 v[6:7], v[10:11], v[6:7], -v[16:17]
	v_fma_f64 v[4:5], v[10:11], v[4:5], v[6:7]
	v_add_f64 v[6:7], v[16:17], v[4:5]
	v_add_f64 v[14:15], v[12:13], -v[6:7]
	v_add_f64 v[16:17], v[6:7], -v[16:17]
	;; [unrolled: 1-line block ×5, first 2 shown]
	v_mov_b32_e32 v12, 0x6b47b09a
	v_mov_b32_e32 v13, 0x3fc38538
	v_add_f64 v[4:5], v[4:5], v[6:7]
	v_add_f64 v[4:5], v[14:15], v[4:5]
	v_mul_f64 v[4:5], v[8:9], v[4:5]
	v_add_f64 v[6:7], v[10:11], v[4:5]
	v_mul_f64 v[8:9], v[6:7], v[6:7]
	v_fma_f64 v[12:13], v[8:9], s[6:7], v[12:13]
	s_mov_b32 s6, 0xd7f4df2e
	s_mov_b32 s7, 0x3fc7474d
	v_mul_f64 v[14:15], v[6:7], v[8:9]
	v_fma_f64 v[12:13], v[8:9], v[12:13], s[6:7]
	s_mov_b32 s6, 0x16291751
	s_mov_b32 s7, 0x3fcc71c0
	v_fma_f64 v[12:13], v[8:9], v[12:13], s[6:7]
	s_mov_b32 s6, 0x9b27acf1
	s_mov_b32 s7, 0x3fd24924
	;; [unrolled: 3-line block ×4, first 2 shown]
	v_fma_f64 v[8:9], v[8:9], v[12:13], s[4:5]
	v_ldexp_f64 v[12:13], v[6:7], 1
	v_add_f64 v[6:7], v[6:7], -v[10:11]
	s_mov_b32 s4, 0xfefa39ef
	s_mov_b32 s5, 0x3fe62e42
	v_mul_f64 v[8:9], v[14:15], v[8:9]
	v_cvt_f64_i32_e32 v[14:15], v2
	v_add_f64 v[4:5], v[4:5], -v[6:7]
	v_and_b32_e32 v2, 0x7fffffff, v1
	v_mul_f64 v[16:17], v[14:15], s[4:5]
	v_add_f64 v[10:11], v[12:13], v[8:9]
	v_ldexp_f64 v[4:5], v[4:5], 1
	v_add_f64 v[6:7], v[10:11], -v[12:13]
	v_fma_f64 v[12:13], v[14:15], s[4:5], -v[16:17]
	s_mov_b32 s4, 0x3b39803f
	s_mov_b32 s5, 0x3c7abc9e
	v_add_f64 v[6:7], v[8:9], -v[6:7]
	v_fma_f64 v[8:9], v[14:15], s[4:5], v[12:13]
	s_mov_b32 s4, 0
	s_mov_b32 s5, 0x7ff00000
	v_cmp_neq_f64_e64 vcc, |v[0:1]|, s[4:5]
	v_cmp_neq_f64_e64 s[4:5], 0, v[0:1]
	v_add_f64 v[4:5], v[4:5], v[6:7]
	v_add_f64 v[6:7], v[16:17], v[8:9]
	;; [unrolled: 1-line block ×3, first 2 shown]
	v_add_f64 v[16:17], v[6:7], -v[16:17]
	v_add_f64 v[14:15], v[6:7], v[12:13]
	v_add_f64 v[10:11], v[12:13], -v[10:11]
	v_add_f64 v[8:9], v[8:9], -v[16:17]
	;; [unrolled: 1-line block ×6, first 2 shown]
	v_add_f64 v[12:13], v[8:9], v[4:5]
	v_add_f64 v[6:7], v[6:7], -v[16:17]
	v_add_f64 v[6:7], v[10:11], v[6:7]
	v_add_f64 v[10:11], v[12:13], -v[8:9]
	;; [unrolled: 2-line block ×3, first 2 shown]
	v_add_f64 v[4:5], v[4:5], -v[10:11]
	v_add_f64 v[16:17], v[14:15], v[6:7]
	v_add_f64 v[8:9], v[8:9], -v[12:13]
	v_add_f64 v[10:11], v[16:17], -v[14:15]
	v_add_f64 v[4:5], v[4:5], v[8:9]
	v_add_f64 v[8:9], |v[0:1]|, s[6:7]
	s_mov_b32 s6, 0x3fe76944
	v_cmp_gt_u32_e64 s[6:7], s6, v3
	v_add_f64 v[6:7], v[6:7], -v[10:11]
	v_mov_b32_e32 v10, 0xfff00000
	v_mov_b32_e32 v11, 0x7ff00000
	v_add_f64 v[4:5], v[4:5], v[6:7]
	v_add_f64 v[6:7], -|v[0:1]|, 1.0
	v_add_f64 v[4:5], v[16:17], v[4:5]
	v_cndmask_b32_e64 v6, v6, v8, s[6:7]
	v_cndmask_b32_e64 v7, v7, v9, s[6:7]
	v_cndmask_b32_e64 v8, 0, 1, s[6:7]
	v_cmp_gt_u32_e64 s[6:7], s14, v3
	v_cndmask_b32_e64 v7, v7, v2, s[6:7]
	v_cndmask_b32_e64 v6, v6, v0, s[6:7]
	;; [unrolled: 1-line block ×3, first 2 shown]
	v_xor_b32_e32 v5, 0x80000000, v5
	v_cndmask_b32_e32 v5, v10, v5, vcc
	s_and_b64 vcc, s[4:5], vcc
	v_cndmask_b32_e64 v5, v11, v5, s[4:5]
	v_cndmask_b32_e32 v4, 0, v4, vcc
.LBB129_16:
	s_or_b64 exec, exec, s[12:13]
	v_cmp_lt_i32_e32 vcc, 1, v2
                                        ; implicit-def: $vgpr10_vgpr11
	s_and_saveexec_b64 s[4:5], vcc
	s_xor_b64 s[4:5], exec, s[4:5]
	s_cbranch_execz .LBB129_18
; %bb.17:
	s_mov_b32 s6, 0xbf2bab09
	v_mov_b32_e32 v8, 0xf6010924
	v_mov_b32_e32 v9, 0x3fcd4eae
	s_mov_b32 s7, 0x3f8b678b
	v_fma_f64 v[8:9], v[6:7], s[6:7], v[8:9]
	s_mov_b32 s6, 0x44ea8450
	s_mov_b32 s12, 0x57d0cf61
	;; [unrolled: 1-line block ×3, first 2 shown]
	v_mov_b32_e32 v10, 0xd6537c88
	v_mov_b32_e32 v11, 0x3fbaae55
	s_mov_b32 s13, 0x3f6a5abb
	v_fma_f64 v[10:11], v[6:7], s[12:13], v[10:11]
	v_fma_f64 v[8:9], v[6:7], v[8:9], s[6:7]
	s_mov_b32 s6, 0xd119bd6f
	s_mov_b32 s12, 0xe45050af
	;; [unrolled: 1-line block ×4, first 2 shown]
                                        ; implicit-def: $vgpr2
	v_fma_f64 v[10:11], v[6:7], v[10:11], s[12:13]
	v_fma_f64 v[8:9], v[6:7], v[8:9], s[6:7]
	s_mov_b32 s6, 0x8b005dff
	s_mov_b32 s12, 0xa42b18f5
	;; [unrolled: 1-line block ×4, first 2 shown]
	v_fma_f64 v[10:11], v[6:7], v[10:11], s[12:13]
	v_fma_f64 v[8:9], v[6:7], v[8:9], s[6:7]
	s_mov_b32 s6, 0xe37db0c8
	s_mov_b32 s12, 0xc2bd619c
	s_mov_b32 s7, 0xbfb3c467
	s_mov_b32 s13, 0x4003a5d7
	v_fma_f64 v[10:11], v[6:7], v[10:11], s[12:13]
	v_fma_f64 v[8:9], v[6:7], v[8:9], s[6:7]
	v_fma_f64 v[10:11], v[6:7], v[10:11], 1.0
	v_mul_f64 v[8:9], v[6:7], v[8:9]
	v_div_scale_f64 v[12:13], s[6:7], v[10:11], v[10:11], v[8:9]
	v_div_scale_f64 v[18:19], vcc, v[8:9], v[10:11], v[8:9]
	v_rcp_f64_e32 v[14:15], v[12:13]
	v_fma_f64 v[16:17], -v[12:13], v[14:15], 1.0
	v_fma_f64 v[14:15], v[14:15], v[16:17], v[14:15]
	v_fma_f64 v[16:17], -v[12:13], v[14:15], 1.0
	v_fma_f64 v[14:15], v[14:15], v[16:17], v[14:15]
	v_mul_f64 v[16:17], v[18:19], v[14:15]
	v_fma_f64 v[12:13], -v[12:13], v[16:17], v[18:19]
	v_div_fmas_f64 v[12:13], v[12:13], v[14:15], v[16:17]
	v_div_fixup_f64 v[8:9], v[12:13], v[10:11], v[8:9]
	v_fma_f64 v[10:11], v[6:7], -0.5, v[8:9]
                                        ; implicit-def: $vgpr6_vgpr7
.LBB129_18:
	s_andn2_saveexec_b64 s[4:5], s[4:5]
	s_cbranch_execz .LBB129_24
; %bb.19:
	v_mul_f64 v[8:9], v[6:7], v[6:7]
	v_cmp_ne_u32_e32 vcc, 1, v2
                                        ; implicit-def: $vgpr10_vgpr11
	s_and_saveexec_b64 s[6:7], vcc
	s_xor_b64 s[6:7], exec, s[6:7]
	s_cbranch_execz .LBB129_21
; %bb.20:
	s_mov_b32 s12, 0x90a45837
	v_mov_b32_e32 v10, 0x987dfb07
	v_mov_b32_e32 v11, 0x3f1c5088
	s_mov_b32 s13, 0x3f07858e
	v_fma_f64 v[10:11], v[8:9], s[12:13], v[10:11]
	s_mov_b32 s12, 0x428cfa52
	v_mov_b32_e32 v12, 0xed10e54d
	v_mov_b32_e32 v13, 0x3f2cf2ec
	s_mov_b32 s13, 0x3efa7074
	v_fma_f64 v[12:13], v[8:9], s[12:13], v[12:13]
	s_mov_b32 s12, 0x89b99c00
	s_mov_b32 s13, 0x3f40b6c6
	v_fma_f64 v[10:11], v[8:9], v[10:11], s[12:13]
	s_mov_b32 s12, 0x116f3f5d
	;; [unrolled: 3-line block ×8, first 2 shown]
	s_mov_b32 s13, 0x3fb3c467
	v_fma_f64 v[12:13], v[8:9], v[12:13], s[12:13]
	v_mul_f64 v[8:9], v[8:9], v[10:11]
	v_fma_f64 v[8:9], v[6:7], v[12:13], v[8:9]
	v_fma_f64 v[10:11], v[6:7], -0.5, v[8:9]
                                        ; implicit-def: $vgpr6_vgpr7
                                        ; implicit-def: $vgpr8_vgpr9
.LBB129_21:
	s_andn2_saveexec_b64 s[6:7], s[6:7]
	s_cbranch_execz .LBB129_23
; %bb.22:
	v_mul_f64 v[10:11], v[6:7], v[8:9]
	s_mov_b32 s12, 0xecc38c38
	v_mov_b32_e32 v14, 0xef61a8e9
	v_mov_b32_e32 v15, 0x3f4cdf0c
	s_mov_b32 s13, 0xbf347f24
	v_mov_b32_e32 v16, 0x9c73e0ec
	v_mov_b32_e32 v17, 0xbf41a610
	s_mov_b32 s14, 0xb3e914d7
	v_fma_f64 v[14:15], v[10:11], s[12:13], v[14:15]
	s_mov_b32 s12, 0xe8c2d3f4
	s_mov_b32 s13, 0x3f35fd3e
	v_fma_f64 v[16:17], v[10:11], s[12:13], v[16:17]
	s_mov_b32 s15, 0xbf6e2eff
	s_mov_b32 s12, 0x6c0ebbf7
	v_mov_b32_e32 v12, 0xbf2d1af1
	v_mov_b32_e32 v13, 0xbf56fe8e
	v_fma_f64 v[14:15], v[10:11], v[14:15], s[14:15]
	s_mov_b32 s14, 0x2e15c915
	s_mov_b32 s15, 0x3f6282d3
	v_fma_f64 v[16:17], v[10:11], v[16:17], s[14:15]
	s_mov_b32 s13, 0x3f34af6d
	v_fma_f64 v[12:13], v[10:11], s[12:13], v[12:13]
	s_mov_b32 s14, 0x970af9ec
	s_mov_b32 s15, 0x3f9266e7
	v_fma_f64 v[14:15], v[10:11], v[14:15], s[14:15]
	s_mov_b32 s14, 0xba91ec6a
	;; [unrolled: 3-line block ×7, first 2 shown]
	s_mov_b32 s13, 0x3fdef72b
	v_fma_f64 v[6:7], v[6:7], v[16:17], v[14:15]
	v_fma_f64 v[12:13], v[10:11], v[12:13], s[12:13]
	s_mov_b32 s12, 0xa48a971f
	s_mov_b32 s13, 0xbc50c7ca
	v_fma_f64 v[6:7], v[10:11], -v[6:7], s[12:13]
	s_mov_b32 s12, 0xbcc38a42
	s_mov_b32 s13, 0xbfbf19b9
	v_fma_f64 v[6:7], v[8:9], v[12:13], -v[6:7]
	v_add_f64 v[10:11], v[6:7], s[12:13]
.LBB129_23:
	s_or_b64 exec, exec, s[6:7]
.LBB129_24:
	s_or_b64 exec, exec, s[4:5]
	v_add_f64 v[4:5], v[4:5], v[10:11]
.LBB129_25:
	s_or_b64 exec, exec, s[10:11]
.LBB129_26:
	s_andn2_saveexec_b64 s[6:7], s[8:9]
	s_cbranch_execz .LBB129_28
; %bb.27:
	v_frexp_mant_f64_e64 v[4:5], |v[0:1]|
	s_mov_b32 s5, 0x3fe55555
	s_mov_b32 s4, 0x55555555
	;; [unrolled: 1-line block ×6, first 2 shown]
	v_cmp_gt_f64_e32 vcc, s[4:5], v[4:5]
	s_mov_b32 s4, 0x55555780
	v_cndmask_b32_e64 v2, 0, 1, vcc
	v_ldexp_f64 v[4:5], v[4:5], v2
	v_frexp_exp_i32_f64_e32 v2, v[0:1]
	v_add_f64 v[6:7], v[4:5], 1.0
	v_add_f64 v[12:13], v[4:5], -1.0
	v_subbrev_co_u32_e32 v2, vcc, 0, v2, vcc
	v_cmp_neq_f64_e64 vcc, |v[0:1]|, s[10:11]
	v_rcp_f64_e32 v[8:9], v[6:7]
	v_add_f64 v[14:15], v[6:7], -1.0
	v_add_f64 v[4:5], v[4:5], -v[14:15]
	v_fma_f64 v[10:11], -v[6:7], v[8:9], 1.0
	v_fma_f64 v[8:9], v[10:11], v[8:9], v[8:9]
	v_fma_f64 v[10:11], -v[6:7], v[8:9], 1.0
	v_fma_f64 v[8:9], v[10:11], v[8:9], v[8:9]
	v_mul_f64 v[10:11], v[12:13], v[8:9]
	v_mul_f64 v[16:17], v[6:7], v[10:11]
	v_fma_f64 v[6:7], v[10:11], v[6:7], -v[16:17]
	v_fma_f64 v[4:5], v[10:11], v[4:5], v[6:7]
	v_add_f64 v[6:7], v[16:17], v[4:5]
	v_add_f64 v[14:15], v[12:13], -v[6:7]
	v_add_f64 v[16:17], v[6:7], -v[16:17]
	;; [unrolled: 1-line block ×5, first 2 shown]
	v_mov_b32_e32 v12, 0x6b47b09a
	v_mov_b32_e32 v13, 0x3fc38538
	v_add_f64 v[4:5], v[4:5], v[6:7]
	v_add_f64 v[4:5], v[14:15], v[4:5]
	v_mul_f64 v[4:5], v[8:9], v[4:5]
	v_add_f64 v[6:7], v[10:11], v[4:5]
	v_mul_f64 v[8:9], v[6:7], v[6:7]
	v_fma_f64 v[12:13], v[8:9], s[8:9], v[12:13]
	s_mov_b32 s8, 0xd7f4df2e
	s_mov_b32 s9, 0x3fc7474d
	v_mul_f64 v[14:15], v[6:7], v[8:9]
	v_fma_f64 v[12:13], v[8:9], v[12:13], s[8:9]
	s_mov_b32 s8, 0x16291751
	s_mov_b32 s9, 0x3fcc71c0
	v_fma_f64 v[12:13], v[8:9], v[12:13], s[8:9]
	s_mov_b32 s8, 0x9b27acf1
	s_mov_b32 s9, 0x3fd24924
	;; [unrolled: 3-line block ×4, first 2 shown]
	v_fma_f64 v[8:9], v[8:9], v[12:13], s[4:5]
	v_ldexp_f64 v[12:13], v[6:7], 1
	v_add_f64 v[6:7], v[6:7], -v[10:11]
	s_mov_b32 s4, 0xfefa39ef
	s_mov_b32 s5, 0x3fe62e42
	v_mul_f64 v[8:9], v[14:15], v[8:9]
	v_cvt_f64_i32_e32 v[14:15], v2
	v_add_f64 v[4:5], v[4:5], -v[6:7]
	v_mov_b32_e32 v2, 0xfff00000
	v_mul_f64 v[16:17], v[14:15], s[4:5]
	v_add_f64 v[10:11], v[12:13], v[8:9]
	v_ldexp_f64 v[4:5], v[4:5], 1
	v_add_f64 v[6:7], v[10:11], -v[12:13]
	v_fma_f64 v[12:13], v[14:15], s[4:5], -v[16:17]
	s_mov_b32 s4, 0x3b39803f
	s_mov_b32 s5, 0x3c7abc9e
	v_add_f64 v[6:7], v[8:9], -v[6:7]
	v_fma_f64 v[8:9], v[14:15], s[4:5], v[12:13]
	s_mov_b32 s4, 0x17aa6149
	s_mov_b32 s5, 0xbfca8b9c
	v_add_f64 v[4:5], v[4:5], v[6:7]
	v_add_f64 v[6:7], v[16:17], v[8:9]
	;; [unrolled: 1-line block ×3, first 2 shown]
	v_add_f64 v[16:17], v[6:7], -v[16:17]
	v_add_f64 v[14:15], v[6:7], v[12:13]
	v_add_f64 v[10:11], v[12:13], -v[10:11]
	v_add_f64 v[8:9], v[8:9], -v[16:17]
	;; [unrolled: 1-line block ×6, first 2 shown]
	v_add_f64 v[12:13], v[8:9], v[4:5]
	v_add_f64 v[6:7], v[6:7], -v[20:21]
	v_add_f64 v[6:7], v[10:11], v[6:7]
	v_add_f64 v[10:11], v[12:13], -v[8:9]
	;; [unrolled: 2-line block ×3, first 2 shown]
	v_add_f64 v[4:5], v[4:5], -v[10:11]
	v_add_f64 v[16:17], v[14:15], v[6:7]
	v_add_f64 v[8:9], v[8:9], -v[12:13]
	v_add_f64 v[10:11], v[16:17], -v[14:15]
	v_add_f64 v[4:5], v[4:5], v[8:9]
	v_mov_b32_e32 v8, 0x2ac7d848
	v_mov_b32_e32 v9, 0x3fd15132
	v_fma_f64 v[8:9], |v[0:1]|, s[4:5], v[8:9]
	s_mov_b32 s4, 0x5beab2d7
	s_mov_b32 s5, 0xbfd9a4d5
	v_add_f64 v[6:7], v[6:7], -v[10:11]
	v_add_f64 v[4:5], v[4:5], v[6:7]
	v_fma_f64 v[6:7], |v[0:1]|, v[8:9], s[4:5]
	s_mov_b32 s4, 0x625307d3
	s_mov_b32 s5, 0x3fea51a6
	v_mov_b32_e32 v8, 0x7ff00000
	v_add_f64 v[4:5], v[16:17], v[4:5]
	v_fma_f64 v[6:7], |v[0:1]|, v[6:7], s[4:5]
	v_cmp_neq_f64_e64 s[4:5], 0, v[0:1]
	v_xor_b32_e32 v5, 0x80000000, v5
	v_cndmask_b32_e32 v2, v2, v5, vcc
	v_fma_f64 v[5:6], |v[0:1]|, v[6:7], s[8:9]
	s_and_b64 vcc, s[4:5], vcc
	v_cndmask_b32_e64 v8, v8, v2, s[4:5]
	v_cndmask_b32_e32 v7, 0, v4, vcc
	v_fma_f64 v[4:5], |v[0:1]|, v[5:6], v[7:8]
.LBB129_28:
	s_or_b64 exec, exec, s[6:7]
	v_cmp_le_f64_e32 vcc, 0, v[0:1]
	s_and_saveexec_b64 s[4:5], vcc
	s_xor_b64 s[6:7], exec, s[4:5]
	s_cbranch_execz .LBB129_30
; %bb.29:
	v_cmp_eq_f64_e32 vcc, 1.0, v[0:1]
	v_cmp_eq_f64_e64 s[4:5], 2.0, v[0:1]
	s_or_b64 s[4:5], vcc, s[4:5]
	v_cndmask_b32_e64 v5, v5, 0, s[4:5]
	v_cndmask_b32_e64 v4, v4, 0, s[4:5]
.LBB129_30:
	s_andn2_saveexec_b64 s[6:7], s[6:7]
	s_cbranch_execz .LBB129_34
; %bb.31:
	v_add_u32_e32 v2, 0xc32fffff, v3
	s_mov_b32 s4, 0x65fffff
	v_cmp_gt_u32_e32 vcc, s4, v2
	s_and_saveexec_b64 s[8:9], vcc
	s_cbranch_execz .LBB129_33
; %bb.32:
	v_mul_f64 v[6:7], |v[0:1]|, 0.5
	s_mov_b32 s4, 0
	s_mov_b32 s5, 0x7ff00000
	v_and_b32_e32 v2, 0x7fffffff, v1
	s_mov_b32 s10, 0x2e21c33
	v_mov_b32_e32 v10, 0x6fdffd2b
	v_mov_b32_e32 v11, 0xbf7e2fe7
	;; [unrolled: 1-line block ×3, first 2 shown]
	v_fract_f64_e32 v[8:9], v[6:7]
	v_cmp_neq_f64_e64 vcc, |v[6:7]|, s[4:5]
	s_mov_b32 s4, 0xf99eb0bb
	s_mov_b32 s5, 0x3f3e357e
	v_mov_b32_e32 v15, 0x3f5f9c89
	s_mov_b32 s11, 0xbf1b1673
	v_add_f64 v[8:9], v[8:9], v[8:9]
	v_cndmask_b32_e32 v6, 0, v8, vcc
	v_cndmask_b32_e32 v7, 0, v9, vcc
	v_cmp_gt_f64_e64 vcc, |v[0:1]|, 1.0
	v_cndmask_b32_e32 v7, v2, v7, vcc
	v_cndmask_b32_e32 v6, v0, v6, vcc
	v_add_f64 v[8:9], v[6:7], v[6:7]
	v_rndne_f64_e32 v[8:9], v[8:9]
	v_fma_f64 v[6:7], v[8:9], -0.5, v[6:7]
	v_cvt_i32_f64_e32 v2, v[8:9]
	v_and_b32_e32 v8, 1, v2
	v_lshlrev_b32_e32 v2, 30, v2
	v_cmp_eq_u32_e32 vcc, 0, v8
	v_mul_f64 v[12:13], v[6:7], v[6:7]
	v_xor_b32_e32 v2, v2, v1
	v_and_b32_e32 v2, 0x80000000, v2
	v_mov_b32_e32 v8, 0x7ff80000
	v_fma_f64 v[10:11], v[12:13], s[4:5], v[10:11]
	v_fma_f64 v[14:15], v[12:13], s[10:11], v[14:15]
	s_mov_b32 s4, 0xd5f14825
	s_mov_b32 s10, 0x7294bff9
	;; [unrolled: 1-line block ×4, first 2 shown]
	v_mul_f64 v[16:17], v[6:7], v[12:13]
	v_fma_f64 v[10:11], v[12:13], v[10:11], s[4:5]
	v_fma_f64 v[14:15], v[12:13], v[14:15], s[10:11]
	s_mov_b32 s4, 0xcdfe9424
	s_mov_b32 s10, 0x67b90b37
	s_mov_b32 s5, 0xbfe32d2c
	s_mov_b32 s11, 0x3fce1f50
	v_fma_f64 v[10:11], v[12:13], v[10:11], s[4:5]
	v_fma_f64 v[14:15], v[12:13], v[14:15], s[10:11]
	s_mov_b32 s4, 0x67754fff
	s_mov_b32 s10, 0x7e3c325b
	s_mov_b32 s5, 0x400466bc
	s_mov_b32 s11, 0xbff55d3c
	;; [unrolled: 6-line block ×4, first 2 shown]
	v_mul_f64 v[10:11], v[16:17], v[10:11]
	v_fma_f64 v[14:15], v[12:13], v[14:15], s[4:5]
	s_movk_i32 s4, 0x1f8
	v_cmp_class_f64_e64 s[4:5], v[0:1], s4
	v_fma_f64 v[6:7], v[6:7], s[10:11], v[10:11]
	v_fma_f64 v[10:11], v[12:13], v[14:15], 1.0
	v_cndmask_b32_e32 v7, v11, v7, vcc
	v_cndmask_b32_e32 v6, v10, v6, vcc
	v_xor_b32_e32 v2, v7, v2
	v_cndmask_b32_e64 v6, 0, v6, s[4:5]
	v_cndmask_b32_e64 v7, v8, v2, s[4:5]
	v_mul_f64 v[6:7], v[0:1], v[6:7]
	v_and_b32_e32 v9, 0x7fffffff, v7
	v_mov_b32_e32 v8, v6
	v_div_scale_f64 v[10:11], s[4:5], v[8:9], v[8:9], s[10:11]
	v_div_scale_f64 v[8:9], vcc, s[10:11], v[8:9], s[10:11]
	s_mov_b32 s5, 0x3fe55555
	s_mov_b32 s4, 0x55555555
	v_rcp_f64_e32 v[12:13], v[10:11]
	v_fma_f64 v[14:15], -v[10:11], v[12:13], 1.0
	v_fma_f64 v[12:13], v[12:13], v[14:15], v[12:13]
	v_fma_f64 v[14:15], -v[10:11], v[12:13], 1.0
	v_fma_f64 v[12:13], v[12:13], v[14:15], v[12:13]
	v_mul_f64 v[14:15], v[8:9], v[12:13]
	v_fma_f64 v[8:9], -v[10:11], v[14:15], v[8:9]
	v_div_fmas_f64 v[8:9], v[8:9], v[12:13], v[14:15]
	v_div_fixup_f64 v[6:7], v[8:9], |v[6:7]|, s[10:11]
	s_mov_b32 s10, 0xbf559e2b
	s_mov_b32 s11, 0x3fc3ab76
	v_frexp_mant_f64_e32 v[8:9], v[6:7]
	v_cmp_gt_f64_e32 vcc, s[4:5], v[8:9]
	s_mov_b32 s4, 0x55555780
	v_cndmask_b32_e64 v2, 0, 1, vcc
	v_ldexp_f64 v[8:9], v[8:9], v2
	v_frexp_exp_i32_f64_e32 v2, v[6:7]
	v_add_f64 v[10:11], v[8:9], 1.0
	v_add_f64 v[16:17], v[8:9], -1.0
	v_subbrev_co_u32_e32 v2, vcc, 0, v2, vcc
	v_rcp_f64_e32 v[12:13], v[10:11]
	v_add_f64 v[18:19], v[10:11], -1.0
	v_add_f64 v[8:9], v[8:9], -v[18:19]
	v_fma_f64 v[14:15], -v[10:11], v[12:13], 1.0
	v_fma_f64 v[12:13], v[14:15], v[12:13], v[12:13]
	v_fma_f64 v[14:15], -v[10:11], v[12:13], 1.0
	v_fma_f64 v[12:13], v[14:15], v[12:13], v[12:13]
	v_mul_f64 v[14:15], v[16:17], v[12:13]
	v_mul_f64 v[20:21], v[10:11], v[14:15]
	v_fma_f64 v[10:11], v[14:15], v[10:11], -v[20:21]
	v_fma_f64 v[8:9], v[14:15], v[8:9], v[10:11]
	v_add_f64 v[10:11], v[20:21], v[8:9]
	v_add_f64 v[18:19], v[16:17], -v[10:11]
	v_add_f64 v[20:21], v[10:11], -v[20:21]
	v_add_f64 v[16:17], v[16:17], -v[18:19]
	v_add_f64 v[8:9], v[20:21], -v[8:9]
	v_add_f64 v[10:11], v[16:17], -v[10:11]
	v_mov_b32_e32 v16, 0x6b47b09a
	v_mov_b32_e32 v17, 0x3fc38538
	v_add_f64 v[8:9], v[8:9], v[10:11]
	v_add_f64 v[8:9], v[18:19], v[8:9]
	v_mul_f64 v[8:9], v[12:13], v[8:9]
	v_add_f64 v[10:11], v[14:15], v[8:9]
	v_mul_f64 v[12:13], v[10:11], v[10:11]
	v_fma_f64 v[16:17], v[12:13], s[10:11], v[16:17]
	s_mov_b32 s10, 0xd7f4df2e
	s_mov_b32 s11, 0x3fc7474d
	v_mul_f64 v[18:19], v[10:11], v[12:13]
	v_fma_f64 v[16:17], v[12:13], v[16:17], s[10:11]
	s_mov_b32 s10, 0x16291751
	s_mov_b32 s11, 0x3fcc71c0
	v_fma_f64 v[16:17], v[12:13], v[16:17], s[10:11]
	s_mov_b32 s10, 0x9b27acf1
	s_mov_b32 s11, 0x3fd24924
	;; [unrolled: 3-line block ×3, first 2 shown]
	v_fma_f64 v[16:17], v[12:13], v[16:17], s[10:11]
	v_fma_f64 v[12:13], v[12:13], v[16:17], s[4:5]
	v_ldexp_f64 v[16:17], v[10:11], 1
	v_add_f64 v[10:11], v[10:11], -v[14:15]
	s_mov_b32 s4, 0xfefa39ef
	s_mov_b32 s5, 0x3fe62e42
	v_mul_f64 v[12:13], v[18:19], v[12:13]
	v_cvt_f64_i32_e32 v[18:19], v2
	v_add_f64 v[8:9], v[8:9], -v[10:11]
	v_mov_b32_e32 v2, 0xfff00000
	v_mul_f64 v[20:21], v[18:19], s[4:5]
	v_add_f64 v[14:15], v[16:17], v[12:13]
	v_ldexp_f64 v[8:9], v[8:9], 1
	v_add_f64 v[10:11], v[14:15], -v[16:17]
	v_fma_f64 v[16:17], v[18:19], s[4:5], -v[20:21]
	s_mov_b32 s4, 0x3b39803f
	s_mov_b32 s5, 0x3c7abc9e
	v_add_f64 v[10:11], v[12:13], -v[10:11]
	v_fma_f64 v[12:13], v[18:19], s[4:5], v[16:17]
	s_movk_i32 s4, 0x204
	v_cmp_class_f64_e64 vcc, v[6:7], s4
	v_cmp_class_f64_e64 s[10:11], v[0:1], s4
	v_add_f64 v[8:9], v[8:9], v[10:11]
	v_add_f64 v[10:11], v[20:21], v[12:13]
	;; [unrolled: 1-line block ×3, first 2 shown]
	v_add_f64 v[18:19], v[10:11], -v[20:21]
	v_add_f64 v[20:21], v[10:11], v[16:17]
	v_add_f64 v[12:13], v[12:13], -v[18:19]
	v_add_f64 v[14:15], v[16:17], -v[14:15]
	;; [unrolled: 1-line block ×7, first 2 shown]
	v_add_f64 v[14:15], v[12:13], v[8:9]
	v_add_f64 v[10:11], v[16:17], v[10:11]
	v_add_f64 v[16:17], v[14:15], -v[12:13]
	v_add_f64 v[10:11], v[14:15], v[10:11]
	v_add_f64 v[14:15], v[14:15], -v[16:17]
	v_add_f64 v[8:9], v[8:9], -v[16:17]
	v_add_f64 v[18:19], v[20:21], v[10:11]
	v_add_f64 v[12:13], v[12:13], -v[14:15]
	;; [unrolled: 3-line block ×3, first 2 shown]
	v_add_f64 v[8:9], v[8:9], v[10:11]
	v_fract_f64_e32 v[10:11], v[0:1]
	v_add_f64 v[8:9], v[18:19], v[8:9]
	v_cmp_eq_f64_e64 s[4:5], 0, v[10:11]
	v_cndmask_b32_e32 v8, v8, v6, vcc
	v_cndmask_b32_e32 v9, v9, v7, vcc
	v_cmp_neq_f64_e32 vcc, 0, v[6:7]
	v_cndmask_b32_e32 v7, v2, v9, vcc
	v_cndmask_b32_e32 v6, 0, v8, vcc
	v_add_f64 v[4:5], v[6:7], -v[4:5]
	v_mov_b32_e32 v2, 0x7ff00000
	s_or_b64 vcc, s[10:11], s[4:5]
	v_cndmask_b32_e32 v5, v5, v2, vcc
	v_cndmask_b32_e64 v4, v4, 0, vcc
.LBB129_33:
	s_or_b64 exec, exec, s[8:9]
.LBB129_34:
	s_or_b64 exec, exec, s[6:7]
	v_mov_b32_e32 v2, 0x264
	v_cmp_gt_f64_e32 vcc, 0, v[0:1]
	v_cmp_class_f64_e64 s[4:5], v[0:1], v2
	s_mov_b32 s6, 0x432fffff
	v_cmp_lt_u32_e64 s[6:7], s6, v3
	v_mov_b32_e32 v2, 0x7ff00000
	s_and_b64 s[6:7], vcc, s[6:7]
	s_or_b64 vcc, s[4:5], s[6:7]
	v_cndmask_b32_e32 v2, v5, v2, vcc
	v_cndmask_b32_e64 v3, v4, 0, vcc
	v_cmp_u_f64_e32 vcc, v[0:1], v[0:1]
	v_cndmask_b32_e32 v0, v3, v0, vcc
	v_cndmask_b32_e32 v1, v2, v1, vcc
	s_setpc_b64 s[30:31]
.Lfunc_end129:
	.size	_ZN2at6native6invokeIZZZNS0_18lgamma_kernel_cudaERNS_18TensorIteratorBaseEENKUlvE_clEvENKUlvE_clEvEUldE_j15function_traitsIS6_EEENT1_11result_typeERKT_PrKPcPKT0_i, .Lfunc_end129-_ZN2at6native6invokeIZZZNS0_18lgamma_kernel_cudaERNS_18TensorIteratorBaseEENKUlvE_clEvENKUlvE_clEvEUldE_j15function_traitsIS6_EEENT1_11result_typeERKT_PrKPcPKT0_i
                                        ; -- End function
	.set .L_ZN2at6native6invokeIZZZNS0_18lgamma_kernel_cudaERNS_18TensorIteratorBaseEENKUlvE_clEvENKUlvE_clEvEUldE_j15function_traitsIS6_EEENT1_11result_typeERKT_PrKPcPKT0_i.num_vgpr, 22
	.set .L_ZN2at6native6invokeIZZZNS0_18lgamma_kernel_cudaERNS_18TensorIteratorBaseEENKUlvE_clEvENKUlvE_clEvEUldE_j15function_traitsIS6_EEENT1_11result_typeERKT_PrKPcPKT0_i.num_agpr, 0
	.set .L_ZN2at6native6invokeIZZZNS0_18lgamma_kernel_cudaERNS_18TensorIteratorBaseEENKUlvE_clEvENKUlvE_clEvEUldE_j15function_traitsIS6_EEENT1_11result_typeERKT_PrKPcPKT0_i.numbered_sgpr, 32
	.set .L_ZN2at6native6invokeIZZZNS0_18lgamma_kernel_cudaERNS_18TensorIteratorBaseEENKUlvE_clEvENKUlvE_clEvEUldE_j15function_traitsIS6_EEENT1_11result_typeERKT_PrKPcPKT0_i.num_named_barrier, 0
	.set .L_ZN2at6native6invokeIZZZNS0_18lgamma_kernel_cudaERNS_18TensorIteratorBaseEENKUlvE_clEvENKUlvE_clEvEUldE_j15function_traitsIS6_EEENT1_11result_typeERKT_PrKPcPKT0_i.private_seg_size, 0
	.set .L_ZN2at6native6invokeIZZZNS0_18lgamma_kernel_cudaERNS_18TensorIteratorBaseEENKUlvE_clEvENKUlvE_clEvEUldE_j15function_traitsIS6_EEENT1_11result_typeERKT_PrKPcPKT0_i.uses_vcc, 1
	.set .L_ZN2at6native6invokeIZZZNS0_18lgamma_kernel_cudaERNS_18TensorIteratorBaseEENKUlvE_clEvENKUlvE_clEvEUldE_j15function_traitsIS6_EEENT1_11result_typeERKT_PrKPcPKT0_i.uses_flat_scratch, 0
	.set .L_ZN2at6native6invokeIZZZNS0_18lgamma_kernel_cudaERNS_18TensorIteratorBaseEENKUlvE_clEvENKUlvE_clEvEUldE_j15function_traitsIS6_EEENT1_11result_typeERKT_PrKPcPKT0_i.has_dyn_sized_stack, 0
	.set .L_ZN2at6native6invokeIZZZNS0_18lgamma_kernel_cudaERNS_18TensorIteratorBaseEENKUlvE_clEvENKUlvE_clEvEUldE_j15function_traitsIS6_EEENT1_11result_typeERKT_PrKPcPKT0_i.has_recursion, 0
	.set .L_ZN2at6native6invokeIZZZNS0_18lgamma_kernel_cudaERNS_18TensorIteratorBaseEENKUlvE_clEvENKUlvE_clEvEUldE_j15function_traitsIS6_EEENT1_11result_typeERKT_PrKPcPKT0_i.has_indirect_call, 0
	.section	.AMDGPU.csdata,"",@progbits
; Function info:
; codeLenInByte = 8152
; TotalNumSgprs: 36
; NumVgprs: 22
; ScratchSize: 0
; MemoryBound: 0
	.section	.text._ZN2at6native32elementwise_kernel_manual_unrollILi128ELi4EZNS0_22gpu_kernel_impl_nocastIZZZNS0_18lgamma_kernel_cudaERNS_18TensorIteratorBaseEENKUlvE_clEvENKUlvE_clEvEUldE_EEvS4_RKT_EUlibE_EEviT1_,"axG",@progbits,_ZN2at6native32elementwise_kernel_manual_unrollILi128ELi4EZNS0_22gpu_kernel_impl_nocastIZZZNS0_18lgamma_kernel_cudaERNS_18TensorIteratorBaseEENKUlvE_clEvENKUlvE_clEvEUldE_EEvS4_RKT_EUlibE_EEviT1_,comdat
	.globl	_ZN2at6native32elementwise_kernel_manual_unrollILi128ELi4EZNS0_22gpu_kernel_impl_nocastIZZZNS0_18lgamma_kernel_cudaERNS_18TensorIteratorBaseEENKUlvE_clEvENKUlvE_clEvEUldE_EEvS4_RKT_EUlibE_EEviT1_ ; -- Begin function _ZN2at6native32elementwise_kernel_manual_unrollILi128ELi4EZNS0_22gpu_kernel_impl_nocastIZZZNS0_18lgamma_kernel_cudaERNS_18TensorIteratorBaseEENKUlvE_clEvENKUlvE_clEvEUldE_EEvS4_RKT_EUlibE_EEviT1_
	.p2align	8
	.type	_ZN2at6native32elementwise_kernel_manual_unrollILi128ELi4EZNS0_22gpu_kernel_impl_nocastIZZZNS0_18lgamma_kernel_cudaERNS_18TensorIteratorBaseEENKUlvE_clEvENKUlvE_clEvEUldE_EEvS4_RKT_EUlibE_EEviT1_,@function
_ZN2at6native32elementwise_kernel_manual_unrollILi128ELi4EZNS0_22gpu_kernel_impl_nocastIZZZNS0_18lgamma_kernel_cudaERNS_18TensorIteratorBaseEENKUlvE_clEvENKUlvE_clEvEUldE_EEvS4_RKT_EUlibE_EEviT1_: ; @_ZN2at6native32elementwise_kernel_manual_unrollILi128ELi4EZNS0_22gpu_kernel_impl_nocastIZZZNS0_18lgamma_kernel_cudaERNS_18TensorIteratorBaseEENKUlvE_clEvENKUlvE_clEvEUldE_EEvS4_RKT_EUlibE_EEviT1_
; %bb.0:
	s_load_dword s59, s[4:5], 0x0
	s_load_dword s33, s[4:5], 0x8
	s_add_u32 s0, s0, s7
	s_addc_u32 s1, s1, 0
	s_add_u32 s34, s4, 8
	s_addc_u32 s35, s5, 0
	v_lshl_or_b32 v24, s6, 9, v0
	s_waitcnt lgkmcnt(0)
	s_add_i32 s58, s33, -1
	v_or_b32_e32 v0, 0x180, v24
	s_cmp_gt_u32 s58, 1
	v_cmp_le_i32_e32 vcc, s59, v0
	s_cselect_b64 s[40:41], -1, 0
	s_mov_b32 s32, 0
	s_and_saveexec_b64 s[4:5], vcc
	s_xor_b64 s[42:43], exec, s[4:5]
	s_cbranch_execz .LBB130_7
; %bb.1:
	s_load_dwordx4 s[36:39], s[34:35], 0x4
	s_load_dwordx2 s[44:45], s[34:35], 0x14
	s_load_dwordx4 s[24:27], s[34:35], 0xc4
	s_load_dwordx4 s[20:23], s[34:35], 0x148
	s_cmp_lg_u32 s33, 0
	s_cselect_b64 s[50:51], -1, 0
	s_add_u32 s48, s34, 0xc4
	s_addc_u32 s49, s35, 0
	s_min_u32 s60, s58, 15
	s_cmp_gt_u32 s33, 1
	s_cselect_b64 s[46:47], -1, 0
	v_cmp_gt_i32_e32 vcc, s59, v24
	s_and_saveexec_b64 s[52:53], vcc
	s_cbranch_execz .LBB130_14
; %bb.2:
	s_andn2_b64 vcc, exec, s[40:41]
	s_cbranch_vccnz .LBB130_21
; %bb.3:
	s_andn2_b64 vcc, exec, s[50:51]
	s_cbranch_vccnz .LBB130_73
; %bb.4:
	s_add_i32 s62, s60, 1
	s_cmp_eq_u32 s58, 2
	s_cbranch_scc1 .LBB130_75
; %bb.5:
	s_and_b32 s61, s62, 28
	v_mov_b32_e32 v2, 0
	s_mov_b32 s63, 0
	s_mov_b64 s[54:55], s[34:35]
	s_mov_b64 s[56:57], s[48:49]
	v_mov_b32_e32 v22, 0
	v_mov_b32_e32 v0, v24
.LBB130_6:                              ; =>This Inner Loop Header: Depth=1
	s_load_dwordx8 s[12:19], s[54:55], 0x4
	s_load_dwordx4 s[28:31], s[54:55], 0x24
	s_load_dwordx8 s[4:11], s[56:57], 0x0
	s_add_u32 s54, s54, 48
	s_addc_u32 s55, s55, 0
	s_waitcnt lgkmcnt(0)
	v_mul_hi_u32 v1, s13, v0
	s_add_i32 s63, s63, 4
	s_add_u32 s56, s56, 32
	s_addc_u32 s57, s57, 0
	v_add_u32_e32 v1, v0, v1
	v_lshrrev_b32_e32 v1, s14, v1
	v_mul_lo_u32 v3, v1, s12
	v_mul_hi_u32 v4, s16, v1
	s_cmp_lg_u32 s61, s63
	v_sub_u32_e32 v0, v0, v3
	v_add_u32_e32 v3, v1, v4
	v_mul_lo_u32 v4, v0, s4
	v_mul_lo_u32 v5, v0, s5
	v_lshrrev_b32_e32 v0, s17, v3
	v_mul_lo_u32 v3, v0, s15
	v_mul_hi_u32 v6, s19, v0
	v_sub_u32_e32 v1, v1, v3
	v_add_u32_e32 v3, v0, v6
	v_lshrrev_b32_e32 v3, s28, v3
	v_mul_hi_u32 v7, s30, v3
	v_mul_lo_u32 v8, v3, s18
	v_mul_lo_u32 v6, v1, s6
	;; [unrolled: 1-line block ×3, first 2 shown]
	v_sub_u32_e32 v8, v0, v8
	v_add_u32_e32 v0, v3, v7
	v_lshrrev_b32_e32 v0, s31, v0
	v_mul_lo_u32 v7, v0, s29
	v_mul_lo_u32 v9, v8, s8
	;; [unrolled: 1-line block ×3, first 2 shown]
	v_add3_u32 v4, v4, v22, v6
	v_sub_u32_e32 v3, v3, v7
	v_mul_lo_u32 v7, v3, s10
	v_mul_lo_u32 v3, v3, s11
	v_add3_u32 v1, v5, v2, v1
	v_add3_u32 v22, v9, v4, v7
	;; [unrolled: 1-line block ×3, first 2 shown]
	s_cbranch_scc1 .LBB130_6
	s_branch .LBB130_76
.LBB130_7:
	s_andn2_saveexec_b64 s[4:5], s[42:43]
	s_cbranch_execz .LBB130_101
.LBB130_8:
	v_cndmask_b32_e64 v1, 0, 1, s[40:41]
	v_cmp_ne_u32_e64 s[4:5], 1, v1
	s_andn2_b64 vcc, exec, s[40:41]
	s_cbranch_vccnz .LBB130_20
; %bb.9:
	s_cmp_lg_u32 s33, 0
	s_mov_b32 s30, 0
	s_cbranch_scc0 .LBB130_23
; %bb.10:
	s_min_u32 s31, s58, 15
	s_add_i32 s31, s31, 1
	s_cmp_eq_u32 s58, 2
	s_cbranch_scc1 .LBB130_24
; %bb.11:
	s_and_b32 s30, s31, 28
	s_add_u32 s6, s34, 0xc4
	s_addc_u32 s7, s35, 0
	v_mov_b32_e32 v2, 0
	s_waitcnt lgkmcnt(0)
	s_mov_b32 s36, 0
	s_mov_b64 s[28:29], s[34:35]
	v_mov_b32_e32 v29, 0
	v_mov_b32_e32 v1, v24
.LBB130_12:                             ; =>This Inner Loop Header: Depth=1
	s_load_dwordx8 s[16:23], s[28:29], 0x4
	s_load_dwordx4 s[24:27], s[28:29], 0x24
	s_load_dwordx8 s[8:15], s[6:7], 0x0
	s_add_u32 s28, s28, 48
	s_addc_u32 s29, s29, 0
	s_waitcnt lgkmcnt(0)
	v_mul_hi_u32 v3, s17, v1
	s_add_i32 s36, s36, 4
	s_add_u32 s6, s6, 32
	s_addc_u32 s7, s7, 0
	v_add_u32_e32 v3, v1, v3
	v_lshrrev_b32_e32 v3, s18, v3
	v_mul_lo_u32 v4, v3, s16
	v_mul_hi_u32 v5, s20, v3
	s_cmp_lg_u32 s30, s36
	v_sub_u32_e32 v1, v1, v4
	v_add_u32_e32 v4, v3, v5
	v_mul_lo_u32 v5, v1, s8
	v_mul_lo_u32 v6, v1, s9
	v_lshrrev_b32_e32 v1, s21, v4
	v_mul_lo_u32 v4, v1, s19
	v_mul_hi_u32 v7, s23, v1
	v_sub_u32_e32 v3, v3, v4
	v_add_u32_e32 v4, v1, v7
	v_lshrrev_b32_e32 v4, s24, v4
	v_mul_hi_u32 v8, s26, v4
	v_mul_lo_u32 v9, v4, s22
	v_mul_lo_u32 v7, v3, s10
	;; [unrolled: 1-line block ×3, first 2 shown]
	v_sub_u32_e32 v9, v1, v9
	v_add_u32_e32 v1, v4, v8
	v_lshrrev_b32_e32 v1, s27, v1
	v_mul_lo_u32 v8, v1, s25
	v_mul_lo_u32 v10, v9, s12
	;; [unrolled: 1-line block ×3, first 2 shown]
	v_add3_u32 v5, v5, v29, v7
	v_sub_u32_e32 v4, v4, v8
	v_mul_lo_u32 v8, v4, s14
	v_mul_lo_u32 v4, v4, s15
	v_add3_u32 v2, v6, v2, v3
	v_add3_u32 v29, v10, v5, v8
	;; [unrolled: 1-line block ×3, first 2 shown]
	s_cbranch_scc1 .LBB130_12
; %bb.13:
	s_and_b32 s10, s31, 3
	s_cmp_eq_u32 s10, 0
	s_cbranch_scc0 .LBB130_25
	s_branch .LBB130_27
.LBB130_14:
	s_or_b64 exec, exec, s[52:53]
	v_cmp_gt_i32_e32 vcc, s59, v24
	s_and_saveexec_b64 s[52:53], vcc
	s_cbranch_execz .LBB130_83
.LBB130_15:
	s_andn2_b64 vcc, exec, s[40:41]
	s_cbranch_vccnz .LBB130_22
; %bb.16:
	s_andn2_b64 vcc, exec, s[50:51]
	s_cbranch_vccnz .LBB130_74
; %bb.17:
	s_add_i32 s62, s60, 1
	s_cmp_eq_u32 s58, 2
	s_cbranch_scc1 .LBB130_91
; %bb.18:
	s_and_b32 s61, s62, 28
	v_mov_b32_e32 v2, 0
	s_mov_b32 s63, 0
	s_mov_b64 s[54:55], s[34:35]
	s_mov_b64 s[56:57], s[48:49]
	v_mov_b32_e32 v22, 0
	v_mov_b32_e32 v0, v24
.LBB130_19:                             ; =>This Inner Loop Header: Depth=1
	s_load_dwordx8 s[12:19], s[54:55], 0x4
	s_load_dwordx4 s[28:31], s[54:55], 0x24
	s_load_dwordx8 s[4:11], s[56:57], 0x0
	s_add_u32 s54, s54, 48
	s_addc_u32 s55, s55, 0
	s_waitcnt lgkmcnt(0)
	v_mul_hi_u32 v1, s13, v0
	s_add_i32 s63, s63, 4
	s_add_u32 s56, s56, 32
	s_addc_u32 s57, s57, 0
	v_add_u32_e32 v1, v0, v1
	v_lshrrev_b32_e32 v1, s14, v1
	v_mul_lo_u32 v3, v1, s12
	v_mul_hi_u32 v4, s16, v1
	s_cmp_eq_u32 s61, s63
	v_sub_u32_e32 v0, v0, v3
	v_add_u32_e32 v3, v1, v4
	v_mul_lo_u32 v4, v0, s4
	v_mul_lo_u32 v5, v0, s5
	v_lshrrev_b32_e32 v0, s17, v3
	v_mul_lo_u32 v3, v0, s15
	v_mul_hi_u32 v6, s19, v0
	v_sub_u32_e32 v1, v1, v3
	v_add_u32_e32 v3, v0, v6
	v_lshrrev_b32_e32 v3, s28, v3
	v_mul_hi_u32 v7, s30, v3
	v_mul_lo_u32 v8, v3, s18
	v_mul_lo_u32 v6, v1, s6
	;; [unrolled: 1-line block ×3, first 2 shown]
	v_sub_u32_e32 v8, v0, v8
	v_add_u32_e32 v0, v3, v7
	v_lshrrev_b32_e32 v0, s31, v0
	v_mul_lo_u32 v7, v0, s29
	v_mul_lo_u32 v9, v8, s8
	;; [unrolled: 1-line block ×3, first 2 shown]
	v_add3_u32 v4, v4, v22, v6
	v_sub_u32_e32 v3, v3, v7
	v_mul_lo_u32 v7, v3, s10
	v_mul_lo_u32 v3, v3, s11
	v_add3_u32 v1, v5, v2, v1
	v_add3_u32 v22, v9, v4, v7
	;; [unrolled: 1-line block ×3, first 2 shown]
	s_cbranch_scc0 .LBB130_19
	s_branch .LBB130_92
.LBB130_20:
                                        ; implicit-def: $vgpr29
                                        ; implicit-def: $vgpr2
	s_branch .LBB130_28
.LBB130_21:
                                        ; implicit-def: $vgpr22
                                        ; implicit-def: $vgpr2
	s_branch .LBB130_80
.LBB130_22:
                                        ; implicit-def: $vgpr22
                                        ; implicit-def: $vgpr2
	s_branch .LBB130_96
.LBB130_23:
	v_mov_b32_e32 v29, 0
	v_mov_b32_e32 v2, 0
	s_branch .LBB130_27
.LBB130_24:
	v_mov_b32_e32 v29, 0
	v_mov_b32_e32 v2, 0
	;; [unrolled: 1-line block ×3, first 2 shown]
	s_and_b32 s10, s31, 3
	s_cmp_eq_u32 s10, 0
	s_cbranch_scc1 .LBB130_27
.LBB130_25:
	s_lshl_b32 s6, s30, 3
	s_add_u32 s6, s34, s6
	s_addc_u32 s7, s35, 0
	s_add_u32 s6, s6, 0xc4
	s_addc_u32 s7, s7, 0
	s_mul_i32 s8, s30, 12
	s_add_u32 s8, s34, s8
	s_addc_u32 s9, s35, 0
.LBB130_26:                             ; =>This Inner Loop Header: Depth=1
	s_load_dwordx2 s[12:13], s[8:9], 0x4
	s_load_dword s11, s[8:9], 0xc
	s_load_dwordx2 s[14:15], s[6:7], 0x0
	s_add_u32 s8, s8, 12
	s_addc_u32 s9, s9, 0
	s_waitcnt lgkmcnt(0)
	v_mul_hi_u32 v3, s13, v1
	s_add_u32 s6, s6, 8
	s_addc_u32 s7, s7, 0
	s_add_i32 s10, s10, -1
	v_add_u32_e32 v3, v1, v3
	v_lshrrev_b32_e32 v4, s11, v3
	v_mul_lo_u32 v3, v4, s12
	s_cmp_lg_u32 s10, 0
	v_sub_u32_e32 v1, v1, v3
	v_mad_u64_u32 v[29:30], s[12:13], v1, s14, v[29:30]
	v_mad_u64_u32 v[2:3], s[12:13], v1, s15, v[2:3]
	v_mov_b32_e32 v1, v4
	s_cbranch_scc1 .LBB130_26
.LBB130_27:
	s_cbranch_execnz .LBB130_30
.LBB130_28:
	s_load_dwordx4 s[8:11], s[34:35], 0x4
	s_load_dwordx2 s[6:7], s[34:35], 0xc4
	s_cmp_lt_u32 s33, 2
	s_waitcnt lgkmcnt(0)
	v_mul_hi_u32 v1, s9, v24
	v_add_u32_e32 v1, v24, v1
	v_lshrrev_b32_e32 v1, s10, v1
	v_mul_lo_u32 v2, v1, s8
	v_sub_u32_e32 v2, v24, v2
	v_mul_lo_u32 v29, v2, s6
	v_mul_lo_u32 v2, v2, s7
	s_cbranch_scc1 .LBB130_30
; %bb.29:
	s_load_dwordx4 s[8:11], s[34:35], 0x10
	s_load_dwordx2 s[6:7], s[34:35], 0xcc
	s_waitcnt lgkmcnt(0)
	v_mul_hi_u32 v3, s9, v1
	v_add_u32_e32 v3, v1, v3
	v_lshrrev_b32_e32 v3, s10, v3
	v_mul_lo_u32 v3, v3, s8
	v_sub_u32_e32 v1, v1, v3
	v_mad_u64_u32 v[29:30], s[8:9], v1, s6, v[29:30]
	v_mad_u64_u32 v[2:3], s[6:7], v1, s7, v[2:3]
.LBB130_30:
	s_and_b64 vcc, exec, s[4:5]
	v_add_u32_e32 v1, 0x80, v24
	s_cbranch_vccnz .LBB130_36
; %bb.31:
	s_cmp_lg_u32 s33, 0
	s_mov_b32 s30, 0
	s_cbranch_scc0 .LBB130_37
; %bb.32:
	s_min_u32 s31, s58, 15
	s_add_i32 s31, s31, 1
	s_cmp_eq_u32 s58, 2
	s_cbranch_scc1 .LBB130_38
; %bb.33:
	s_and_b32 s30, s31, 28
	s_add_u32 s6, s34, 0xc4
	s_addc_u32 s7, s35, 0
	v_mov_b32_e32 v22, 0
	s_waitcnt lgkmcnt(0)
	s_mov_b32 s36, 0
	s_mov_b64 s[28:29], s[34:35]
	v_mov_b32_e32 v30, 0
	v_mov_b32_e32 v3, v1
.LBB130_34:                             ; =>This Inner Loop Header: Depth=1
	s_load_dwordx8 s[16:23], s[28:29], 0x4
	s_load_dwordx4 s[24:27], s[28:29], 0x24
	s_load_dwordx8 s[8:15], s[6:7], 0x0
	s_add_u32 s28, s28, 48
	s_addc_u32 s29, s29, 0
	s_waitcnt lgkmcnt(0)
	v_mul_hi_u32 v4, s17, v3
	s_add_i32 s36, s36, 4
	s_add_u32 s6, s6, 32
	s_addc_u32 s7, s7, 0
	v_add_u32_e32 v4, v3, v4
	v_lshrrev_b32_e32 v4, s18, v4
	v_mul_lo_u32 v5, v4, s16
	v_mul_hi_u32 v6, s20, v4
	s_cmp_lg_u32 s30, s36
	v_sub_u32_e32 v3, v3, v5
	v_add_u32_e32 v5, v4, v6
	v_mul_lo_u32 v6, v3, s8
	v_mul_lo_u32 v7, v3, s9
	v_lshrrev_b32_e32 v3, s21, v5
	v_mul_lo_u32 v5, v3, s19
	v_mul_hi_u32 v8, s23, v3
	v_sub_u32_e32 v4, v4, v5
	v_add_u32_e32 v5, v3, v8
	v_lshrrev_b32_e32 v5, s24, v5
	v_mul_hi_u32 v9, s26, v5
	v_mul_lo_u32 v10, v5, s22
	v_mul_lo_u32 v8, v4, s10
	;; [unrolled: 1-line block ×3, first 2 shown]
	v_sub_u32_e32 v10, v3, v10
	v_add_u32_e32 v3, v5, v9
	v_lshrrev_b32_e32 v3, s27, v3
	v_mul_lo_u32 v9, v3, s25
	v_mul_lo_u32 v11, v10, s12
	;; [unrolled: 1-line block ×3, first 2 shown]
	v_add3_u32 v6, v6, v30, v8
	v_sub_u32_e32 v5, v5, v9
	v_mul_lo_u32 v9, v5, s14
	v_mul_lo_u32 v5, v5, s15
	v_add3_u32 v4, v7, v22, v4
	v_add3_u32 v30, v11, v6, v9
	;; [unrolled: 1-line block ×3, first 2 shown]
	s_cbranch_scc1 .LBB130_34
; %bb.35:
	s_and_b32 s10, s31, 3
	s_cmp_eq_u32 s10, 0
	s_cbranch_scc0 .LBB130_39
	s_branch .LBB130_41
.LBB130_36:
                                        ; implicit-def: $vgpr30
                                        ; implicit-def: $vgpr22
	s_branch .LBB130_42
.LBB130_37:
	v_mov_b32_e32 v30, 0
	v_mov_b32_e32 v22, 0
	s_branch .LBB130_41
.LBB130_38:
	v_mov_b32_e32 v30, 0
	v_mov_b32_e32 v22, 0
	;; [unrolled: 1-line block ×3, first 2 shown]
	s_and_b32 s10, s31, 3
	s_cmp_eq_u32 s10, 0
	s_cbranch_scc1 .LBB130_41
.LBB130_39:
	s_lshl_b32 s6, s30, 3
	s_add_u32 s6, s34, s6
	s_addc_u32 s7, s35, 0
	s_add_u32 s6, s6, 0xc4
	s_addc_u32 s7, s7, 0
	s_mul_i32 s8, s30, 12
	s_add_u32 s8, s34, s8
	s_addc_u32 s9, s35, 0
.LBB130_40:                             ; =>This Inner Loop Header: Depth=1
	s_load_dwordx2 s[12:13], s[8:9], 0x4
	s_load_dword s11, s[8:9], 0xc
	s_load_dwordx2 s[14:15], s[6:7], 0x0
	s_add_u32 s8, s8, 12
	s_addc_u32 s9, s9, 0
	s_waitcnt lgkmcnt(0)
	v_mul_hi_u32 v4, s13, v3
	s_add_u32 s6, s6, 8
	s_addc_u32 s7, s7, 0
	s_add_i32 s10, s10, -1
	v_add_u32_e32 v4, v3, v4
	v_lshrrev_b32_e32 v4, s11, v4
	v_mul_lo_u32 v5, v4, s12
	s_cmp_lg_u32 s10, 0
	v_sub_u32_e32 v3, v3, v5
	v_mad_u64_u32 v[30:31], s[12:13], v3, s14, v[30:31]
	v_mad_u64_u32 v[22:23], s[12:13], v3, s15, v[22:23]
	v_mov_b32_e32 v3, v4
	s_cbranch_scc1 .LBB130_40
.LBB130_41:
	s_cbranch_execnz .LBB130_44
.LBB130_42:
	s_load_dwordx4 s[8:11], s[34:35], 0x4
	s_load_dwordx2 s[6:7], s[34:35], 0xc4
	s_cmp_lt_u32 s33, 2
	s_waitcnt lgkmcnt(0)
	v_mul_hi_u32 v3, s9, v1
	v_add_u32_e32 v3, v1, v3
	v_lshrrev_b32_e32 v3, s10, v3
	v_mul_lo_u32 v4, v3, s8
	v_sub_u32_e32 v1, v1, v4
	v_mul_lo_u32 v30, v1, s6
	v_mul_lo_u32 v22, v1, s7
	s_cbranch_scc1 .LBB130_44
; %bb.43:
	s_load_dwordx4 s[8:11], s[34:35], 0x10
	s_load_dwordx2 s[6:7], s[34:35], 0xcc
	s_waitcnt lgkmcnt(0)
	v_mul_hi_u32 v1, s9, v3
	v_add_u32_e32 v1, v3, v1
	v_lshrrev_b32_e32 v1, s10, v1
	v_mul_lo_u32 v1, v1, s8
	v_sub_u32_e32 v1, v3, v1
	v_mad_u64_u32 v[30:31], s[8:9], v1, s6, v[30:31]
	v_mad_u64_u32 v[22:23], s[6:7], v1, s7, v[22:23]
.LBB130_44:
	s_and_b64 vcc, exec, s[4:5]
	v_add_u32_e32 v1, 0x100, v24
	s_cbranch_vccnz .LBB130_50
; %bb.45:
	s_cmp_lg_u32 s33, 0
	s_mov_b32 s30, 0
	s_cbranch_scc0 .LBB130_51
; %bb.46:
	s_min_u32 s31, s58, 15
	s_add_i32 s31, s31, 1
	s_cmp_eq_u32 s58, 2
	s_cbranch_scc1 .LBB130_52
; %bb.47:
	s_and_b32 s30, s31, 28
	s_add_u32 s6, s34, 0xc4
	s_addc_u32 s7, s35, 0
	v_mov_b32_e32 v23, 0
	s_waitcnt lgkmcnt(0)
	s_mov_b32 s36, 0
	s_mov_b64 s[28:29], s[34:35]
	v_mov_b32_e32 v31, 0
	v_mov_b32_e32 v3, v1
.LBB130_48:                             ; =>This Inner Loop Header: Depth=1
	s_load_dwordx8 s[16:23], s[28:29], 0x4
	s_load_dwordx4 s[24:27], s[28:29], 0x24
	s_load_dwordx8 s[8:15], s[6:7], 0x0
	s_add_u32 s28, s28, 48
	s_addc_u32 s29, s29, 0
	s_waitcnt lgkmcnt(0)
	v_mul_hi_u32 v4, s17, v3
	s_add_i32 s36, s36, 4
	s_add_u32 s6, s6, 32
	s_addc_u32 s7, s7, 0
	v_add_u32_e32 v4, v3, v4
	v_lshrrev_b32_e32 v4, s18, v4
	v_mul_lo_u32 v5, v4, s16
	v_mul_hi_u32 v6, s20, v4
	s_cmp_lg_u32 s30, s36
	v_sub_u32_e32 v3, v3, v5
	v_add_u32_e32 v5, v4, v6
	v_mul_lo_u32 v6, v3, s8
	v_mul_lo_u32 v7, v3, s9
	v_lshrrev_b32_e32 v3, s21, v5
	v_mul_lo_u32 v5, v3, s19
	v_mul_hi_u32 v8, s23, v3
	v_sub_u32_e32 v4, v4, v5
	v_add_u32_e32 v5, v3, v8
	v_lshrrev_b32_e32 v5, s24, v5
	v_mul_hi_u32 v9, s26, v5
	v_mul_lo_u32 v10, v5, s22
	v_mul_lo_u32 v8, v4, s10
	;; [unrolled: 1-line block ×3, first 2 shown]
	v_sub_u32_e32 v10, v3, v10
	v_add_u32_e32 v3, v5, v9
	v_lshrrev_b32_e32 v3, s27, v3
	v_mul_lo_u32 v9, v3, s25
	v_mul_lo_u32 v11, v10, s12
	;; [unrolled: 1-line block ×3, first 2 shown]
	v_add3_u32 v6, v6, v31, v8
	v_sub_u32_e32 v5, v5, v9
	v_mul_lo_u32 v9, v5, s14
	v_mul_lo_u32 v5, v5, s15
	v_add3_u32 v4, v7, v23, v4
	v_add3_u32 v31, v11, v6, v9
	;; [unrolled: 1-line block ×3, first 2 shown]
	s_cbranch_scc1 .LBB130_48
; %bb.49:
	s_and_b32 s10, s31, 3
	s_cmp_eq_u32 s10, 0
	s_cbranch_scc0 .LBB130_53
	s_branch .LBB130_55
.LBB130_50:
                                        ; implicit-def: $vgpr31
                                        ; implicit-def: $vgpr23
	s_branch .LBB130_56
.LBB130_51:
	v_mov_b32_e32 v31, 0
	v_mov_b32_e32 v23, 0
	s_branch .LBB130_55
.LBB130_52:
	v_mov_b32_e32 v31, 0
	v_mov_b32_e32 v23, 0
	;; [unrolled: 1-line block ×3, first 2 shown]
	s_and_b32 s10, s31, 3
	s_cmp_eq_u32 s10, 0
	s_cbranch_scc1 .LBB130_55
.LBB130_53:
	s_lshl_b32 s6, s30, 3
	s_add_u32 s6, s34, s6
	s_addc_u32 s7, s35, 0
	s_add_u32 s6, s6, 0xc4
	s_addc_u32 s7, s7, 0
	s_mul_i32 s8, s30, 12
	s_add_u32 s8, s34, s8
	s_addc_u32 s9, s35, 0
.LBB130_54:                             ; =>This Inner Loop Header: Depth=1
	s_load_dwordx2 s[12:13], s[8:9], 0x4
	s_load_dword s11, s[8:9], 0xc
	s_load_dwordx2 s[14:15], s[6:7], 0x0
	s_add_u32 s8, s8, 12
	s_addc_u32 s9, s9, 0
	s_waitcnt lgkmcnt(0)
	v_mul_hi_u32 v4, s13, v3
	s_add_u32 s6, s6, 8
	s_addc_u32 s7, s7, 0
	s_add_i32 s10, s10, -1
	v_add_u32_e32 v4, v3, v4
	v_lshrrev_b32_e32 v4, s11, v4
	v_mul_lo_u32 v5, v4, s12
	s_cmp_lg_u32 s10, 0
	v_sub_u32_e32 v3, v3, v5
	v_mad_u64_u32 v[31:32], s[12:13], v3, s14, v[31:32]
	v_mad_u64_u32 v[23:24], s[12:13], v3, s15, v[23:24]
	v_mov_b32_e32 v3, v4
	s_cbranch_scc1 .LBB130_54
.LBB130_55:
	s_cbranch_execnz .LBB130_58
.LBB130_56:
	s_load_dwordx4 s[8:11], s[34:35], 0x4
	s_load_dwordx2 s[6:7], s[34:35], 0xc4
	s_cmp_lt_u32 s33, 2
	s_waitcnt lgkmcnt(0)
	v_mul_hi_u32 v3, s9, v1
	v_add_u32_e32 v3, v1, v3
	v_lshrrev_b32_e32 v3, s10, v3
	v_mul_lo_u32 v4, v3, s8
	v_sub_u32_e32 v1, v1, v4
	v_mul_lo_u32 v31, v1, s6
	v_mul_lo_u32 v23, v1, s7
	s_cbranch_scc1 .LBB130_58
; %bb.57:
	s_load_dwordx4 s[8:11], s[34:35], 0x10
	s_load_dwordx2 s[6:7], s[34:35], 0xcc
	s_waitcnt lgkmcnt(0)
	v_mul_hi_u32 v1, s9, v3
	v_add_u32_e32 v1, v3, v1
	v_lshrrev_b32_e32 v1, s10, v1
	v_mul_lo_u32 v1, v1, s8
	v_sub_u32_e32 v1, v3, v1
	v_mad_u64_u32 v[31:32], s[8:9], v1, s6, v[31:32]
	v_mad_u64_u32 v[23:24], s[6:7], v1, s7, v[23:24]
.LBB130_58:
	s_and_b64 vcc, exec, s[4:5]
	s_cbranch_vccnz .LBB130_64
; %bb.59:
	s_cmp_lg_u32 s33, 0
	s_mov_b32 s28, 0
	s_cbranch_scc0 .LBB130_65
; %bb.60:
	s_min_u32 s29, s58, 15
	s_add_i32 s29, s29, 1
	s_cmp_eq_u32 s58, 2
	s_cbranch_scc1 .LBB130_66
; %bb.61:
	s_and_b32 s28, s29, 28
	s_waitcnt lgkmcnt(0)
	s_add_u32 s24, s34, 0xc4
	s_addc_u32 s25, s35, 0
	v_mov_b32_e32 v24, 0
	s_mov_b32 s30, 0
	s_mov_b64 s[26:27], s[34:35]
	v_mov_b32_e32 v32, 0
	v_mov_b32_e32 v1, v0
.LBB130_62:                             ; =>This Inner Loop Header: Depth=1
	s_load_dwordx8 s[12:19], s[26:27], 0x4
	s_load_dwordx4 s[20:23], s[26:27], 0x24
	s_load_dwordx8 s[4:11], s[24:25], 0x0
	s_add_u32 s26, s26, 48
	s_addc_u32 s27, s27, 0
	s_waitcnt lgkmcnt(0)
	v_mul_hi_u32 v3, s13, v1
	s_add_i32 s30, s30, 4
	s_add_u32 s24, s24, 32
	s_addc_u32 s25, s25, 0
	v_add_u32_e32 v3, v1, v3
	v_lshrrev_b32_e32 v3, s14, v3
	v_mul_lo_u32 v4, v3, s12
	v_mul_hi_u32 v5, s16, v3
	s_cmp_lg_u32 s28, s30
	v_sub_u32_e32 v1, v1, v4
	v_add_u32_e32 v4, v3, v5
	v_mul_lo_u32 v5, v1, s4
	v_mul_lo_u32 v6, v1, s5
	v_lshrrev_b32_e32 v1, s17, v4
	v_mul_lo_u32 v4, v1, s15
	v_mul_hi_u32 v7, s19, v1
	v_sub_u32_e32 v3, v3, v4
	v_add_u32_e32 v4, v1, v7
	v_lshrrev_b32_e32 v4, s20, v4
	v_mul_hi_u32 v8, s22, v4
	v_mul_lo_u32 v9, v4, s18
	v_mul_lo_u32 v7, v3, s6
	;; [unrolled: 1-line block ×3, first 2 shown]
	v_sub_u32_e32 v9, v1, v9
	v_add_u32_e32 v1, v4, v8
	v_lshrrev_b32_e32 v1, s23, v1
	v_mul_lo_u32 v8, v1, s21
	v_mul_lo_u32 v10, v9, s8
	;; [unrolled: 1-line block ×3, first 2 shown]
	v_add3_u32 v5, v5, v32, v7
	v_sub_u32_e32 v4, v4, v8
	v_mul_lo_u32 v8, v4, s10
	v_mul_lo_u32 v4, v4, s11
	v_add3_u32 v3, v6, v24, v3
	v_add3_u32 v32, v10, v5, v8
	;; [unrolled: 1-line block ×3, first 2 shown]
	s_cbranch_scc1 .LBB130_62
; %bb.63:
	s_and_b32 s8, s29, 3
	s_cmp_eq_u32 s8, 0
	s_cbranch_scc0 .LBB130_67
	s_branch .LBB130_69
.LBB130_64:
                                        ; implicit-def: $vgpr32
                                        ; implicit-def: $vgpr24
	s_branch .LBB130_70
.LBB130_65:
	v_mov_b32_e32 v32, 0
	v_mov_b32_e32 v24, 0
	s_branch .LBB130_69
.LBB130_66:
	v_mov_b32_e32 v32, 0
	v_mov_b32_e32 v24, 0
	;; [unrolled: 1-line block ×3, first 2 shown]
	s_and_b32 s8, s29, 3
	s_cmp_eq_u32 s8, 0
	s_cbranch_scc1 .LBB130_69
.LBB130_67:
	s_lshl_b32 s4, s28, 3
	s_add_u32 s4, s34, s4
	s_addc_u32 s5, s35, 0
	s_add_u32 s4, s4, 0xc4
	s_addc_u32 s5, s5, 0
	s_mul_i32 s6, s28, 12
	s_add_u32 s6, s34, s6
	s_addc_u32 s7, s35, 0
.LBB130_68:                             ; =>This Inner Loop Header: Depth=1
	s_load_dwordx2 s[10:11], s[6:7], 0x4
	s_load_dword s9, s[6:7], 0xc
	s_load_dwordx2 s[12:13], s[4:5], 0x0
	s_add_u32 s6, s6, 12
	s_addc_u32 s7, s7, 0
	s_waitcnt lgkmcnt(0)
	v_mul_hi_u32 v3, s11, v1
	s_add_u32 s4, s4, 8
	s_addc_u32 s5, s5, 0
	s_add_i32 s8, s8, -1
	v_add_u32_e32 v3, v1, v3
	v_lshrrev_b32_e32 v3, s9, v3
	v_mul_lo_u32 v4, v3, s10
	s_cmp_lg_u32 s8, 0
	v_sub_u32_e32 v1, v1, v4
	v_mad_u64_u32 v[32:33], s[10:11], v1, s12, v[32:33]
	v_mad_u64_u32 v[24:25], s[10:11], v1, s13, v[24:25]
	v_mov_b32_e32 v1, v3
	s_cbranch_scc1 .LBB130_68
.LBB130_69:
	s_cbranch_execnz .LBB130_72
.LBB130_70:
	s_load_dwordx4 s[4:7], s[34:35], 0x4
	s_load_dwordx2 s[8:9], s[34:35], 0xc4
	s_cmp_lt_u32 s33, 2
	s_waitcnt lgkmcnt(0)
	v_mul_hi_u32 v1, s5, v0
	v_add_u32_e32 v1, v0, v1
	v_lshrrev_b32_e32 v1, s6, v1
	v_mul_lo_u32 v3, v1, s4
	v_sub_u32_e32 v0, v0, v3
	v_mul_lo_u32 v32, v0, s8
	v_mul_lo_u32 v24, v0, s9
	s_cbranch_scc1 .LBB130_72
; %bb.71:
	s_load_dwordx4 s[4:7], s[34:35], 0x10
	s_load_dwordx2 s[8:9], s[34:35], 0xcc
	s_waitcnt lgkmcnt(0)
	v_mul_hi_u32 v0, s5, v1
	v_add_u32_e32 v0, v1, v0
	v_lshrrev_b32_e32 v0, s6, v0
	v_mul_lo_u32 v0, v0, s4
	v_sub_u32_e32 v0, v1, v0
	v_mad_u64_u32 v[32:33], s[4:5], v0, s8, v[32:33]
	v_mad_u64_u32 v[24:25], s[4:5], v0, s9, v[24:25]
.LBB130_72:
	s_load_dwordx4 s[16:19], s[34:35], 0x148
	s_waitcnt lgkmcnt(0)
	s_getpc_b64 s[20:21]
	s_add_u32 s20, s20, _ZN2at6native6invokeIZZZNS0_18lgamma_kernel_cudaERNS_18TensorIteratorBaseEENKUlvE_clEvENKUlvE_clEvEUldE_j15function_traitsIS6_EEENT1_11result_typeERKT_PrKPcPKT0_i@rel32@lo+4
	s_addc_u32 s21, s21, _ZN2at6native6invokeIZZZNS0_18lgamma_kernel_cudaERNS_18TensorIteratorBaseEENKUlvE_clEvENKUlvE_clEvEUldE_j15function_traitsIS6_EEENT1_11result_typeERKT_PrKPcPKT0_i@rel32@hi+12
	v_mov_b32_e32 v0, s18
	v_mov_b32_e32 v1, s19
	s_swappc_b64 s[30:31], s[20:21]
	v_mov_b32_e32 v25, v0
	v_mov_b32_e32 v26, v1
	v_mov_b32_e32 v0, s18
	v_mov_b32_e32 v1, s19
	v_mov_b32_e32 v2, v22
	s_swappc_b64 s[30:31], s[20:21]
	v_mov_b32_e32 v27, v0
	v_mov_b32_e32 v28, v1
	v_mov_b32_e32 v0, s18
	;; [unrolled: 6-line block ×3, first 2 shown]
	v_mov_b32_e32 v1, s19
	v_mov_b32_e32 v2, v24
	s_swappc_b64 s[30:31], s[20:21]
	global_store_dwordx2 v29, v[25:26], s[16:17]
	global_store_dwordx2 v30, v[27:28], s[16:17]
	;; [unrolled: 1-line block ×4, first 2 shown]
	s_endpgm
.LBB130_73:
	v_mov_b32_e32 v22, 0
	v_mov_b32_e32 v2, 0
	s_branch .LBB130_79
.LBB130_74:
	v_mov_b32_e32 v22, 0
	v_mov_b32_e32 v2, 0
	s_branch .LBB130_95
.LBB130_75:
	s_mov_b32 s61, 0
	v_mov_b32_e32 v22, 0
	v_mov_b32_e32 v2, 0
	v_mov_b32_e32 v0, v24
.LBB130_76:
	s_and_b32 s8, s62, 3
	s_cmp_eq_u32 s8, 0
	s_cbranch_scc1 .LBB130_79
; %bb.77:
	s_lshl_b32 s4, s61, 3
	s_add_u32 s4, s34, s4
	s_addc_u32 s5, s35, 0
	s_add_u32 s4, s4, 0xc4
	s_addc_u32 s5, s5, 0
	s_mul_i32 s6, s61, 12
	s_add_u32 s6, s34, s6
	s_addc_u32 s7, s35, 0
.LBB130_78:                             ; =>This Inner Loop Header: Depth=1
	s_load_dwordx2 s[10:11], s[6:7], 0x4
	s_load_dword s9, s[6:7], 0xc
	s_load_dwordx2 s[12:13], s[4:5], 0x0
	s_add_u32 s6, s6, 12
	s_addc_u32 s7, s7, 0
	s_waitcnt lgkmcnt(0)
	v_mul_hi_u32 v1, s11, v0
	s_add_u32 s4, s4, 8
	s_addc_u32 s5, s5, 0
	s_add_i32 s8, s8, -1
	v_add_u32_e32 v1, v0, v1
	v_lshrrev_b32_e32 v1, s9, v1
	v_mul_lo_u32 v3, v1, s10
	s_cmp_lg_u32 s8, 0
	v_sub_u32_e32 v0, v0, v3
	v_mad_u64_u32 v[22:23], s[10:11], v0, s12, v[22:23]
	v_mad_u64_u32 v[2:3], s[10:11], v0, s13, v[2:3]
	v_mov_b32_e32 v0, v1
	s_cbranch_scc1 .LBB130_78
.LBB130_79:
	s_cbranch_execnz .LBB130_82
.LBB130_80:
	s_waitcnt lgkmcnt(0)
	v_mul_hi_u32 v0, s37, v24
	s_andn2_b64 vcc, exec, s[46:47]
	v_add_u32_e32 v0, v24, v0
	v_lshrrev_b32_e32 v0, s38, v0
	v_mul_lo_u32 v1, v0, s36
	v_sub_u32_e32 v1, v24, v1
	v_mul_lo_u32 v22, v1, s24
	v_mul_lo_u32 v2, v1, s25
	s_cbranch_vccnz .LBB130_82
; %bb.81:
	v_mul_hi_u32 v1, s44, v0
	v_add_u32_e32 v1, v0, v1
	v_lshrrev_b32_e32 v1, s45, v1
	v_mul_lo_u32 v1, v1, s39
	v_sub_u32_e32 v0, v0, v1
	v_mad_u64_u32 v[22:23], s[4:5], v0, s26, v[22:23]
	v_mad_u64_u32 v[2:3], s[4:5], v0, s27, v[2:3]
.LBB130_82:
	s_getpc_b64 s[4:5]
	s_add_u32 s4, s4, _ZN2at6native6invokeIZZZNS0_18lgamma_kernel_cudaERNS_18TensorIteratorBaseEENKUlvE_clEvENKUlvE_clEvEUldE_j15function_traitsIS6_EEENT1_11result_typeERKT_PrKPcPKT0_i@rel32@lo+4
	s_addc_u32 s5, s5, _ZN2at6native6invokeIZZZNS0_18lgamma_kernel_cudaERNS_18TensorIteratorBaseEENKUlvE_clEvENKUlvE_clEvEUldE_j15function_traitsIS6_EEENT1_11result_typeERKT_PrKPcPKT0_i@rel32@hi+12
	s_waitcnt lgkmcnt(0)
	v_mov_b32_e32 v0, s22
	v_mov_b32_e32 v1, s23
	s_swappc_b64 s[30:31], s[4:5]
	v_add_u32_e32 v24, 0x80, v24
	global_store_dwordx2 v22, v[0:1], s[20:21]
	s_or_b64 exec, exec, s[52:53]
	v_cmp_gt_i32_e32 vcc, s59, v24
	s_and_saveexec_b64 s[52:53], vcc
	s_cbranch_execnz .LBB130_15
.LBB130_83:
	s_or_b64 exec, exec, s[52:53]
	v_cmp_gt_i32_e32 vcc, s59, v24
	s_and_saveexec_b64 s[52:53], vcc
	s_cbranch_execz .LBB130_99
.LBB130_84:
	s_andn2_b64 vcc, exec, s[40:41]
	s_cbranch_vccnz .LBB130_89
; %bb.85:
	s_andn2_b64 vcc, exec, s[50:51]
	s_cbranch_vccnz .LBB130_90
; %bb.86:
	s_add_i32 s62, s60, 1
	s_cmp_eq_u32 s58, 2
	s_cbranch_scc1 .LBB130_102
; %bb.87:
	s_and_b32 s61, s62, 28
	v_mov_b32_e32 v2, 0
	s_mov_b32 s63, 0
	s_mov_b64 s[54:55], s[34:35]
	s_mov_b64 s[56:57], s[48:49]
	v_mov_b32_e32 v22, 0
	v_mov_b32_e32 v0, v24
.LBB130_88:                             ; =>This Inner Loop Header: Depth=1
	s_load_dwordx8 s[12:19], s[54:55], 0x4
	s_load_dwordx4 s[28:31], s[54:55], 0x24
	s_load_dwordx8 s[4:11], s[56:57], 0x0
	s_add_u32 s54, s54, 48
	s_addc_u32 s55, s55, 0
	s_waitcnt lgkmcnt(0)
	v_mul_hi_u32 v1, s13, v0
	s_add_i32 s63, s63, 4
	s_add_u32 s56, s56, 32
	s_addc_u32 s57, s57, 0
	v_add_u32_e32 v1, v0, v1
	v_lshrrev_b32_e32 v1, s14, v1
	v_mul_lo_u32 v3, v1, s12
	v_mul_hi_u32 v4, s16, v1
	s_cmp_eq_u32 s61, s63
	v_sub_u32_e32 v0, v0, v3
	v_add_u32_e32 v3, v1, v4
	v_mul_lo_u32 v4, v0, s4
	v_mul_lo_u32 v5, v0, s5
	v_lshrrev_b32_e32 v0, s17, v3
	v_mul_lo_u32 v3, v0, s15
	v_mul_hi_u32 v6, s19, v0
	v_sub_u32_e32 v1, v1, v3
	v_add_u32_e32 v3, v0, v6
	v_lshrrev_b32_e32 v3, s28, v3
	v_mul_hi_u32 v7, s30, v3
	v_mul_lo_u32 v8, v3, s18
	v_mul_lo_u32 v6, v1, s6
	v_mul_lo_u32 v1, v1, s7
	v_sub_u32_e32 v8, v0, v8
	v_add_u32_e32 v0, v3, v7
	v_lshrrev_b32_e32 v0, s31, v0
	v_mul_lo_u32 v7, v0, s29
	v_mul_lo_u32 v9, v8, s8
	;; [unrolled: 1-line block ×3, first 2 shown]
	v_add3_u32 v4, v4, v22, v6
	v_sub_u32_e32 v3, v3, v7
	v_mul_lo_u32 v7, v3, s10
	v_mul_lo_u32 v3, v3, s11
	v_add3_u32 v1, v5, v2, v1
	v_add3_u32 v22, v9, v4, v7
	;; [unrolled: 1-line block ×3, first 2 shown]
	s_cbranch_scc0 .LBB130_88
	s_branch .LBB130_103
.LBB130_89:
                                        ; implicit-def: $vgpr22
                                        ; implicit-def: $vgpr2
	s_branch .LBB130_107
.LBB130_90:
	v_mov_b32_e32 v22, 0
	v_mov_b32_e32 v2, 0
	s_branch .LBB130_106
.LBB130_91:
	s_mov_b32 s61, 0
	v_mov_b32_e32 v22, 0
	v_mov_b32_e32 v2, 0
	;; [unrolled: 1-line block ×3, first 2 shown]
.LBB130_92:
	s_and_b32 s8, s62, 3
	s_cmp_eq_u32 s8, 0
	s_cbranch_scc1 .LBB130_95
; %bb.93:
	s_lshl_b32 s4, s61, 3
	s_add_u32 s4, s34, s4
	s_addc_u32 s5, s35, 0
	s_add_u32 s4, s4, 0xc4
	s_addc_u32 s5, s5, 0
	s_mul_i32 s6, s61, 12
	s_add_u32 s6, s34, s6
	s_addc_u32 s7, s35, 0
.LBB130_94:                             ; =>This Inner Loop Header: Depth=1
	s_load_dwordx2 s[10:11], s[6:7], 0x4
	s_load_dword s9, s[6:7], 0xc
	s_load_dwordx2 s[12:13], s[4:5], 0x0
	s_add_u32 s6, s6, 12
	s_addc_u32 s7, s7, 0
	s_waitcnt lgkmcnt(0)
	v_mul_hi_u32 v1, s11, v0
	s_add_u32 s4, s4, 8
	s_addc_u32 s5, s5, 0
	s_add_i32 s8, s8, -1
	v_add_u32_e32 v1, v0, v1
	v_lshrrev_b32_e32 v1, s9, v1
	v_mul_lo_u32 v3, v1, s10
	s_cmp_lg_u32 s8, 0
	v_sub_u32_e32 v0, v0, v3
	v_mad_u64_u32 v[22:23], s[10:11], v0, s12, v[22:23]
	v_mad_u64_u32 v[2:3], s[10:11], v0, s13, v[2:3]
	v_mov_b32_e32 v0, v1
	s_cbranch_scc1 .LBB130_94
.LBB130_95:
	s_cbranch_execnz .LBB130_98
.LBB130_96:
	s_waitcnt lgkmcnt(0)
	v_mul_hi_u32 v0, s37, v24
	s_andn2_b64 vcc, exec, s[46:47]
	v_add_u32_e32 v0, v24, v0
	v_lshrrev_b32_e32 v0, s38, v0
	v_mul_lo_u32 v1, v0, s36
	v_sub_u32_e32 v1, v24, v1
	v_mul_lo_u32 v22, v1, s24
	v_mul_lo_u32 v2, v1, s25
	s_cbranch_vccnz .LBB130_98
; %bb.97:
	v_mul_hi_u32 v1, s44, v0
	v_add_u32_e32 v1, v0, v1
	v_lshrrev_b32_e32 v1, s45, v1
	v_mul_lo_u32 v1, v1, s39
	v_sub_u32_e32 v0, v0, v1
	v_mad_u64_u32 v[22:23], s[4:5], v0, s26, v[22:23]
	v_mad_u64_u32 v[2:3], s[4:5], v0, s27, v[2:3]
.LBB130_98:
	s_getpc_b64 s[4:5]
	s_add_u32 s4, s4, _ZN2at6native6invokeIZZZNS0_18lgamma_kernel_cudaERNS_18TensorIteratorBaseEENKUlvE_clEvENKUlvE_clEvEUldE_j15function_traitsIS6_EEENT1_11result_typeERKT_PrKPcPKT0_i@rel32@lo+4
	s_addc_u32 s5, s5, _ZN2at6native6invokeIZZZNS0_18lgamma_kernel_cudaERNS_18TensorIteratorBaseEENKUlvE_clEvENKUlvE_clEvEUldE_j15function_traitsIS6_EEENT1_11result_typeERKT_PrKPcPKT0_i@rel32@hi+12
	s_waitcnt lgkmcnt(0)
	v_mov_b32_e32 v0, s22
	v_mov_b32_e32 v1, s23
	s_swappc_b64 s[30:31], s[4:5]
	v_add_u32_e32 v24, 0x80, v24
	global_store_dwordx2 v22, v[0:1], s[20:21]
	s_or_b64 exec, exec, s[52:53]
	v_cmp_gt_i32_e32 vcc, s59, v24
	s_and_saveexec_b64 s[52:53], vcc
	s_cbranch_execnz .LBB130_84
.LBB130_99:
	s_or_b64 exec, exec, s[52:53]
	v_cmp_gt_i32_e32 vcc, s59, v24
	s_and_saveexec_b64 s[52:53], vcc
	s_cbranch_execnz .LBB130_110
.LBB130_100:
	s_or_b64 exec, exec, s[52:53]
                                        ; implicit-def: $vgpr0
                                        ; implicit-def: $vgpr24
	s_andn2_saveexec_b64 s[4:5], s[42:43]
	s_cbranch_execnz .LBB130_8
.LBB130_101:
	s_endpgm
.LBB130_102:
	s_mov_b32 s61, 0
	v_mov_b32_e32 v22, 0
	v_mov_b32_e32 v2, 0
	;; [unrolled: 1-line block ×3, first 2 shown]
.LBB130_103:
	s_and_b32 s8, s62, 3
	s_cmp_eq_u32 s8, 0
	s_cbranch_scc1 .LBB130_106
; %bb.104:
	s_lshl_b32 s4, s61, 3
	s_add_u32 s4, s34, s4
	s_addc_u32 s5, s35, 0
	s_add_u32 s4, s4, 0xc4
	s_addc_u32 s5, s5, 0
	s_mul_i32 s6, s61, 12
	s_add_u32 s6, s34, s6
	s_addc_u32 s7, s35, 0
.LBB130_105:                            ; =>This Inner Loop Header: Depth=1
	s_load_dwordx2 s[10:11], s[6:7], 0x4
	s_load_dword s9, s[6:7], 0xc
	s_load_dwordx2 s[12:13], s[4:5], 0x0
	s_add_u32 s6, s6, 12
	s_addc_u32 s7, s7, 0
	s_waitcnt lgkmcnt(0)
	v_mul_hi_u32 v1, s11, v0
	s_add_u32 s4, s4, 8
	s_addc_u32 s5, s5, 0
	s_add_i32 s8, s8, -1
	v_add_u32_e32 v1, v0, v1
	v_lshrrev_b32_e32 v1, s9, v1
	v_mul_lo_u32 v3, v1, s10
	s_cmp_lg_u32 s8, 0
	v_sub_u32_e32 v0, v0, v3
	v_mad_u64_u32 v[22:23], s[10:11], v0, s12, v[22:23]
	v_mad_u64_u32 v[2:3], s[10:11], v0, s13, v[2:3]
	v_mov_b32_e32 v0, v1
	s_cbranch_scc1 .LBB130_105
.LBB130_106:
	s_cbranch_execnz .LBB130_109
.LBB130_107:
	s_waitcnt lgkmcnt(0)
	v_mul_hi_u32 v0, s37, v24
	s_andn2_b64 vcc, exec, s[46:47]
	v_add_u32_e32 v0, v24, v0
	v_lshrrev_b32_e32 v0, s38, v0
	v_mul_lo_u32 v1, v0, s36
	v_sub_u32_e32 v1, v24, v1
	v_mul_lo_u32 v22, v1, s24
	v_mul_lo_u32 v2, v1, s25
	s_cbranch_vccnz .LBB130_109
; %bb.108:
	v_mul_hi_u32 v1, s44, v0
	v_add_u32_e32 v1, v0, v1
	v_lshrrev_b32_e32 v1, s45, v1
	v_mul_lo_u32 v1, v1, s39
	v_sub_u32_e32 v0, v0, v1
	v_mad_u64_u32 v[22:23], s[4:5], v0, s26, v[22:23]
	v_mad_u64_u32 v[2:3], s[4:5], v0, s27, v[2:3]
.LBB130_109:
	s_getpc_b64 s[4:5]
	s_add_u32 s4, s4, _ZN2at6native6invokeIZZZNS0_18lgamma_kernel_cudaERNS_18TensorIteratorBaseEENKUlvE_clEvENKUlvE_clEvEUldE_j15function_traitsIS6_EEENT1_11result_typeERKT_PrKPcPKT0_i@rel32@lo+4
	s_addc_u32 s5, s5, _ZN2at6native6invokeIZZZNS0_18lgamma_kernel_cudaERNS_18TensorIteratorBaseEENKUlvE_clEvENKUlvE_clEvEUldE_j15function_traitsIS6_EEENT1_11result_typeERKT_PrKPcPKT0_i@rel32@hi+12
	s_waitcnt lgkmcnt(0)
	v_mov_b32_e32 v0, s22
	v_mov_b32_e32 v1, s23
	s_swappc_b64 s[30:31], s[4:5]
	v_add_u32_e32 v24, 0x80, v24
	global_store_dwordx2 v22, v[0:1], s[20:21]
	s_or_b64 exec, exec, s[52:53]
	v_cmp_gt_i32_e32 vcc, s59, v24
	s_and_saveexec_b64 s[52:53], vcc
	s_cbranch_execz .LBB130_100
.LBB130_110:
	s_andn2_b64 vcc, exec, s[40:41]
	s_cbranch_vccnz .LBB130_115
; %bb.111:
	s_andn2_b64 vcc, exec, s[50:51]
	s_cbranch_vccnz .LBB130_116
; %bb.112:
	s_add_i32 s60, s60, 1
	s_cmp_eq_u32 s58, 2
	s_cbranch_scc1 .LBB130_117
; %bb.113:
	s_and_b32 s54, s60, 28
	v_mov_b32_e32 v2, 0
	s_mov_b32 s55, 0
	s_mov_b64 s[50:51], s[34:35]
	v_mov_b32_e32 v22, 0
	v_mov_b32_e32 v0, v24
.LBB130_114:                            ; =>This Inner Loop Header: Depth=1
	s_load_dwordx8 s[12:19], s[50:51], 0x4
	s_load_dwordx4 s[28:31], s[50:51], 0x24
	s_load_dwordx8 s[4:11], s[48:49], 0x0
	s_add_u32 s50, s50, 48
	s_addc_u32 s51, s51, 0
	s_waitcnt lgkmcnt(0)
	v_mul_hi_u32 v1, s13, v0
	s_add_i32 s55, s55, 4
	s_add_u32 s48, s48, 32
	s_addc_u32 s49, s49, 0
	v_add_u32_e32 v1, v0, v1
	v_lshrrev_b32_e32 v1, s14, v1
	v_mul_lo_u32 v3, v1, s12
	v_mul_hi_u32 v4, s16, v1
	s_cmp_eq_u32 s54, s55
	v_sub_u32_e32 v0, v0, v3
	v_add_u32_e32 v3, v1, v4
	v_mul_lo_u32 v4, v0, s4
	v_mul_lo_u32 v5, v0, s5
	v_lshrrev_b32_e32 v0, s17, v3
	v_mul_lo_u32 v3, v0, s15
	v_mul_hi_u32 v6, s19, v0
	v_sub_u32_e32 v1, v1, v3
	v_add_u32_e32 v3, v0, v6
	v_lshrrev_b32_e32 v3, s28, v3
	v_mul_hi_u32 v7, s30, v3
	v_mul_lo_u32 v8, v3, s18
	v_mul_lo_u32 v6, v1, s6
	v_mul_lo_u32 v1, v1, s7
	v_sub_u32_e32 v8, v0, v8
	v_add_u32_e32 v0, v3, v7
	v_lshrrev_b32_e32 v0, s31, v0
	v_mul_lo_u32 v7, v0, s29
	v_mul_lo_u32 v9, v8, s8
	;; [unrolled: 1-line block ×3, first 2 shown]
	v_add3_u32 v4, v4, v22, v6
	v_sub_u32_e32 v3, v3, v7
	v_mul_lo_u32 v7, v3, s10
	v_mul_lo_u32 v3, v3, s11
	v_add3_u32 v1, v5, v2, v1
	v_add3_u32 v22, v9, v4, v7
	;; [unrolled: 1-line block ×3, first 2 shown]
	s_cbranch_scc0 .LBB130_114
	s_branch .LBB130_118
.LBB130_115:
                                        ; implicit-def: $vgpr22
                                        ; implicit-def: $vgpr2
	s_branch .LBB130_122
.LBB130_116:
	v_mov_b32_e32 v22, 0
	v_mov_b32_e32 v2, 0
	s_branch .LBB130_121
.LBB130_117:
	s_mov_b32 s54, 0
	v_mov_b32_e32 v22, 0
	v_mov_b32_e32 v2, 0
	;; [unrolled: 1-line block ×3, first 2 shown]
.LBB130_118:
	s_and_b32 s8, s60, 3
	s_cmp_eq_u32 s8, 0
	s_cbranch_scc1 .LBB130_121
; %bb.119:
	s_lshl_b32 s4, s54, 3
	s_add_u32 s4, s34, s4
	s_addc_u32 s5, s35, 0
	s_add_u32 s4, s4, 0xc4
	s_addc_u32 s5, s5, 0
	s_mul_i32 s6, s54, 12
	s_add_u32 s6, s34, s6
	s_addc_u32 s7, s35, 0
.LBB130_120:                            ; =>This Inner Loop Header: Depth=1
	s_load_dwordx2 s[10:11], s[6:7], 0x4
	s_load_dword s9, s[6:7], 0xc
	s_load_dwordx2 s[12:13], s[4:5], 0x0
	s_add_u32 s6, s6, 12
	s_addc_u32 s7, s7, 0
	s_waitcnt lgkmcnt(0)
	v_mul_hi_u32 v1, s11, v0
	s_add_u32 s4, s4, 8
	s_addc_u32 s5, s5, 0
	s_add_i32 s8, s8, -1
	v_add_u32_e32 v1, v0, v1
	v_lshrrev_b32_e32 v1, s9, v1
	v_mul_lo_u32 v3, v1, s10
	s_cmp_lg_u32 s8, 0
	v_sub_u32_e32 v0, v0, v3
	v_mad_u64_u32 v[22:23], s[10:11], v0, s12, v[22:23]
	v_mad_u64_u32 v[2:3], s[10:11], v0, s13, v[2:3]
	v_mov_b32_e32 v0, v1
	s_cbranch_scc1 .LBB130_120
.LBB130_121:
	s_cbranch_execnz .LBB130_124
.LBB130_122:
	s_waitcnt lgkmcnt(0)
	v_mul_hi_u32 v0, s37, v24
	s_andn2_b64 vcc, exec, s[46:47]
	v_add_u32_e32 v0, v24, v0
	v_lshrrev_b32_e32 v0, s38, v0
	v_mul_lo_u32 v1, v0, s36
	v_sub_u32_e32 v1, v24, v1
	v_mul_lo_u32 v22, v1, s24
	v_mul_lo_u32 v2, v1, s25
	s_cbranch_vccnz .LBB130_124
; %bb.123:
	v_mul_hi_u32 v1, s44, v0
	v_add_u32_e32 v1, v0, v1
	v_lshrrev_b32_e32 v1, s45, v1
	v_mul_lo_u32 v1, v1, s39
	v_sub_u32_e32 v0, v0, v1
	v_mad_u64_u32 v[22:23], s[4:5], v0, s26, v[22:23]
	v_mad_u64_u32 v[2:3], s[4:5], v0, s27, v[2:3]
.LBB130_124:
	s_getpc_b64 s[4:5]
	s_add_u32 s4, s4, _ZN2at6native6invokeIZZZNS0_18lgamma_kernel_cudaERNS_18TensorIteratorBaseEENKUlvE_clEvENKUlvE_clEvEUldE_j15function_traitsIS6_EEENT1_11result_typeERKT_PrKPcPKT0_i@rel32@lo+4
	s_addc_u32 s5, s5, _ZN2at6native6invokeIZZZNS0_18lgamma_kernel_cudaERNS_18TensorIteratorBaseEENKUlvE_clEvENKUlvE_clEvEUldE_j15function_traitsIS6_EEENT1_11result_typeERKT_PrKPcPKT0_i@rel32@hi+12
	s_waitcnt lgkmcnt(0)
	v_mov_b32_e32 v0, s22
	v_mov_b32_e32 v1, s23
	s_swappc_b64 s[30:31], s[4:5]
	global_store_dwordx2 v22, v[0:1], s[20:21]
	s_or_b64 exec, exec, s[52:53]
                                        ; implicit-def: $vgpr0
                                        ; implicit-def: $vgpr24
	s_andn2_saveexec_b64 s[4:5], s[42:43]
	s_cbranch_execz .LBB130_101
	s_branch .LBB130_8
	.section	.rodata,"a",@progbits
	.p2align	6, 0x0
	.amdhsa_kernel _ZN2at6native32elementwise_kernel_manual_unrollILi128ELi4EZNS0_22gpu_kernel_impl_nocastIZZZNS0_18lgamma_kernel_cudaERNS_18TensorIteratorBaseEENKUlvE_clEvENKUlvE_clEvEUldE_EEvS4_RKT_EUlibE_EEviT1_
		.amdhsa_group_segment_fixed_size 0
		.amdhsa_private_segment_fixed_size 0
		.amdhsa_kernarg_size 360
		.amdhsa_user_sgpr_count 6
		.amdhsa_user_sgpr_private_segment_buffer 1
		.amdhsa_user_sgpr_dispatch_ptr 0
		.amdhsa_user_sgpr_queue_ptr 0
		.amdhsa_user_sgpr_kernarg_segment_ptr 1
		.amdhsa_user_sgpr_dispatch_id 0
		.amdhsa_user_sgpr_flat_scratch_init 0
		.amdhsa_user_sgpr_private_segment_size 0
		.amdhsa_uses_dynamic_stack 0
		.amdhsa_system_sgpr_private_segment_wavefront_offset 0
		.amdhsa_system_sgpr_workgroup_id_x 1
		.amdhsa_system_sgpr_workgroup_id_y 0
		.amdhsa_system_sgpr_workgroup_id_z 0
		.amdhsa_system_sgpr_workgroup_info 0
		.amdhsa_system_vgpr_workitem_id 0
		.amdhsa_next_free_vgpr 34
		.amdhsa_next_free_sgpr 64
		.amdhsa_reserve_vcc 1
		.amdhsa_reserve_flat_scratch 0
		.amdhsa_float_round_mode_32 0
		.amdhsa_float_round_mode_16_64 0
		.amdhsa_float_denorm_mode_32 3
		.amdhsa_float_denorm_mode_16_64 3
		.amdhsa_dx10_clamp 1
		.amdhsa_ieee_mode 1
		.amdhsa_fp16_overflow 0
		.amdhsa_exception_fp_ieee_invalid_op 0
		.amdhsa_exception_fp_denorm_src 0
		.amdhsa_exception_fp_ieee_div_zero 0
		.amdhsa_exception_fp_ieee_overflow 0
		.amdhsa_exception_fp_ieee_underflow 0
		.amdhsa_exception_fp_ieee_inexact 0
		.amdhsa_exception_int_div_zero 0
	.end_amdhsa_kernel
	.section	.text._ZN2at6native32elementwise_kernel_manual_unrollILi128ELi4EZNS0_22gpu_kernel_impl_nocastIZZZNS0_18lgamma_kernel_cudaERNS_18TensorIteratorBaseEENKUlvE_clEvENKUlvE_clEvEUldE_EEvS4_RKT_EUlibE_EEviT1_,"axG",@progbits,_ZN2at6native32elementwise_kernel_manual_unrollILi128ELi4EZNS0_22gpu_kernel_impl_nocastIZZZNS0_18lgamma_kernel_cudaERNS_18TensorIteratorBaseEENKUlvE_clEvENKUlvE_clEvEUldE_EEvS4_RKT_EUlibE_EEviT1_,comdat
.Lfunc_end130:
	.size	_ZN2at6native32elementwise_kernel_manual_unrollILi128ELi4EZNS0_22gpu_kernel_impl_nocastIZZZNS0_18lgamma_kernel_cudaERNS_18TensorIteratorBaseEENKUlvE_clEvENKUlvE_clEvEUldE_EEvS4_RKT_EUlibE_EEviT1_, .Lfunc_end130-_ZN2at6native32elementwise_kernel_manual_unrollILi128ELi4EZNS0_22gpu_kernel_impl_nocastIZZZNS0_18lgamma_kernel_cudaERNS_18TensorIteratorBaseEENKUlvE_clEvENKUlvE_clEvEUldE_EEvS4_RKT_EUlibE_EEviT1_
                                        ; -- End function
	.set _ZN2at6native32elementwise_kernel_manual_unrollILi128ELi4EZNS0_22gpu_kernel_impl_nocastIZZZNS0_18lgamma_kernel_cudaERNS_18TensorIteratorBaseEENKUlvE_clEvENKUlvE_clEvEUldE_EEvS4_RKT_EUlibE_EEviT1_.num_vgpr, max(34, .L_ZN2at6native6invokeIZZZNS0_18lgamma_kernel_cudaERNS_18TensorIteratorBaseEENKUlvE_clEvENKUlvE_clEvEUldE_j15function_traitsIS6_EEENT1_11result_typeERKT_PrKPcPKT0_i.num_vgpr)
	.set _ZN2at6native32elementwise_kernel_manual_unrollILi128ELi4EZNS0_22gpu_kernel_impl_nocastIZZZNS0_18lgamma_kernel_cudaERNS_18TensorIteratorBaseEENKUlvE_clEvENKUlvE_clEvEUldE_EEvS4_RKT_EUlibE_EEviT1_.num_agpr, max(0, .L_ZN2at6native6invokeIZZZNS0_18lgamma_kernel_cudaERNS_18TensorIteratorBaseEENKUlvE_clEvENKUlvE_clEvEUldE_j15function_traitsIS6_EEENT1_11result_typeERKT_PrKPcPKT0_i.num_agpr)
	.set _ZN2at6native32elementwise_kernel_manual_unrollILi128ELi4EZNS0_22gpu_kernel_impl_nocastIZZZNS0_18lgamma_kernel_cudaERNS_18TensorIteratorBaseEENKUlvE_clEvENKUlvE_clEvEUldE_EEvS4_RKT_EUlibE_EEviT1_.numbered_sgpr, max(64, .L_ZN2at6native6invokeIZZZNS0_18lgamma_kernel_cudaERNS_18TensorIteratorBaseEENKUlvE_clEvENKUlvE_clEvEUldE_j15function_traitsIS6_EEENT1_11result_typeERKT_PrKPcPKT0_i.numbered_sgpr)
	.set _ZN2at6native32elementwise_kernel_manual_unrollILi128ELi4EZNS0_22gpu_kernel_impl_nocastIZZZNS0_18lgamma_kernel_cudaERNS_18TensorIteratorBaseEENKUlvE_clEvENKUlvE_clEvEUldE_EEvS4_RKT_EUlibE_EEviT1_.num_named_barrier, max(0, .L_ZN2at6native6invokeIZZZNS0_18lgamma_kernel_cudaERNS_18TensorIteratorBaseEENKUlvE_clEvENKUlvE_clEvEUldE_j15function_traitsIS6_EEENT1_11result_typeERKT_PrKPcPKT0_i.num_named_barrier)
	.set _ZN2at6native32elementwise_kernel_manual_unrollILi128ELi4EZNS0_22gpu_kernel_impl_nocastIZZZNS0_18lgamma_kernel_cudaERNS_18TensorIteratorBaseEENKUlvE_clEvENKUlvE_clEvEUldE_EEvS4_RKT_EUlibE_EEviT1_.private_seg_size, 0+max(.L_ZN2at6native6invokeIZZZNS0_18lgamma_kernel_cudaERNS_18TensorIteratorBaseEENKUlvE_clEvENKUlvE_clEvEUldE_j15function_traitsIS6_EEENT1_11result_typeERKT_PrKPcPKT0_i.private_seg_size)
	.set _ZN2at6native32elementwise_kernel_manual_unrollILi128ELi4EZNS0_22gpu_kernel_impl_nocastIZZZNS0_18lgamma_kernel_cudaERNS_18TensorIteratorBaseEENKUlvE_clEvENKUlvE_clEvEUldE_EEvS4_RKT_EUlibE_EEviT1_.uses_vcc, or(1, .L_ZN2at6native6invokeIZZZNS0_18lgamma_kernel_cudaERNS_18TensorIteratorBaseEENKUlvE_clEvENKUlvE_clEvEUldE_j15function_traitsIS6_EEENT1_11result_typeERKT_PrKPcPKT0_i.uses_vcc)
	.set _ZN2at6native32elementwise_kernel_manual_unrollILi128ELi4EZNS0_22gpu_kernel_impl_nocastIZZZNS0_18lgamma_kernel_cudaERNS_18TensorIteratorBaseEENKUlvE_clEvENKUlvE_clEvEUldE_EEvS4_RKT_EUlibE_EEviT1_.uses_flat_scratch, or(0, .L_ZN2at6native6invokeIZZZNS0_18lgamma_kernel_cudaERNS_18TensorIteratorBaseEENKUlvE_clEvENKUlvE_clEvEUldE_j15function_traitsIS6_EEENT1_11result_typeERKT_PrKPcPKT0_i.uses_flat_scratch)
	.set _ZN2at6native32elementwise_kernel_manual_unrollILi128ELi4EZNS0_22gpu_kernel_impl_nocastIZZZNS0_18lgamma_kernel_cudaERNS_18TensorIteratorBaseEENKUlvE_clEvENKUlvE_clEvEUldE_EEvS4_RKT_EUlibE_EEviT1_.has_dyn_sized_stack, or(0, .L_ZN2at6native6invokeIZZZNS0_18lgamma_kernel_cudaERNS_18TensorIteratorBaseEENKUlvE_clEvENKUlvE_clEvEUldE_j15function_traitsIS6_EEENT1_11result_typeERKT_PrKPcPKT0_i.has_dyn_sized_stack)
	.set _ZN2at6native32elementwise_kernel_manual_unrollILi128ELi4EZNS0_22gpu_kernel_impl_nocastIZZZNS0_18lgamma_kernel_cudaERNS_18TensorIteratorBaseEENKUlvE_clEvENKUlvE_clEvEUldE_EEvS4_RKT_EUlibE_EEviT1_.has_recursion, or(0, .L_ZN2at6native6invokeIZZZNS0_18lgamma_kernel_cudaERNS_18TensorIteratorBaseEENKUlvE_clEvENKUlvE_clEvEUldE_j15function_traitsIS6_EEENT1_11result_typeERKT_PrKPcPKT0_i.has_recursion)
	.set _ZN2at6native32elementwise_kernel_manual_unrollILi128ELi4EZNS0_22gpu_kernel_impl_nocastIZZZNS0_18lgamma_kernel_cudaERNS_18TensorIteratorBaseEENKUlvE_clEvENKUlvE_clEvEUldE_EEvS4_RKT_EUlibE_EEviT1_.has_indirect_call, or(0, .L_ZN2at6native6invokeIZZZNS0_18lgamma_kernel_cudaERNS_18TensorIteratorBaseEENKUlvE_clEvENKUlvE_clEvEUldE_j15function_traitsIS6_EEENT1_11result_typeERKT_PrKPcPKT0_i.has_indirect_call)
	.section	.AMDGPU.csdata,"",@progbits
; Kernel info:
; codeLenInByte = 5828
; TotalNumSgprs: 68
; NumVgprs: 34
; ScratchSize: 0
; MemoryBound: 0
; FloatMode: 240
; IeeeMode: 1
; LDSByteSize: 0 bytes/workgroup (compile time only)
; SGPRBlocks: 8
; VGPRBlocks: 8
; NumSGPRsForWavesPerEU: 68
; NumVGPRsForWavesPerEU: 34
; Occupancy: 7
; WaveLimiterHint : 1
; COMPUTE_PGM_RSRC2:SCRATCH_EN: 0
; COMPUTE_PGM_RSRC2:USER_SGPR: 6
; COMPUTE_PGM_RSRC2:TRAP_HANDLER: 0
; COMPUTE_PGM_RSRC2:TGID_X_EN: 1
; COMPUTE_PGM_RSRC2:TGID_Y_EN: 0
; COMPUTE_PGM_RSRC2:TGID_Z_EN: 0
; COMPUTE_PGM_RSRC2:TIDIG_COMP_CNT: 0
	.text
	.p2align	2                               ; -- Begin function _ZN2at6native6invokeIZZZNS0_18lgamma_kernel_cudaERNS_18TensorIteratorBaseEENKUlvE_clEvENKUlvE_clEvEUldE_i15function_traitsIS6_EEENT1_11result_typeERKT_PrKPcPKT0_PKN3c1010ScalarTypeEi
	.type	_ZN2at6native6invokeIZZZNS0_18lgamma_kernel_cudaERNS_18TensorIteratorBaseEENKUlvE_clEvENKUlvE_clEvEUldE_i15function_traitsIS6_EEENT1_11result_typeERKT_PrKPcPKT0_PKN3c1010ScalarTypeEi,@function
_ZN2at6native6invokeIZZZNS0_18lgamma_kernel_cudaERNS_18TensorIteratorBaseEENKUlvE_clEvENKUlvE_clEvEUldE_i15function_traitsIS6_EEENT1_11result_typeERKT_PrKPcPKT0_PKN3c1010ScalarTypeEi: ; @_ZN2at6native6invokeIZZZNS0_18lgamma_kernel_cudaERNS_18TensorIteratorBaseEENKUlvE_clEvENKUlvE_clEvEUldE_i15function_traitsIS6_EEENT1_11result_typeERKT_PrKPcPKT0_PKN3c1010ScalarTypeEi
; %bb.0:
	s_waitcnt vmcnt(0) expcnt(0) lgkmcnt(0)
	v_mul_lo_u32 v2, v4, v2
	s_mov_b64 s[6:7], 0
	v_ashrrev_i32_e32 v4, 31, v2
	v_add_co_u32_e32 v0, vcc, v0, v2
	v_mov_b32_e32 v2, 10
	v_addc_co_u32_e32 v1, vcc, v1, v4, vcc
	v_cmp_gt_i16_sdwa s[4:5], v3, v2 src0_sel:BYTE_0 src1_sel:DWORD
                                        ; implicit-def: $vgpr4_vgpr5
	s_and_saveexec_b64 s[8:9], s[4:5]
	s_xor_b64 s[4:5], exec, s[8:9]
	s_cbranch_execnz .LBB131_4
; %bb.1:
	s_andn2_saveexec_b64 s[4:5], s[4:5]
	s_cbranch_execnz .LBB131_10
.LBB131_2:
	s_or_b64 exec, exec, s[4:5]
                                        ; implicit-def: $vgpr0_vgpr1
	s_and_saveexec_b64 s[8:9], s[6:7]
	s_cbranch_execnz .LBB131_51
.LBB131_3:
	s_or_b64 exec, exec, s[8:9]
	s_waitcnt vmcnt(0) lgkmcnt(0)
	s_setpc_b64 s[30:31]
.LBB131_4:
	v_mov_b32_e32 v2, 25
	v_cmp_gt_i16_sdwa s[10:11], v3, v2 src0_sel:BYTE_0 src1_sel:DWORD
	s_mov_b64 s[12:13], 0
	s_mov_b64 s[8:9], 0
                                        ; implicit-def: $vgpr4_vgpr5
	s_and_saveexec_b64 s[14:15], s[10:11]
	s_xor_b64 s[10:11], exec, s[14:15]
	s_cbranch_execnz .LBB131_86
; %bb.5:
	s_andn2_saveexec_b64 s[10:11], s[10:11]
	s_cbranch_execnz .LBB131_121
.LBB131_6:
	s_or_b64 exec, exec, s[10:11]
	s_and_saveexec_b64 s[10:11], s[12:13]
	s_cbranch_execnz .LBB131_148
.LBB131_7:
	s_or_b64 exec, exec, s[10:11]
	s_and_saveexec_b64 s[10:11], s[6:7]
	s_xor_b64 s[6:7], exec, s[10:11]
	s_cbranch_execz .LBB131_9
.LBB131_8:
	flat_load_ubyte v0, v[0:1]
	v_mov_b32_e32 v1, 0x3ff00000
	v_mov_b32_e32 v4, 0
	s_or_b64 s[8:9], s[8:9], exec
	s_waitcnt vmcnt(0) lgkmcnt(0)
	v_cmp_ne_u16_e32 vcc, 0, v0
	v_cndmask_b32_e32 v5, 0, v1, vcc
.LBB131_9:
	s_or_b64 exec, exec, s[6:7]
	s_and_b64 s[6:7], s[8:9], exec
                                        ; implicit-def: $vgpr3
                                        ; implicit-def: $vgpr0_vgpr1
	s_andn2_saveexec_b64 s[4:5], s[4:5]
	s_cbranch_execz .LBB131_2
.LBB131_10:
	v_mov_b32_e32 v2, 4
	v_cmp_gt_i16_sdwa s[8:9], v3, v2 src0_sel:BYTE_0 src1_sel:DWORD
                                        ; implicit-def: $vgpr4_vgpr5
	s_and_saveexec_b64 s[10:11], s[8:9]
	s_xor_b64 s[8:9], exec, s[10:11]
	s_cbranch_execz .LBB131_32
; %bb.11:
	v_mov_b32_e32 v2, 7
	v_cmp_gt_i16_sdwa s[10:11], v3, v2 src0_sel:BYTE_0 src1_sel:DWORD
                                        ; implicit-def: $vgpr4_vgpr5
	s_and_saveexec_b64 s[12:13], s[10:11]
	s_xor_b64 s[10:11], exec, s[12:13]
	s_cbranch_execz .LBB131_21
; %bb.12:
	;; [unrolled: 7-line block ×4, first 2 shown]
	flat_load_dwordx2 v[4:5], v[0:1]
                                        ; implicit-def: $vgpr0_vgpr1
.LBB131_15:
	s_andn2_saveexec_b64 s[14:15], s[14:15]
	s_cbranch_execz .LBB131_17
; %bb.16:
	flat_load_dword v0, v[0:1]
	s_waitcnt vmcnt(0) lgkmcnt(0)
	v_cvt_f64_f32_e32 v[4:5], v0
.LBB131_17:
	s_or_b64 exec, exec, s[14:15]
                                        ; implicit-def: $vgpr0_vgpr1
.LBB131_18:
	s_andn2_saveexec_b64 s[12:13], s[12:13]
	s_cbranch_execz .LBB131_20
; %bb.19:
	flat_load_dword v0, v[0:1]
	s_waitcnt vmcnt(0) lgkmcnt(0)
	v_cvt_f32_f16_e32 v0, v0
	v_cvt_f64_f32_e32 v[4:5], v0
.LBB131_20:
	s_or_b64 exec, exec, s[12:13]
                                        ; implicit-def: $vgpr0_vgpr1
                                        ; implicit-def: $vgpr3
.LBB131_21:
	s_andn2_saveexec_b64 s[10:11], s[10:11]
	s_cbranch_execz .LBB131_31
; %bb.22:
	v_mov_b32_e32 v2, 5
	v_cmp_gt_i16_sdwa s[12:13], v3, v2 src0_sel:BYTE_0 src1_sel:DWORD
                                        ; implicit-def: $vgpr4_vgpr5
	s_and_saveexec_b64 s[14:15], s[12:13]
	s_xor_b64 s[12:13], exec, s[14:15]
	s_cbranch_execz .LBB131_28
; %bb.23:
	v_mov_b32_e32 v2, 6
	v_cmp_gt_i16_sdwa s[14:15], v3, v2 src0_sel:BYTE_0 src1_sel:DWORD
                                        ; implicit-def: $vgpr4_vgpr5
	s_and_saveexec_b64 s[16:17], s[14:15]
	s_xor_b64 s[14:15], exec, s[16:17]
	s_cbranch_execz .LBB131_25
; %bb.24:
	s_waitcnt vmcnt(0) lgkmcnt(0)
	flat_load_dwordx2 v[4:5], v[0:1]
                                        ; implicit-def: $vgpr0_vgpr1
.LBB131_25:
	s_andn2_saveexec_b64 s[14:15], s[14:15]
	s_cbranch_execz .LBB131_27
; %bb.26:
	flat_load_dword v0, v[0:1]
	s_waitcnt vmcnt(0) lgkmcnt(0)
	v_cvt_f64_f32_e32 v[4:5], v0
.LBB131_27:
	s_or_b64 exec, exec, s[14:15]
                                        ; implicit-def: $vgpr0_vgpr1
.LBB131_28:
	s_andn2_saveexec_b64 s[12:13], s[12:13]
	s_cbranch_execz .LBB131_30
; %bb.29:
	flat_load_ushort v0, v[0:1]
	s_waitcnt vmcnt(0) lgkmcnt(0)
	v_cvt_f32_f16_e32 v0, v0
	v_cvt_f64_f32_e32 v[4:5], v0
.LBB131_30:
	s_or_b64 exec, exec, s[12:13]
.LBB131_31:
	s_or_b64 exec, exec, s[10:11]
                                        ; implicit-def: $vgpr3
                                        ; implicit-def: $vgpr0_vgpr1
.LBB131_32:
	s_andn2_saveexec_b64 s[8:9], s[8:9]
	s_cbranch_execz .LBB131_50
; %bb.33:
	v_mov_b32_e32 v2, 1
	v_cmp_gt_i16_sdwa s[10:11], v3, v2 src0_sel:BYTE_0 src1_sel:DWORD
                                        ; implicit-def: $vgpr4_vgpr5
	s_and_saveexec_b64 s[12:13], s[10:11]
	s_xor_b64 s[10:11], exec, s[12:13]
	s_cbranch_execz .LBB131_43
; %bb.34:
	v_mov_b32_e32 v2, 2
	v_cmp_gt_i16_sdwa s[12:13], v3, v2 src0_sel:BYTE_0 src1_sel:DWORD
                                        ; implicit-def: $vgpr4_vgpr5
	s_and_saveexec_b64 s[14:15], s[12:13]
	s_xor_b64 s[12:13], exec, s[14:15]
	;; [unrolled: 7-line block ×3, first 2 shown]
	s_cbranch_execz .LBB131_37
; %bb.36:
	flat_load_dwordx2 v[0:1], v[0:1]
	s_waitcnt vmcnt(0) lgkmcnt(0)
	v_cvt_f64_i32_e32 v[1:2], v1
	v_cvt_f64_u32_e32 v[3:4], v0
	v_ldexp_f64 v[1:2], v[1:2], 32
	v_add_f64 v[4:5], v[1:2], v[3:4]
                                        ; implicit-def: $vgpr0_vgpr1
.LBB131_37:
	s_andn2_saveexec_b64 s[14:15], s[14:15]
	s_cbranch_execz .LBB131_39
; %bb.38:
	flat_load_dword v0, v[0:1]
	s_waitcnt vmcnt(0) lgkmcnt(0)
	v_cvt_f64_i32_e32 v[4:5], v0
.LBB131_39:
	s_or_b64 exec, exec, s[14:15]
                                        ; implicit-def: $vgpr0_vgpr1
.LBB131_40:
	s_andn2_saveexec_b64 s[12:13], s[12:13]
	s_cbranch_execz .LBB131_42
; %bb.41:
	flat_load_sshort v0, v[0:1]
	s_waitcnt vmcnt(0) lgkmcnt(0)
	v_cvt_f64_i32_e32 v[4:5], v0
.LBB131_42:
	s_or_b64 exec, exec, s[12:13]
                                        ; implicit-def: $vgpr0_vgpr1
                                        ; implicit-def: $vgpr3
.LBB131_43:
	s_andn2_saveexec_b64 s[10:11], s[10:11]
	s_cbranch_execz .LBB131_49
; %bb.44:
	v_mov_b32_e32 v2, 0
	v_cmp_gt_i16_sdwa s[12:13], v3, v2 src0_sel:BYTE_0 src1_sel:DWORD
                                        ; implicit-def: $vgpr4_vgpr5
	s_and_saveexec_b64 s[14:15], s[12:13]
	s_xor_b64 s[12:13], exec, s[14:15]
	s_cbranch_execz .LBB131_46
; %bb.45:
	flat_load_sbyte v0, v[0:1]
	s_waitcnt vmcnt(0) lgkmcnt(0)
	v_cvt_f64_i32_e32 v[4:5], v0
                                        ; implicit-def: $vgpr0_vgpr1
.LBB131_46:
	s_andn2_saveexec_b64 s[12:13], s[12:13]
	s_cbranch_execz .LBB131_48
; %bb.47:
	flat_load_ubyte v0, v[0:1]
	s_waitcnt vmcnt(0) lgkmcnt(0)
	v_cvt_f64_u32_e32 v[4:5], v0
.LBB131_48:
	s_or_b64 exec, exec, s[12:13]
.LBB131_49:
	s_or_b64 exec, exec, s[10:11]
.LBB131_50:
	s_or_b64 exec, exec, s[8:9]
	s_or_b64 s[6:7], s[6:7], exec
	s_or_b64 exec, exec, s[4:5]
                                        ; implicit-def: $vgpr0_vgpr1
	s_and_saveexec_b64 s[8:9], s[6:7]
	s_cbranch_execz .LBB131_3
.LBB131_51:
	s_waitcnt vmcnt(0) lgkmcnt(0)
	v_and_b32_e32 v1, 0x7fffffff, v5
	s_mov_b32 s4, 0x3f6fffff
	v_mov_b32_e32 v0, v4
	v_cmp_lt_u32_e32 vcc, s4, v1
                                        ; implicit-def: $vgpr2_vgpr3
	s_and_saveexec_b64 s[4:5], vcc
	s_xor_b64 s[10:11], exec, s[4:5]
	s_cbranch_execz .LBB131_77
; %bb.52:
	s_brev_b32 s4, -4
	v_cmp_lt_u32_e32 vcc, s4, v1
                                        ; implicit-def: $vgpr2_vgpr3
	s_and_saveexec_b64 s[4:5], vcc
	s_xor_b64 s[6:7], exec, s[4:5]
	s_cbranch_execz .LBB131_62
; %bb.53:
	s_mov_b32 s4, 0x401fffff
	v_cmp_lt_u32_e32 vcc, s4, v1
                                        ; implicit-def: $vgpr2_vgpr3
	s_and_saveexec_b64 s[4:5], vcc
	s_xor_b64 s[12:13], exec, s[4:5]
	s_cbranch_execz .LBB131_59
; %bb.54:
	s_mov_b32 s4, 0x438fffff
	v_cmp_lt_u32_e32 vcc, s4, v1
                                        ; implicit-def: $vgpr2_vgpr3
	s_and_saveexec_b64 s[4:5], vcc
	s_xor_b64 s[14:15], exec, s[4:5]
	s_cbranch_execz .LBB131_56
; %bb.55:
	v_frexp_mant_f64_e64 v[2:3], |v[4:5]|
	s_mov_b32 s5, 0x3fe55555
	s_mov_b32 s4, 0x55555555
	;; [unrolled: 1-line block ×4, first 2 shown]
	v_cmp_gt_f64_e32 vcc, s[4:5], v[2:3]
	s_mov_b32 s4, 0x55555780
	v_cndmask_b32_e64 v0, 0, 1, vcc
	v_ldexp_f64 v[2:3], v[2:3], v0
	v_frexp_exp_i32_f64_e32 v0, v[4:5]
	v_add_f64 v[6:7], v[2:3], 1.0
	v_add_f64 v[12:13], v[2:3], -1.0
	v_subbrev_co_u32_e32 v0, vcc, 0, v0, vcc
	v_rcp_f64_e32 v[8:9], v[6:7]
	v_add_f64 v[14:15], v[6:7], -1.0
	v_add_f64 v[2:3], v[2:3], -v[14:15]
	v_fma_f64 v[10:11], -v[6:7], v[8:9], 1.0
	v_fma_f64 v[8:9], v[10:11], v[8:9], v[8:9]
	v_fma_f64 v[10:11], -v[6:7], v[8:9], 1.0
	v_fma_f64 v[8:9], v[10:11], v[8:9], v[8:9]
	v_mul_f64 v[10:11], v[12:13], v[8:9]
	v_mul_f64 v[16:17], v[6:7], v[10:11]
	v_fma_f64 v[6:7], v[10:11], v[6:7], -v[16:17]
	v_fma_f64 v[2:3], v[10:11], v[2:3], v[6:7]
	v_add_f64 v[6:7], v[16:17], v[2:3]
	v_add_f64 v[14:15], v[12:13], -v[6:7]
	v_add_f64 v[16:17], v[6:7], -v[16:17]
	;; [unrolled: 1-line block ×5, first 2 shown]
	v_mov_b32_e32 v12, 0x6b47b09a
	v_mov_b32_e32 v13, 0x3fc38538
	v_add_f64 v[2:3], v[2:3], v[6:7]
	v_add_f64 v[2:3], v[14:15], v[2:3]
	v_mul_f64 v[2:3], v[8:9], v[2:3]
	v_add_f64 v[6:7], v[10:11], v[2:3]
	v_mul_f64 v[8:9], v[6:7], v[6:7]
	v_fma_f64 v[12:13], v[8:9], s[16:17], v[12:13]
	s_mov_b32 s16, 0xd7f4df2e
	s_mov_b32 s17, 0x3fc7474d
	v_mul_f64 v[14:15], v[6:7], v[8:9]
	v_fma_f64 v[12:13], v[8:9], v[12:13], s[16:17]
	s_mov_b32 s16, 0x16291751
	s_mov_b32 s17, 0x3fcc71c0
	v_fma_f64 v[12:13], v[8:9], v[12:13], s[16:17]
	s_mov_b32 s16, 0x9b27acf1
	s_mov_b32 s17, 0x3fd24924
	;; [unrolled: 3-line block ×3, first 2 shown]
	v_fma_f64 v[12:13], v[8:9], v[12:13], s[16:17]
	v_fma_f64 v[8:9], v[8:9], v[12:13], s[4:5]
	v_ldexp_f64 v[12:13], v[6:7], 1
	v_add_f64 v[6:7], v[6:7], -v[10:11]
	s_mov_b32 s4, 0xfefa39ef
	s_mov_b32 s5, 0x3fe62e42
	v_mul_f64 v[8:9], v[14:15], v[8:9]
	v_cvt_f64_i32_e32 v[14:15], v0
	v_add_f64 v[2:3], v[2:3], -v[6:7]
	v_mov_b32_e32 v0, 0x7ff00000
	v_mul_f64 v[16:17], v[14:15], s[4:5]
	v_add_f64 v[10:11], v[12:13], v[8:9]
	v_ldexp_f64 v[2:3], v[2:3], 1
	v_add_f64 v[6:7], v[10:11], -v[12:13]
	v_fma_f64 v[12:13], v[14:15], s[4:5], -v[16:17]
	s_mov_b32 s4, 0x3b39803f
	s_mov_b32 s5, 0x3c7abc9e
	v_add_f64 v[6:7], v[8:9], -v[6:7]
	v_fma_f64 v[8:9], v[14:15], s[4:5], v[12:13]
	s_mov_b32 s4, 0
	s_mov_b32 s5, 0x7ff00000
	v_cmp_neq_f64_e64 vcc, |v[4:5]|, s[4:5]
	v_cmp_neq_f64_e64 s[4:5], 0, v[4:5]
	v_add_f64 v[2:3], v[2:3], v[6:7]
	v_add_f64 v[6:7], v[16:17], v[8:9]
	;; [unrolled: 1-line block ×3, first 2 shown]
	v_add_f64 v[16:17], v[6:7], -v[16:17]
	v_add_f64 v[14:15], v[6:7], v[12:13]
	v_add_f64 v[10:11], v[12:13], -v[10:11]
	v_add_f64 v[8:9], v[8:9], -v[16:17]
	;; [unrolled: 1-line block ×6, first 2 shown]
	v_add_f64 v[12:13], v[8:9], v[2:3]
	v_add_f64 v[6:7], v[6:7], -v[20:21]
	v_add_f64 v[6:7], v[10:11], v[6:7]
	v_add_f64 v[10:11], v[12:13], -v[8:9]
	;; [unrolled: 2-line block ×3, first 2 shown]
	v_add_f64 v[2:3], v[2:3], -v[10:11]
	v_add_f64 v[16:17], v[14:15], v[6:7]
	v_add_f64 v[8:9], v[8:9], -v[12:13]
	v_add_f64 v[10:11], v[16:17], -v[14:15]
	v_add_f64 v[2:3], v[2:3], v[8:9]
	v_add_f64 v[6:7], v[6:7], -v[10:11]
	v_add_f64 v[2:3], v[2:3], v[6:7]
	v_mov_b32_e32 v6, 0xfff00000
	v_add_f64 v[2:3], v[16:17], v[2:3]
	v_cndmask_b32_e32 v0, v0, v3, vcc
	s_and_b64 vcc, s[4:5], vcc
	v_cndmask_b32_e64 v3, v6, v0, s[4:5]
	v_cndmask_b32_e32 v2, 0, v2, vcc
	v_fma_f64 v[2:3], |v[4:5]|, v[2:3], -|v[4:5]|
.LBB131_56:
	s_andn2_saveexec_b64 s[14:15], s[14:15]
	s_cbranch_execz .LBB131_58
; %bb.57:
	v_frexp_mant_f64_e64 v[2:3], |v[4:5]|
	s_mov_b32 s5, 0x3fe55555
	s_mov_b32 s4, 0x55555555
	;; [unrolled: 1-line block ×6, first 2 shown]
	v_cmp_gt_f64_e32 vcc, s[4:5], v[2:3]
	s_mov_b32 s4, 0x55555780
	v_cndmask_b32_e64 v0, 0, 1, vcc
	v_ldexp_f64 v[6:7], v[2:3], v0
	v_frexp_exp_i32_f64_e32 v0, v[4:5]
	v_add_f64 v[8:9], v[6:7], 1.0
	v_add_f64 v[12:13], v[6:7], -1.0
	v_subbrev_co_u32_e32 v0, vcc, 0, v0, vcc
	v_rcp_f64_e32 v[2:3], v[8:9]
	v_add_f64 v[14:15], v[8:9], -1.0
	v_add_f64 v[6:7], v[6:7], -v[14:15]
	v_fma_f64 v[10:11], -v[8:9], v[2:3], 1.0
	v_fma_f64 v[2:3], v[10:11], v[2:3], v[2:3]
	v_fma_f64 v[10:11], -v[8:9], v[2:3], 1.0
	v_fma_f64 v[10:11], v[10:11], v[2:3], v[2:3]
	v_mul_f64 v[2:3], v[12:13], v[10:11]
	v_mul_f64 v[16:17], v[8:9], v[2:3]
	v_fma_f64 v[8:9], v[2:3], v[8:9], -v[16:17]
	v_fma_f64 v[6:7], v[2:3], v[6:7], v[8:9]
	v_add_f64 v[8:9], v[16:17], v[6:7]
	v_add_f64 v[14:15], v[12:13], -v[8:9]
	v_add_f64 v[16:17], v[8:9], -v[16:17]
	;; [unrolled: 1-line block ×5, first 2 shown]
	v_mov_b32_e32 v12, 0x6b47b09a
	v_mov_b32_e32 v13, 0x3fc38538
	v_add_f64 v[6:7], v[6:7], v[8:9]
	v_add_f64 v[6:7], v[14:15], v[6:7]
	v_mul_f64 v[6:7], v[10:11], v[6:7]
	v_add_f64 v[8:9], v[2:3], v[6:7]
	v_mul_f64 v[10:11], v[8:9], v[8:9]
	v_ldexp_f64 v[18:19], v[8:9], 1
	v_add_f64 v[2:3], v[8:9], -v[2:3]
	v_fma_f64 v[12:13], v[10:11], s[16:17], v[12:13]
	s_mov_b32 s16, 0xd7f4df2e
	s_mov_b32 s17, 0x3fc7474d
	v_mul_f64 v[14:15], v[8:9], v[10:11]
	v_add_f64 v[2:3], v[6:7], -v[2:3]
	v_fma_f64 v[12:13], v[10:11], v[12:13], s[16:17]
	s_mov_b32 s16, 0x16291751
	s_mov_b32 s17, 0x3fcc71c0
	v_ldexp_f64 v[2:3], v[2:3], 1
	v_fma_f64 v[12:13], v[10:11], v[12:13], s[16:17]
	s_mov_b32 s16, 0x9b27acf1
	s_mov_b32 s17, 0x3fd24924
	v_fma_f64 v[12:13], v[10:11], v[12:13], s[16:17]
	s_mov_b32 s16, 0x998ef7b6
	s_mov_b32 s17, 0x3fd99999
	;; [unrolled: 3-line block ×3, first 2 shown]
	v_fma_f64 v[10:11], v[10:11], v[12:13], s[4:5]
	v_and_b32_e32 v13, 0x7fffffff, v5
	v_mov_b32_e32 v12, v4
	v_div_scale_f64 v[16:17], s[4:5], v[12:13], v[12:13], 1.0
	s_mov_b32 s4, 0xfefa39ef
	s_mov_b32 s5, 0x3fe62e42
	v_div_scale_f64 v[12:13], vcc, 1.0, v[12:13], 1.0
	v_mul_f64 v[10:11], v[14:15], v[10:11]
	v_cvt_f64_i32_e32 v[14:15], v0
	v_mov_b32_e32 v0, 0x7ff00000
	v_mul_f64 v[22:23], v[14:15], s[4:5]
	v_add_f64 v[8:9], v[18:19], v[10:11]
	v_rcp_f64_e32 v[20:21], v[16:17]
	v_add_f64 v[6:7], v[8:9], -v[18:19]
	v_fma_f64 v[18:19], v[14:15], s[4:5], -v[22:23]
	s_mov_b32 s4, 0x3b39803f
	s_mov_b32 s5, 0x3c7abc9e
	v_add_f64 v[6:7], v[10:11], -v[6:7]
	v_fma_f64 v[14:15], v[14:15], s[4:5], v[18:19]
	v_fma_f64 v[10:11], -v[16:17], v[20:21], 1.0
	s_mov_b32 s4, 0xb9e43e4
	s_mov_b32 s5, 0xbf5ab89d
	v_add_f64 v[2:3], v[2:3], v[6:7]
	v_fma_f64 v[6:7], v[20:21], v[10:11], v[20:21]
	v_add_f64 v[10:11], v[22:23], v[14:15]
	v_add_f64 v[18:19], v[8:9], v[2:3]
	v_fma_f64 v[20:21], -v[16:17], v[6:7], 1.0
	v_add_f64 v[22:23], v[10:11], -v[22:23]
	v_add_f64 v[24:25], v[10:11], v[18:19]
	v_add_f64 v[8:9], v[18:19], -v[8:9]
	v_fma_f64 v[6:7], v[6:7], v[20:21], v[6:7]
	v_add_f64 v[14:15], v[14:15], -v[22:23]
	v_add_f64 v[20:21], v[24:25], -v[10:11]
	;; [unrolled: 1-line block ×3, first 2 shown]
	v_mul_f64 v[26:27], v[12:13], v[6:7]
	v_add_f64 v[28:29], v[24:25], -v[20:21]
	v_add_f64 v[8:9], v[18:19], -v[20:21]
	v_fma_f64 v[12:13], -v[16:17], v[26:27], v[12:13]
	v_mov_b32_e32 v20, 0x4cdad5d1
	v_mov_b32_e32 v21, 0x3f4b67ba
	v_add_f64 v[10:11], v[10:11], -v[28:29]
	v_div_fmas_f64 v[6:7], v[12:13], v[6:7], v[26:27]
	v_add_f64 v[12:13], v[14:15], v[2:3]
	v_cmp_neq_f64_e64 vcc, |v[4:5]|, s[18:19]
	v_add_f64 v[8:9], v[8:9], v[10:11]
	v_add_f64 v[10:11], v[12:13], -v[14:15]
	v_add_f64 v[8:9], v[12:13], v[8:9]
	v_div_fixup_f64 v[6:7], v[6:7], |v[4:5]|, 1.0
	v_add_f64 v[12:13], v[12:13], -v[10:11]
	v_add_f64 v[2:3], v[2:3], -v[10:11]
	v_add_f64 v[16:17], v[24:25], v[8:9]
	v_mul_f64 v[18:19], v[6:7], v[6:7]
	v_add_f64 v[10:11], v[14:15], -v[12:13]
	v_add_f64 v[12:13], v[16:17], -v[24:25]
	v_fma_f64 v[14:15], v[18:19], s[4:5], v[20:21]
	s_mov_b32 s4, 0x8c0fe741
	s_mov_b32 s5, 0xbf4380cb
	v_add_f64 v[2:3], v[2:3], v[10:11]
	v_add_f64 v[8:9], v[8:9], -v[12:13]
	v_mov_b32_e32 v12, 0xfff00000
	v_fma_f64 v[10:11], v[18:19], v[14:15], s[4:5]
	s_mov_b32 s4, 0x98cf38b6
	s_mov_b32 s5, 0x3f4a019f
	v_add_f64 v[2:3], v[2:3], v[8:9]
	v_fma_f64 v[8:9], v[18:19], v[10:11], s[4:5]
	s_mov_b32 s4, 0x16b02e5c
	s_mov_b32 s5, 0xbf66c16c
	v_add_f64 v[10:11], |v[4:5]|, -0.5
	v_add_f64 v[2:3], v[16:17], v[2:3]
	v_fma_f64 v[8:9], v[18:19], v[8:9], s[4:5]
	s_mov_b32 s4, 0x5555553b
	s_mov_b32 s5, 0x3fb55555
	v_add_f64 v[2:3], v[2:3], -1.0
	v_fma_f64 v[8:9], v[18:19], v[8:9], s[4:5]
	v_cmp_neq_f64_e64 s[4:5], 0, v[4:5]
	v_cndmask_b32_e32 v0, v0, v3, vcc
	v_fma_f64 v[6:7], v[6:7], v[8:9], s[16:17]
	s_and_b64 vcc, s[4:5], vcc
	v_cndmask_b32_e64 v3, v12, v0, s[4:5]
	v_cndmask_b32_e32 v2, 0, v2, vcc
	v_fma_f64 v[2:3], v[10:11], v[2:3], v[6:7]
.LBB131_58:
	s_or_b64 exec, exec, s[14:15]
.LBB131_59:
	s_andn2_saveexec_b64 s[12:13], s[12:13]
	s_cbranch_execz .LBB131_61
; %bb.60:
	v_cvt_i32_f64_e32 v0, v[0:1]
	s_mov_b32 s4, 0xdd17e945
	v_mov_b32_e32 v6, 0x7368f239
	v_mov_b32_e32 v7, 0x3f5e26b6
	v_cvt_f64_i32_e32 v[2:3], v0
	s_mov_b32 s5, 0x3f00bfec
	s_mov_b32 s14, 0xa5b38140
	v_mov_b32_e32 v8, 0xca41a95b
	v_add_f64 v[2:3], |v[4:5]|, -v[2:3]
	v_mov_b32_e32 v9, 0x3f497dda
	s_mov_b32 s15, 0x3edebaf7
	v_mov_b32_e32 v20, 0x3ff00000
	v_cmp_lt_i32_e32 vcc, 2, v0
	v_fma_f64 v[6:7], v[2:3], s[4:5], v[6:7]
	s_mov_b32 s4, 0x7e939961
	s_mov_b32 s5, 0x3f9b481c
	v_fma_f64 v[8:9], v[2:3], s[14:15], v[8:9]
	s_mov_b32 s14, 0x742ed475
	s_mov_b32 s15, 0x3f9317ea
	v_add_f64 v[16:17], v[2:3], 4.0
	v_fma_f64 v[6:7], v[2:3], v[6:7], s[4:5]
	s_mov_b32 s4, 0xbee5f2f7
	s_mov_b32 s5, 0x3fc2bb9c
	v_fma_f64 v[8:9], v[2:3], v[8:9], s[14:15]
	s_mov_b32 s14, 0xccfbdf27
	s_mov_b32 s15, 0x3fc601ed
	;; [unrolled: 3-line block ×8, first 2 shown]
	v_fma_f64 v[10:11], v[2:3], v[6:7], s[4:5]
	v_fma_f64 v[6:7], v[2:3], v[8:9], 1.0
	v_mul_f64 v[8:9], v[2:3], v[10:11]
	v_add_f64 v[10:11], v[2:3], 2.0
	v_div_scale_f64 v[12:13], s[4:5], v[6:7], v[6:7], v[8:9]
	s_mov_b32 s4, 0
	s_mov_b32 s5, 0x40080000
	v_add_f64 v[14:15], v[2:3], s[4:5]
	v_cndmask_b32_e32 v11, v20, v11, vcc
	v_cndmask_b32_e32 v10, 0, v10, vcc
	v_cmp_lt_i32_e32 vcc, 3, v0
	s_mov_b32 s4, 0
	s_mov_b32 s5, 0x40140000
	v_add_f64 v[18:19], v[2:3], s[4:5]
	s_mov_b32 s4, 0
	v_cndmask_b32_e32 v15, v20, v15, vcc
	v_cndmask_b32_e32 v14, 0, v14, vcc
	v_mul_f64 v[10:11], v[10:11], v[14:15]
	v_cmp_lt_i32_e32 vcc, 4, v0
	v_cndmask_b32_e32 v17, v20, v17, vcc
	v_cndmask_b32_e32 v16, 0, v16, vcc
	v_rcp_f64_e32 v[14:15], v[12:13]
	s_mov_b32 s5, 0x40180000
	v_cmp_lt_i32_e32 vcc, 5, v0
	v_cndmask_b32_e32 v19, v20, v19, vcc
	v_mul_f64 v[10:11], v[16:17], v[10:11]
	v_add_f64 v[16:17], v[2:3], s[4:5]
	v_cndmask_b32_e32 v18, 0, v18, vcc
	v_cmp_lt_i32_e32 vcc, 6, v0
	v_mul_f64 v[10:11], v[18:19], v[10:11]
	v_cndmask_b32_e32 v17, v20, v17, vcc
	v_cndmask_b32_e32 v16, 0, v16, vcc
	v_fma_f64 v[18:19], -v[12:13], v[14:15], 1.0
	v_mul_f64 v[10:11], v[16:17], v[10:11]
	v_div_scale_f64 v[16:17], vcc, v[8:9], v[6:7], v[8:9]
	v_fma_f64 v[14:15], v[14:15], v[18:19], v[14:15]
	v_frexp_mant_f64_e32 v[20:21], v[10:11]
	v_fma_f64 v[18:19], -v[12:13], v[14:15], 1.0
	v_cmp_gt_f64_e64 s[4:5], s[14:15], v[20:21]
	s_mov_b32 s14, 0x55555780
	v_fma_f64 v[18:19], v[14:15], v[18:19], v[14:15]
	v_cndmask_b32_e64 v0, 0, 1, s[4:5]
	v_ldexp_f64 v[14:15], v[20:21], v0
	v_frexp_exp_i32_f64_e32 v0, v[10:11]
	v_mul_f64 v[20:21], v[16:17], v[18:19]
	v_add_f64 v[22:23], v[14:15], 1.0
	v_fma_f64 v[12:13], -v[12:13], v[20:21], v[16:17]
	v_rcp_f64_e32 v[16:17], v[22:23]
	v_div_fmas_f64 v[12:13], v[12:13], v[18:19], v[20:21]
	v_add_f64 v[20:21], v[22:23], -1.0
	v_subbrev_co_u32_e64 v0, vcc, 0, v0, s[4:5]
	s_mov_b32 s4, 0xfefa39ef
	s_mov_b32 s5, 0x3fe62e42
	v_fma_f64 v[24:25], -v[22:23], v[16:17], 1.0
	v_div_fixup_f64 v[6:7], v[12:13], v[6:7], v[8:9]
	v_mov_b32_e32 v12, 0xfff00000
	v_fma_f64 v[16:17], v[24:25], v[16:17], v[16:17]
	v_fma_f64 v[2:3], v[2:3], 0.5, v[6:7]
	v_fma_f64 v[18:19], -v[22:23], v[16:17], 1.0
	v_fma_f64 v[16:17], v[18:19], v[16:17], v[16:17]
	v_add_f64 v[18:19], v[14:15], -1.0
	v_add_f64 v[14:15], v[14:15], -v[20:21]
	v_mul_f64 v[20:21], v[18:19], v[16:17]
	v_mul_f64 v[24:25], v[22:23], v[20:21]
	v_fma_f64 v[22:23], v[20:21], v[22:23], -v[24:25]
	v_fma_f64 v[14:15], v[20:21], v[14:15], v[22:23]
	v_add_f64 v[22:23], v[24:25], v[14:15]
	v_add_f64 v[24:25], v[22:23], -v[24:25]
	v_add_f64 v[14:15], v[24:25], -v[14:15]
	;; [unrolled: 1-line block ×5, first 2 shown]
	v_add_f64 v[14:15], v[14:15], v[18:19]
	v_cvt_f64_i32_e32 v[18:19], v0
	v_mov_b32_e32 v0, 0x7ff80000
	v_mul_f64 v[22:23], v[18:19], s[4:5]
	v_add_f64 v[14:15], v[24:25], v[14:15]
	v_mul_f64 v[14:15], v[16:17], v[14:15]
	v_fma_f64 v[16:17], v[18:19], s[4:5], -v[22:23]
	s_mov_b32 s4, 0x3b39803f
	s_mov_b32 s5, 0x3c7abc9e
	v_fma_f64 v[16:17], v[18:19], s[4:5], v[16:17]
	v_add_f64 v[18:19], v[20:21], v[14:15]
	s_mov_b32 s4, 0xbf559e2b
	s_mov_b32 s5, 0x3fc3ab76
	v_add_f64 v[20:21], v[18:19], -v[20:21]
	v_mul_f64 v[24:25], v[18:19], v[18:19]
	v_add_f64 v[14:15], v[14:15], -v[20:21]
	v_mov_b32_e32 v20, 0x6b47b09a
	v_mov_b32_e32 v21, 0x3fc38538
	v_fma_f64 v[20:21], v[24:25], s[4:5], v[20:21]
	s_mov_b32 s4, 0xd7f4df2e
	s_mov_b32 s5, 0x3fc7474d
	v_ldexp_f64 v[14:15], v[14:15], 1
	v_fma_f64 v[20:21], v[24:25], v[20:21], s[4:5]
	s_mov_b32 s4, 0x16291751
	s_mov_b32 s5, 0x3fcc71c0
	v_fma_f64 v[20:21], v[24:25], v[20:21], s[4:5]
	s_mov_b32 s4, 0x9b27acf1
	s_mov_b32 s5, 0x3fd24924
	;; [unrolled: 3-line block ×3, first 2 shown]
	v_fma_f64 v[20:21], v[24:25], v[20:21], s[4:5]
	s_movk_i32 s4, 0x204
	v_cmp_class_f64_e64 vcc, v[10:11], s4
	v_fma_f64 v[20:21], v[24:25], v[20:21], s[14:15]
	v_mul_f64 v[24:25], v[18:19], v[24:25]
	v_ldexp_f64 v[18:19], v[18:19], 1
	v_mul_f64 v[20:21], v[24:25], v[20:21]
	v_add_f64 v[24:25], v[18:19], v[20:21]
	v_add_f64 v[18:19], v[24:25], -v[18:19]
	v_add_f64 v[18:19], v[20:21], -v[18:19]
	v_add_f64 v[14:15], v[14:15], v[18:19]
	v_add_f64 v[18:19], v[22:23], v[16:17]
	v_add_f64 v[20:21], v[18:19], -v[22:23]
	v_add_f64 v[16:17], v[16:17], -v[20:21]
	v_add_f64 v[20:21], v[24:25], v[14:15]
	v_add_f64 v[22:23], v[20:21], -v[24:25]
	v_add_f64 v[24:25], v[18:19], v[20:21]
	v_add_f64 v[14:15], v[14:15], -v[22:23]
	v_add_f64 v[26:27], v[24:25], -v[18:19]
	;; [unrolled: 1-line block ×5, first 2 shown]
	v_add_f64 v[18:19], v[20:21], v[18:19]
	v_add_f64 v[20:21], v[16:17], v[14:15]
	v_add_f64 v[22:23], v[20:21], -v[16:17]
	v_add_f64 v[18:19], v[20:21], v[18:19]
	v_add_f64 v[20:21], v[20:21], -v[22:23]
	v_add_f64 v[14:15], v[14:15], -v[22:23]
	v_add_f64 v[16:17], v[16:17], -v[20:21]
	v_add_f64 v[20:21], v[24:25], v[18:19]
	v_add_f64 v[14:15], v[14:15], v[16:17]
	v_add_f64 v[22:23], v[20:21], -v[24:25]
	v_add_f64 v[16:17], v[18:19], -v[22:23]
	v_add_f64 v[14:15], v[14:15], v[16:17]
	v_add_f64 v[8:9], v[20:21], v[14:15]
	v_cndmask_b32_e32 v6, v8, v10, vcc
	v_cndmask_b32_e32 v7, v9, v11, vcc
	v_cmp_ngt_f64_e32 vcc, 0, v[10:11]
	v_cndmask_b32_e32 v0, v0, v7, vcc
	v_cmp_nge_f64_e32 vcc, 0, v[10:11]
	v_cndmask_b32_e32 v6, 0, v6, vcc
	v_cmp_neq_f64_e32 vcc, 0, v[10:11]
	v_cndmask_b32_e32 v7, v12, v0, vcc
	v_add_f64 v[2:3], v[2:3], v[6:7]
.LBB131_61:
	s_or_b64 exec, exec, s[12:13]
.LBB131_62:
	s_andn2_saveexec_b64 s[12:13], s[6:7]
	s_cbranch_execz .LBB131_76
; %bb.63:
	s_mov_b32 s4, 0x3feccccc
	v_cmp_lt_u32_e32 vcc, s4, v1
                                        ; implicit-def: $vgpr0
                                        ; implicit-def: $vgpr6_vgpr7
	s_and_saveexec_b64 s[4:5], vcc
	s_xor_b64 s[4:5], exec, s[4:5]
	s_cbranch_execz .LBB131_65
; %bb.64:
	s_mov_b32 s6, 0x6356be3f
	s_mov_b32 s7, 0xbff762d8
	v_add_f64 v[2:3], -|v[4:5]|, 2.0
	v_add_f64 v[6:7], |v[4:5]|, s[6:7]
	v_add_f64 v[8:9], |v[4:5]|, -1.0
	s_mov_b32 s6, 0x3ffbb4c3
	v_cmp_gt_u32_e32 vcc, s6, v1
	s_mov_b32 s6, 0x3ff3b4c4
	v_cndmask_b32_e32 v0, v2, v6, vcc
	v_cndmask_b32_e32 v2, v3, v7, vcc
	v_cndmask_b32_e64 v3, 0, 1, vcc
	v_cmp_gt_u32_e32 vcc, s6, v1
	v_cndmask_b32_e32 v7, v2, v9, vcc
	v_cndmask_b32_e32 v6, v0, v8, vcc
	v_cndmask_b32_e64 v0, v3, 2, vcc
.LBB131_65:
	s_or_saveexec_b64 s[14:15], s[4:5]
	v_mov_b32_e32 v2, 0
	v_mov_b32_e32 v3, 0
	s_xor_b64 exec, exec, s[14:15]
	s_cbranch_execz .LBB131_67
; %bb.66:
	v_frexp_mant_f64_e64 v[2:3], |v[4:5]|
	s_mov_b32 s5, 0x3fe55555
	s_mov_b32 s4, 0x55555555
	;; [unrolled: 1-line block ×5, first 2 shown]
	v_cmp_gt_f64_e32 vcc, s[4:5], v[2:3]
	s_mov_b32 s4, 0x55555780
	v_cndmask_b32_e64 v0, 0, 1, vcc
	v_ldexp_f64 v[2:3], v[2:3], v0
	v_frexp_exp_i32_f64_e32 v0, v[4:5]
	v_add_f64 v[6:7], v[2:3], 1.0
	v_add_f64 v[12:13], v[2:3], -1.0
	v_subbrev_co_u32_e32 v0, vcc, 0, v0, vcc
	v_rcp_f64_e32 v[8:9], v[6:7]
	v_add_f64 v[14:15], v[6:7], -1.0
	v_add_f64 v[2:3], v[2:3], -v[14:15]
	v_fma_f64 v[10:11], -v[6:7], v[8:9], 1.0
	v_fma_f64 v[8:9], v[10:11], v[8:9], v[8:9]
	v_fma_f64 v[10:11], -v[6:7], v[8:9], 1.0
	v_fma_f64 v[8:9], v[10:11], v[8:9], v[8:9]
	v_mul_f64 v[10:11], v[12:13], v[8:9]
	v_mul_f64 v[16:17], v[6:7], v[10:11]
	v_fma_f64 v[6:7], v[10:11], v[6:7], -v[16:17]
	v_fma_f64 v[2:3], v[10:11], v[2:3], v[6:7]
	v_add_f64 v[6:7], v[16:17], v[2:3]
	v_add_f64 v[14:15], v[12:13], -v[6:7]
	v_add_f64 v[16:17], v[6:7], -v[16:17]
	;; [unrolled: 1-line block ×5, first 2 shown]
	v_mov_b32_e32 v12, 0x6b47b09a
	v_mov_b32_e32 v13, 0x3fc38538
	v_add_f64 v[2:3], v[2:3], v[6:7]
	v_add_f64 v[2:3], v[14:15], v[2:3]
	v_mul_f64 v[2:3], v[8:9], v[2:3]
	v_add_f64 v[6:7], v[10:11], v[2:3]
	v_mul_f64 v[8:9], v[6:7], v[6:7]
	v_fma_f64 v[12:13], v[8:9], s[6:7], v[12:13]
	s_mov_b32 s6, 0xd7f4df2e
	s_mov_b32 s7, 0x3fc7474d
	v_mul_f64 v[14:15], v[6:7], v[8:9]
	v_fma_f64 v[12:13], v[8:9], v[12:13], s[6:7]
	s_mov_b32 s6, 0x16291751
	s_mov_b32 s7, 0x3fcc71c0
	v_fma_f64 v[12:13], v[8:9], v[12:13], s[6:7]
	s_mov_b32 s6, 0x9b27acf1
	s_mov_b32 s7, 0x3fd24924
	;; [unrolled: 3-line block ×4, first 2 shown]
	v_fma_f64 v[8:9], v[8:9], v[12:13], s[4:5]
	v_ldexp_f64 v[12:13], v[6:7], 1
	v_add_f64 v[6:7], v[6:7], -v[10:11]
	s_mov_b32 s4, 0xfefa39ef
	s_mov_b32 s5, 0x3fe62e42
	v_mul_f64 v[8:9], v[14:15], v[8:9]
	v_cvt_f64_i32_e32 v[14:15], v0
	v_add_f64 v[2:3], v[2:3], -v[6:7]
	v_and_b32_e32 v0, 0x7fffffff, v5
	v_mul_f64 v[16:17], v[14:15], s[4:5]
	v_add_f64 v[10:11], v[12:13], v[8:9]
	v_ldexp_f64 v[2:3], v[2:3], 1
	v_add_f64 v[6:7], v[10:11], -v[12:13]
	v_fma_f64 v[12:13], v[14:15], s[4:5], -v[16:17]
	s_mov_b32 s4, 0x3b39803f
	s_mov_b32 s5, 0x3c7abc9e
	v_add_f64 v[6:7], v[8:9], -v[6:7]
	v_fma_f64 v[8:9], v[14:15], s[4:5], v[12:13]
	s_mov_b32 s4, 0
	s_mov_b32 s5, 0x7ff00000
	v_cmp_neq_f64_e64 vcc, |v[4:5]|, s[4:5]
	v_cmp_neq_f64_e64 s[4:5], 0, v[4:5]
	v_add_f64 v[2:3], v[2:3], v[6:7]
	v_add_f64 v[6:7], v[16:17], v[8:9]
	;; [unrolled: 1-line block ×3, first 2 shown]
	v_add_f64 v[16:17], v[6:7], -v[16:17]
	v_add_f64 v[14:15], v[6:7], v[12:13]
	v_add_f64 v[10:11], v[12:13], -v[10:11]
	v_add_f64 v[8:9], v[8:9], -v[16:17]
	;; [unrolled: 1-line block ×6, first 2 shown]
	v_add_f64 v[12:13], v[8:9], v[2:3]
	v_add_f64 v[6:7], v[6:7], -v[20:21]
	v_add_f64 v[6:7], v[10:11], v[6:7]
	v_add_f64 v[10:11], v[12:13], -v[8:9]
	v_add_f64 v[6:7], v[12:13], v[6:7]
	v_add_f64 v[12:13], v[12:13], -v[10:11]
	v_add_f64 v[2:3], v[2:3], -v[10:11]
	v_add_f64 v[16:17], v[14:15], v[6:7]
	v_add_f64 v[8:9], v[8:9], -v[12:13]
	v_add_f64 v[10:11], v[16:17], -v[14:15]
	v_add_f64 v[2:3], v[2:3], v[8:9]
	v_add_f64 v[8:9], |v[4:5]|, s[6:7]
	s_mov_b32 s6, 0x3fe76944
	v_cmp_gt_u32_e64 s[6:7], s6, v1
	v_add_f64 v[6:7], v[6:7], -v[10:11]
	v_mov_b32_e32 v10, 0xfff00000
	v_mov_b32_e32 v11, 0x7ff00000
	v_add_f64 v[2:3], v[2:3], v[6:7]
	v_add_f64 v[6:7], -|v[4:5]|, 1.0
	v_add_f64 v[2:3], v[16:17], v[2:3]
	v_cndmask_b32_e64 v6, v6, v8, s[6:7]
	v_cndmask_b32_e64 v7, v7, v9, s[6:7]
	;; [unrolled: 1-line block ×3, first 2 shown]
	v_cmp_gt_u32_e64 s[6:7], s16, v1
	v_cndmask_b32_e64 v7, v7, v0, s[6:7]
	v_cndmask_b32_e64 v6, v6, v4, s[6:7]
	;; [unrolled: 1-line block ×3, first 2 shown]
	v_xor_b32_e32 v3, 0x80000000, v3
	v_cndmask_b32_e32 v3, v10, v3, vcc
	s_and_b64 vcc, s[4:5], vcc
	v_cndmask_b32_e64 v3, v11, v3, s[4:5]
	v_cndmask_b32_e32 v2, 0, v2, vcc
.LBB131_67:
	s_or_b64 exec, exec, s[14:15]
	v_cmp_lt_i32_e32 vcc, 1, v0
                                        ; implicit-def: $vgpr10_vgpr11
	s_and_saveexec_b64 s[4:5], vcc
	s_xor_b64 s[4:5], exec, s[4:5]
	s_cbranch_execz .LBB131_69
; %bb.68:
	s_mov_b32 s6, 0xbf2bab09
	v_mov_b32_e32 v8, 0xf6010924
	v_mov_b32_e32 v9, 0x3fcd4eae
	s_mov_b32 s7, 0x3f8b678b
	v_fma_f64 v[8:9], v[6:7], s[6:7], v[8:9]
	s_mov_b32 s6, 0x44ea8450
	s_mov_b32 s14, 0x57d0cf61
	;; [unrolled: 1-line block ×3, first 2 shown]
	v_mov_b32_e32 v10, 0xd6537c88
	v_mov_b32_e32 v11, 0x3fbaae55
	s_mov_b32 s15, 0x3f6a5abb
	v_fma_f64 v[10:11], v[6:7], s[14:15], v[10:11]
	v_fma_f64 v[8:9], v[6:7], v[8:9], s[6:7]
	s_mov_b32 s6, 0xd119bd6f
	s_mov_b32 s14, 0xe45050af
	;; [unrolled: 1-line block ×4, first 2 shown]
                                        ; implicit-def: $vgpr0
	v_fma_f64 v[10:11], v[6:7], v[10:11], s[14:15]
	v_fma_f64 v[8:9], v[6:7], v[8:9], s[6:7]
	s_mov_b32 s6, 0x8b005dff
	s_mov_b32 s14, 0xa42b18f5
	;; [unrolled: 1-line block ×4, first 2 shown]
	v_fma_f64 v[10:11], v[6:7], v[10:11], s[14:15]
	v_fma_f64 v[8:9], v[6:7], v[8:9], s[6:7]
	s_mov_b32 s6, 0xe37db0c8
	s_mov_b32 s14, 0xc2bd619c
	;; [unrolled: 1-line block ×4, first 2 shown]
	v_fma_f64 v[10:11], v[6:7], v[10:11], s[14:15]
	v_fma_f64 v[8:9], v[6:7], v[8:9], s[6:7]
	v_fma_f64 v[10:11], v[6:7], v[10:11], 1.0
	v_mul_f64 v[8:9], v[6:7], v[8:9]
	v_div_scale_f64 v[12:13], s[6:7], v[10:11], v[10:11], v[8:9]
	v_div_scale_f64 v[18:19], vcc, v[8:9], v[10:11], v[8:9]
	v_rcp_f64_e32 v[14:15], v[12:13]
	v_fma_f64 v[16:17], -v[12:13], v[14:15], 1.0
	v_fma_f64 v[14:15], v[14:15], v[16:17], v[14:15]
	v_fma_f64 v[16:17], -v[12:13], v[14:15], 1.0
	v_fma_f64 v[14:15], v[14:15], v[16:17], v[14:15]
	v_mul_f64 v[16:17], v[18:19], v[14:15]
	v_fma_f64 v[12:13], -v[12:13], v[16:17], v[18:19]
	v_div_fmas_f64 v[12:13], v[12:13], v[14:15], v[16:17]
	v_div_fixup_f64 v[8:9], v[12:13], v[10:11], v[8:9]
	v_fma_f64 v[10:11], v[6:7], -0.5, v[8:9]
                                        ; implicit-def: $vgpr6_vgpr7
.LBB131_69:
	s_andn2_saveexec_b64 s[4:5], s[4:5]
	s_cbranch_execz .LBB131_75
; %bb.70:
	v_mul_f64 v[8:9], v[6:7], v[6:7]
	v_cmp_ne_u32_e32 vcc, 1, v0
                                        ; implicit-def: $vgpr10_vgpr11
	s_and_saveexec_b64 s[6:7], vcc
	s_xor_b64 s[6:7], exec, s[6:7]
	s_cbranch_execz .LBB131_72
; %bb.71:
	s_mov_b32 s14, 0x90a45837
	v_mov_b32_e32 v10, 0x987dfb07
	v_mov_b32_e32 v11, 0x3f1c5088
	s_mov_b32 s15, 0x3f07858e
	v_fma_f64 v[10:11], v[8:9], s[14:15], v[10:11]
	s_mov_b32 s14, 0x428cfa52
	v_mov_b32_e32 v12, 0xed10e54d
	v_mov_b32_e32 v13, 0x3f2cf2ec
	s_mov_b32 s15, 0x3efa7074
	v_fma_f64 v[12:13], v[8:9], s[14:15], v[12:13]
	s_mov_b32 s14, 0x89b99c00
	s_mov_b32 s15, 0x3f40b6c6
	v_fma_f64 v[10:11], v[8:9], v[10:11], s[14:15]
	s_mov_b32 s14, 0x116f3f5d
	s_mov_b32 s15, 0x3f538a94
	v_fma_f64 v[12:13], v[8:9], v[12:13], s[14:15]
	s_mov_b32 s14, 0xccb7926b
	s_mov_b32 s15, 0x3f67add8
	v_fma_f64 v[10:11], v[8:9], v[10:11], s[14:15]
	s_mov_b32 s14, 0xb68fefe8
	s_mov_b32 s15, 0x3f7e404f
	v_fma_f64 v[12:13], v[8:9], v[12:13], s[14:15]
	s_mov_b32 s14, 0xac92547b
	s_mov_b32 s15, 0x3f951322
	v_fma_f64 v[10:11], v[8:9], v[10:11], s[14:15]
	s_mov_b32 s14, 0x1a5562a7
	s_mov_b32 s15, 0x3fb13e00
	v_fma_f64 v[12:13], v[8:9], v[12:13], s[14:15]
	s_mov_b32 s14, 0xc4a60fad
	s_mov_b32 s15, 0x3fd4a34c
	v_fma_f64 v[10:11], v[8:9], v[10:11], s[14:15]
	s_mov_b32 s14, 0xe37db0c8
	s_mov_b32 s15, 0x3fb3c467
	v_fma_f64 v[12:13], v[8:9], v[12:13], s[14:15]
	v_mul_f64 v[8:9], v[8:9], v[10:11]
	v_fma_f64 v[8:9], v[6:7], v[12:13], v[8:9]
	v_fma_f64 v[10:11], v[6:7], -0.5, v[8:9]
                                        ; implicit-def: $vgpr6_vgpr7
                                        ; implicit-def: $vgpr8_vgpr9
.LBB131_72:
	s_andn2_saveexec_b64 s[6:7], s[6:7]
	s_cbranch_execz .LBB131_74
; %bb.73:
	v_mul_f64 v[10:11], v[6:7], v[8:9]
	s_mov_b32 s14, 0xecc38c38
	v_mov_b32_e32 v14, 0xef61a8e9
	v_mov_b32_e32 v15, 0x3f4cdf0c
	s_mov_b32 s15, 0xbf347f24
	v_mov_b32_e32 v16, 0x9c73e0ec
	v_mov_b32_e32 v17, 0xbf41a610
	s_mov_b32 s16, 0xb3e914d7
	v_fma_f64 v[14:15], v[10:11], s[14:15], v[14:15]
	s_mov_b32 s14, 0xe8c2d3f4
	s_mov_b32 s15, 0x3f35fd3e
	v_fma_f64 v[16:17], v[10:11], s[14:15], v[16:17]
	s_mov_b32 s17, 0xbf6e2eff
	s_mov_b32 s14, 0x6c0ebbf7
	v_mov_b32_e32 v12, 0xbf2d1af1
	v_mov_b32_e32 v13, 0xbf56fe8e
	v_fma_f64 v[14:15], v[10:11], v[14:15], s[16:17]
	s_mov_b32 s16, 0x2e15c915
	s_mov_b32 s17, 0x3f6282d3
	v_fma_f64 v[16:17], v[10:11], v[16:17], s[16:17]
	s_mov_b32 s15, 0x3f34af6d
	v_fma_f64 v[12:13], v[10:11], s[14:15], v[12:13]
	s_mov_b32 s16, 0x970af9ec
	s_mov_b32 s17, 0x3f9266e7
	v_fma_f64 v[14:15], v[10:11], v[14:15], s[16:17]
	s_mov_b32 s16, 0xba91ec6a
	;; [unrolled: 3-line block ×7, first 2 shown]
	s_mov_b32 s15, 0x3fdef72b
	v_fma_f64 v[6:7], v[6:7], v[16:17], v[14:15]
	v_fma_f64 v[12:13], v[10:11], v[12:13], s[14:15]
	s_mov_b32 s14, 0xa48a971f
	s_mov_b32 s15, 0xbc50c7ca
	v_fma_f64 v[6:7], v[10:11], -v[6:7], s[14:15]
	s_mov_b32 s14, 0xbcc38a42
	s_mov_b32 s15, 0xbfbf19b9
	v_fma_f64 v[6:7], v[8:9], v[12:13], -v[6:7]
	v_add_f64 v[10:11], v[6:7], s[14:15]
.LBB131_74:
	s_or_b64 exec, exec, s[6:7]
.LBB131_75:
	s_or_b64 exec, exec, s[4:5]
	v_add_f64 v[2:3], v[2:3], v[10:11]
.LBB131_76:
	s_or_b64 exec, exec, s[12:13]
.LBB131_77:
	s_andn2_saveexec_b64 s[6:7], s[10:11]
	s_cbranch_execz .LBB131_79
; %bb.78:
	v_frexp_mant_f64_e64 v[2:3], |v[4:5]|
	s_mov_b32 s5, 0x3fe55555
	s_mov_b32 s4, 0x55555555
	;; [unrolled: 1-line block ×6, first 2 shown]
	v_cmp_gt_f64_e32 vcc, s[4:5], v[2:3]
	s_mov_b32 s4, 0x55555780
	v_cndmask_b32_e64 v0, 0, 1, vcc
	v_ldexp_f64 v[2:3], v[2:3], v0
	v_frexp_exp_i32_f64_e32 v0, v[4:5]
	v_add_f64 v[6:7], v[2:3], 1.0
	v_add_f64 v[12:13], v[2:3], -1.0
	v_subbrev_co_u32_e32 v0, vcc, 0, v0, vcc
	v_cmp_neq_f64_e64 vcc, |v[4:5]|, s[12:13]
	v_rcp_f64_e32 v[8:9], v[6:7]
	v_add_f64 v[14:15], v[6:7], -1.0
	v_add_f64 v[2:3], v[2:3], -v[14:15]
	v_fma_f64 v[10:11], -v[6:7], v[8:9], 1.0
	v_fma_f64 v[8:9], v[10:11], v[8:9], v[8:9]
	v_fma_f64 v[10:11], -v[6:7], v[8:9], 1.0
	v_fma_f64 v[8:9], v[10:11], v[8:9], v[8:9]
	v_mul_f64 v[10:11], v[12:13], v[8:9]
	v_mul_f64 v[16:17], v[6:7], v[10:11]
	v_fma_f64 v[6:7], v[10:11], v[6:7], -v[16:17]
	v_fma_f64 v[2:3], v[10:11], v[2:3], v[6:7]
	v_add_f64 v[6:7], v[16:17], v[2:3]
	v_add_f64 v[14:15], v[12:13], -v[6:7]
	v_add_f64 v[16:17], v[6:7], -v[16:17]
	;; [unrolled: 1-line block ×5, first 2 shown]
	v_mov_b32_e32 v12, 0x6b47b09a
	v_mov_b32_e32 v13, 0x3fc38538
	v_add_f64 v[2:3], v[2:3], v[6:7]
	v_add_f64 v[2:3], v[14:15], v[2:3]
	v_mul_f64 v[2:3], v[8:9], v[2:3]
	v_add_f64 v[6:7], v[10:11], v[2:3]
	v_mul_f64 v[8:9], v[6:7], v[6:7]
	v_fma_f64 v[12:13], v[8:9], s[10:11], v[12:13]
	s_mov_b32 s10, 0xd7f4df2e
	s_mov_b32 s11, 0x3fc7474d
	v_mul_f64 v[14:15], v[6:7], v[8:9]
	v_fma_f64 v[12:13], v[8:9], v[12:13], s[10:11]
	s_mov_b32 s10, 0x16291751
	s_mov_b32 s11, 0x3fcc71c0
	v_fma_f64 v[12:13], v[8:9], v[12:13], s[10:11]
	s_mov_b32 s10, 0x9b27acf1
	s_mov_b32 s11, 0x3fd24924
	;; [unrolled: 3-line block ×4, first 2 shown]
	v_fma_f64 v[8:9], v[8:9], v[12:13], s[4:5]
	v_ldexp_f64 v[12:13], v[6:7], 1
	v_add_f64 v[6:7], v[6:7], -v[10:11]
	s_mov_b32 s4, 0xfefa39ef
	s_mov_b32 s5, 0x3fe62e42
	v_mul_f64 v[8:9], v[14:15], v[8:9]
	v_cvt_f64_i32_e32 v[14:15], v0
	v_add_f64 v[2:3], v[2:3], -v[6:7]
	v_mov_b32_e32 v0, 0xfff00000
	v_mul_f64 v[16:17], v[14:15], s[4:5]
	v_add_f64 v[10:11], v[12:13], v[8:9]
	v_ldexp_f64 v[2:3], v[2:3], 1
	v_add_f64 v[6:7], v[10:11], -v[12:13]
	v_fma_f64 v[12:13], v[14:15], s[4:5], -v[16:17]
	s_mov_b32 s4, 0x3b39803f
	s_mov_b32 s5, 0x3c7abc9e
	v_add_f64 v[6:7], v[8:9], -v[6:7]
	v_fma_f64 v[8:9], v[14:15], s[4:5], v[12:13]
	s_mov_b32 s4, 0x17aa6149
	s_mov_b32 s5, 0xbfca8b9c
	v_add_f64 v[2:3], v[2:3], v[6:7]
	v_add_f64 v[6:7], v[16:17], v[8:9]
	;; [unrolled: 1-line block ×3, first 2 shown]
	v_add_f64 v[16:17], v[6:7], -v[16:17]
	v_add_f64 v[14:15], v[6:7], v[12:13]
	v_add_f64 v[10:11], v[12:13], -v[10:11]
	v_add_f64 v[8:9], v[8:9], -v[16:17]
	;; [unrolled: 1-line block ×6, first 2 shown]
	v_add_f64 v[12:13], v[8:9], v[2:3]
	v_add_f64 v[6:7], v[6:7], -v[20:21]
	v_add_f64 v[6:7], v[10:11], v[6:7]
	v_add_f64 v[10:11], v[12:13], -v[8:9]
	;; [unrolled: 2-line block ×3, first 2 shown]
	v_add_f64 v[2:3], v[2:3], -v[10:11]
	v_add_f64 v[16:17], v[14:15], v[6:7]
	v_add_f64 v[8:9], v[8:9], -v[12:13]
	v_add_f64 v[10:11], v[16:17], -v[14:15]
	v_add_f64 v[2:3], v[2:3], v[8:9]
	v_mov_b32_e32 v8, 0x2ac7d848
	v_mov_b32_e32 v9, 0x3fd15132
	v_fma_f64 v[8:9], |v[4:5]|, s[4:5], v[8:9]
	s_mov_b32 s4, 0x5beab2d7
	s_mov_b32 s5, 0xbfd9a4d5
	v_add_f64 v[6:7], v[6:7], -v[10:11]
	v_add_f64 v[2:3], v[2:3], v[6:7]
	v_fma_f64 v[6:7], |v[4:5]|, v[8:9], s[4:5]
	s_mov_b32 s4, 0x625307d3
	s_mov_b32 s5, 0x3fea51a6
	v_mov_b32_e32 v8, 0x7ff00000
	v_add_f64 v[2:3], v[16:17], v[2:3]
	v_fma_f64 v[6:7], |v[4:5]|, v[6:7], s[4:5]
	v_cmp_neq_f64_e64 s[4:5], 0, v[4:5]
	v_xor_b32_e32 v3, 0x80000000, v3
	v_fma_f64 v[6:7], |v[4:5]|, v[6:7], s[10:11]
	v_cndmask_b32_e32 v0, v0, v3, vcc
	s_and_b64 vcc, s[4:5], vcc
	v_cndmask_b32_e64 v3, v8, v0, s[4:5]
	v_cndmask_b32_e32 v2, 0, v2, vcc
	v_fma_f64 v[2:3], |v[4:5]|, v[6:7], v[2:3]
.LBB131_79:
	s_or_b64 exec, exec, s[6:7]
	v_cmp_le_f64_e32 vcc, 0, v[4:5]
	s_and_saveexec_b64 s[4:5], vcc
	s_xor_b64 s[6:7], exec, s[4:5]
	s_cbranch_execz .LBB131_81
; %bb.80:
	v_cmp_eq_f64_e32 vcc, 1.0, v[4:5]
	v_cmp_eq_f64_e64 s[4:5], 2.0, v[4:5]
	s_or_b64 s[4:5], vcc, s[4:5]
	v_cndmask_b32_e64 v3, v3, 0, s[4:5]
	v_cndmask_b32_e64 v2, v2, 0, s[4:5]
.LBB131_81:
	s_andn2_saveexec_b64 s[6:7], s[6:7]
	s_cbranch_execz .LBB131_85
; %bb.82:
	v_add_u32_e32 v0, 0xc32fffff, v1
	s_mov_b32 s4, 0x65fffff
	v_cmp_gt_u32_e32 vcc, s4, v0
	s_and_saveexec_b64 s[10:11], vcc
	s_cbranch_execz .LBB131_84
; %bb.83:
	v_mul_f64 v[6:7], |v[4:5]|, 0.5
	s_mov_b32 s4, 0
	s_mov_b32 s5, 0x7ff00000
	v_and_b32_e32 v0, 0x7fffffff, v5
	s_mov_b32 s12, 0x2e21c33
	v_mov_b32_e32 v10, 0x6fdffd2b
	v_mov_b32_e32 v11, 0xbf7e2fe7
	;; [unrolled: 1-line block ×3, first 2 shown]
	v_fract_f64_e32 v[8:9], v[6:7]
	v_cmp_neq_f64_e64 vcc, |v[6:7]|, s[4:5]
	s_mov_b32 s4, 0xf99eb0bb
	s_mov_b32 s5, 0x3f3e357e
	v_mov_b32_e32 v15, 0x3f5f9c89
	s_mov_b32 s13, 0xbf1b1673
	v_add_f64 v[8:9], v[8:9], v[8:9]
	v_cndmask_b32_e32 v6, 0, v8, vcc
	v_cndmask_b32_e32 v7, 0, v9, vcc
	v_cmp_gt_f64_e64 vcc, |v[4:5]|, 1.0
	v_cndmask_b32_e32 v7, v0, v7, vcc
	v_cndmask_b32_e32 v6, v4, v6, vcc
	v_add_f64 v[8:9], v[6:7], v[6:7]
	v_rndne_f64_e32 v[8:9], v[8:9]
	v_fma_f64 v[6:7], v[8:9], -0.5, v[6:7]
	v_cvt_i32_f64_e32 v0, v[8:9]
	v_and_b32_e32 v8, 1, v0
	v_lshlrev_b32_e32 v0, 30, v0
	v_cmp_eq_u32_e32 vcc, 0, v8
	v_mul_f64 v[12:13], v[6:7], v[6:7]
	v_xor_b32_e32 v0, v0, v5
	v_and_b32_e32 v0, 0x80000000, v0
	v_mov_b32_e32 v8, 0x7ff80000
	v_fma_f64 v[10:11], v[12:13], s[4:5], v[10:11]
	v_fma_f64 v[14:15], v[12:13], s[12:13], v[14:15]
	s_mov_b32 s4, 0xd5f14825
	s_mov_b32 s12, 0x7294bff9
	;; [unrolled: 1-line block ×4, first 2 shown]
	v_mul_f64 v[16:17], v[6:7], v[12:13]
	v_fma_f64 v[10:11], v[12:13], v[10:11], s[4:5]
	v_fma_f64 v[14:15], v[12:13], v[14:15], s[12:13]
	s_mov_b32 s4, 0xcdfe9424
	s_mov_b32 s12, 0x67b90b37
	s_mov_b32 s5, 0xbfe32d2c
	s_mov_b32 s13, 0x3fce1f50
	v_fma_f64 v[10:11], v[12:13], v[10:11], s[4:5]
	v_fma_f64 v[14:15], v[12:13], v[14:15], s[12:13]
	s_mov_b32 s4, 0x67754fff
	s_mov_b32 s12, 0x7e3c325b
	s_mov_b32 s5, 0x400466bc
	s_mov_b32 s13, 0xbff55d3c
	;; [unrolled: 6-line block ×4, first 2 shown]
	v_mul_f64 v[10:11], v[16:17], v[10:11]
	v_fma_f64 v[14:15], v[12:13], v[14:15], s[4:5]
	s_movk_i32 s4, 0x1f8
	v_cmp_class_f64_e64 s[4:5], v[4:5], s4
	v_fma_f64 v[6:7], v[6:7], s[12:13], v[10:11]
	v_fma_f64 v[10:11], v[12:13], v[14:15], 1.0
	v_cndmask_b32_e32 v7, v11, v7, vcc
	v_cndmask_b32_e32 v6, v10, v6, vcc
	v_xor_b32_e32 v0, v7, v0
	v_cndmask_b32_e64 v6, 0, v6, s[4:5]
	v_cndmask_b32_e64 v7, v8, v0, s[4:5]
	v_mul_f64 v[6:7], v[4:5], v[6:7]
	v_and_b32_e32 v9, 0x7fffffff, v7
	v_mov_b32_e32 v8, v6
	v_div_scale_f64 v[10:11], s[4:5], v[8:9], v[8:9], s[12:13]
	v_div_scale_f64 v[8:9], vcc, s[12:13], v[8:9], s[12:13]
	s_mov_b32 s5, 0x3fe55555
	s_mov_b32 s4, 0x55555555
	v_rcp_f64_e32 v[12:13], v[10:11]
	v_fma_f64 v[14:15], -v[10:11], v[12:13], 1.0
	v_fma_f64 v[12:13], v[12:13], v[14:15], v[12:13]
	v_fma_f64 v[14:15], -v[10:11], v[12:13], 1.0
	v_fma_f64 v[12:13], v[12:13], v[14:15], v[12:13]
	v_mul_f64 v[14:15], v[8:9], v[12:13]
	v_fma_f64 v[8:9], -v[10:11], v[14:15], v[8:9]
	v_div_fmas_f64 v[8:9], v[8:9], v[12:13], v[14:15]
	v_div_fixup_f64 v[6:7], v[8:9], |v[6:7]|, s[12:13]
	s_mov_b32 s12, 0xbf559e2b
	s_mov_b32 s13, 0x3fc3ab76
	v_frexp_mant_f64_e32 v[8:9], v[6:7]
	v_cmp_gt_f64_e32 vcc, s[4:5], v[8:9]
	s_mov_b32 s4, 0x55555780
	v_cndmask_b32_e64 v0, 0, 1, vcc
	v_ldexp_f64 v[8:9], v[8:9], v0
	v_frexp_exp_i32_f64_e32 v0, v[6:7]
	v_add_f64 v[10:11], v[8:9], 1.0
	v_add_f64 v[16:17], v[8:9], -1.0
	v_subbrev_co_u32_e32 v0, vcc, 0, v0, vcc
	v_rcp_f64_e32 v[12:13], v[10:11]
	v_add_f64 v[18:19], v[10:11], -1.0
	v_add_f64 v[8:9], v[8:9], -v[18:19]
	v_fma_f64 v[14:15], -v[10:11], v[12:13], 1.0
	v_fma_f64 v[12:13], v[14:15], v[12:13], v[12:13]
	v_fma_f64 v[14:15], -v[10:11], v[12:13], 1.0
	v_fma_f64 v[12:13], v[14:15], v[12:13], v[12:13]
	v_mul_f64 v[14:15], v[16:17], v[12:13]
	v_mul_f64 v[20:21], v[10:11], v[14:15]
	v_fma_f64 v[10:11], v[14:15], v[10:11], -v[20:21]
	v_fma_f64 v[8:9], v[14:15], v[8:9], v[10:11]
	v_add_f64 v[10:11], v[20:21], v[8:9]
	v_add_f64 v[18:19], v[16:17], -v[10:11]
	v_add_f64 v[20:21], v[10:11], -v[20:21]
	;; [unrolled: 1-line block ×5, first 2 shown]
	v_mov_b32_e32 v16, 0x6b47b09a
	v_mov_b32_e32 v17, 0x3fc38538
	v_add_f64 v[8:9], v[8:9], v[10:11]
	v_add_f64 v[8:9], v[18:19], v[8:9]
	v_mul_f64 v[8:9], v[12:13], v[8:9]
	v_add_f64 v[10:11], v[14:15], v[8:9]
	v_mul_f64 v[12:13], v[10:11], v[10:11]
	v_fma_f64 v[16:17], v[12:13], s[12:13], v[16:17]
	s_mov_b32 s12, 0xd7f4df2e
	s_mov_b32 s13, 0x3fc7474d
	v_mul_f64 v[18:19], v[10:11], v[12:13]
	v_fma_f64 v[16:17], v[12:13], v[16:17], s[12:13]
	s_mov_b32 s12, 0x16291751
	s_mov_b32 s13, 0x3fcc71c0
	v_fma_f64 v[16:17], v[12:13], v[16:17], s[12:13]
	s_mov_b32 s12, 0x9b27acf1
	s_mov_b32 s13, 0x3fd24924
	;; [unrolled: 3-line block ×3, first 2 shown]
	v_fma_f64 v[16:17], v[12:13], v[16:17], s[12:13]
	v_fma_f64 v[12:13], v[12:13], v[16:17], s[4:5]
	v_ldexp_f64 v[16:17], v[10:11], 1
	v_add_f64 v[10:11], v[10:11], -v[14:15]
	s_mov_b32 s4, 0xfefa39ef
	s_mov_b32 s5, 0x3fe62e42
	v_mul_f64 v[12:13], v[18:19], v[12:13]
	v_cvt_f64_i32_e32 v[18:19], v0
	v_add_f64 v[8:9], v[8:9], -v[10:11]
	v_mov_b32_e32 v0, 0xfff00000
	v_mul_f64 v[20:21], v[18:19], s[4:5]
	v_add_f64 v[14:15], v[16:17], v[12:13]
	v_ldexp_f64 v[8:9], v[8:9], 1
	v_add_f64 v[10:11], v[14:15], -v[16:17]
	v_fma_f64 v[16:17], v[18:19], s[4:5], -v[20:21]
	s_mov_b32 s4, 0x3b39803f
	s_mov_b32 s5, 0x3c7abc9e
	v_add_f64 v[10:11], v[12:13], -v[10:11]
	v_fma_f64 v[12:13], v[18:19], s[4:5], v[16:17]
	s_movk_i32 s4, 0x204
	v_cmp_class_f64_e64 vcc, v[6:7], s4
	v_cmp_class_f64_e64 s[12:13], v[4:5], s4
	v_add_f64 v[8:9], v[8:9], v[10:11]
	v_add_f64 v[10:11], v[20:21], v[12:13]
	;; [unrolled: 1-line block ×3, first 2 shown]
	v_add_f64 v[20:21], v[10:11], -v[20:21]
	v_add_f64 v[18:19], v[10:11], v[16:17]
	v_add_f64 v[14:15], v[16:17], -v[14:15]
	v_add_f64 v[12:13], v[12:13], -v[20:21]
	;; [unrolled: 1-line block ×6, first 2 shown]
	v_add_f64 v[16:17], v[12:13], v[8:9]
	v_add_f64 v[10:11], v[10:11], -v[24:25]
	v_add_f64 v[10:11], v[14:15], v[10:11]
	v_add_f64 v[14:15], v[16:17], -v[12:13]
	;; [unrolled: 2-line block ×3, first 2 shown]
	v_add_f64 v[8:9], v[8:9], -v[14:15]
	v_add_f64 v[20:21], v[18:19], v[10:11]
	v_add_f64 v[12:13], v[12:13], -v[16:17]
	v_add_f64 v[14:15], v[20:21], -v[18:19]
	v_add_f64 v[8:9], v[8:9], v[12:13]
	v_add_f64 v[10:11], v[10:11], -v[14:15]
	v_add_f64 v[8:9], v[8:9], v[10:11]
	v_fract_f64_e32 v[10:11], v[4:5]
	v_add_f64 v[8:9], v[20:21], v[8:9]
	v_cmp_eq_f64_e64 s[4:5], 0, v[10:11]
	v_cndmask_b32_e32 v8, v8, v6, vcc
	v_cndmask_b32_e32 v9, v9, v7, vcc
	v_cmp_neq_f64_e32 vcc, 0, v[6:7]
	v_cndmask_b32_e32 v7, v0, v9, vcc
	v_cndmask_b32_e32 v6, 0, v8, vcc
	v_add_f64 v[2:3], v[6:7], -v[2:3]
	v_mov_b32_e32 v0, 0x7ff00000
	s_or_b64 vcc, s[12:13], s[4:5]
	v_cndmask_b32_e32 v3, v3, v0, vcc
	v_cndmask_b32_e64 v2, v2, 0, vcc
.LBB131_84:
	s_or_b64 exec, exec, s[10:11]
.LBB131_85:
	s_or_b64 exec, exec, s[6:7]
	v_mov_b32_e32 v0, 0x264
	v_cmp_gt_f64_e32 vcc, 0, v[4:5]
	v_cmp_class_f64_e64 s[4:5], v[4:5], v0
	s_mov_b32 s6, 0x432fffff
	v_cmp_lt_u32_e64 s[6:7], s6, v1
	v_mov_b32_e32 v0, 0x7ff00000
	s_and_b64 s[6:7], vcc, s[6:7]
	s_or_b64 vcc, s[4:5], s[6:7]
	v_cndmask_b32_e64 v2, v2, 0, vcc
	v_cndmask_b32_e32 v0, v3, v0, vcc
	v_cmp_u_f64_e32 vcc, v[4:5], v[4:5]
	v_cndmask_b32_e32 v1, v0, v5, vcc
	v_cndmask_b32_e32 v0, v2, v4, vcc
	s_or_b64 exec, exec, s[8:9]
	s_setpc_b64 s[30:31]
.LBB131_86:
	v_mov_b32_e32 v2, 28
	v_cmp_gt_i16_sdwa s[8:9], v3, v2 src0_sel:BYTE_0 src1_sel:DWORD
	s_mov_b64 s[14:15], 0
                                        ; implicit-def: $vgpr4_vgpr5
	s_and_saveexec_b64 s[16:17], s[8:9]
	s_xor_b64 s[8:9], exec, s[16:17]
	s_cbranch_execz .LBB131_102
; %bb.87:
	v_mov_b32_e32 v2, 43
	v_cmp_gt_i16_sdwa s[12:13], v3, v2 src0_sel:BYTE_0 src1_sel:DWORD
	s_mov_b64 s[16:17], 0
	s_mov_b64 s[18:19], 0
                                        ; implicit-def: $vgpr4_vgpr5
	s_and_saveexec_b64 s[14:15], s[12:13]
	s_xor_b64 s[12:13], exec, s[14:15]
	s_cbranch_execz .LBB131_97
; %bb.88:
	v_mov_b32_e32 v2, 45
	v_cmp_gt_i16_sdwa s[18:19], v3, v2 src0_sel:BYTE_0 src1_sel:DWORD
	s_mov_b64 s[14:15], 0
                                        ; implicit-def: $vgpr4_vgpr5
	s_and_saveexec_b64 s[20:21], s[18:19]
	s_xor_b64 s[18:19], exec, s[20:21]
	s_cbranch_execz .LBB131_92
; %bb.89:
	v_mov_b32_e32 v2, 46
	v_cmp_eq_u16_sdwa s[22:23], v3, v2 src0_sel:BYTE_0 src1_sel:DWORD
	s_mov_b64 s[20:21], -1
                                        ; implicit-def: $vgpr4_vgpr5
	s_and_saveexec_b64 s[16:17], s[22:23]
	s_cbranch_execz .LBB131_91
; %bb.90:
	flat_load_dword v2, v[0:1]
	s_mov_b64 s[14:15], exec
	s_xor_b64 s[20:21], exec, -1
	s_waitcnt vmcnt(0) lgkmcnt(0)
	v_lshlrev_b32_e32 v2, 16, v2
	v_cvt_f64_f32_e32 v[4:5], v2
.LBB131_91:
	s_or_b64 exec, exec, s[16:17]
	s_and_b64 s[16:17], s[14:15], exec
	s_and_b64 s[14:15], s[20:21], exec
                                        ; implicit-def: $vgpr3
.LBB131_92:
	s_andn2_saveexec_b64 s[18:19], s[18:19]
	s_cbranch_execz .LBB131_96
; %bb.93:
	v_mov_b32_e32 v2, 44
	v_cmp_eq_u16_sdwa s[26:27], v3, v2 src0_sel:BYTE_0 src1_sel:DWORD
	s_mov_b64 s[24:25], -1
	s_mov_b64 s[22:23], s[16:17]
                                        ; implicit-def: $vgpr4_vgpr5
	s_and_saveexec_b64 s[20:21], s[26:27]
	s_cbranch_execz .LBB131_95
; %bb.94:
	flat_load_ubyte v4, v[0:1]
	s_movk_i32 s24, 0xff
	v_bfrev_b32_e32 v5, 4
	v_mov_b32_e32 v6, 0x7ff80000
	v_bfrev_b32_e32 v7, 28
	s_or_b64 s[22:23], s[16:17], exec
	s_waitcnt vmcnt(0) lgkmcnt(0)
	v_lshlrev_b32_e32 v2, 23, v4
	v_cvt_f64_f32_e32 v[2:3], v2
	v_cmp_ne_u32_e32 vcc, s24, v4
	s_xor_b64 s[24:25], exec, -1
	v_cndmask_b32_e32 v2, v5, v2, vcc
	v_cndmask_b32_e32 v3, v6, v3, vcc
	v_cmp_ne_u32_e32 vcc, 0, v4
	v_cndmask_b32_e32 v5, v7, v3, vcc
	v_cndmask_b32_e32 v4, 0, v2, vcc
.LBB131_95:
	s_or_b64 exec, exec, s[20:21]
	s_andn2_b64 s[16:17], s[16:17], exec
	s_and_b64 s[20:21], s[22:23], exec
	s_or_b64 s[16:17], s[16:17], s[20:21]
	s_andn2_b64 s[14:15], s[14:15], exec
	s_and_b64 s[20:21], s[24:25], exec
	s_or_b64 s[14:15], s[14:15], s[20:21]
.LBB131_96:
	s_or_b64 exec, exec, s[18:19]
	s_and_b64 s[18:19], s[16:17], exec
	s_and_b64 s[16:17], s[14:15], exec
                                        ; implicit-def: $vgpr3
.LBB131_97:
	s_andn2_saveexec_b64 s[12:13], s[12:13]
	s_cbranch_execz .LBB131_101
; %bb.98:
	v_mov_b32_e32 v2, 29
	v_cmp_eq_u16_sdwa s[24:25], v3, v2 src0_sel:BYTE_0 src1_sel:DWORD
	s_mov_b64 s[14:15], -1
	s_mov_b64 s[20:21], s[18:19]
                                        ; implicit-def: $vgpr4_vgpr5
	s_and_saveexec_b64 s[22:23], s[24:25]
	s_cbranch_execz .LBB131_100
; %bb.99:
	flat_load_dwordx2 v[2:3], v[0:1]
	s_or_b64 s[20:21], s[18:19], exec
	s_xor_b64 s[14:15], exec, -1
	s_waitcnt vmcnt(0) lgkmcnt(0)
	v_cvt_f64_u32_e32 v[3:4], v3
	v_cvt_f64_u32_e32 v[5:6], v2
	v_ldexp_f64 v[3:4], v[3:4], 32
	v_add_f64 v[4:5], v[3:4], v[5:6]
.LBB131_100:
	s_or_b64 exec, exec, s[22:23]
	s_andn2_b64 s[18:19], s[18:19], exec
	s_and_b64 s[20:21], s[20:21], exec
	s_andn2_b64 s[16:17], s[16:17], exec
	s_and_b64 s[14:15], s[14:15], exec
	s_or_b64 s[18:19], s[18:19], s[20:21]
	s_or_b64 s[16:17], s[16:17], s[14:15]
.LBB131_101:
	s_or_b64 exec, exec, s[12:13]
	s_and_b64 s[14:15], s[18:19], exec
	s_and_b64 s[12:13], s[16:17], exec
                                        ; implicit-def: $vgpr3
.LBB131_102:
	s_andn2_saveexec_b64 s[8:9], s[8:9]
	s_cbranch_execz .LBB131_120
; %bb.103:
	v_mov_b32_e32 v2, 26
	v_cmp_gt_i16_sdwa s[16:17], v3, v2 src0_sel:BYTE_0 src1_sel:DWORD
                                        ; implicit-def: $vgpr4_vgpr5
	s_and_saveexec_b64 s[18:19], s[16:17]
	s_xor_b64 s[16:17], exec, s[18:19]
	s_cbranch_execz .LBB131_109
; %bb.104:
	v_mov_b32_e32 v2, 27
	v_cmp_gt_i16_sdwa s[18:19], v3, v2 src0_sel:BYTE_0 src1_sel:DWORD
                                        ; implicit-def: $vgpr4_vgpr5
	s_and_saveexec_b64 s[20:21], s[18:19]
	s_xor_b64 s[18:19], exec, s[20:21]
	s_cbranch_execz .LBB131_106
; %bb.105:
	flat_load_dword v2, v[0:1]
	s_waitcnt vmcnt(0) lgkmcnt(0)
	v_cvt_f64_u32_e32 v[4:5], v2
.LBB131_106:
	s_andn2_saveexec_b64 s[18:19], s[18:19]
	s_cbranch_execz .LBB131_108
; %bb.107:
	flat_load_ushort v2, v[0:1]
	s_waitcnt vmcnt(0) lgkmcnt(0)
	v_cvt_f64_u32_e32 v[4:5], v2
.LBB131_108:
	s_or_b64 exec, exec, s[18:19]
.LBB131_109:
	s_andn2_saveexec_b64 s[16:17], s[16:17]
	s_cbranch_execz .LBB131_119
; %bb.110:
	flat_load_ubyte v2, v[0:1]
	s_movk_i32 s18, 0x7f
	s_waitcnt vmcnt(0) lgkmcnt(0)
	v_cmp_lt_i16_e32 vcc, s18, v2
	s_mov_b64 s[18:19], 0
	s_and_saveexec_b64 s[20:21], vcc
	s_xor_b64 s[20:21], exec, s[20:21]
	s_cbranch_execz .LBB131_114
; %bb.111:
	s_movk_i32 s18, 0x80
	v_cmp_eq_u16_e32 vcc, s18, v2
	s_mov_b64 s[18:19], -1
	s_and_saveexec_b64 s[22:23], vcc
; %bb.112:
	s_xor_b64 s[18:19], exec, -1
; %bb.113:
	s_or_b64 exec, exec, s[22:23]
	s_and_b64 s[18:19], s[18:19], exec
.LBB131_114:
	s_or_saveexec_b64 s[20:21], s[20:21]
	v_bfrev_b32_e32 v4, 4
	v_mov_b32_e32 v5, 0x7ff80000
	s_xor_b64 exec, exec, s[20:21]
; %bb.115:
	v_cmp_ne_u16_e32 vcc, 0, v2
	v_mov_b32_e32 v4, 0
	s_andn2_b64 s[18:19], s[18:19], exec
	s_and_b64 s[22:23], vcc, exec
	v_mov_b32_e32 v5, 0
	s_or_b64 s[18:19], s[18:19], s[22:23]
; %bb.116:
	s_or_b64 exec, exec, s[20:21]
	s_and_saveexec_b64 s[20:21], s[18:19]
	s_cbranch_execz .LBB131_118
; %bb.117:
	v_lshlrev_b32_e32 v3, 24, v2
	v_and_b32_e32 v2, 0xffff, v2
	v_and_b32_e32 v4, 7, v2
	v_ffbh_u32_e32 v6, v4
	v_min_u32_e32 v6, 32, v6
	v_subrev_u32_e32 v7, 28, v6
	v_bfe_u32 v5, v2, 3, 4
	v_lshlrev_b32_e32 v2, v7, v2
	v_sub_u32_e32 v6, 29, v6
	v_and_b32_e32 v2, 7, v2
	v_cmp_eq_u32_e32 vcc, 0, v5
	v_cndmask_b32_e32 v5, v5, v6, vcc
	v_cndmask_b32_e32 v2, v4, v2, vcc
	v_mov_b32_e32 v4, 0x3b800000
	v_lshlrev_b32_e32 v2, 20, v2
	v_and_b32_e32 v3, 0x80000000, v3
	v_lshl_add_u32 v4, v5, 23, v4
	v_or3_b32 v2, v3, v4, v2
	v_cvt_f64_f32_e32 v[4:5], v2
.LBB131_118:
	s_or_b64 exec, exec, s[20:21]
.LBB131_119:
	s_or_b64 exec, exec, s[16:17]
	s_or_b64 s[14:15], s[14:15], exec
.LBB131_120:
	s_or_b64 exec, exec, s[8:9]
	s_and_b64 s[8:9], s[14:15], exec
	s_and_b64 s[12:13], s[12:13], exec
                                        ; implicit-def: $vgpr3
	s_andn2_saveexec_b64 s[10:11], s[10:11]
	s_cbranch_execz .LBB131_6
.LBB131_121:
	v_mov_b32_e32 v2, 22
	v_cmp_gt_i16_sdwa s[6:7], v3, v2 src0_sel:BYTE_0 src1_sel:DWORD
	s_mov_b64 s[14:15], s[8:9]
                                        ; implicit-def: $vgpr4_vgpr5
	s_and_saveexec_b64 s[16:17], s[6:7]
	s_xor_b64 s[6:7], exec, s[16:17]
	s_cbranch_execz .LBB131_139
; %bb.122:
	v_mov_b32_e32 v2, 23
	v_cmp_gt_i16_sdwa s[14:15], v3, v2 src0_sel:BYTE_0 src1_sel:DWORD
                                        ; implicit-def: $vgpr4_vgpr5
	s_and_saveexec_b64 s[16:17], s[14:15]
	s_xor_b64 s[14:15], exec, s[16:17]
	s_cbranch_execz .LBB131_136
; %bb.123:
	v_mov_b32_e32 v2, 24
	v_cmp_gt_i16_sdwa s[16:17], v3, v2 src0_sel:BYTE_0 src1_sel:DWORD
                                        ; implicit-def: $vgpr4_vgpr5
	s_and_saveexec_b64 s[18:19], s[16:17]
	s_xor_b64 s[16:17], exec, s[18:19]
	s_cbranch_execz .LBB131_133
; %bb.124:
	flat_load_ubyte v2, v[0:1]
	s_movk_i32 s18, 0x7f
	s_waitcnt vmcnt(0) lgkmcnt(0)
	v_cmp_lt_i16_e32 vcc, s18, v2
	s_mov_b64 s[18:19], 0
	s_and_saveexec_b64 s[20:21], vcc
	s_xor_b64 s[20:21], exec, s[20:21]
	s_cbranch_execz .LBB131_128
; %bb.125:
	s_movk_i32 s18, 0x80
	v_cmp_eq_u16_e32 vcc, s18, v2
	s_mov_b64 s[18:19], -1
	s_and_saveexec_b64 s[22:23], vcc
; %bb.126:
	s_xor_b64 s[18:19], exec, -1
; %bb.127:
	s_or_b64 exec, exec, s[22:23]
	s_and_b64 s[18:19], s[18:19], exec
.LBB131_128:
	s_or_saveexec_b64 s[20:21], s[20:21]
	v_bfrev_b32_e32 v4, 4
	v_mov_b32_e32 v5, 0x7ff80000
	s_xor_b64 exec, exec, s[20:21]
; %bb.129:
	v_cmp_ne_u16_e32 vcc, 0, v2
	v_mov_b32_e32 v4, 0
	s_andn2_b64 s[18:19], s[18:19], exec
	s_and_b64 s[22:23], vcc, exec
	v_mov_b32_e32 v5, 0
	s_or_b64 s[18:19], s[18:19], s[22:23]
; %bb.130:
	s_or_b64 exec, exec, s[20:21]
	s_and_saveexec_b64 s[20:21], s[18:19]
	s_cbranch_execz .LBB131_132
; %bb.131:
	v_lshlrev_b32_e32 v3, 24, v2
	v_and_b32_e32 v2, 0xffff, v2
	v_and_b32_e32 v4, 3, v2
	v_ffbh_u32_e32 v6, v4
	v_min_u32_e32 v6, 32, v6
	v_subrev_u32_e32 v7, 29, v6
	v_bfe_u32 v5, v2, 2, 5
	v_lshlrev_b32_e32 v2, v7, v2
	v_sub_u32_e32 v6, 30, v6
	v_and_b32_e32 v2, 3, v2
	v_cmp_eq_u32_e32 vcc, 0, v5
	v_cndmask_b32_e32 v5, v5, v6, vcc
	v_cndmask_b32_e32 v2, v4, v2, vcc
	v_mov_b32_e32 v4, 0x37800000
	v_lshlrev_b32_e32 v2, 21, v2
	v_and_b32_e32 v3, 0x80000000, v3
	v_lshl_add_u32 v4, v5, 23, v4
	v_or3_b32 v2, v3, v4, v2
	v_cvt_f64_f32_e32 v[4:5], v2
.LBB131_132:
	s_or_b64 exec, exec, s[20:21]
.LBB131_133:
	s_andn2_saveexec_b64 s[16:17], s[16:17]
	s_cbranch_execz .LBB131_135
; %bb.134:
	flat_load_ubyte v2, v[0:1]
	s_mov_b32 s18, 0x7f800000
	s_waitcnt vmcnt(0) lgkmcnt(0)
	v_lshlrev_b32_e32 v2, 24, v2
	v_and_b32_e32 v3, 0x7f000000, v2
	v_ffbh_u32_e32 v4, v3
	v_min_u32_e32 v4, 32, v4
	v_sub_u32_e64 v4, v4, 4 clamp
	v_lshlrev_b32_e32 v6, v4, v3
	v_lshlrev_b32_e32 v4, 23, v4
	v_lshrrev_b32_e32 v6, 4, v6
	v_add_u32_e32 v5, 0x1000000, v3
	v_sub_u32_e32 v4, v6, v4
	v_ashrrev_i32_e32 v5, 8, v5
	v_add_u32_e32 v4, 0x3c000000, v4
	v_and_or_b32 v4, v5, s18, v4
	v_cmp_ne_u32_e32 vcc, 0, v3
	v_cndmask_b32_e32 v3, 0, v4, vcc
	s_brev_b32 s18, 1
	v_and_or_b32 v2, v2, s18, v3
	v_cvt_f64_f32_e32 v[4:5], v2
.LBB131_135:
	s_or_b64 exec, exec, s[16:17]
.LBB131_136:
	s_andn2_saveexec_b64 s[14:15], s[14:15]
	s_cbranch_execz .LBB131_138
; %bb.137:
	flat_load_ubyte v2, v[0:1]
	s_movk_i32 s16, 0x7f00
	s_brev_b32 s17, 16
	s_waitcnt vmcnt(0) lgkmcnt(0)
	v_lshlrev_b16_e32 v3, 8, v2
	v_lshlrev_b32_e32 v2, 25, v2
	v_lshrrev_b32_e32 v4, 4, v2
	v_and_or_b32 v5, v3, s16, 0.5
	v_or_b32_e32 v4, 0x70000000, v4
	v_add_f32_e32 v5, -0.5, v5
	v_mul_f32_e32 v4, 0x7800000, v4
	v_cmp_gt_u32_e32 vcc, s17, v2
	v_bfe_i32 v3, v3, 0, 16
	v_cndmask_b32_e32 v2, v4, v5, vcc
	s_brev_b32 s16, 1
	v_and_or_b32 v2, v3, s16, v2
	v_cvt_f64_f32_e32 v[4:5], v2
.LBB131_138:
	s_or_b64 exec, exec, s[14:15]
	s_or_b64 s[14:15], s[8:9], exec
                                        ; implicit-def: $vgpr3
.LBB131_139:
	s_or_saveexec_b64 s[6:7], s[6:7]
	s_mov_b64 s[18:19], 0
	s_mov_b64 s[16:17], s[12:13]
	s_xor_b64 exec, exec, s[6:7]
	s_cbranch_execz .LBB131_147
; %bb.140:
	v_mov_b32_e32 v2, 14
	v_cmp_gt_i16_sdwa s[20:21], v3, v2 src0_sel:BYTE_0 src1_sel:DWORD
	s_mov_b64 s[16:17], s[12:13]
	s_mov_b64 s[18:19], s[14:15]
                                        ; implicit-def: $vgpr4_vgpr5
	s_and_saveexec_b64 s[22:23], s[20:21]
	s_xor_b64 s[20:21], exec, s[22:23]
	s_cbranch_execz .LBB131_144
; %bb.141:
	v_mov_b32_e32 v2, 15
	v_cmp_eq_u16_sdwa s[24:25], v3, v2 src0_sel:BYTE_0 src1_sel:DWORD
	s_mov_b64 s[16:17], -1
	s_mov_b64 s[18:19], s[14:15]
                                        ; implicit-def: $vgpr4_vgpr5
	s_and_saveexec_b64 s[22:23], s[24:25]
	s_cbranch_execz .LBB131_143
; %bb.142:
	flat_load_ushort v2, v[0:1]
	s_or_b64 s[18:19], s[14:15], exec
	s_xor_b64 s[16:17], exec, -1
	s_waitcnt vmcnt(0) lgkmcnt(0)
	v_lshlrev_b32_e32 v2, 16, v2
	v_cvt_f64_f32_e32 v[4:5], v2
.LBB131_143:
	s_or_b64 exec, exec, s[22:23]
	s_andn2_b64 s[22:23], s[14:15], exec
	s_and_b64 s[18:19], s[18:19], exec
	s_or_b64 s[18:19], s[22:23], s[18:19]
	s_andn2_b64 s[22:23], s[12:13], exec
	s_and_b64 s[16:17], s[16:17], exec
	s_or_b64 s[16:17], s[22:23], s[16:17]
                                        ; implicit-def: $vgpr3
.LBB131_144:
	s_or_saveexec_b64 s[20:21], s[20:21]
	s_mov_b64 s[22:23], 0
	s_xor_b64 exec, exec, s[20:21]
; %bb.145:
	v_mov_b32_e32 v2, 11
	v_cmp_ne_u16_sdwa s[24:25], v3, v2 src0_sel:BYTE_0 src1_sel:DWORD
	s_andn2_b64 s[16:17], s[16:17], exec
	s_and_b64 s[24:25], s[24:25], exec
	s_mov_b64 s[22:23], exec
	s_or_b64 s[16:17], s[16:17], s[24:25]
; %bb.146:
	s_or_b64 exec, exec, s[20:21]
	s_andn2_b64 s[14:15], s[14:15], exec
	s_and_b64 s[18:19], s[18:19], exec
	s_andn2_b64 s[20:21], s[12:13], exec
	s_and_b64 s[16:17], s[16:17], exec
	s_or_b64 s[14:15], s[14:15], s[18:19]
	s_and_b64 s[18:19], s[22:23], exec
	s_or_b64 s[16:17], s[20:21], s[16:17]
.LBB131_147:
	s_or_b64 exec, exec, s[6:7]
	s_andn2_b64 s[6:7], s[8:9], exec
	s_and_b64 s[8:9], s[14:15], exec
	s_andn2_b64 s[12:13], s[12:13], exec
	s_and_b64 s[14:15], s[16:17], exec
	s_or_b64 s[8:9], s[6:7], s[8:9]
	s_and_b64 s[6:7], s[18:19], exec
	s_or_b64 s[12:13], s[12:13], s[14:15]
	s_or_b64 exec, exec, s[10:11]
	s_and_saveexec_b64 s[10:11], s[12:13]
	s_cbranch_execz .LBB131_7
.LBB131_148:
	s_trap 2
	; divergent unreachable
	s_andn2_b64 s[6:7], s[6:7], exec
	s_or_b64 exec, exec, s[10:11]
	s_and_saveexec_b64 s[10:11], s[6:7]
	s_xor_b64 s[6:7], exec, s[10:11]
	s_cbranch_execnz .LBB131_8
	s_branch .LBB131_9
.Lfunc_end131:
	.size	_ZN2at6native6invokeIZZZNS0_18lgamma_kernel_cudaERNS_18TensorIteratorBaseEENKUlvE_clEvENKUlvE_clEvEUldE_i15function_traitsIS6_EEENT1_11result_typeERKT_PrKPcPKT0_PKN3c1010ScalarTypeEi, .Lfunc_end131-_ZN2at6native6invokeIZZZNS0_18lgamma_kernel_cudaERNS_18TensorIteratorBaseEENKUlvE_clEvENKUlvE_clEvEUldE_i15function_traitsIS6_EEENT1_11result_typeERKT_PrKPcPKT0_PKN3c1010ScalarTypeEi
                                        ; -- End function
	.set .L_ZN2at6native6invokeIZZZNS0_18lgamma_kernel_cudaERNS_18TensorIteratorBaseEENKUlvE_clEvENKUlvE_clEvEUldE_i15function_traitsIS6_EEENT1_11result_typeERKT_PrKPcPKT0_PKN3c1010ScalarTypeEi.num_vgpr, 30
	.set .L_ZN2at6native6invokeIZZZNS0_18lgamma_kernel_cudaERNS_18TensorIteratorBaseEENKUlvE_clEvENKUlvE_clEvEUldE_i15function_traitsIS6_EEENT1_11result_typeERKT_PrKPcPKT0_PKN3c1010ScalarTypeEi.num_agpr, 0
	.set .L_ZN2at6native6invokeIZZZNS0_18lgamma_kernel_cudaERNS_18TensorIteratorBaseEENKUlvE_clEvENKUlvE_clEvEUldE_i15function_traitsIS6_EEENT1_11result_typeERKT_PrKPcPKT0_PKN3c1010ScalarTypeEi.numbered_sgpr, 32
	.set .L_ZN2at6native6invokeIZZZNS0_18lgamma_kernel_cudaERNS_18TensorIteratorBaseEENKUlvE_clEvENKUlvE_clEvEUldE_i15function_traitsIS6_EEENT1_11result_typeERKT_PrKPcPKT0_PKN3c1010ScalarTypeEi.num_named_barrier, 0
	.set .L_ZN2at6native6invokeIZZZNS0_18lgamma_kernel_cudaERNS_18TensorIteratorBaseEENKUlvE_clEvENKUlvE_clEvEUldE_i15function_traitsIS6_EEENT1_11result_typeERKT_PrKPcPKT0_PKN3c1010ScalarTypeEi.private_seg_size, 0
	.set .L_ZN2at6native6invokeIZZZNS0_18lgamma_kernel_cudaERNS_18TensorIteratorBaseEENKUlvE_clEvENKUlvE_clEvEUldE_i15function_traitsIS6_EEENT1_11result_typeERKT_PrKPcPKT0_PKN3c1010ScalarTypeEi.uses_vcc, 1
	.set .L_ZN2at6native6invokeIZZZNS0_18lgamma_kernel_cudaERNS_18TensorIteratorBaseEENKUlvE_clEvENKUlvE_clEvEUldE_i15function_traitsIS6_EEENT1_11result_typeERKT_PrKPcPKT0_PKN3c1010ScalarTypeEi.uses_flat_scratch, 0
	.set .L_ZN2at6native6invokeIZZZNS0_18lgamma_kernel_cudaERNS_18TensorIteratorBaseEENKUlvE_clEvENKUlvE_clEvEUldE_i15function_traitsIS6_EEENT1_11result_typeERKT_PrKPcPKT0_PKN3c1010ScalarTypeEi.has_dyn_sized_stack, 0
	.set .L_ZN2at6native6invokeIZZZNS0_18lgamma_kernel_cudaERNS_18TensorIteratorBaseEENKUlvE_clEvENKUlvE_clEvEUldE_i15function_traitsIS6_EEENT1_11result_typeERKT_PrKPcPKT0_PKN3c1010ScalarTypeEi.has_recursion, 0
	.set .L_ZN2at6native6invokeIZZZNS0_18lgamma_kernel_cudaERNS_18TensorIteratorBaseEENKUlvE_clEvENKUlvE_clEvEUldE_i15function_traitsIS6_EEENT1_11result_typeERKT_PrKPcPKT0_PKN3c1010ScalarTypeEi.has_indirect_call, 0
	.section	.AMDGPU.csdata,"",@progbits
; Function info:
; codeLenInByte = 10508
; TotalNumSgprs: 36
; NumVgprs: 30
; ScratchSize: 0
; MemoryBound: 1
	.section	.text._ZN2at6native32elementwise_kernel_manual_unrollILi128ELi4EZNS0_15gpu_kernel_implIZZZNS0_18lgamma_kernel_cudaERNS_18TensorIteratorBaseEENKUlvE_clEvENKUlvE_clEvEUldE_EEvS4_RKT_EUlibE_EEviT1_,"axG",@progbits,_ZN2at6native32elementwise_kernel_manual_unrollILi128ELi4EZNS0_15gpu_kernel_implIZZZNS0_18lgamma_kernel_cudaERNS_18TensorIteratorBaseEENKUlvE_clEvENKUlvE_clEvEUldE_EEvS4_RKT_EUlibE_EEviT1_,comdat
	.globl	_ZN2at6native32elementwise_kernel_manual_unrollILi128ELi4EZNS0_15gpu_kernel_implIZZZNS0_18lgamma_kernel_cudaERNS_18TensorIteratorBaseEENKUlvE_clEvENKUlvE_clEvEUldE_EEvS4_RKT_EUlibE_EEviT1_ ; -- Begin function _ZN2at6native32elementwise_kernel_manual_unrollILi128ELi4EZNS0_15gpu_kernel_implIZZZNS0_18lgamma_kernel_cudaERNS_18TensorIteratorBaseEENKUlvE_clEvENKUlvE_clEvEUldE_EEvS4_RKT_EUlibE_EEviT1_
	.p2align	8
	.type	_ZN2at6native32elementwise_kernel_manual_unrollILi128ELi4EZNS0_15gpu_kernel_implIZZZNS0_18lgamma_kernel_cudaERNS_18TensorIteratorBaseEENKUlvE_clEvENKUlvE_clEvEUldE_EEvS4_RKT_EUlibE_EEviT1_,@function
_ZN2at6native32elementwise_kernel_manual_unrollILi128ELi4EZNS0_15gpu_kernel_implIZZZNS0_18lgamma_kernel_cudaERNS_18TensorIteratorBaseEENKUlvE_clEvENKUlvE_clEvEUldE_EEvS4_RKT_EUlibE_EEviT1_: ; @_ZN2at6native32elementwise_kernel_manual_unrollILi128ELi4EZNS0_15gpu_kernel_implIZZZNS0_18lgamma_kernel_cudaERNS_18TensorIteratorBaseEENKUlvE_clEvENKUlvE_clEvEUldE_EEvS4_RKT_EUlibE_EEviT1_
; %bb.0:
	v_mov_b32_e32 v1, 0
	global_load_ushort v1, v1, s[4:5] offset:33
	s_load_dword s54, s[4:5], 0x0
	s_load_dwordx2 s[28:29], s[4:5], 0x18
	s_load_dwordx4 s[36:39], s[4:5], 0x8
	v_lshl_or_b32 v36, s6, 9, v0
	s_add_u32 s0, s0, s7
	v_mov_b32_e32 v2, 8
	v_or_b32_e32 v38, 0x180, v36
	s_addc_u32 s1, s1, 0
	s_mov_b64 s[34:35], 0
	s_waitcnt lgkmcnt(0)
	v_cmp_le_i32_e32 vcc, s54, v38
	s_mov_b64 s[42:43], 0
	s_mov_b32 s32, 0
	s_waitcnt vmcnt(0)
	v_readfirstlane_b32 s33, v1
	v_lshrrev_b32_sdwa v37, v2, v1 dst_sel:DWORD dst_unused:UNUSED_PAD src0_sel:DWORD src1_sel:WORD_0
	s_and_saveexec_b64 s[4:5], vcc
	s_xor_b64 s[40:41], exec, s[4:5]
	s_cbranch_execz .LBB132_512
; %bb.1:
	v_cmp_gt_i32_e32 vcc, s54, v36
	s_mov_b64 s[4:5], -1
	s_mov_b64 s[48:49], 0
	s_and_saveexec_b64 s[44:45], vcc
                                        ; implicit-def: $vgpr2_vgpr3
	s_cbranch_execz .LBB132_124
; %bb.2:
	s_getpc_b64 s[4:5]
	s_add_u32 s4, s4, _ZN2at6native6invokeIZZZNS0_18lgamma_kernel_cudaERNS_18TensorIteratorBaseEENKUlvE_clEvENKUlvE_clEvEUldE_i15function_traitsIS6_EEENT1_11result_typeERKT_PrKPcPKT0_PKN3c1010ScalarTypeEi@rel32@lo+4
	s_addc_u32 s5, s5, _ZN2at6native6invokeIZZZNS0_18lgamma_kernel_cudaERNS_18TensorIteratorBaseEENKUlvE_clEvENKUlvE_clEvEUldE_i15function_traitsIS6_EEENT1_11result_typeERKT_PrKPcPKT0_PKN3c1010ScalarTypeEi@rel32@hi+12
	v_mov_b32_e32 v0, s38
	v_mov_b32_e32 v1, s39
	v_mov_b32_e32 v2, s29
	v_mov_b32_e32 v3, v37
	v_mov_b32_e32 v4, v36
	s_swappc_b64 s[30:31], s[4:5]
	v_mul_lo_u32 v2, v36, s28
	v_mov_b32_e32 v3, s37
	s_and_b32 s12, s33, 0xff
	s_cmp_lt_i32 s12, 11
	v_ashrrev_i32_e32 v5, 31, v2
	v_add_co_u32_e32 v4, vcc, s36, v2
	v_addc_co_u32_e32 v5, vcc, v3, v5, vcc
	s_cbranch_scc1 .LBB132_9
; %bb.3:
	s_and_b32 s13, 0xffff, s12
	s_cmp_gt_i32 s13, 25
	s_cbranch_scc0 .LBB132_12
; %bb.4:
	s_cmp_gt_i32 s13, 28
	s_cbranch_scc0 .LBB132_13
; %bb.5:
	;; [unrolled: 3-line block ×4, first 2 shown]
	s_mov_b64 s[8:9], 0
	s_mov_b64 s[4:5], -1
	s_cmp_eq_u32 s13, 46
	s_mov_b64 s[6:7], 0
	s_cbranch_scc0 .LBB132_16
; %bb.8:
	v_cvt_f32_f64_e32 v2, v[0:1]
	s_movk_i32 s4, 0x7fff
	v_mov_b32_e32 v3, 0x7fc0
	s_mov_b64 s[6:7], -1
	v_bfe_u32 v6, v2, 16, 1
	v_cmp_o_f32_e32 vcc, v2, v2
	v_add3_u32 v2, v2, v6, s4
	v_cndmask_b32_sdwa v2, v3, v2, vcc dst_sel:DWORD dst_unused:UNUSED_PAD src0_sel:DWORD src1_sel:WORD_1
	global_store_dword v[4:5], v2, off
	s_mov_b64 s[4:5], 0
	s_branch .LBB132_16
.LBB132_9:
	s_mov_b64 s[4:5], 0
	s_mov_b64 s[6:7], 0
	s_cbranch_execnz .LBB132_84
.LBB132_10:
	s_andn2_b64 vcc, exec, s[6:7]
	s_cbranch_vccnz .LBB132_122
.LBB132_11:
	v_add_u32_e32 v36, 0x80, v36
	s_mov_b64 s[6:7], -1
	s_branch .LBB132_123
.LBB132_12:
	s_mov_b64 s[4:5], 0
	s_mov_b64 s[6:7], 0
	s_cbranch_execnz .LBB132_43
	s_branch .LBB132_83
.LBB132_13:
	s_mov_b64 s[8:9], -1
	s_mov_b64 s[4:5], 0
	s_mov_b64 s[6:7], 0
	s_branch .LBB132_26
.LBB132_14:
	s_mov_b64 s[8:9], -1
	s_mov_b64 s[4:5], 0
	s_mov_b64 s[6:7], 0
	s_branch .LBB132_22
.LBB132_15:
	s_mov_b64 s[8:9], -1
	s_mov_b64 s[4:5], 0
	s_mov_b64 s[6:7], 0
.LBB132_16:
	s_and_b64 vcc, exec, s[8:9]
	s_cbranch_vccz .LBB132_21
; %bb.17:
	s_cmp_eq_u32 s13, 44
	s_mov_b64 s[4:5], -1
	s_cbranch_scc0 .LBB132_21
; %bb.18:
	v_cvt_f32_f64_e32 v2, v[0:1]
	s_movk_i32 s4, 0xff
	v_mov_b32_e32 v6, 0xff
	v_bfe_u32 v3, v2, 23, 8
	v_cmp_ne_u32_e32 vcc, s4, v3
	s_and_saveexec_b64 s[6:7], vcc
; %bb.19:
	s_mov_b32 s4, 0x3fffff
	v_lshrrev_b32_e32 v6, 23, v2
	v_and_b32_e32 v7, 0x400000, v2
	v_and_or_b32 v2, v2, s4, v3
	v_cmp_ne_u32_e32 vcc, 0, v7
	v_cmp_ne_u32_e64 s[4:5], 0, v2
	s_and_b64 s[4:5], vcc, s[4:5]
	v_cndmask_b32_e64 v2, 0, 1, s[4:5]
	v_add_u32_e32 v6, v6, v2
; %bb.20:
	s_or_b64 exec, exec, s[6:7]
	s_mov_b64 s[6:7], -1
	s_mov_b64 s[4:5], 0
	global_store_byte v[4:5], v6, off
.LBB132_21:
	s_mov_b64 s[8:9], 0
.LBB132_22:
	s_and_b64 vcc, exec, s[8:9]
	s_cbranch_vccz .LBB132_25
; %bb.23:
	s_cmp_eq_u32 s13, 29
	s_mov_b64 s[4:5], -1
	s_cbranch_scc0 .LBB132_25
; %bb.24:
	v_trunc_f64_e32 v[2:3], v[0:1]
	s_movk_i32 s4, 0xffe0
	s_mov_b64 s[6:7], -1
	s_mov_b64 s[8:9], 0
	v_ldexp_f64 v[6:7], v[2:3], s4
	s_mov_b32 s4, 0
	s_mov_b32 s5, 0xc1f00000
	v_floor_f64_e32 v[6:7], v[6:7]
	v_fma_f64 v[2:3], v[6:7], s[4:5], v[2:3]
	v_cvt_u32_f64_e32 v7, v[6:7]
	s_mov_b64 s[4:5], 0
	v_cvt_u32_f64_e32 v6, v[2:3]
	global_store_dwordx2 v[4:5], v[6:7], off
	s_branch .LBB132_26
.LBB132_25:
	s_mov_b64 s[8:9], 0
.LBB132_26:
	s_and_b64 vcc, exec, s[8:9]
	s_cbranch_vccz .LBB132_42
; %bb.27:
	s_cmp_lt_i32 s13, 27
	s_mov_b64 s[6:7], -1
	s_cbranch_scc1 .LBB132_33
; %bb.28:
	v_cvt_u32_f64_e32 v2, v[0:1]
	s_cmp_gt_i32 s13, 27
	s_cbranch_scc0 .LBB132_30
; %bb.29:
	s_mov_b64 s[6:7], 0
	global_store_dword v[4:5], v2, off
.LBB132_30:
	s_andn2_b64 vcc, exec, s[6:7]
	s_cbranch_vccnz .LBB132_32
; %bb.31:
	global_store_short v[4:5], v2, off
.LBB132_32:
	s_mov_b64 s[6:7], 0
.LBB132_33:
	s_andn2_b64 vcc, exec, s[6:7]
	s_cbranch_vccnz .LBB132_41
; %bb.34:
	v_cvt_f32_f64_e32 v2, v[0:1]
	s_mov_b32 s6, 0x43800000
	v_mov_b32_e32 v6, 0x80
	v_and_b32_e32 v3, 0x7fffffff, v2
	v_cmp_gt_u32_e32 vcc, s6, v3
	s_and_saveexec_b64 s[6:7], vcc
	s_cbranch_execz .LBB132_40
; %bb.35:
	s_mov_b32 s8, 0x3bffffff
	v_cmp_lt_u32_e32 vcc, s8, v3
	s_mov_b64 s[8:9], 0
                                        ; implicit-def: $vgpr3
	s_and_saveexec_b64 s[10:11], vcc
	s_xor_b64 s[10:11], exec, s[10:11]
	s_cbranch_execz .LBB132_141
; %bb.36:
	v_bfe_u32 v3, v2, 20, 1
	s_mov_b32 s14, 0x487ffff
	v_add3_u32 v3, v2, v3, s14
	s_mov_b64 s[8:9], exec
	v_lshrrev_b32_e32 v3, 20, v3
	s_andn2_saveexec_b64 s[10:11], s[10:11]
	s_cbranch_execnz .LBB132_142
.LBB132_37:
	s_or_b64 exec, exec, s[10:11]
	v_mov_b32_e32 v6, 0
	s_and_saveexec_b64 s[10:11], s[8:9]
.LBB132_38:
	v_lshrrev_b32_e32 v2, 24, v2
	s_movk_i32 s8, 0x80
	v_and_or_b32 v6, v2, s8, v3
.LBB132_39:
	s_or_b64 exec, exec, s[10:11]
.LBB132_40:
	s_or_b64 exec, exec, s[6:7]
	global_store_byte v[4:5], v6, off
.LBB132_41:
	s_mov_b64 s[6:7], -1
.LBB132_42:
	s_branch .LBB132_83
.LBB132_43:
	s_cmp_gt_i32 s13, 22
	s_mov_b64 s[8:9], -1
	s_cbranch_scc0 .LBB132_75
; %bb.44:
	s_cmp_lt_i32 s13, 24
	s_mov_b64 s[6:7], -1
	s_cbranch_scc1 .LBB132_64
; %bb.45:
	s_cmp_gt_i32 s13, 24
	s_cbranch_scc0 .LBB132_53
; %bb.46:
	v_cvt_f32_f64_e32 v2, v[0:1]
	s_mov_b32 s6, 0x47800000
	v_mov_b32_e32 v6, 0x80
	v_and_b32_e32 v3, 0x7fffffff, v2
	v_cmp_gt_u32_e32 vcc, s6, v3
	s_and_saveexec_b64 s[6:7], vcc
	s_cbranch_execz .LBB132_52
; %bb.47:
	s_mov_b32 s8, 0x37ffffff
	v_cmp_lt_u32_e32 vcc, s8, v3
	s_mov_b64 s[8:9], 0
                                        ; implicit-def: $vgpr3
	s_and_saveexec_b64 s[10:11], vcc
	s_xor_b64 s[10:11], exec, s[10:11]
	s_cbranch_execz .LBB132_144
; %bb.48:
	v_bfe_u32 v3, v2, 21, 1
	s_mov_b32 s14, 0x88fffff
	v_add3_u32 v3, v2, v3, s14
	s_mov_b64 s[8:9], exec
	v_lshrrev_b32_e32 v3, 21, v3
	s_andn2_saveexec_b64 s[10:11], s[10:11]
	s_cbranch_execnz .LBB132_145
.LBB132_49:
	s_or_b64 exec, exec, s[10:11]
	v_mov_b32_e32 v6, 0
	s_and_saveexec_b64 s[10:11], s[8:9]
.LBB132_50:
	v_lshrrev_b32_e32 v2, 24, v2
	s_movk_i32 s8, 0x80
	v_and_or_b32 v6, v2, s8, v3
.LBB132_51:
	s_or_b64 exec, exec, s[10:11]
.LBB132_52:
	s_or_b64 exec, exec, s[6:7]
	s_mov_b64 s[6:7], 0
	global_store_byte v[4:5], v6, off
.LBB132_53:
	s_and_b64 vcc, exec, s[6:7]
	s_cbranch_vccz .LBB132_63
; %bb.54:
	v_cvt_f32_f64_e32 v2, v[0:1]
	s_mov_b32 s6, 0x43f00000
                                        ; implicit-def: $vgpr3
	v_and_b32_e32 v6, 0x7fffffff, v2
	v_cmp_gt_u32_e32 vcc, s6, v6
	s_and_saveexec_b64 s[6:7], vcc
	s_xor_b64 s[6:7], exec, s[6:7]
	s_cbranch_execz .LBB132_60
; %bb.55:
	s_mov_b32 s8, 0x3c7fffff
	v_cmp_lt_u32_e32 vcc, s8, v6
                                        ; implicit-def: $vgpr3
	s_and_saveexec_b64 s[8:9], vcc
	s_xor_b64 s[8:9], exec, s[8:9]
; %bb.56:
	v_bfe_u32 v3, v2, 20, 1
	s_mov_b32 s10, 0x407ffff
	v_add3_u32 v3, v2, v3, s10
	v_lshrrev_b32_e32 v6, 20, v3
	v_and_b32_e32 v3, 0xff00000, v3
	s_mov_b32 s10, 0x7f00000
	v_mov_b32_e32 v7, 0x7e
	v_cmp_ne_u32_e32 vcc, s10, v3
	v_cndmask_b32_e32 v3, v7, v6, vcc
; %bb.57:
	s_andn2_saveexec_b64 s[8:9], s[8:9]
; %bb.58:
	s_mov_b32 s10, 0x46800000
	v_add_f32_e64 v3, |v2|, s10
; %bb.59:
	s_or_b64 exec, exec, s[8:9]
                                        ; implicit-def: $vgpr6
.LBB132_60:
	s_andn2_saveexec_b64 s[6:7], s[6:7]
; %bb.61:
	s_mov_b32 s8, 0x7f800000
	v_mov_b32_e32 v3, 0x7e
	v_mov_b32_e32 v7, 0x7f
	v_cmp_lt_u32_e32 vcc, s8, v6
	v_cndmask_b32_e32 v3, v3, v7, vcc
; %bb.62:
	s_or_b64 exec, exec, s[6:7]
	v_lshrrev_b32_e32 v2, 24, v2
	s_movk_i32 s6, 0x80
	v_and_or_b32 v2, v2, s6, v3
	global_store_byte v[4:5], v2, off
.LBB132_63:
	s_mov_b64 s[6:7], 0
.LBB132_64:
	s_andn2_b64 vcc, exec, s[6:7]
	s_cbranch_vccnz .LBB132_74
; %bb.65:
	v_cvt_f32_f64_e32 v2, v[0:1]
	s_mov_b32 s6, 0x47800000
                                        ; implicit-def: $vgpr3
	v_and_b32_e32 v6, 0x7fffffff, v2
	v_cmp_gt_u32_e32 vcc, s6, v6
	s_and_saveexec_b64 s[6:7], vcc
	s_xor_b64 s[6:7], exec, s[6:7]
	s_cbranch_execz .LBB132_71
; %bb.66:
	s_mov_b32 s8, 0x387fffff
	v_cmp_lt_u32_e32 vcc, s8, v6
                                        ; implicit-def: $vgpr3
	s_and_saveexec_b64 s[8:9], vcc
	s_xor_b64 s[8:9], exec, s[8:9]
; %bb.67:
	v_bfe_u32 v3, v2, 21, 1
	s_mov_b32 s10, 0x80fffff
	v_add3_u32 v3, v2, v3, s10
	v_lshrrev_b32_e32 v3, 21, v3
; %bb.68:
	s_andn2_saveexec_b64 s[8:9], s[8:9]
; %bb.69:
	s_mov_b32 s10, 0x43000000
	v_add_f32_e64 v3, |v2|, s10
; %bb.70:
	s_or_b64 exec, exec, s[8:9]
                                        ; implicit-def: $vgpr6
.LBB132_71:
	s_andn2_saveexec_b64 s[6:7], s[6:7]
; %bb.72:
	s_mov_b32 s8, 0x7f800000
	v_mov_b32_e32 v3, 0x7c
	v_mov_b32_e32 v7, 0x7f
	v_cmp_lt_u32_e32 vcc, s8, v6
	v_cndmask_b32_e32 v3, v3, v7, vcc
; %bb.73:
	s_or_b64 exec, exec, s[6:7]
	v_lshrrev_b32_e32 v2, 24, v2
	s_movk_i32 s6, 0x80
	v_and_or_b32 v2, v2, s6, v3
	global_store_byte v[4:5], v2, off
.LBB132_74:
	s_mov_b64 s[8:9], 0
	s_mov_b64 s[6:7], -1
.LBB132_75:
	s_andn2_b64 vcc, exec, s[8:9]
	s_cbranch_vccnz .LBB132_83
; %bb.76:
	s_cmp_gt_i32 s13, 14
	s_mov_b64 s[8:9], -1
	s_cbranch_scc0 .LBB132_80
; %bb.77:
	s_cmp_eq_u32 s13, 15
	s_mov_b64 s[4:5], -1
	s_cbranch_scc0 .LBB132_79
; %bb.78:
	v_cvt_f32_f64_e32 v2, v[0:1]
	s_movk_i32 s4, 0x7fff
	v_mov_b32_e32 v3, 0x7fc0
	s_mov_b64 s[6:7], -1
	v_bfe_u32 v6, v2, 16, 1
	v_cmp_o_f32_e32 vcc, v2, v2
	v_add3_u32 v2, v2, v6, s4
	v_cndmask_b32_sdwa v2, v3, v2, vcc dst_sel:DWORD dst_unused:UNUSED_PAD src0_sel:DWORD src1_sel:WORD_1
	global_store_short v[4:5], v2, off
	s_mov_b64 s[4:5], 0
.LBB132_79:
	s_mov_b64 s[8:9], 0
.LBB132_80:
	s_and_b64 vcc, exec, s[8:9]
	s_cbranch_vccz .LBB132_83
; %bb.81:
	s_cmp_eq_u32 s13, 11
	s_mov_b64 s[4:5], -1
	s_cbranch_scc0 .LBB132_83
; %bb.82:
	v_cmp_neq_f64_e32 vcc, 0, v[0:1]
	s_mov_b64 s[4:5], 0
	s_mov_b64 s[6:7], -1
	v_cndmask_b32_e64 v2, 0, 1, vcc
	global_store_byte v[4:5], v2, off
.LBB132_83:
	s_branch .LBB132_10
.LBB132_84:
	s_and_b32 s8, 0xffff, s12
	s_cmp_lt_i32 s8, 5
	s_mov_b64 s[6:7], -1
	s_cbranch_scc1 .LBB132_105
; %bb.85:
	s_cmp_lt_i32 s8, 8
	s_cbranch_scc1 .LBB132_95
; %bb.86:
	s_cmp_lt_i32 s8, 9
	s_cbranch_scc1 .LBB132_92
; %bb.87:
	s_cmp_gt_i32 s8, 9
	s_cbranch_scc0 .LBB132_89
; %bb.88:
	v_mov_b32_e32 v2, 0
	v_mov_b32_e32 v3, v2
	global_store_dwordx4 v[4:5], v[0:3], off
	s_mov_b64 s[6:7], 0
.LBB132_89:
	s_andn2_b64 vcc, exec, s[6:7]
	s_cbranch_vccnz .LBB132_91
; %bb.90:
	v_cvt_f32_f64_e32 v2, v[0:1]
	v_mov_b32_e32 v3, 0
	global_store_dwordx2 v[4:5], v[2:3], off
.LBB132_91:
	s_mov_b64 s[6:7], 0
.LBB132_92:
	s_andn2_b64 vcc, exec, s[6:7]
	s_cbranch_vccnz .LBB132_94
; %bb.93:
	s_movk_i32 s6, 0x1ff
	v_and_or_b32 v2, v1, s6, v0
	v_cmp_ne_u32_e32 vcc, 0, v2
	v_cndmask_b32_e64 v2, 0, 1, vcc
	v_lshrrev_b32_e32 v3, 8, v1
	s_movk_i32 s6, 0xffe
	v_bfe_u32 v6, v1, 20, 11
	v_and_or_b32 v2, v3, s6, v2
	v_sub_u32_e32 v7, 0x3f1, v6
	v_or_b32_e32 v3, 0x1000, v2
	v_med3_i32 v7, v7, 0, 13
	v_lshrrev_b32_e32 v8, v7, v3
	v_lshlrev_b32_e32 v7, v7, v8
	v_cmp_ne_u32_e32 vcc, v7, v3
	v_cndmask_b32_e64 v3, 0, 1, vcc
	v_add_u32_e32 v6, 0xfffffc10, v6
	v_or_b32_e32 v3, v8, v3
	v_lshl_or_b32 v7, v6, 12, v2
	v_cmp_gt_i32_e32 vcc, 1, v6
	v_cndmask_b32_e32 v3, v7, v3, vcc
	v_and_b32_e32 v7, 7, v3
	v_cmp_lt_i32_e32 vcc, 5, v7
	v_cndmask_b32_e64 v8, 0, 1, vcc
	v_cmp_eq_u32_e32 vcc, 3, v7
	v_cndmask_b32_e64 v7, 0, 1, vcc
	v_or_b32_e32 v7, v7, v8
	v_lshrrev_b32_e32 v3, 2, v3
	v_add_u32_e32 v3, v3, v7
	v_mov_b32_e32 v7, 0x7c00
	v_cmp_gt_i32_e32 vcc, 31, v6
	v_cndmask_b32_e32 v3, v7, v3, vcc
	v_mov_b32_e32 v8, 0x7e00
	v_cmp_ne_u32_e32 vcc, 0, v2
	s_movk_i32 s6, 0x40f
	v_cndmask_b32_e32 v2, v7, v8, vcc
	v_cmp_eq_u32_e32 vcc, s6, v6
	v_cndmask_b32_e32 v2, v3, v2, vcc
	v_lshrrev_b32_e32 v3, 16, v1
	s_mov_b32 s6, 0x8000
	v_and_or_b32 v2, v3, s6, v2
	v_and_b32_e32 v2, 0xffff, v2
	global_store_dword v[4:5], v2, off
.LBB132_94:
	s_mov_b64 s[6:7], 0
.LBB132_95:
	s_andn2_b64 vcc, exec, s[6:7]
	s_cbranch_vccnz .LBB132_104
; %bb.96:
	s_cmp_lt_i32 s8, 6
	s_mov_b64 s[6:7], -1
	s_cbranch_scc1 .LBB132_102
; %bb.97:
	s_cmp_gt_i32 s8, 6
	s_cbranch_scc0 .LBB132_99
; %bb.98:
	global_store_dwordx2 v[4:5], v[0:1], off
	s_mov_b64 s[6:7], 0
.LBB132_99:
	s_andn2_b64 vcc, exec, s[6:7]
	s_cbranch_vccnz .LBB132_101
; %bb.100:
	v_cvt_f32_f64_e32 v2, v[0:1]
	global_store_dword v[4:5], v2, off
.LBB132_101:
	s_mov_b64 s[6:7], 0
.LBB132_102:
	s_andn2_b64 vcc, exec, s[6:7]
	s_cbranch_vccnz .LBB132_104
; %bb.103:
	s_movk_i32 s6, 0x1ff
	v_and_or_b32 v2, v1, s6, v0
	v_cmp_ne_u32_e32 vcc, 0, v2
	v_cndmask_b32_e64 v2, 0, 1, vcc
	v_lshrrev_b32_e32 v3, 8, v1
	s_movk_i32 s6, 0xffe
	v_bfe_u32 v6, v1, 20, 11
	v_and_or_b32 v2, v3, s6, v2
	v_sub_u32_e32 v7, 0x3f1, v6
	v_or_b32_e32 v3, 0x1000, v2
	v_med3_i32 v7, v7, 0, 13
	v_lshrrev_b32_e32 v8, v7, v3
	v_lshlrev_b32_e32 v7, v7, v8
	v_cmp_ne_u32_e32 vcc, v7, v3
	v_cndmask_b32_e64 v3, 0, 1, vcc
	v_add_u32_e32 v6, 0xfffffc10, v6
	v_or_b32_e32 v3, v8, v3
	v_lshl_or_b32 v7, v6, 12, v2
	v_cmp_gt_i32_e32 vcc, 1, v6
	v_cndmask_b32_e32 v3, v7, v3, vcc
	v_and_b32_e32 v7, 7, v3
	v_cmp_lt_i32_e32 vcc, 5, v7
	v_cndmask_b32_e64 v8, 0, 1, vcc
	v_cmp_eq_u32_e32 vcc, 3, v7
	v_cndmask_b32_e64 v7, 0, 1, vcc
	v_or_b32_e32 v7, v7, v8
	v_lshrrev_b32_e32 v3, 2, v3
	v_add_u32_e32 v3, v3, v7
	v_mov_b32_e32 v7, 0x7c00
	v_cmp_gt_i32_e32 vcc, 31, v6
	v_cndmask_b32_e32 v3, v7, v3, vcc
	v_mov_b32_e32 v8, 0x7e00
	v_cmp_ne_u32_e32 vcc, 0, v2
	s_movk_i32 s6, 0x40f
	v_cndmask_b32_e32 v2, v7, v8, vcc
	v_cmp_eq_u32_e32 vcc, s6, v6
	v_cndmask_b32_e32 v2, v3, v2, vcc
	v_lshrrev_b32_e32 v3, 16, v1
	s_mov_b32 s6, 0x8000
	v_and_or_b32 v2, v3, s6, v2
	global_store_short v[4:5], v2, off
.LBB132_104:
	s_mov_b64 s[6:7], 0
.LBB132_105:
	s_andn2_b64 vcc, exec, s[6:7]
	s_cbranch_vccnz .LBB132_121
; %bb.106:
	s_cmp_lt_i32 s8, 2
	s_mov_b64 s[6:7], -1
	s_cbranch_scc1 .LBB132_116
; %bb.107:
	s_cmp_lt_i32 s8, 3
	s_cbranch_scc1 .LBB132_113
; %bb.108:
	s_cmp_gt_i32 s8, 3
	s_cbranch_scc0 .LBB132_110
; %bb.109:
	v_trunc_f64_e32 v[2:3], v[0:1]
	s_movk_i32 s6, 0xffe0
	v_ldexp_f64 v[6:7], v[2:3], s6
	s_mov_b32 s6, 0
	s_mov_b32 s7, 0xc1f00000
	v_floor_f64_e32 v[6:7], v[6:7]
	v_fma_f64 v[2:3], v[6:7], s[6:7], v[2:3]
	v_cvt_i32_f64_e32 v7, v[6:7]
	s_mov_b64 s[6:7], 0
	v_cvt_u32_f64_e32 v6, v[2:3]
	global_store_dwordx2 v[4:5], v[6:7], off
.LBB132_110:
	s_andn2_b64 vcc, exec, s[6:7]
	s_cbranch_vccnz .LBB132_112
; %bb.111:
	v_cvt_i32_f64_e32 v2, v[0:1]
	global_store_dword v[4:5], v2, off
.LBB132_112:
	s_mov_b64 s[6:7], 0
.LBB132_113:
	s_andn2_b64 vcc, exec, s[6:7]
	s_cbranch_vccnz .LBB132_115
; %bb.114:
	v_cvt_i32_f64_e32 v2, v[0:1]
	global_store_short v[4:5], v2, off
.LBB132_115:
	s_mov_b64 s[6:7], 0
.LBB132_116:
	s_andn2_b64 vcc, exec, s[6:7]
	s_cbranch_vccnz .LBB132_121
; %bb.117:
	s_cmp_gt_i32 s8, 0
	s_mov_b64 s[6:7], -1
	s_cbranch_scc0 .LBB132_119
; %bb.118:
	v_cvt_i32_f64_e32 v2, v[0:1]
	s_mov_b64 s[6:7], 0
	global_store_byte v[4:5], v2, off
.LBB132_119:
	s_andn2_b64 vcc, exec, s[6:7]
	s_cbranch_vccnz .LBB132_121
; %bb.120:
	v_trunc_f64_e32 v[0:1], v[0:1]
	s_movk_i32 s6, 0xffe0
	v_ldexp_f64 v[2:3], v[0:1], s6
	s_mov_b32 s6, 0
	s_mov_b32 s7, 0xc1f00000
	v_floor_f64_e32 v[2:3], v[2:3]
	v_fma_f64 v[0:1], v[2:3], s[6:7], v[0:1]
	v_cvt_u32_f64_e32 v0, v[0:1]
	global_store_byte v[4:5], v0, off
.LBB132_121:
	s_branch .LBB132_11
.LBB132_122:
	s_mov_b64 s[6:7], 0
                                        ; implicit-def: $vgpr36
.LBB132_123:
	s_and_b64 s[42:43], s[4:5], exec
	s_orn2_b64 s[4:5], s[6:7], exec
.LBB132_124:
	s_or_b64 exec, exec, s[44:45]
	s_mov_b64 s[6:7], 0
                                        ; implicit-def: $sgpr14
                                        ; implicit-def: $vgpr4_vgpr5
                                        ; implicit-def: $vgpr0_vgpr1
	s_and_saveexec_b64 s[44:45], s[4:5]
	s_cbranch_execz .LBB132_133
; %bb.125:
	v_cmp_gt_i32_e32 vcc, s54, v36
	s_mov_b64 s[8:9], -1
	s_mov_b64 s[46:47], s[42:43]
	s_and_saveexec_b64 s[48:49], vcc
	s_cbranch_execz .LBB132_256
; %bb.126:
	s_getpc_b64 s[4:5]
	s_add_u32 s4, s4, _ZN2at6native6invokeIZZZNS0_18lgamma_kernel_cudaERNS_18TensorIteratorBaseEENKUlvE_clEvENKUlvE_clEvEUldE_i15function_traitsIS6_EEENT1_11result_typeERKT_PrKPcPKT0_PKN3c1010ScalarTypeEi@rel32@lo+4
	s_addc_u32 s5, s5, _ZN2at6native6invokeIZZZNS0_18lgamma_kernel_cudaERNS_18TensorIteratorBaseEENKUlvE_clEvENKUlvE_clEvEUldE_i15function_traitsIS6_EEENT1_11result_typeERKT_PrKPcPKT0_PKN3c1010ScalarTypeEi@rel32@hi+12
	v_mov_b32_e32 v0, s38
	v_mov_b32_e32 v1, s39
	;; [unrolled: 1-line block ×5, first 2 shown]
	s_swappc_b64 s[30:31], s[4:5]
	v_mul_lo_u32 v2, v36, s28
	v_mov_b32_e32 v3, s37
	s_and_b32 s12, s33, 0xff
	s_cmp_lt_i32 s12, 11
	v_ashrrev_i32_e32 v5, 31, v2
	v_add_co_u32_e32 v4, vcc, s36, v2
	v_addc_co_u32_e32 v5, vcc, v3, v5, vcc
	s_cbranch_scc1 .LBB132_136
; %bb.127:
	s_and_b32 s13, 0xffff, s12
	s_cmp_gt_i32 s13, 25
	s_cbranch_scc0 .LBB132_139
; %bb.128:
	s_cmp_gt_i32 s13, 28
	s_cbranch_scc0 .LBB132_140
; %bb.129:
	s_cmp_gt_i32 s13, 43
	s_cbranch_scc0 .LBB132_143
; %bb.130:
	s_cmp_gt_i32 s13, 45
	s_cbranch_scc0 .LBB132_146
; %bb.131:
	s_mov_b64 s[8:9], 0
	s_mov_b64 s[4:5], -1
	s_cmp_eq_u32 s13, 46
	s_mov_b64 s[6:7], 0
	s_cbranch_scc0 .LBB132_147
; %bb.132:
	v_cvt_f32_f64_e32 v2, v[0:1]
	s_movk_i32 s4, 0x7fff
	v_mov_b32_e32 v3, 0x7fc0
	s_mov_b64 s[6:7], -1
	v_bfe_u32 v6, v2, 16, 1
	v_cmp_o_f32_e32 vcc, v2, v2
	v_add3_u32 v2, v2, v6, s4
	v_cndmask_b32_sdwa v2, v3, v2, vcc dst_sel:DWORD dst_unused:UNUSED_PAD src0_sel:DWORD src1_sel:WORD_1
	global_store_dword v[4:5], v2, off
	s_mov_b64 s[4:5], 0
	s_branch .LBB132_147
.LBB132_133:
	s_or_b64 exec, exec, s[44:45]
	s_mov_b64 s[4:5], 0
	s_and_saveexec_b64 s[8:9], s[42:43]
	s_cbranch_execnz .LBB132_472
.LBB132_134:
	s_or_b64 exec, exec, s[8:9]
	s_and_saveexec_b64 s[8:9], s[48:49]
	s_xor_b64 s[8:9], exec, s[8:9]
	s_cbranch_execz .LBB132_473
.LBB132_135:
	v_cmp_neq_f64_e32 vcc, 0, v[0:1]
	v_cndmask_b32_e64 v2, 0, 1, vcc
	global_store_byte v[4:5], v2, off
	s_or_b64 exec, exec, s[8:9]
	s_and_saveexec_b64 s[8:9], s[6:7]
	s_xor_b64 s[6:7], exec, s[8:9]
	s_cbranch_execz .LBB132_511
	s_branch .LBB132_474
.LBB132_136:
	s_mov_b64 s[6:7], 0
	s_mov_b64 s[4:5], s[42:43]
	s_cbranch_execnz .LBB132_216
.LBB132_137:
	s_andn2_b64 vcc, exec, s[6:7]
	s_cbranch_vccnz .LBB132_254
.LBB132_138:
	v_add_u32_e32 v36, 0x80, v36
	s_mov_b64 s[6:7], -1
	s_branch .LBB132_255
.LBB132_139:
	s_mov_b64 s[8:9], -1
	s_mov_b64 s[6:7], 0
	s_mov_b64 s[4:5], s[42:43]
	s_branch .LBB132_174
.LBB132_140:
	s_mov_b64 s[8:9], -1
	s_mov_b64 s[6:7], 0
	s_mov_b64 s[4:5], s[42:43]
	s_branch .LBB132_157
.LBB132_141:
	s_andn2_saveexec_b64 s[10:11], s[10:11]
	s_cbranch_execz .LBB132_37
.LBB132_142:
	s_mov_b32 s14, 0x46000000
	v_add_f32_e64 v3, |v2|, s14
	v_and_b32_e32 v3, 0xff, v3
	v_cmp_ne_u32_e32 vcc, 0, v3
	s_andn2_b64 s[8:9], s[8:9], exec
	s_and_b64 s[14:15], vcc, exec
	s_or_b64 s[8:9], s[8:9], s[14:15]
	s_or_b64 exec, exec, s[10:11]
	v_mov_b32_e32 v6, 0
	s_and_saveexec_b64 s[10:11], s[8:9]
	s_cbranch_execnz .LBB132_38
	s_branch .LBB132_39
.LBB132_143:
	s_mov_b64 s[8:9], -1
	s_mov_b64 s[6:7], 0
	s_mov_b64 s[4:5], s[42:43]
	s_branch .LBB132_153
.LBB132_144:
	s_andn2_saveexec_b64 s[10:11], s[10:11]
	s_cbranch_execz .LBB132_49
.LBB132_145:
	s_mov_b32 s14, 0x42800000
	v_add_f32_e64 v3, |v2|, s14
	v_and_b32_e32 v3, 0xff, v3
	v_cmp_ne_u32_e32 vcc, 0, v3
	s_andn2_b64 s[8:9], s[8:9], exec
	s_and_b64 s[14:15], vcc, exec
	s_or_b64 s[8:9], s[8:9], s[14:15]
	s_or_b64 exec, exec, s[10:11]
	v_mov_b32_e32 v6, 0
	s_and_saveexec_b64 s[10:11], s[8:9]
	s_cbranch_execnz .LBB132_50
	s_branch .LBB132_51
.LBB132_146:
	s_mov_b64 s[8:9], -1
	s_mov_b64 s[6:7], 0
	s_mov_b64 s[4:5], s[42:43]
.LBB132_147:
	s_and_b64 vcc, exec, s[8:9]
	s_cbranch_vccz .LBB132_152
; %bb.148:
	s_cmp_eq_u32 s13, 44
	s_mov_b64 s[4:5], -1
	s_cbranch_scc0 .LBB132_152
; %bb.149:
	v_cvt_f32_f64_e32 v2, v[0:1]
	s_movk_i32 s4, 0xff
	v_mov_b32_e32 v6, 0xff
	v_bfe_u32 v3, v2, 23, 8
	v_cmp_ne_u32_e32 vcc, s4, v3
	s_and_saveexec_b64 s[6:7], vcc
; %bb.150:
	s_mov_b32 s4, 0x3fffff
	v_lshrrev_b32_e32 v6, 23, v2
	v_and_b32_e32 v7, 0x400000, v2
	v_and_or_b32 v2, v2, s4, v3
	v_cmp_ne_u32_e32 vcc, 0, v7
	v_cmp_ne_u32_e64 s[4:5], 0, v2
	s_and_b64 s[4:5], vcc, s[4:5]
	v_cndmask_b32_e64 v2, 0, 1, s[4:5]
	v_add_u32_e32 v6, v6, v2
; %bb.151:
	s_or_b64 exec, exec, s[6:7]
	s_mov_b64 s[6:7], -1
	s_mov_b64 s[4:5], 0
	global_store_byte v[4:5], v6, off
.LBB132_152:
	s_mov_b64 s[8:9], 0
.LBB132_153:
	s_and_b64 vcc, exec, s[8:9]
	s_cbranch_vccz .LBB132_156
; %bb.154:
	s_cmp_eq_u32 s13, 29
	s_mov_b64 s[4:5], -1
	s_cbranch_scc0 .LBB132_156
; %bb.155:
	v_trunc_f64_e32 v[2:3], v[0:1]
	s_movk_i32 s4, 0xffe0
	s_mov_b64 s[6:7], -1
	s_mov_b64 s[8:9], 0
	v_ldexp_f64 v[6:7], v[2:3], s4
	s_mov_b32 s4, 0
	s_mov_b32 s5, 0xc1f00000
	v_floor_f64_e32 v[6:7], v[6:7]
	v_fma_f64 v[2:3], v[6:7], s[4:5], v[2:3]
	v_cvt_u32_f64_e32 v7, v[6:7]
	s_mov_b64 s[4:5], 0
	v_cvt_u32_f64_e32 v6, v[2:3]
	global_store_dwordx2 v[4:5], v[6:7], off
	s_branch .LBB132_157
.LBB132_156:
	s_mov_b64 s[8:9], 0
.LBB132_157:
	s_and_b64 vcc, exec, s[8:9]
	s_cbranch_vccz .LBB132_173
; %bb.158:
	s_cmp_lt_i32 s13, 27
	s_mov_b64 s[6:7], -1
	s_cbranch_scc1 .LBB132_164
; %bb.159:
	v_cvt_u32_f64_e32 v2, v[0:1]
	s_cmp_gt_i32 s13, 27
	s_cbranch_scc0 .LBB132_161
; %bb.160:
	s_mov_b64 s[6:7], 0
	global_store_dword v[4:5], v2, off
.LBB132_161:
	s_andn2_b64 vcc, exec, s[6:7]
	s_cbranch_vccnz .LBB132_163
; %bb.162:
	global_store_short v[4:5], v2, off
.LBB132_163:
	s_mov_b64 s[6:7], 0
.LBB132_164:
	s_andn2_b64 vcc, exec, s[6:7]
	s_cbranch_vccnz .LBB132_172
; %bb.165:
	v_cvt_f32_f64_e32 v2, v[0:1]
	s_mov_b32 s6, 0x43800000
	v_mov_b32_e32 v6, 0x80
	v_and_b32_e32 v3, 0x7fffffff, v2
	v_cmp_gt_u32_e32 vcc, s6, v3
	s_and_saveexec_b64 s[6:7], vcc
	s_cbranch_execz .LBB132_171
; %bb.166:
	s_mov_b32 s8, 0x3bffffff
	v_cmp_lt_u32_e32 vcc, s8, v3
	s_mov_b64 s[8:9], 0
                                        ; implicit-def: $vgpr3
	s_and_saveexec_b64 s[10:11], vcc
	s_xor_b64 s[10:11], exec, s[10:11]
	s_cbranch_execz .LBB132_268
; %bb.167:
	v_bfe_u32 v3, v2, 20, 1
	s_mov_b32 s14, 0x487ffff
	v_add3_u32 v3, v2, v3, s14
	s_mov_b64 s[8:9], exec
	v_lshrrev_b32_e32 v3, 20, v3
	s_andn2_saveexec_b64 s[10:11], s[10:11]
	s_cbranch_execnz .LBB132_269
.LBB132_168:
	s_or_b64 exec, exec, s[10:11]
	v_mov_b32_e32 v6, 0
	s_and_saveexec_b64 s[10:11], s[8:9]
.LBB132_169:
	v_lshrrev_b32_e32 v2, 24, v2
	s_movk_i32 s8, 0x80
	v_and_or_b32 v6, v2, s8, v3
.LBB132_170:
	s_or_b64 exec, exec, s[10:11]
.LBB132_171:
	s_or_b64 exec, exec, s[6:7]
	global_store_byte v[4:5], v6, off
.LBB132_172:
	s_mov_b64 s[6:7], -1
.LBB132_173:
	s_mov_b64 s[8:9], 0
.LBB132_174:
	s_and_b64 vcc, exec, s[8:9]
	s_cbranch_vccz .LBB132_215
; %bb.175:
	s_cmp_gt_i32 s13, 22
	s_mov_b64 s[8:9], -1
	s_cbranch_scc0 .LBB132_207
; %bb.176:
	s_cmp_lt_i32 s13, 24
	s_mov_b64 s[6:7], -1
	s_cbranch_scc1 .LBB132_196
; %bb.177:
	s_cmp_gt_i32 s13, 24
	s_cbranch_scc0 .LBB132_185
; %bb.178:
	v_cvt_f32_f64_e32 v2, v[0:1]
	s_mov_b32 s6, 0x47800000
	v_mov_b32_e32 v6, 0x80
	v_and_b32_e32 v3, 0x7fffffff, v2
	v_cmp_gt_u32_e32 vcc, s6, v3
	s_and_saveexec_b64 s[6:7], vcc
	s_cbranch_execz .LBB132_184
; %bb.179:
	s_mov_b32 s8, 0x37ffffff
	v_cmp_lt_u32_e32 vcc, s8, v3
	s_mov_b64 s[8:9], 0
                                        ; implicit-def: $vgpr3
	s_and_saveexec_b64 s[10:11], vcc
	s_xor_b64 s[10:11], exec, s[10:11]
	s_cbranch_execz .LBB132_271
; %bb.180:
	v_bfe_u32 v3, v2, 21, 1
	s_mov_b32 s14, 0x88fffff
	v_add3_u32 v3, v2, v3, s14
	s_mov_b64 s[8:9], exec
	v_lshrrev_b32_e32 v3, 21, v3
	s_andn2_saveexec_b64 s[10:11], s[10:11]
	s_cbranch_execnz .LBB132_272
.LBB132_181:
	s_or_b64 exec, exec, s[10:11]
	v_mov_b32_e32 v6, 0
	s_and_saveexec_b64 s[10:11], s[8:9]
.LBB132_182:
	v_lshrrev_b32_e32 v2, 24, v2
	s_movk_i32 s8, 0x80
	v_and_or_b32 v6, v2, s8, v3
.LBB132_183:
	s_or_b64 exec, exec, s[10:11]
.LBB132_184:
	s_or_b64 exec, exec, s[6:7]
	s_mov_b64 s[6:7], 0
	global_store_byte v[4:5], v6, off
.LBB132_185:
	s_and_b64 vcc, exec, s[6:7]
	s_cbranch_vccz .LBB132_195
; %bb.186:
	v_cvt_f32_f64_e32 v2, v[0:1]
	s_mov_b32 s6, 0x43f00000
                                        ; implicit-def: $vgpr3
	v_and_b32_e32 v6, 0x7fffffff, v2
	v_cmp_gt_u32_e32 vcc, s6, v6
	s_and_saveexec_b64 s[6:7], vcc
	s_xor_b64 s[6:7], exec, s[6:7]
	s_cbranch_execz .LBB132_192
; %bb.187:
	s_mov_b32 s8, 0x3c7fffff
	v_cmp_lt_u32_e32 vcc, s8, v6
                                        ; implicit-def: $vgpr3
	s_and_saveexec_b64 s[8:9], vcc
	s_xor_b64 s[8:9], exec, s[8:9]
; %bb.188:
	v_bfe_u32 v3, v2, 20, 1
	s_mov_b32 s10, 0x407ffff
	v_add3_u32 v3, v2, v3, s10
	v_lshrrev_b32_e32 v6, 20, v3
	v_and_b32_e32 v3, 0xff00000, v3
	s_mov_b32 s10, 0x7f00000
	v_mov_b32_e32 v7, 0x7e
	v_cmp_ne_u32_e32 vcc, s10, v3
	v_cndmask_b32_e32 v3, v7, v6, vcc
; %bb.189:
	s_andn2_saveexec_b64 s[8:9], s[8:9]
; %bb.190:
	s_mov_b32 s10, 0x46800000
	v_add_f32_e64 v3, |v2|, s10
; %bb.191:
	s_or_b64 exec, exec, s[8:9]
                                        ; implicit-def: $vgpr6
.LBB132_192:
	s_andn2_saveexec_b64 s[6:7], s[6:7]
; %bb.193:
	s_mov_b32 s8, 0x7f800000
	v_mov_b32_e32 v3, 0x7e
	v_mov_b32_e32 v7, 0x7f
	v_cmp_lt_u32_e32 vcc, s8, v6
	v_cndmask_b32_e32 v3, v3, v7, vcc
; %bb.194:
	s_or_b64 exec, exec, s[6:7]
	v_lshrrev_b32_e32 v2, 24, v2
	s_movk_i32 s6, 0x80
	v_and_or_b32 v2, v2, s6, v3
	global_store_byte v[4:5], v2, off
.LBB132_195:
	s_mov_b64 s[6:7], 0
.LBB132_196:
	s_andn2_b64 vcc, exec, s[6:7]
	s_cbranch_vccnz .LBB132_206
; %bb.197:
	v_cvt_f32_f64_e32 v2, v[0:1]
	s_mov_b32 s6, 0x47800000
                                        ; implicit-def: $vgpr3
	v_and_b32_e32 v6, 0x7fffffff, v2
	v_cmp_gt_u32_e32 vcc, s6, v6
	s_and_saveexec_b64 s[6:7], vcc
	s_xor_b64 s[6:7], exec, s[6:7]
	s_cbranch_execz .LBB132_203
; %bb.198:
	s_mov_b32 s8, 0x387fffff
	v_cmp_lt_u32_e32 vcc, s8, v6
                                        ; implicit-def: $vgpr3
	s_and_saveexec_b64 s[8:9], vcc
	s_xor_b64 s[8:9], exec, s[8:9]
; %bb.199:
	v_bfe_u32 v3, v2, 21, 1
	s_mov_b32 s10, 0x80fffff
	v_add3_u32 v3, v2, v3, s10
	v_lshrrev_b32_e32 v3, 21, v3
; %bb.200:
	s_andn2_saveexec_b64 s[8:9], s[8:9]
; %bb.201:
	s_mov_b32 s10, 0x43000000
	v_add_f32_e64 v3, |v2|, s10
; %bb.202:
	s_or_b64 exec, exec, s[8:9]
                                        ; implicit-def: $vgpr6
.LBB132_203:
	s_andn2_saveexec_b64 s[6:7], s[6:7]
; %bb.204:
	s_mov_b32 s8, 0x7f800000
	v_mov_b32_e32 v3, 0x7c
	v_mov_b32_e32 v7, 0x7f
	v_cmp_lt_u32_e32 vcc, s8, v6
	v_cndmask_b32_e32 v3, v3, v7, vcc
; %bb.205:
	s_or_b64 exec, exec, s[6:7]
	v_lshrrev_b32_e32 v2, 24, v2
	s_movk_i32 s6, 0x80
	v_and_or_b32 v2, v2, s6, v3
	global_store_byte v[4:5], v2, off
.LBB132_206:
	s_mov_b64 s[8:9], 0
	s_mov_b64 s[6:7], -1
.LBB132_207:
	s_andn2_b64 vcc, exec, s[8:9]
	s_cbranch_vccnz .LBB132_215
; %bb.208:
	s_cmp_gt_i32 s13, 14
	s_mov_b64 s[8:9], -1
	s_cbranch_scc0 .LBB132_212
; %bb.209:
	s_cmp_eq_u32 s13, 15
	s_mov_b64 s[4:5], -1
	s_cbranch_scc0 .LBB132_211
; %bb.210:
	v_cvt_f32_f64_e32 v2, v[0:1]
	s_movk_i32 s4, 0x7fff
	v_mov_b32_e32 v3, 0x7fc0
	s_mov_b64 s[6:7], -1
	v_bfe_u32 v6, v2, 16, 1
	v_cmp_o_f32_e32 vcc, v2, v2
	v_add3_u32 v2, v2, v6, s4
	v_cndmask_b32_sdwa v2, v3, v2, vcc dst_sel:DWORD dst_unused:UNUSED_PAD src0_sel:DWORD src1_sel:WORD_1
	global_store_short v[4:5], v2, off
	s_mov_b64 s[4:5], 0
.LBB132_211:
	s_mov_b64 s[8:9], 0
.LBB132_212:
	s_and_b64 vcc, exec, s[8:9]
	s_cbranch_vccz .LBB132_215
; %bb.213:
	s_cmp_eq_u32 s13, 11
	s_mov_b64 s[4:5], -1
	s_cbranch_scc0 .LBB132_215
; %bb.214:
	v_cmp_neq_f64_e32 vcc, 0, v[0:1]
	s_mov_b64 s[4:5], 0
	s_mov_b64 s[6:7], -1
	v_cndmask_b32_e64 v2, 0, 1, vcc
	global_store_byte v[4:5], v2, off
.LBB132_215:
	s_branch .LBB132_137
.LBB132_216:
	s_and_b32 s8, 0xffff, s12
	s_cmp_lt_i32 s8, 5
	s_mov_b64 s[6:7], -1
	s_cbranch_scc1 .LBB132_237
; %bb.217:
	s_cmp_lt_i32 s8, 8
	s_cbranch_scc1 .LBB132_227
; %bb.218:
	s_cmp_lt_i32 s8, 9
	s_cbranch_scc1 .LBB132_224
; %bb.219:
	s_cmp_gt_i32 s8, 9
	s_cbranch_scc0 .LBB132_221
; %bb.220:
	v_mov_b32_e32 v2, 0
	v_mov_b32_e32 v3, v2
	s_mov_b64 s[6:7], 0
	global_store_dwordx4 v[4:5], v[0:3], off
.LBB132_221:
	s_andn2_b64 vcc, exec, s[6:7]
	s_cbranch_vccnz .LBB132_223
; %bb.222:
	v_cvt_f32_f64_e32 v2, v[0:1]
	v_mov_b32_e32 v3, 0
	global_store_dwordx2 v[4:5], v[2:3], off
.LBB132_223:
	s_mov_b64 s[6:7], 0
.LBB132_224:
	s_andn2_b64 vcc, exec, s[6:7]
	s_cbranch_vccnz .LBB132_226
; %bb.225:
	s_movk_i32 s6, 0x1ff
	v_and_or_b32 v2, v1, s6, v0
	v_cmp_ne_u32_e32 vcc, 0, v2
	v_cndmask_b32_e64 v2, 0, 1, vcc
	v_lshrrev_b32_e32 v3, 8, v1
	s_movk_i32 s6, 0xffe
	v_bfe_u32 v6, v1, 20, 11
	v_and_or_b32 v2, v3, s6, v2
	v_sub_u32_e32 v7, 0x3f1, v6
	v_or_b32_e32 v3, 0x1000, v2
	v_med3_i32 v7, v7, 0, 13
	v_lshrrev_b32_e32 v8, v7, v3
	v_lshlrev_b32_e32 v7, v7, v8
	v_cmp_ne_u32_e32 vcc, v7, v3
	v_cndmask_b32_e64 v3, 0, 1, vcc
	v_add_u32_e32 v6, 0xfffffc10, v6
	v_or_b32_e32 v3, v8, v3
	v_lshl_or_b32 v7, v6, 12, v2
	v_cmp_gt_i32_e32 vcc, 1, v6
	v_cndmask_b32_e32 v3, v7, v3, vcc
	v_and_b32_e32 v7, 7, v3
	v_cmp_lt_i32_e32 vcc, 5, v7
	v_cndmask_b32_e64 v8, 0, 1, vcc
	v_cmp_eq_u32_e32 vcc, 3, v7
	v_cndmask_b32_e64 v7, 0, 1, vcc
	v_or_b32_e32 v7, v7, v8
	v_lshrrev_b32_e32 v3, 2, v3
	v_add_u32_e32 v3, v3, v7
	v_mov_b32_e32 v7, 0x7c00
	v_cmp_gt_i32_e32 vcc, 31, v6
	v_cndmask_b32_e32 v3, v7, v3, vcc
	v_mov_b32_e32 v8, 0x7e00
	v_cmp_ne_u32_e32 vcc, 0, v2
	s_movk_i32 s6, 0x40f
	v_cndmask_b32_e32 v2, v7, v8, vcc
	v_cmp_eq_u32_e32 vcc, s6, v6
	v_cndmask_b32_e32 v2, v3, v2, vcc
	v_lshrrev_b32_e32 v3, 16, v1
	s_mov_b32 s6, 0x8000
	v_and_or_b32 v2, v3, s6, v2
	v_and_b32_e32 v2, 0xffff, v2
	global_store_dword v[4:5], v2, off
.LBB132_226:
	s_mov_b64 s[6:7], 0
.LBB132_227:
	s_andn2_b64 vcc, exec, s[6:7]
	s_cbranch_vccnz .LBB132_236
; %bb.228:
	s_cmp_lt_i32 s8, 6
	s_mov_b64 s[6:7], -1
	s_cbranch_scc1 .LBB132_234
; %bb.229:
	s_cmp_gt_i32 s8, 6
	s_cbranch_scc0 .LBB132_231
; %bb.230:
	s_mov_b64 s[6:7], 0
	global_store_dwordx2 v[4:5], v[0:1], off
.LBB132_231:
	s_andn2_b64 vcc, exec, s[6:7]
	s_cbranch_vccnz .LBB132_233
; %bb.232:
	v_cvt_f32_f64_e32 v2, v[0:1]
	global_store_dword v[4:5], v2, off
.LBB132_233:
	s_mov_b64 s[6:7], 0
.LBB132_234:
	s_andn2_b64 vcc, exec, s[6:7]
	s_cbranch_vccnz .LBB132_236
; %bb.235:
	s_movk_i32 s6, 0x1ff
	v_and_or_b32 v2, v1, s6, v0
	v_cmp_ne_u32_e32 vcc, 0, v2
	v_cndmask_b32_e64 v2, 0, 1, vcc
	v_lshrrev_b32_e32 v3, 8, v1
	s_movk_i32 s6, 0xffe
	v_bfe_u32 v6, v1, 20, 11
	v_and_or_b32 v2, v3, s6, v2
	v_sub_u32_e32 v7, 0x3f1, v6
	v_or_b32_e32 v3, 0x1000, v2
	v_med3_i32 v7, v7, 0, 13
	v_lshrrev_b32_e32 v8, v7, v3
	v_lshlrev_b32_e32 v7, v7, v8
	v_cmp_ne_u32_e32 vcc, v7, v3
	v_cndmask_b32_e64 v3, 0, 1, vcc
	v_add_u32_e32 v6, 0xfffffc10, v6
	v_or_b32_e32 v3, v8, v3
	v_lshl_or_b32 v7, v6, 12, v2
	v_cmp_gt_i32_e32 vcc, 1, v6
	v_cndmask_b32_e32 v3, v7, v3, vcc
	v_and_b32_e32 v7, 7, v3
	v_cmp_lt_i32_e32 vcc, 5, v7
	v_cndmask_b32_e64 v8, 0, 1, vcc
	v_cmp_eq_u32_e32 vcc, 3, v7
	v_cndmask_b32_e64 v7, 0, 1, vcc
	v_or_b32_e32 v7, v7, v8
	v_lshrrev_b32_e32 v3, 2, v3
	v_add_u32_e32 v3, v3, v7
	v_mov_b32_e32 v7, 0x7c00
	v_cmp_gt_i32_e32 vcc, 31, v6
	v_cndmask_b32_e32 v3, v7, v3, vcc
	v_mov_b32_e32 v8, 0x7e00
	v_cmp_ne_u32_e32 vcc, 0, v2
	s_movk_i32 s6, 0x40f
	v_cndmask_b32_e32 v2, v7, v8, vcc
	v_cmp_eq_u32_e32 vcc, s6, v6
	v_cndmask_b32_e32 v2, v3, v2, vcc
	v_lshrrev_b32_e32 v3, 16, v1
	s_mov_b32 s6, 0x8000
	v_and_or_b32 v2, v3, s6, v2
	global_store_short v[4:5], v2, off
.LBB132_236:
	s_mov_b64 s[6:7], 0
.LBB132_237:
	s_andn2_b64 vcc, exec, s[6:7]
	s_cbranch_vccnz .LBB132_253
; %bb.238:
	s_cmp_lt_i32 s8, 2
	s_mov_b64 s[6:7], -1
	s_cbranch_scc1 .LBB132_248
; %bb.239:
	s_cmp_lt_i32 s8, 3
	s_cbranch_scc1 .LBB132_245
; %bb.240:
	s_cmp_gt_i32 s8, 3
	s_cbranch_scc0 .LBB132_242
; %bb.241:
	v_trunc_f64_e32 v[2:3], v[0:1]
	s_movk_i32 s6, 0xffe0
	v_ldexp_f64 v[6:7], v[2:3], s6
	s_mov_b32 s6, 0
	s_mov_b32 s7, 0xc1f00000
	v_floor_f64_e32 v[6:7], v[6:7]
	v_fma_f64 v[2:3], v[6:7], s[6:7], v[2:3]
	v_cvt_i32_f64_e32 v7, v[6:7]
	s_mov_b64 s[6:7], 0
	v_cvt_u32_f64_e32 v6, v[2:3]
	global_store_dwordx2 v[4:5], v[6:7], off
.LBB132_242:
	s_andn2_b64 vcc, exec, s[6:7]
	s_cbranch_vccnz .LBB132_244
; %bb.243:
	v_cvt_i32_f64_e32 v2, v[0:1]
	global_store_dword v[4:5], v2, off
.LBB132_244:
	s_mov_b64 s[6:7], 0
.LBB132_245:
	s_andn2_b64 vcc, exec, s[6:7]
	s_cbranch_vccnz .LBB132_247
; %bb.246:
	v_cvt_i32_f64_e32 v2, v[0:1]
	global_store_short v[4:5], v2, off
.LBB132_247:
	s_mov_b64 s[6:7], 0
.LBB132_248:
	s_andn2_b64 vcc, exec, s[6:7]
	s_cbranch_vccnz .LBB132_253
; %bb.249:
	s_cmp_gt_i32 s8, 0
	s_mov_b64 s[6:7], -1
	s_cbranch_scc0 .LBB132_251
; %bb.250:
	v_cvt_i32_f64_e32 v2, v[0:1]
	s_mov_b64 s[6:7], 0
	global_store_byte v[4:5], v2, off
.LBB132_251:
	s_andn2_b64 vcc, exec, s[6:7]
	s_cbranch_vccnz .LBB132_253
; %bb.252:
	v_trunc_f64_e32 v[0:1], v[0:1]
	s_movk_i32 s6, 0xffe0
	v_ldexp_f64 v[2:3], v[0:1], s6
	s_mov_b32 s6, 0
	s_mov_b32 s7, 0xc1f00000
	v_floor_f64_e32 v[2:3], v[2:3]
	v_fma_f64 v[0:1], v[2:3], s[6:7], v[0:1]
	v_cvt_u32_f64_e32 v0, v[0:1]
	global_store_byte v[4:5], v0, off
.LBB132_253:
	s_branch .LBB132_138
.LBB132_254:
	s_mov_b64 s[6:7], 0
                                        ; implicit-def: $vgpr36
.LBB132_255:
	s_andn2_b64 s[8:9], s[42:43], exec
	s_and_b64 s[4:5], s[4:5], exec
	s_or_b64 s[46:47], s[8:9], s[4:5]
	s_orn2_b64 s[8:9], s[6:7], exec
.LBB132_256:
	s_or_b64 exec, exec, s[48:49]
	s_mov_b64 s[4:5], 0
	s_mov_b64 s[6:7], 0
                                        ; implicit-def: $sgpr14
                                        ; implicit-def: $vgpr4_vgpr5
                                        ; implicit-def: $vgpr0_vgpr1
	s_and_saveexec_b64 s[48:49], s[8:9]
	s_cbranch_execz .LBB132_471
; %bb.257:
	v_cmp_gt_i32_e32 vcc, s54, v36
	s_mov_b64 s[6:7], -1
	s_mov_b64 s[52:53], s[46:47]
	s_and_saveexec_b64 s[50:51], vcc
	s_cbranch_execz .LBB132_386
; %bb.258:
	s_getpc_b64 s[4:5]
	s_add_u32 s4, s4, _ZN2at6native6invokeIZZZNS0_18lgamma_kernel_cudaERNS_18TensorIteratorBaseEENKUlvE_clEvENKUlvE_clEvEUldE_i15function_traitsIS6_EEENT1_11result_typeERKT_PrKPcPKT0_PKN3c1010ScalarTypeEi@rel32@lo+4
	s_addc_u32 s5, s5, _ZN2at6native6invokeIZZZNS0_18lgamma_kernel_cudaERNS_18TensorIteratorBaseEENKUlvE_clEvENKUlvE_clEvEUldE_i15function_traitsIS6_EEENT1_11result_typeERKT_PrKPcPKT0_PKN3c1010ScalarTypeEi@rel32@hi+12
	v_mov_b32_e32 v0, s38
	v_mov_b32_e32 v1, s39
	;; [unrolled: 1-line block ×5, first 2 shown]
	s_swappc_b64 s[30:31], s[4:5]
	v_mul_lo_u32 v2, v36, s28
	v_mov_b32_e32 v3, s37
	s_and_b32 s12, s33, 0xff
	s_cmp_lt_i32 s12, 11
	v_ashrrev_i32_e32 v5, 31, v2
	v_add_co_u32_e32 v4, vcc, s36, v2
	v_addc_co_u32_e32 v5, vcc, v3, v5, vcc
	s_cbranch_scc1 .LBB132_265
; %bb.259:
	s_and_b32 s13, 0xffff, s12
	s_cmp_gt_i32 s13, 25
	s_cbranch_scc0 .LBB132_266
; %bb.260:
	s_cmp_gt_i32 s13, 28
	s_cbranch_scc0 .LBB132_267
; %bb.261:
	s_cmp_gt_i32 s13, 43
	s_cbranch_scc0 .LBB132_270
; %bb.262:
	s_cmp_gt_i32 s13, 45
	s_cbranch_scc0 .LBB132_273
; %bb.263:
	s_mov_b64 s[8:9], 0
	s_mov_b64 s[4:5], -1
	s_cmp_eq_u32 s13, 46
	s_mov_b64 s[6:7], 0
	s_cbranch_scc0 .LBB132_274
; %bb.264:
	v_cvt_f32_f64_e32 v2, v[0:1]
	s_movk_i32 s4, 0x7fff
	v_mov_b32_e32 v3, 0x7fc0
	s_mov_b64 s[6:7], -1
	v_bfe_u32 v6, v2, 16, 1
	v_cmp_o_f32_e32 vcc, v2, v2
	v_add3_u32 v2, v2, v6, s4
	v_cndmask_b32_sdwa v2, v3, v2, vcc dst_sel:DWORD dst_unused:UNUSED_PAD src0_sel:DWORD src1_sel:WORD_1
	global_store_dword v[4:5], v2, off
	s_mov_b64 s[4:5], 0
	s_branch .LBB132_274
.LBB132_265:
	s_mov_b64 s[8:9], -1
	s_mov_b64 s[6:7], 0
	s_mov_b64 s[4:5], s[46:47]
	s_branch .LBB132_343
.LBB132_266:
	s_mov_b64 s[8:9], -1
	s_mov_b64 s[6:7], 0
	s_mov_b64 s[4:5], s[46:47]
	s_branch .LBB132_301
.LBB132_267:
	s_mov_b64 s[8:9], -1
	s_mov_b64 s[6:7], 0
	s_mov_b64 s[4:5], s[46:47]
	s_branch .LBB132_284
.LBB132_268:
	s_andn2_saveexec_b64 s[10:11], s[10:11]
	s_cbranch_execz .LBB132_168
.LBB132_269:
	s_mov_b32 s14, 0x46000000
	v_add_f32_e64 v3, |v2|, s14
	v_and_b32_e32 v3, 0xff, v3
	v_cmp_ne_u32_e32 vcc, 0, v3
	s_andn2_b64 s[8:9], s[8:9], exec
	s_and_b64 s[14:15], vcc, exec
	s_or_b64 s[8:9], s[8:9], s[14:15]
	s_or_b64 exec, exec, s[10:11]
	v_mov_b32_e32 v6, 0
	s_and_saveexec_b64 s[10:11], s[8:9]
	s_cbranch_execnz .LBB132_169
	s_branch .LBB132_170
.LBB132_270:
	s_mov_b64 s[8:9], -1
	s_mov_b64 s[6:7], 0
	s_mov_b64 s[4:5], s[46:47]
	s_branch .LBB132_280
.LBB132_271:
	s_andn2_saveexec_b64 s[10:11], s[10:11]
	s_cbranch_execz .LBB132_181
.LBB132_272:
	s_mov_b32 s14, 0x42800000
	v_add_f32_e64 v3, |v2|, s14
	v_and_b32_e32 v3, 0xff, v3
	v_cmp_ne_u32_e32 vcc, 0, v3
	s_andn2_b64 s[8:9], s[8:9], exec
	s_and_b64 s[14:15], vcc, exec
	s_or_b64 s[8:9], s[8:9], s[14:15]
	s_or_b64 exec, exec, s[10:11]
	v_mov_b32_e32 v6, 0
	s_and_saveexec_b64 s[10:11], s[8:9]
	s_cbranch_execnz .LBB132_182
	s_branch .LBB132_183
.LBB132_273:
	s_mov_b64 s[8:9], -1
	s_mov_b64 s[6:7], 0
	s_mov_b64 s[4:5], s[46:47]
.LBB132_274:
	s_and_b64 vcc, exec, s[8:9]
	s_cbranch_vccz .LBB132_279
; %bb.275:
	s_cmp_eq_u32 s13, 44
	s_mov_b64 s[4:5], -1
	s_cbranch_scc0 .LBB132_279
; %bb.276:
	v_cvt_f32_f64_e32 v2, v[0:1]
	s_movk_i32 s4, 0xff
	v_mov_b32_e32 v6, 0xff
	v_bfe_u32 v3, v2, 23, 8
	v_cmp_ne_u32_e32 vcc, s4, v3
	s_and_saveexec_b64 s[6:7], vcc
; %bb.277:
	s_mov_b32 s4, 0x3fffff
	v_lshrrev_b32_e32 v6, 23, v2
	v_and_b32_e32 v7, 0x400000, v2
	v_and_or_b32 v2, v2, s4, v3
	v_cmp_ne_u32_e32 vcc, 0, v7
	v_cmp_ne_u32_e64 s[4:5], 0, v2
	s_and_b64 s[4:5], vcc, s[4:5]
	v_cndmask_b32_e64 v2, 0, 1, s[4:5]
	v_add_u32_e32 v6, v6, v2
; %bb.278:
	s_or_b64 exec, exec, s[6:7]
	s_mov_b64 s[6:7], -1
	s_mov_b64 s[4:5], 0
	global_store_byte v[4:5], v6, off
.LBB132_279:
	s_mov_b64 s[8:9], 0
.LBB132_280:
	s_and_b64 vcc, exec, s[8:9]
	s_cbranch_vccz .LBB132_283
; %bb.281:
	s_cmp_eq_u32 s13, 29
	s_mov_b64 s[4:5], -1
	s_cbranch_scc0 .LBB132_283
; %bb.282:
	v_trunc_f64_e32 v[2:3], v[0:1]
	s_movk_i32 s4, 0xffe0
	s_mov_b64 s[6:7], -1
	s_mov_b64 s[8:9], 0
	v_ldexp_f64 v[6:7], v[2:3], s4
	s_mov_b32 s4, 0
	s_mov_b32 s5, 0xc1f00000
	v_floor_f64_e32 v[6:7], v[6:7]
	v_fma_f64 v[2:3], v[6:7], s[4:5], v[2:3]
	v_cvt_u32_f64_e32 v7, v[6:7]
	s_mov_b64 s[4:5], 0
	v_cvt_u32_f64_e32 v6, v[2:3]
	global_store_dwordx2 v[4:5], v[6:7], off
	s_branch .LBB132_284
.LBB132_283:
	s_mov_b64 s[8:9], 0
.LBB132_284:
	s_and_b64 vcc, exec, s[8:9]
	s_cbranch_vccz .LBB132_300
; %bb.285:
	s_cmp_lt_i32 s13, 27
	s_mov_b64 s[6:7], -1
	s_cbranch_scc1 .LBB132_291
; %bb.286:
	v_cvt_u32_f64_e32 v2, v[0:1]
	s_cmp_gt_i32 s13, 27
	s_cbranch_scc0 .LBB132_288
; %bb.287:
	s_mov_b64 s[6:7], 0
	global_store_dword v[4:5], v2, off
.LBB132_288:
	s_andn2_b64 vcc, exec, s[6:7]
	s_cbranch_vccnz .LBB132_290
; %bb.289:
	global_store_short v[4:5], v2, off
.LBB132_290:
	s_mov_b64 s[6:7], 0
.LBB132_291:
	s_andn2_b64 vcc, exec, s[6:7]
	s_cbranch_vccnz .LBB132_299
; %bb.292:
	v_cvt_f32_f64_e32 v2, v[0:1]
	s_mov_b32 s6, 0x43800000
	v_mov_b32_e32 v6, 0x80
	v_and_b32_e32 v3, 0x7fffffff, v2
	v_cmp_gt_u32_e32 vcc, s6, v3
	s_and_saveexec_b64 s[6:7], vcc
	s_cbranch_execz .LBB132_298
; %bb.293:
	s_mov_b32 s8, 0x3bffffff
	v_cmp_lt_u32_e32 vcc, s8, v3
	s_mov_b64 s[8:9], 0
                                        ; implicit-def: $vgpr3
	s_and_saveexec_b64 s[10:11], vcc
	s_xor_b64 s[10:11], exec, s[10:11]
	s_cbranch_execz .LBB132_396
; %bb.294:
	v_bfe_u32 v3, v2, 20, 1
	s_mov_b32 s14, 0x487ffff
	v_add3_u32 v3, v2, v3, s14
	s_mov_b64 s[8:9], exec
	v_lshrrev_b32_e32 v3, 20, v3
	s_andn2_saveexec_b64 s[10:11], s[10:11]
	s_cbranch_execnz .LBB132_397
.LBB132_295:
	s_or_b64 exec, exec, s[10:11]
	v_mov_b32_e32 v6, 0
	s_and_saveexec_b64 s[10:11], s[8:9]
.LBB132_296:
	v_lshrrev_b32_e32 v2, 24, v2
	s_movk_i32 s8, 0x80
	v_and_or_b32 v6, v2, s8, v3
.LBB132_297:
	s_or_b64 exec, exec, s[10:11]
.LBB132_298:
	s_or_b64 exec, exec, s[6:7]
	global_store_byte v[4:5], v6, off
.LBB132_299:
	s_mov_b64 s[6:7], -1
.LBB132_300:
	s_mov_b64 s[8:9], 0
.LBB132_301:
	s_and_b64 vcc, exec, s[8:9]
	s_cbranch_vccz .LBB132_342
; %bb.302:
	s_cmp_gt_i32 s13, 22
	s_mov_b64 s[8:9], -1
	s_cbranch_scc0 .LBB132_334
; %bb.303:
	s_cmp_lt_i32 s13, 24
	s_mov_b64 s[6:7], -1
	s_cbranch_scc1 .LBB132_323
; %bb.304:
	s_cmp_gt_i32 s13, 24
	s_cbranch_scc0 .LBB132_312
; %bb.305:
	v_cvt_f32_f64_e32 v2, v[0:1]
	s_mov_b32 s6, 0x47800000
	v_mov_b32_e32 v6, 0x80
	v_and_b32_e32 v3, 0x7fffffff, v2
	v_cmp_gt_u32_e32 vcc, s6, v3
	s_and_saveexec_b64 s[6:7], vcc
	s_cbranch_execz .LBB132_311
; %bb.306:
	s_mov_b32 s8, 0x37ffffff
	v_cmp_lt_u32_e32 vcc, s8, v3
	s_mov_b64 s[8:9], 0
                                        ; implicit-def: $vgpr3
	s_and_saveexec_b64 s[10:11], vcc
	s_xor_b64 s[10:11], exec, s[10:11]
	s_cbranch_execz .LBB132_398
; %bb.307:
	v_bfe_u32 v3, v2, 21, 1
	s_mov_b32 s14, 0x88fffff
	v_add3_u32 v3, v2, v3, s14
	s_mov_b64 s[8:9], exec
	v_lshrrev_b32_e32 v3, 21, v3
	s_andn2_saveexec_b64 s[10:11], s[10:11]
	s_cbranch_execnz .LBB132_399
.LBB132_308:
	s_or_b64 exec, exec, s[10:11]
	v_mov_b32_e32 v6, 0
	s_and_saveexec_b64 s[10:11], s[8:9]
.LBB132_309:
	v_lshrrev_b32_e32 v2, 24, v2
	s_movk_i32 s8, 0x80
	v_and_or_b32 v6, v2, s8, v3
.LBB132_310:
	s_or_b64 exec, exec, s[10:11]
.LBB132_311:
	s_or_b64 exec, exec, s[6:7]
	s_mov_b64 s[6:7], 0
	global_store_byte v[4:5], v6, off
.LBB132_312:
	s_and_b64 vcc, exec, s[6:7]
	s_cbranch_vccz .LBB132_322
; %bb.313:
	v_cvt_f32_f64_e32 v2, v[0:1]
	s_mov_b32 s6, 0x43f00000
                                        ; implicit-def: $vgpr3
	v_and_b32_e32 v6, 0x7fffffff, v2
	v_cmp_gt_u32_e32 vcc, s6, v6
	s_and_saveexec_b64 s[6:7], vcc
	s_xor_b64 s[6:7], exec, s[6:7]
	s_cbranch_execz .LBB132_319
; %bb.314:
	s_mov_b32 s8, 0x3c7fffff
	v_cmp_lt_u32_e32 vcc, s8, v6
                                        ; implicit-def: $vgpr3
	s_and_saveexec_b64 s[8:9], vcc
	s_xor_b64 s[8:9], exec, s[8:9]
; %bb.315:
	v_bfe_u32 v3, v2, 20, 1
	s_mov_b32 s10, 0x407ffff
	v_add3_u32 v3, v2, v3, s10
	v_lshrrev_b32_e32 v6, 20, v3
	v_and_b32_e32 v3, 0xff00000, v3
	s_mov_b32 s10, 0x7f00000
	v_mov_b32_e32 v7, 0x7e
	v_cmp_ne_u32_e32 vcc, s10, v3
	v_cndmask_b32_e32 v3, v7, v6, vcc
; %bb.316:
	s_andn2_saveexec_b64 s[8:9], s[8:9]
; %bb.317:
	s_mov_b32 s10, 0x46800000
	v_add_f32_e64 v3, |v2|, s10
; %bb.318:
	s_or_b64 exec, exec, s[8:9]
                                        ; implicit-def: $vgpr6
.LBB132_319:
	s_andn2_saveexec_b64 s[6:7], s[6:7]
; %bb.320:
	s_mov_b32 s8, 0x7f800000
	v_mov_b32_e32 v3, 0x7e
	v_mov_b32_e32 v7, 0x7f
	v_cmp_lt_u32_e32 vcc, s8, v6
	v_cndmask_b32_e32 v3, v3, v7, vcc
; %bb.321:
	s_or_b64 exec, exec, s[6:7]
	v_lshrrev_b32_e32 v2, 24, v2
	s_movk_i32 s6, 0x80
	v_and_or_b32 v2, v2, s6, v3
	global_store_byte v[4:5], v2, off
.LBB132_322:
	s_mov_b64 s[6:7], 0
.LBB132_323:
	s_andn2_b64 vcc, exec, s[6:7]
	s_cbranch_vccnz .LBB132_333
; %bb.324:
	v_cvt_f32_f64_e32 v2, v[0:1]
	s_mov_b32 s6, 0x47800000
                                        ; implicit-def: $vgpr3
	v_and_b32_e32 v6, 0x7fffffff, v2
	v_cmp_gt_u32_e32 vcc, s6, v6
	s_and_saveexec_b64 s[6:7], vcc
	s_xor_b64 s[6:7], exec, s[6:7]
	s_cbranch_execz .LBB132_330
; %bb.325:
	s_mov_b32 s8, 0x387fffff
	v_cmp_lt_u32_e32 vcc, s8, v6
                                        ; implicit-def: $vgpr3
	s_and_saveexec_b64 s[8:9], vcc
	s_xor_b64 s[8:9], exec, s[8:9]
; %bb.326:
	v_bfe_u32 v3, v2, 21, 1
	s_mov_b32 s10, 0x80fffff
	v_add3_u32 v3, v2, v3, s10
	v_lshrrev_b32_e32 v3, 21, v3
; %bb.327:
	s_andn2_saveexec_b64 s[8:9], s[8:9]
; %bb.328:
	s_mov_b32 s10, 0x43000000
	v_add_f32_e64 v3, |v2|, s10
; %bb.329:
	s_or_b64 exec, exec, s[8:9]
                                        ; implicit-def: $vgpr6
.LBB132_330:
	s_andn2_saveexec_b64 s[6:7], s[6:7]
; %bb.331:
	s_mov_b32 s8, 0x7f800000
	v_mov_b32_e32 v3, 0x7c
	v_mov_b32_e32 v7, 0x7f
	v_cmp_lt_u32_e32 vcc, s8, v6
	v_cndmask_b32_e32 v3, v3, v7, vcc
; %bb.332:
	s_or_b64 exec, exec, s[6:7]
	v_lshrrev_b32_e32 v2, 24, v2
	s_movk_i32 s6, 0x80
	v_and_or_b32 v2, v2, s6, v3
	global_store_byte v[4:5], v2, off
.LBB132_333:
	s_mov_b64 s[8:9], 0
	s_mov_b64 s[6:7], -1
.LBB132_334:
	s_andn2_b64 vcc, exec, s[8:9]
	s_cbranch_vccnz .LBB132_342
; %bb.335:
	s_cmp_gt_i32 s13, 14
	s_mov_b64 s[8:9], -1
	s_cbranch_scc0 .LBB132_339
; %bb.336:
	s_cmp_eq_u32 s13, 15
	s_mov_b64 s[4:5], -1
	s_cbranch_scc0 .LBB132_338
; %bb.337:
	v_cvt_f32_f64_e32 v2, v[0:1]
	s_movk_i32 s4, 0x7fff
	v_mov_b32_e32 v3, 0x7fc0
	s_mov_b64 s[6:7], -1
	v_bfe_u32 v6, v2, 16, 1
	v_cmp_o_f32_e32 vcc, v2, v2
	v_add3_u32 v2, v2, v6, s4
	v_cndmask_b32_sdwa v2, v3, v2, vcc dst_sel:DWORD dst_unused:UNUSED_PAD src0_sel:DWORD src1_sel:WORD_1
	global_store_short v[4:5], v2, off
	s_mov_b64 s[4:5], 0
.LBB132_338:
	s_mov_b64 s[8:9], 0
.LBB132_339:
	s_and_b64 vcc, exec, s[8:9]
	s_cbranch_vccz .LBB132_342
; %bb.340:
	s_cmp_eq_u32 s13, 11
	s_mov_b64 s[4:5], -1
	s_cbranch_scc0 .LBB132_342
; %bb.341:
	v_cmp_neq_f64_e32 vcc, 0, v[0:1]
	s_mov_b64 s[4:5], 0
	s_mov_b64 s[6:7], -1
	v_cndmask_b32_e64 v2, 0, 1, vcc
	global_store_byte v[4:5], v2, off
.LBB132_342:
	s_mov_b64 s[8:9], 0
.LBB132_343:
	s_and_b64 vcc, exec, s[8:9]
	s_cbranch_vccz .LBB132_382
; %bb.344:
	s_and_b32 s8, 0xffff, s12
	s_cmp_lt_i32 s8, 5
	s_mov_b64 s[6:7], -1
	s_cbranch_scc1 .LBB132_365
; %bb.345:
	s_cmp_lt_i32 s8, 8
	s_cbranch_scc1 .LBB132_355
; %bb.346:
	s_cmp_lt_i32 s8, 9
	s_cbranch_scc1 .LBB132_352
; %bb.347:
	s_cmp_gt_i32 s8, 9
	s_cbranch_scc0 .LBB132_349
; %bb.348:
	v_mov_b32_e32 v2, 0
	v_mov_b32_e32 v3, v2
	s_mov_b64 s[6:7], 0
	global_store_dwordx4 v[4:5], v[0:3], off
.LBB132_349:
	s_andn2_b64 vcc, exec, s[6:7]
	s_cbranch_vccnz .LBB132_351
; %bb.350:
	v_cvt_f32_f64_e32 v2, v[0:1]
	v_mov_b32_e32 v3, 0
	global_store_dwordx2 v[4:5], v[2:3], off
.LBB132_351:
	s_mov_b64 s[6:7], 0
.LBB132_352:
	s_andn2_b64 vcc, exec, s[6:7]
	s_cbranch_vccnz .LBB132_354
; %bb.353:
	s_movk_i32 s6, 0x1ff
	v_and_or_b32 v2, v1, s6, v0
	v_cmp_ne_u32_e32 vcc, 0, v2
	v_cndmask_b32_e64 v2, 0, 1, vcc
	v_lshrrev_b32_e32 v3, 8, v1
	s_movk_i32 s6, 0xffe
	v_bfe_u32 v6, v1, 20, 11
	v_and_or_b32 v2, v3, s6, v2
	v_sub_u32_e32 v7, 0x3f1, v6
	v_or_b32_e32 v3, 0x1000, v2
	v_med3_i32 v7, v7, 0, 13
	v_lshrrev_b32_e32 v8, v7, v3
	v_lshlrev_b32_e32 v7, v7, v8
	v_cmp_ne_u32_e32 vcc, v7, v3
	v_cndmask_b32_e64 v3, 0, 1, vcc
	v_add_u32_e32 v6, 0xfffffc10, v6
	v_or_b32_e32 v3, v8, v3
	v_lshl_or_b32 v7, v6, 12, v2
	v_cmp_gt_i32_e32 vcc, 1, v6
	v_cndmask_b32_e32 v3, v7, v3, vcc
	v_and_b32_e32 v7, 7, v3
	v_cmp_lt_i32_e32 vcc, 5, v7
	v_cndmask_b32_e64 v8, 0, 1, vcc
	v_cmp_eq_u32_e32 vcc, 3, v7
	v_cndmask_b32_e64 v7, 0, 1, vcc
	v_or_b32_e32 v7, v7, v8
	v_lshrrev_b32_e32 v3, 2, v3
	v_add_u32_e32 v3, v3, v7
	v_mov_b32_e32 v7, 0x7c00
	v_cmp_gt_i32_e32 vcc, 31, v6
	v_cndmask_b32_e32 v3, v7, v3, vcc
	v_mov_b32_e32 v8, 0x7e00
	v_cmp_ne_u32_e32 vcc, 0, v2
	s_movk_i32 s6, 0x40f
	v_cndmask_b32_e32 v2, v7, v8, vcc
	v_cmp_eq_u32_e32 vcc, s6, v6
	v_cndmask_b32_e32 v2, v3, v2, vcc
	v_lshrrev_b32_e32 v3, 16, v1
	s_mov_b32 s6, 0x8000
	v_and_or_b32 v2, v3, s6, v2
	v_and_b32_e32 v2, 0xffff, v2
	global_store_dword v[4:5], v2, off
.LBB132_354:
	s_mov_b64 s[6:7], 0
.LBB132_355:
	s_andn2_b64 vcc, exec, s[6:7]
	s_cbranch_vccnz .LBB132_364
; %bb.356:
	s_cmp_lt_i32 s8, 6
	s_mov_b64 s[6:7], -1
	s_cbranch_scc1 .LBB132_362
; %bb.357:
	s_cmp_gt_i32 s8, 6
	s_cbranch_scc0 .LBB132_359
; %bb.358:
	s_mov_b64 s[6:7], 0
	global_store_dwordx2 v[4:5], v[0:1], off
.LBB132_359:
	s_andn2_b64 vcc, exec, s[6:7]
	s_cbranch_vccnz .LBB132_361
; %bb.360:
	v_cvt_f32_f64_e32 v2, v[0:1]
	global_store_dword v[4:5], v2, off
.LBB132_361:
	s_mov_b64 s[6:7], 0
.LBB132_362:
	s_andn2_b64 vcc, exec, s[6:7]
	s_cbranch_vccnz .LBB132_364
; %bb.363:
	s_movk_i32 s6, 0x1ff
	v_and_or_b32 v2, v1, s6, v0
	v_cmp_ne_u32_e32 vcc, 0, v2
	v_cndmask_b32_e64 v2, 0, 1, vcc
	v_lshrrev_b32_e32 v3, 8, v1
	s_movk_i32 s6, 0xffe
	v_bfe_u32 v6, v1, 20, 11
	v_and_or_b32 v2, v3, s6, v2
	v_sub_u32_e32 v7, 0x3f1, v6
	v_or_b32_e32 v3, 0x1000, v2
	v_med3_i32 v7, v7, 0, 13
	v_lshrrev_b32_e32 v8, v7, v3
	v_lshlrev_b32_e32 v7, v7, v8
	v_cmp_ne_u32_e32 vcc, v7, v3
	v_cndmask_b32_e64 v3, 0, 1, vcc
	v_add_u32_e32 v6, 0xfffffc10, v6
	v_or_b32_e32 v3, v8, v3
	v_lshl_or_b32 v7, v6, 12, v2
	v_cmp_gt_i32_e32 vcc, 1, v6
	v_cndmask_b32_e32 v3, v7, v3, vcc
	v_and_b32_e32 v7, 7, v3
	v_cmp_lt_i32_e32 vcc, 5, v7
	v_cndmask_b32_e64 v8, 0, 1, vcc
	v_cmp_eq_u32_e32 vcc, 3, v7
	v_cndmask_b32_e64 v7, 0, 1, vcc
	v_or_b32_e32 v7, v7, v8
	v_lshrrev_b32_e32 v3, 2, v3
	v_add_u32_e32 v3, v3, v7
	v_mov_b32_e32 v7, 0x7c00
	v_cmp_gt_i32_e32 vcc, 31, v6
	v_cndmask_b32_e32 v3, v7, v3, vcc
	v_mov_b32_e32 v8, 0x7e00
	v_cmp_ne_u32_e32 vcc, 0, v2
	s_movk_i32 s6, 0x40f
	v_cndmask_b32_e32 v2, v7, v8, vcc
	v_cmp_eq_u32_e32 vcc, s6, v6
	v_cndmask_b32_e32 v2, v3, v2, vcc
	v_lshrrev_b32_e32 v3, 16, v1
	s_mov_b32 s6, 0x8000
	v_and_or_b32 v2, v3, s6, v2
	global_store_short v[4:5], v2, off
.LBB132_364:
	s_mov_b64 s[6:7], 0
.LBB132_365:
	s_andn2_b64 vcc, exec, s[6:7]
	s_cbranch_vccnz .LBB132_381
; %bb.366:
	s_cmp_lt_i32 s8, 2
	s_mov_b64 s[6:7], -1
	s_cbranch_scc1 .LBB132_376
; %bb.367:
	s_cmp_lt_i32 s8, 3
	s_cbranch_scc1 .LBB132_373
; %bb.368:
	s_cmp_gt_i32 s8, 3
	s_cbranch_scc0 .LBB132_370
; %bb.369:
	v_trunc_f64_e32 v[2:3], v[0:1]
	s_movk_i32 s6, 0xffe0
	v_ldexp_f64 v[6:7], v[2:3], s6
	s_mov_b32 s6, 0
	s_mov_b32 s7, 0xc1f00000
	v_floor_f64_e32 v[6:7], v[6:7]
	v_fma_f64 v[2:3], v[6:7], s[6:7], v[2:3]
	v_cvt_i32_f64_e32 v7, v[6:7]
	s_mov_b64 s[6:7], 0
	v_cvt_u32_f64_e32 v6, v[2:3]
	global_store_dwordx2 v[4:5], v[6:7], off
.LBB132_370:
	s_andn2_b64 vcc, exec, s[6:7]
	s_cbranch_vccnz .LBB132_372
; %bb.371:
	v_cvt_i32_f64_e32 v2, v[0:1]
	global_store_dword v[4:5], v2, off
.LBB132_372:
	s_mov_b64 s[6:7], 0
.LBB132_373:
	s_andn2_b64 vcc, exec, s[6:7]
	s_cbranch_vccnz .LBB132_375
; %bb.374:
	v_cvt_i32_f64_e32 v2, v[0:1]
	global_store_short v[4:5], v2, off
.LBB132_375:
	s_mov_b64 s[6:7], 0
.LBB132_376:
	s_andn2_b64 vcc, exec, s[6:7]
	s_cbranch_vccnz .LBB132_381
; %bb.377:
	s_cmp_gt_i32 s8, 0
	s_mov_b64 s[6:7], -1
	s_cbranch_scc0 .LBB132_379
; %bb.378:
	v_cvt_i32_f64_e32 v2, v[0:1]
	s_mov_b64 s[6:7], 0
	global_store_byte v[4:5], v2, off
.LBB132_379:
	s_andn2_b64 vcc, exec, s[6:7]
	s_cbranch_vccnz .LBB132_381
; %bb.380:
	v_trunc_f64_e32 v[0:1], v[0:1]
	s_movk_i32 s6, 0xffe0
	v_ldexp_f64 v[2:3], v[0:1], s6
	s_mov_b32 s6, 0
	s_mov_b32 s7, 0xc1f00000
	v_floor_f64_e32 v[2:3], v[2:3]
	v_fma_f64 v[0:1], v[2:3], s[6:7], v[0:1]
	v_cvt_u32_f64_e32 v0, v[0:1]
	global_store_byte v[4:5], v0, off
.LBB132_381:
	s_mov_b64 s[6:7], -1
.LBB132_382:
	s_andn2_b64 vcc, exec, s[6:7]
	s_cbranch_vccnz .LBB132_384
; %bb.383:
	v_add_u32_e32 v36, 0x80, v36
	s_mov_b64 s[6:7], -1
	s_branch .LBB132_385
.LBB132_384:
	s_mov_b64 s[6:7], 0
                                        ; implicit-def: $vgpr36
.LBB132_385:
	s_andn2_b64 s[8:9], s[46:47], exec
	s_and_b64 s[4:5], s[4:5], exec
	s_or_b64 s[52:53], s[8:9], s[4:5]
	s_orn2_b64 s[6:7], s[6:7], exec
.LBB132_386:
	s_or_b64 exec, exec, s[50:51]
	s_mov_b64 s[4:5], 0
	s_mov_b64 s[10:11], 0
                                        ; implicit-def: $sgpr14
                                        ; implicit-def: $vgpr4_vgpr5
                                        ; implicit-def: $vgpr0_vgpr1
	s_and_saveexec_b64 s[50:51], s[6:7]
	s_cbranch_execz .LBB132_470
; %bb.387:
	v_cmp_gt_i32_e32 vcc, s54, v36
	s_mov_b64 s[6:7], 0
	s_mov_b64 s[8:9], s[52:53]
                                        ; implicit-def: $sgpr14
                                        ; implicit-def: $vgpr4_vgpr5
                                        ; implicit-def: $vgpr0_vgpr1
	s_and_saveexec_b64 s[54:55], vcc
	s_cbranch_execz .LBB132_469
; %bb.388:
	s_getpc_b64 s[4:5]
	s_add_u32 s4, s4, _ZN2at6native6invokeIZZZNS0_18lgamma_kernel_cudaERNS_18TensorIteratorBaseEENKUlvE_clEvENKUlvE_clEvEUldE_i15function_traitsIS6_EEENT1_11result_typeERKT_PrKPcPKT0_PKN3c1010ScalarTypeEi@rel32@lo+4
	s_addc_u32 s5, s5, _ZN2at6native6invokeIZZZNS0_18lgamma_kernel_cudaERNS_18TensorIteratorBaseEENKUlvE_clEvENKUlvE_clEvEUldE_i15function_traitsIS6_EEENT1_11result_typeERKT_PrKPcPKT0_PKN3c1010ScalarTypeEi@rel32@hi+12
	v_mov_b32_e32 v0, s38
	v_mov_b32_e32 v1, s39
	;; [unrolled: 1-line block ×5, first 2 shown]
	s_swappc_b64 s[30:31], s[4:5]
	v_mul_lo_u32 v2, v36, s28
	v_mov_b32_e32 v3, s37
	s_and_b32 s14, s33, 0xff
	s_cmp_lt_i32 s14, 11
	v_ashrrev_i32_e32 v5, 31, v2
	v_add_co_u32_e32 v4, vcc, s36, v2
	v_addc_co_u32_e32 v5, vcc, v3, v5, vcc
	s_cbranch_scc1 .LBB132_395
; %bb.389:
	s_and_b32 s15, 0xffff, s14
	s_mov_b64 s[8:9], -1
	s_cmp_gt_i32 s15, 25
	s_mov_b64 s[4:5], s[52:53]
	s_cbranch_scc0 .LBB132_427
; %bb.390:
	s_mov_b64 s[6:7], -1
	s_cmp_gt_i32 s15, 28
	s_mov_b64 s[4:5], s[52:53]
	s_cbranch_scc0 .LBB132_411
; %bb.391:
	s_cmp_gt_i32 s15, 43
	s_mov_b64 s[4:5], s[52:53]
	s_cbranch_scc0 .LBB132_407
; %bb.392:
	;; [unrolled: 4-line block ×3, first 2 shown]
	s_cmp_eq_u32 s15, 46
	s_mov_b64 s[4:5], -1
	s_cbranch_scc0 .LBB132_400
; %bb.394:
	v_cvt_f32_f64_e32 v2, v[0:1]
	s_movk_i32 s4, 0x7fff
	v_mov_b32_e32 v3, 0x7fc0
	s_mov_b64 s[6:7], 0
	v_bfe_u32 v6, v2, 16, 1
	v_cmp_o_f32_e32 vcc, v2, v2
	v_add3_u32 v2, v2, v6, s4
	v_cndmask_b32_sdwa v2, v3, v2, vcc dst_sel:DWORD dst_unused:UNUSED_PAD src0_sel:DWORD src1_sel:WORD_1
	global_store_dword v[4:5], v2, off
	s_mov_b64 s[4:5], 0
	s_branch .LBB132_401
.LBB132_395:
	s_mov_b64 s[8:9], 0
	s_mov_b64 s[6:7], -1
	s_mov_b64 s[4:5], s[52:53]
	s_branch .LBB132_468
.LBB132_396:
	s_andn2_saveexec_b64 s[10:11], s[10:11]
	s_cbranch_execz .LBB132_295
.LBB132_397:
	s_mov_b32 s14, 0x46000000
	v_add_f32_e64 v3, |v2|, s14
	v_and_b32_e32 v3, 0xff, v3
	v_cmp_ne_u32_e32 vcc, 0, v3
	s_andn2_b64 s[8:9], s[8:9], exec
	s_and_b64 s[14:15], vcc, exec
	s_or_b64 s[8:9], s[8:9], s[14:15]
	s_or_b64 exec, exec, s[10:11]
	v_mov_b32_e32 v6, 0
	s_and_saveexec_b64 s[10:11], s[8:9]
	s_cbranch_execnz .LBB132_296
	s_branch .LBB132_297
.LBB132_398:
	s_andn2_saveexec_b64 s[10:11], s[10:11]
	s_cbranch_execz .LBB132_308
.LBB132_399:
	s_mov_b32 s14, 0x42800000
	v_add_f32_e64 v3, |v2|, s14
	v_and_b32_e32 v3, 0xff, v3
	v_cmp_ne_u32_e32 vcc, 0, v3
	s_andn2_b64 s[8:9], s[8:9], exec
	s_and_b64 s[14:15], vcc, exec
	s_or_b64 s[8:9], s[8:9], s[14:15]
	s_or_b64 exec, exec, s[10:11]
	v_mov_b32_e32 v6, 0
	s_and_saveexec_b64 s[10:11], s[8:9]
	s_cbranch_execnz .LBB132_309
	s_branch .LBB132_310
.LBB132_400:
	s_mov_b64 s[6:7], 0
.LBB132_401:
	s_and_b64 vcc, exec, s[6:7]
	s_cbranch_vccz .LBB132_406
; %bb.402:
	s_cmp_eq_u32 s15, 44
	s_mov_b64 s[4:5], -1
	s_cbranch_scc0 .LBB132_406
; %bb.403:
	v_cvt_f32_f64_e32 v2, v[0:1]
	s_movk_i32 s4, 0xff
	v_mov_b32_e32 v6, 0xff
	v_bfe_u32 v3, v2, 23, 8
	v_cmp_ne_u32_e32 vcc, s4, v3
	s_and_saveexec_b64 s[6:7], vcc
; %bb.404:
	s_mov_b32 s4, 0x3fffff
	v_lshrrev_b32_e32 v6, 23, v2
	v_and_b32_e32 v7, 0x400000, v2
	v_and_or_b32 v2, v2, s4, v3
	v_cmp_ne_u32_e32 vcc, 0, v7
	v_cmp_ne_u32_e64 s[4:5], 0, v2
	s_and_b64 s[4:5], vcc, s[4:5]
	v_cndmask_b32_e64 v2, 0, 1, s[4:5]
	v_add_u32_e32 v6, v6, v2
; %bb.405:
	s_or_b64 exec, exec, s[6:7]
	s_mov_b64 s[4:5], 0
	global_store_byte v[4:5], v6, off
.LBB132_406:
	s_mov_b64 s[6:7], 0
.LBB132_407:
	s_and_b64 vcc, exec, s[6:7]
	s_cbranch_vccz .LBB132_410
; %bb.408:
	s_cmp_eq_u32 s15, 29
	s_mov_b64 s[4:5], -1
	s_cbranch_scc0 .LBB132_410
; %bb.409:
	v_trunc_f64_e32 v[2:3], v[0:1]
	s_movk_i32 s4, 0xffe0
	s_mov_b64 s[6:7], 0
	v_ldexp_f64 v[6:7], v[2:3], s4
	s_mov_b32 s4, 0
	s_mov_b32 s5, 0xc1f00000
	v_floor_f64_e32 v[6:7], v[6:7]
	v_fma_f64 v[2:3], v[6:7], s[4:5], v[2:3]
	v_cvt_u32_f64_e32 v7, v[6:7]
	s_mov_b64 s[4:5], 0
	v_cvt_u32_f64_e32 v6, v[2:3]
	global_store_dwordx2 v[4:5], v[6:7], off
	s_branch .LBB132_411
.LBB132_410:
	s_mov_b64 s[6:7], 0
.LBB132_411:
	s_and_b64 vcc, exec, s[6:7]
	s_cbranch_vccz .LBB132_426
; %bb.412:
	s_cmp_lt_i32 s15, 27
	s_mov_b64 s[6:7], -1
	s_cbranch_scc1 .LBB132_418
; %bb.413:
	v_cvt_u32_f64_e32 v2, v[0:1]
	s_cmp_gt_i32 s15, 27
	s_cbranch_scc0 .LBB132_415
; %bb.414:
	s_mov_b64 s[6:7], 0
	global_store_dword v[4:5], v2, off
.LBB132_415:
	s_andn2_b64 vcc, exec, s[6:7]
	s_cbranch_vccnz .LBB132_417
; %bb.416:
	global_store_short v[4:5], v2, off
.LBB132_417:
	s_mov_b64 s[6:7], 0
.LBB132_418:
	s_andn2_b64 vcc, exec, s[6:7]
	s_cbranch_vccnz .LBB132_426
; %bb.419:
	v_cvt_f32_f64_e32 v2, v[0:1]
	s_mov_b32 s6, 0x43800000
	v_mov_b32_e32 v6, 0x80
	v_and_b32_e32 v3, 0x7fffffff, v2
	v_cmp_gt_u32_e32 vcc, s6, v3
	s_and_saveexec_b64 s[6:7], vcc
	s_cbranch_execz .LBB132_425
; %bb.420:
	s_mov_b32 s8, 0x3bffffff
	v_cmp_lt_u32_e32 vcc, s8, v3
	s_mov_b64 s[8:9], 0
                                        ; implicit-def: $vgpr3
	s_and_saveexec_b64 s[10:11], vcc
	s_xor_b64 s[10:11], exec, s[10:11]
	s_cbranch_execz .LBB132_1007
; %bb.421:
	v_bfe_u32 v3, v2, 20, 1
	s_mov_b32 s12, 0x487ffff
	v_add3_u32 v3, v2, v3, s12
	s_mov_b64 s[8:9], exec
	v_lshrrev_b32_e32 v3, 20, v3
	s_andn2_saveexec_b64 s[10:11], s[10:11]
	s_cbranch_execnz .LBB132_1008
.LBB132_422:
	s_or_b64 exec, exec, s[10:11]
	v_mov_b32_e32 v6, 0
	s_and_saveexec_b64 s[10:11], s[8:9]
.LBB132_423:
	v_lshrrev_b32_e32 v2, 24, v2
	s_movk_i32 s8, 0x80
	v_and_or_b32 v6, v2, s8, v3
.LBB132_424:
	s_or_b64 exec, exec, s[10:11]
.LBB132_425:
	s_or_b64 exec, exec, s[6:7]
	global_store_byte v[4:5], v6, off
.LBB132_426:
	s_mov_b64 s[8:9], 0
.LBB132_427:
	s_mov_b64 s[6:7], 0
	s_and_b64 vcc, exec, s[8:9]
	s_cbranch_vccz .LBB132_467
; %bb.428:
	s_cmp_gt_i32 s15, 22
	s_mov_b64 s[8:9], -1
	s_cbranch_scc0 .LBB132_460
; %bb.429:
	s_cmp_lt_i32 s15, 24
	s_cbranch_scc1 .LBB132_449
; %bb.430:
	s_cmp_gt_i32 s15, 24
	s_cbranch_scc0 .LBB132_438
; %bb.431:
	v_cvt_f32_f64_e32 v2, v[0:1]
	s_mov_b32 s8, 0x47800000
	v_mov_b32_e32 v6, 0x80
	v_and_b32_e32 v3, 0x7fffffff, v2
	v_cmp_gt_u32_e32 vcc, s8, v3
	s_and_saveexec_b64 s[8:9], vcc
	s_cbranch_execz .LBB132_437
; %bb.432:
	s_mov_b32 s10, 0x37ffffff
	v_cmp_lt_u32_e32 vcc, s10, v3
	s_mov_b64 s[10:11], 0
                                        ; implicit-def: $vgpr3
	s_and_saveexec_b64 s[12:13], vcc
	s_xor_b64 s[12:13], exec, s[12:13]
	s_cbranch_execz .LBB132_1011
; %bb.433:
	v_bfe_u32 v3, v2, 21, 1
	s_mov_b32 s16, 0x88fffff
	v_add3_u32 v3, v2, v3, s16
	s_mov_b64 s[10:11], exec
	v_lshrrev_b32_e32 v3, 21, v3
	s_andn2_saveexec_b64 s[12:13], s[12:13]
	s_cbranch_execnz .LBB132_1012
.LBB132_434:
	s_or_b64 exec, exec, s[12:13]
	v_mov_b32_e32 v6, 0
	s_and_saveexec_b64 s[12:13], s[10:11]
.LBB132_435:
	v_lshrrev_b32_e32 v2, 24, v2
	s_movk_i32 s10, 0x80
	v_and_or_b32 v6, v2, s10, v3
.LBB132_436:
	s_or_b64 exec, exec, s[12:13]
.LBB132_437:
	s_or_b64 exec, exec, s[8:9]
	s_mov_b64 s[8:9], 0
	global_store_byte v[4:5], v6, off
.LBB132_438:
	s_and_b64 vcc, exec, s[8:9]
	s_cbranch_vccz .LBB132_448
; %bb.439:
	v_cvt_f32_f64_e32 v2, v[0:1]
	s_mov_b32 s8, 0x43f00000
                                        ; implicit-def: $vgpr3
	v_and_b32_e32 v6, 0x7fffffff, v2
	v_cmp_gt_u32_e32 vcc, s8, v6
	s_and_saveexec_b64 s[8:9], vcc
	s_xor_b64 s[8:9], exec, s[8:9]
	s_cbranch_execz .LBB132_445
; %bb.440:
	s_mov_b32 s10, 0x3c7fffff
	v_cmp_lt_u32_e32 vcc, s10, v6
                                        ; implicit-def: $vgpr3
	s_and_saveexec_b64 s[10:11], vcc
	s_xor_b64 s[10:11], exec, s[10:11]
; %bb.441:
	v_bfe_u32 v3, v2, 20, 1
	s_mov_b32 s12, 0x407ffff
	v_add3_u32 v3, v2, v3, s12
	v_lshrrev_b32_e32 v6, 20, v3
	v_and_b32_e32 v3, 0xff00000, v3
	s_mov_b32 s12, 0x7f00000
	v_mov_b32_e32 v7, 0x7e
	v_cmp_ne_u32_e32 vcc, s12, v3
	v_cndmask_b32_e32 v3, v7, v6, vcc
; %bb.442:
	s_andn2_saveexec_b64 s[10:11], s[10:11]
; %bb.443:
	s_mov_b32 s12, 0x46800000
	v_add_f32_e64 v3, |v2|, s12
; %bb.444:
	s_or_b64 exec, exec, s[10:11]
                                        ; implicit-def: $vgpr6
.LBB132_445:
	s_andn2_saveexec_b64 s[8:9], s[8:9]
; %bb.446:
	s_mov_b32 s10, 0x7f800000
	v_mov_b32_e32 v3, 0x7e
	v_mov_b32_e32 v7, 0x7f
	v_cmp_lt_u32_e32 vcc, s10, v6
	v_cndmask_b32_e32 v3, v3, v7, vcc
; %bb.447:
	s_or_b64 exec, exec, s[8:9]
	v_lshrrev_b32_e32 v2, 24, v2
	s_movk_i32 s8, 0x80
	v_and_or_b32 v2, v2, s8, v3
	global_store_byte v[4:5], v2, off
.LBB132_448:
	s_mov_b64 s[8:9], 0
.LBB132_449:
	s_andn2_b64 vcc, exec, s[8:9]
	s_cbranch_vccnz .LBB132_459
; %bb.450:
	v_cvt_f32_f64_e32 v2, v[0:1]
	s_mov_b32 s8, 0x47800000
                                        ; implicit-def: $vgpr3
	v_and_b32_e32 v6, 0x7fffffff, v2
	v_cmp_gt_u32_e32 vcc, s8, v6
	s_and_saveexec_b64 s[8:9], vcc
	s_xor_b64 s[8:9], exec, s[8:9]
	s_cbranch_execz .LBB132_456
; %bb.451:
	s_mov_b32 s10, 0x387fffff
	v_cmp_lt_u32_e32 vcc, s10, v6
                                        ; implicit-def: $vgpr3
	s_and_saveexec_b64 s[10:11], vcc
	s_xor_b64 s[10:11], exec, s[10:11]
; %bb.452:
	v_bfe_u32 v3, v2, 21, 1
	s_mov_b32 s12, 0x80fffff
	v_add3_u32 v3, v2, v3, s12
	v_lshrrev_b32_e32 v3, 21, v3
; %bb.453:
	s_andn2_saveexec_b64 s[10:11], s[10:11]
; %bb.454:
	s_mov_b32 s12, 0x43000000
	v_add_f32_e64 v3, |v2|, s12
; %bb.455:
	s_or_b64 exec, exec, s[10:11]
                                        ; implicit-def: $vgpr6
.LBB132_456:
	s_andn2_saveexec_b64 s[8:9], s[8:9]
; %bb.457:
	s_mov_b32 s10, 0x7f800000
	v_mov_b32_e32 v3, 0x7c
	v_mov_b32_e32 v7, 0x7f
	v_cmp_lt_u32_e32 vcc, s10, v6
	v_cndmask_b32_e32 v3, v3, v7, vcc
; %bb.458:
	s_or_b64 exec, exec, s[8:9]
	v_lshrrev_b32_e32 v2, 24, v2
	s_movk_i32 s8, 0x80
	v_and_or_b32 v2, v2, s8, v3
	global_store_byte v[4:5], v2, off
.LBB132_459:
	s_mov_b64 s[8:9], 0
.LBB132_460:
	s_andn2_b64 vcc, exec, s[8:9]
	s_mov_b64 s[8:9], 0
	s_cbranch_vccnz .LBB132_468
; %bb.461:
	s_cmp_gt_i32 s15, 14
	s_mov_b64 s[10:11], -1
	s_cbranch_scc0 .LBB132_465
; %bb.462:
	s_cmp_eq_u32 s15, 15
	s_mov_b64 s[4:5], -1
	s_cbranch_scc0 .LBB132_464
; %bb.463:
	v_cvt_f32_f64_e32 v2, v[0:1]
	s_movk_i32 s4, 0x7fff
	v_mov_b32_e32 v3, 0x7fc0
	v_bfe_u32 v6, v2, 16, 1
	v_cmp_o_f32_e32 vcc, v2, v2
	v_add3_u32 v2, v2, v6, s4
	v_cndmask_b32_sdwa v2, v3, v2, vcc dst_sel:DWORD dst_unused:UNUSED_PAD src0_sel:DWORD src1_sel:WORD_1
	global_store_short v[4:5], v2, off
	s_mov_b64 s[4:5], 0
.LBB132_464:
	s_mov_b64 s[10:11], 0
.LBB132_465:
	s_and_b64 vcc, exec, s[10:11]
	s_cbranch_vccz .LBB132_468
; %bb.466:
	s_cmp_lg_u32 s15, 11
	s_cselect_b64 s[10:11], -1, 0
	s_andn2_b64 s[4:5], s[4:5], exec
	s_and_b64 s[10:11], s[10:11], exec
	s_mov_b64 s[8:9], -1
	s_or_b64 s[4:5], s[4:5], s[10:11]
	s_branch .LBB132_468
.LBB132_467:
	s_mov_b64 s[8:9], 0
.LBB132_468:
	s_and_b64 s[10:11], s[6:7], exec
	s_and_b64 s[6:7], s[8:9], exec
	s_andn2_b64 s[8:9], s[52:53], exec
	s_and_b64 s[4:5], s[4:5], exec
	s_or_b64 s[8:9], s[8:9], s[4:5]
.LBB132_469:
	s_or_b64 exec, exec, s[54:55]
	s_and_b64 s[4:5], s[6:7], exec
	s_andn2_b64 s[6:7], s[52:53], exec
	s_and_b64 s[8:9], s[8:9], exec
	s_and_b64 s[10:11], s[10:11], exec
	s_or_b64 s[52:53], s[6:7], s[8:9]
.LBB132_470:
	s_or_b64 exec, exec, s[50:51]
	s_and_b64 s[6:7], s[10:11], exec
	s_andn2_b64 s[8:9], s[46:47], exec
	s_and_b64 s[10:11], s[52:53], exec
	s_and_b64 s[4:5], s[4:5], exec
	s_or_b64 s[46:47], s[8:9], s[10:11]
.LBB132_471:
	s_or_b64 exec, exec, s[48:49]
	s_and_b64 s[48:49], s[4:5], exec
	s_andn2_b64 s[4:5], s[42:43], exec
	s_and_b64 s[8:9], s[46:47], exec
	s_and_b64 s[6:7], s[6:7], exec
	s_or_b64 s[42:43], s[4:5], s[8:9]
	s_or_b64 exec, exec, s[44:45]
	s_mov_b64 s[4:5], 0
	s_and_saveexec_b64 s[8:9], s[42:43]
	s_cbranch_execz .LBB132_134
.LBB132_472:
	s_mov_b64 s[4:5], exec
	s_andn2_b64 s[48:49], s[48:49], exec
	s_trap 2
	s_or_b64 exec, exec, s[8:9]
	s_and_saveexec_b64 s[8:9], s[48:49]
	s_xor_b64 s[8:9], exec, s[8:9]
	s_cbranch_execnz .LBB132_135
.LBB132_473:
	s_or_b64 exec, exec, s[8:9]
	s_and_saveexec_b64 s[8:9], s[6:7]
	s_xor_b64 s[6:7], exec, s[8:9]
	s_cbranch_execz .LBB132_511
.LBB132_474:
	s_sext_i32_i16 s10, s14
	s_cmp_lt_i32 s10, 5
	s_mov_b64 s[8:9], -1
	s_cbranch_scc1 .LBB132_495
; %bb.475:
	s_cmp_lt_i32 s10, 8
	s_cbranch_scc1 .LBB132_485
; %bb.476:
	s_cmp_lt_i32 s10, 9
	s_cbranch_scc1 .LBB132_482
; %bb.477:
	s_cmp_gt_i32 s10, 9
	s_cbranch_scc0 .LBB132_479
; %bb.478:
	v_mov_b32_e32 v2, 0
	v_mov_b32_e32 v3, v2
	s_mov_b64 s[8:9], 0
	global_store_dwordx4 v[4:5], v[0:3], off
.LBB132_479:
	s_andn2_b64 vcc, exec, s[8:9]
	s_cbranch_vccnz .LBB132_481
; %bb.480:
	v_cvt_f32_f64_e32 v2, v[0:1]
	v_mov_b32_e32 v3, 0
	global_store_dwordx2 v[4:5], v[2:3], off
.LBB132_481:
	s_mov_b64 s[8:9], 0
.LBB132_482:
	s_andn2_b64 vcc, exec, s[8:9]
	s_cbranch_vccnz .LBB132_484
; %bb.483:
	s_movk_i32 s8, 0x1ff
	v_and_or_b32 v2, v1, s8, v0
	v_cmp_ne_u32_e32 vcc, 0, v2
	v_cndmask_b32_e64 v2, 0, 1, vcc
	v_lshrrev_b32_e32 v3, 8, v1
	s_movk_i32 s8, 0xffe
	v_bfe_u32 v6, v1, 20, 11
	v_and_or_b32 v2, v3, s8, v2
	v_sub_u32_e32 v7, 0x3f1, v6
	v_or_b32_e32 v3, 0x1000, v2
	v_med3_i32 v7, v7, 0, 13
	v_lshrrev_b32_e32 v8, v7, v3
	v_lshlrev_b32_e32 v7, v7, v8
	v_cmp_ne_u32_e32 vcc, v7, v3
	v_cndmask_b32_e64 v3, 0, 1, vcc
	v_add_u32_e32 v6, 0xfffffc10, v6
	v_or_b32_e32 v3, v8, v3
	v_lshl_or_b32 v7, v6, 12, v2
	v_cmp_gt_i32_e32 vcc, 1, v6
	v_cndmask_b32_e32 v3, v7, v3, vcc
	v_and_b32_e32 v7, 7, v3
	v_cmp_lt_i32_e32 vcc, 5, v7
	v_cndmask_b32_e64 v8, 0, 1, vcc
	v_cmp_eq_u32_e32 vcc, 3, v7
	v_cndmask_b32_e64 v7, 0, 1, vcc
	v_or_b32_e32 v7, v7, v8
	v_lshrrev_b32_e32 v3, 2, v3
	v_add_u32_e32 v3, v3, v7
	v_mov_b32_e32 v7, 0x7c00
	v_cmp_gt_i32_e32 vcc, 31, v6
	v_cndmask_b32_e32 v3, v7, v3, vcc
	v_mov_b32_e32 v8, 0x7e00
	v_cmp_ne_u32_e32 vcc, 0, v2
	s_movk_i32 s8, 0x40f
	v_cndmask_b32_e32 v2, v7, v8, vcc
	v_cmp_eq_u32_e32 vcc, s8, v6
	v_cndmask_b32_e32 v2, v3, v2, vcc
	v_lshrrev_b32_e32 v3, 16, v1
	s_mov_b32 s8, 0x8000
	v_and_or_b32 v2, v3, s8, v2
	v_and_b32_e32 v2, 0xffff, v2
	global_store_dword v[4:5], v2, off
.LBB132_484:
	s_mov_b64 s[8:9], 0
.LBB132_485:
	s_andn2_b64 vcc, exec, s[8:9]
	s_cbranch_vccnz .LBB132_494
; %bb.486:
	s_sext_i32_i16 s10, s14
	s_cmp_lt_i32 s10, 6
	s_mov_b64 s[8:9], -1
	s_cbranch_scc1 .LBB132_492
; %bb.487:
	s_cmp_gt_i32 s10, 6
	s_cbranch_scc0 .LBB132_489
; %bb.488:
	s_mov_b64 s[8:9], 0
	global_store_dwordx2 v[4:5], v[0:1], off
.LBB132_489:
	s_andn2_b64 vcc, exec, s[8:9]
	s_cbranch_vccnz .LBB132_491
; %bb.490:
	v_cvt_f32_f64_e32 v2, v[0:1]
	global_store_dword v[4:5], v2, off
.LBB132_491:
	s_mov_b64 s[8:9], 0
.LBB132_492:
	s_andn2_b64 vcc, exec, s[8:9]
	s_cbranch_vccnz .LBB132_494
; %bb.493:
	s_movk_i32 s8, 0x1ff
	v_and_or_b32 v2, v1, s8, v0
	v_cmp_ne_u32_e32 vcc, 0, v2
	v_cndmask_b32_e64 v2, 0, 1, vcc
	v_lshrrev_b32_e32 v3, 8, v1
	s_movk_i32 s8, 0xffe
	v_bfe_u32 v6, v1, 20, 11
	v_and_or_b32 v2, v3, s8, v2
	v_sub_u32_e32 v7, 0x3f1, v6
	v_or_b32_e32 v3, 0x1000, v2
	v_med3_i32 v7, v7, 0, 13
	v_lshrrev_b32_e32 v8, v7, v3
	v_lshlrev_b32_e32 v7, v7, v8
	v_cmp_ne_u32_e32 vcc, v7, v3
	v_cndmask_b32_e64 v3, 0, 1, vcc
	v_add_u32_e32 v6, 0xfffffc10, v6
	v_or_b32_e32 v3, v8, v3
	v_lshl_or_b32 v7, v6, 12, v2
	v_cmp_gt_i32_e32 vcc, 1, v6
	v_cndmask_b32_e32 v3, v7, v3, vcc
	v_and_b32_e32 v7, 7, v3
	v_cmp_lt_i32_e32 vcc, 5, v7
	v_cndmask_b32_e64 v8, 0, 1, vcc
	v_cmp_eq_u32_e32 vcc, 3, v7
	v_cndmask_b32_e64 v7, 0, 1, vcc
	v_or_b32_e32 v7, v7, v8
	v_lshrrev_b32_e32 v3, 2, v3
	v_add_u32_e32 v3, v3, v7
	v_mov_b32_e32 v7, 0x7c00
	v_cmp_gt_i32_e32 vcc, 31, v6
	v_cndmask_b32_e32 v3, v7, v3, vcc
	v_mov_b32_e32 v8, 0x7e00
	v_cmp_ne_u32_e32 vcc, 0, v2
	s_movk_i32 s8, 0x40f
	v_cndmask_b32_e32 v2, v7, v8, vcc
	v_cmp_eq_u32_e32 vcc, s8, v6
	v_cndmask_b32_e32 v2, v3, v2, vcc
	v_lshrrev_b32_e32 v3, 16, v1
	s_mov_b32 s8, 0x8000
	v_and_or_b32 v2, v3, s8, v2
	global_store_short v[4:5], v2, off
.LBB132_494:
	s_mov_b64 s[8:9], 0
.LBB132_495:
	s_andn2_b64 vcc, exec, s[8:9]
	s_cbranch_vccnz .LBB132_511
; %bb.496:
	s_sext_i32_i16 s10, s14
	s_cmp_lt_i32 s10, 2
	s_mov_b64 s[8:9], -1
	s_cbranch_scc1 .LBB132_506
; %bb.497:
	s_cmp_lt_i32 s10, 3
	s_cbranch_scc1 .LBB132_503
; %bb.498:
	s_cmp_gt_i32 s10, 3
	s_cbranch_scc0 .LBB132_500
; %bb.499:
	v_trunc_f64_e32 v[2:3], v[0:1]
	s_movk_i32 s8, 0xffe0
	v_ldexp_f64 v[6:7], v[2:3], s8
	s_mov_b32 s8, 0
	s_mov_b32 s9, 0xc1f00000
	v_floor_f64_e32 v[6:7], v[6:7]
	v_fma_f64 v[2:3], v[6:7], s[8:9], v[2:3]
	v_cvt_i32_f64_e32 v7, v[6:7]
	s_mov_b64 s[8:9], 0
	v_cvt_u32_f64_e32 v6, v[2:3]
	global_store_dwordx2 v[4:5], v[6:7], off
.LBB132_500:
	s_andn2_b64 vcc, exec, s[8:9]
	s_cbranch_vccnz .LBB132_502
; %bb.501:
	v_cvt_i32_f64_e32 v2, v[0:1]
	global_store_dword v[4:5], v2, off
.LBB132_502:
	s_mov_b64 s[8:9], 0
.LBB132_503:
	s_andn2_b64 vcc, exec, s[8:9]
	s_cbranch_vccnz .LBB132_505
; %bb.504:
	v_cvt_i32_f64_e32 v2, v[0:1]
	global_store_short v[4:5], v2, off
.LBB132_505:
	s_mov_b64 s[8:9], 0
.LBB132_506:
	s_andn2_b64 vcc, exec, s[8:9]
	s_cbranch_vccnz .LBB132_511
; %bb.507:
	s_sext_i32_i16 s8, s14
	s_cmp_gt_i32 s8, 0
	s_mov_b64 s[8:9], -1
	s_cbranch_scc0 .LBB132_509
; %bb.508:
	v_cvt_i32_f64_e32 v2, v[0:1]
	s_mov_b64 s[8:9], 0
	global_store_byte v[4:5], v2, off
.LBB132_509:
	s_andn2_b64 vcc, exec, s[8:9]
	s_cbranch_vccnz .LBB132_511
; %bb.510:
	v_trunc_f64_e32 v[0:1], v[0:1]
	s_movk_i32 s8, 0xffe0
	v_ldexp_f64 v[2:3], v[0:1], s8
	s_mov_b32 s8, 0
	s_mov_b32 s9, 0xc1f00000
	v_floor_f64_e32 v[2:3], v[2:3]
	v_fma_f64 v[0:1], v[2:3], s[8:9], v[0:1]
	v_cvt_u32_f64_e32 v0, v[0:1]
	global_store_byte v[4:5], v0, off
.LBB132_511:
	s_or_b64 exec, exec, s[6:7]
	s_and_b64 s[42:43], s[4:5], exec
                                        ; implicit-def: $vgpr36
                                        ; implicit-def: $vgpr37
                                        ; implicit-def: $vgpr38
.LBB132_512:
	s_or_saveexec_b64 s[40:41], s[40:41]
	s_mov_b64 s[4:5], 0
                                        ; implicit-def: $sgpr16
                                        ; implicit-def: $vgpr4_vgpr5
                                        ; implicit-def: $vgpr0_vgpr1
	s_xor_b64 exec, exec, s[40:41]
	s_cbranch_execz .LBB132_945
; %bb.513:
	s_getpc_b64 s[34:35]
	s_add_u32 s34, s34, _ZN2at6native6invokeIZZZNS0_18lgamma_kernel_cudaERNS_18TensorIteratorBaseEENKUlvE_clEvENKUlvE_clEvEUldE_i15function_traitsIS6_EEENT1_11result_typeERKT_PrKPcPKT0_PKN3c1010ScalarTypeEi@rel32@lo+4
	s_addc_u32 s35, s35, _ZN2at6native6invokeIZZZNS0_18lgamma_kernel_cudaERNS_18TensorIteratorBaseEENKUlvE_clEvENKUlvE_clEvEUldE_i15function_traitsIS6_EEENT1_11result_typeERKT_PrKPcPKT0_PKN3c1010ScalarTypeEi@rel32@hi+12
	v_mov_b32_e32 v0, s38
	v_mov_b32_e32 v1, s39
	;; [unrolled: 1-line block ×5, first 2 shown]
	v_add_u32_e32 v30, 0x80, v36
	v_add_u32_e32 v31, 0x100, v36
	s_swappc_b64 s[30:31], s[34:35]
	v_mov_b32_e32 v34, v0
	v_mov_b32_e32 v35, v1
	v_mov_b32_e32 v0, s38
	v_mov_b32_e32 v1, s39
	v_mov_b32_e32 v2, s29
	v_mov_b32_e32 v3, v37
	v_mov_b32_e32 v4, v30
	s_swappc_b64 s[30:31], s[34:35]
	v_mov_b32_e32 v32, v0
	v_mov_b32_e32 v33, v1
	v_mov_b32_e32 v0, s38
	v_mov_b32_e32 v1, s39
	v_mov_b32_e32 v2, s29
	v_mov_b32_e32 v3, v37
	v_mov_b32_e32 v4, v31
	;; [unrolled: 8-line block ×3, first 2 shown]
	s_swappc_b64 s[30:31], s[34:35]
	v_mul_lo_u32 v4, s28, v36
	v_mov_b32_e32 v3, s37
	s_and_b32 s16, s33, 0xff
	s_cmp_lt_i32 s16, 11
	v_ashrrev_i32_e32 v5, 31, v4
	v_add_co_u32_e32 v2, vcc, s36, v4
	v_addc_co_u32_e32 v3, vcc, v3, v5, vcc
	s_cbranch_scc1 .LBB132_592
; %bb.514:
	s_and_b32 s14, 0xffff, s16
	s_mov_b64 s[6:7], -1
	s_mov_b64 s[8:9], 0
	s_cmp_gt_i32 s14, 25
	s_mov_b64 s[10:11], 0
	s_mov_b64 s[4:5], 0
	s_cbranch_scc0 .LBB132_547
; %bb.515:
	s_cmp_gt_i32 s14, 28
	s_cbranch_scc0 .LBB132_530
; %bb.516:
	s_cmp_gt_i32 s14, 43
	s_cbranch_scc0 .LBB132_526
; %bb.517:
	s_cmp_gt_i32 s14, 45
	s_cbranch_scc0 .LBB132_520
; %bb.518:
	s_mov_b64 s[4:5], -1
	s_mov_b64 s[6:7], 0
	s_cmp_eq_u32 s14, 46
	s_cbranch_scc0 .LBB132_520
; %bb.519:
	v_cvt_f32_f64_e32 v5, v[34:35]
	s_movk_i32 s4, 0x7fff
	v_mov_b32_e32 v6, 0x7fc0
	s_mov_b64 s[10:11], -1
	v_bfe_u32 v7, v5, 16, 1
	v_cmp_o_f32_e32 vcc, v5, v5
	v_add3_u32 v5, v5, v7, s4
	v_cndmask_b32_sdwa v5, v6, v5, vcc dst_sel:DWORD dst_unused:UNUSED_PAD src0_sel:DWORD src1_sel:WORD_1
	global_store_dword v[2:3], v5, off
	s_mov_b64 s[4:5], 0
.LBB132_520:
	s_and_b64 vcc, exec, s[6:7]
	s_cbranch_vccz .LBB132_525
; %bb.521:
	s_cmp_eq_u32 s14, 44
	s_mov_b64 s[4:5], -1
	s_cbranch_scc0 .LBB132_525
; %bb.522:
	v_cvt_f32_f64_e32 v5, v[34:35]
	s_movk_i32 s4, 0xff
	v_mov_b32_e32 v7, 0xff
	v_bfe_u32 v6, v5, 23, 8
	v_cmp_ne_u32_e32 vcc, s4, v6
	s_and_saveexec_b64 s[6:7], vcc
; %bb.523:
	s_mov_b32 s4, 0x3fffff
	v_lshrrev_b32_e32 v7, 23, v5
	v_and_b32_e32 v8, 0x400000, v5
	v_and_or_b32 v5, v5, s4, v6
	v_cmp_ne_u32_e32 vcc, 0, v8
	v_cmp_ne_u32_e64 s[4:5], 0, v5
	s_and_b64 s[4:5], vcc, s[4:5]
	v_cndmask_b32_e64 v5, 0, 1, s[4:5]
	v_add_u32_e32 v7, v7, v5
; %bb.524:
	s_or_b64 exec, exec, s[6:7]
	s_mov_b64 s[4:5], 0
	s_mov_b64 s[10:11], -1
	global_store_byte v[2:3], v7, off
.LBB132_525:
	s_mov_b64 s[6:7], 0
.LBB132_526:
	s_and_b64 vcc, exec, s[6:7]
	s_cbranch_vccz .LBB132_529
; %bb.527:
	s_cmp_eq_u32 s14, 29
	s_mov_b64 s[4:5], -1
	s_cbranch_scc0 .LBB132_529
; %bb.528:
	v_trunc_f64_e32 v[5:6], v[34:35]
	s_movk_i32 s4, 0xffe0
	s_mov_b64 s[10:11], -1
	v_ldexp_f64 v[7:8], v[5:6], s4
	s_mov_b32 s4, 0
	s_mov_b32 s5, 0xc1f00000
	v_floor_f64_e32 v[7:8], v[7:8]
	v_fma_f64 v[5:6], v[7:8], s[4:5], v[5:6]
	v_cvt_u32_f64_e32 v7, v[7:8]
	s_mov_b64 s[4:5], 0
	v_cvt_u32_f64_e32 v6, v[5:6]
	global_store_dwordx2 v[2:3], v[6:7], off
.LBB132_529:
	s_mov_b64 s[6:7], 0
.LBB132_530:
	s_and_b64 vcc, exec, s[6:7]
	s_cbranch_vccz .LBB132_546
; %bb.531:
	s_cmp_lt_i32 s14, 27
	s_mov_b64 s[6:7], -1
	s_cbranch_scc1 .LBB132_537
; %bb.532:
	v_cvt_u32_f64_e32 v5, v[34:35]
	s_cmp_gt_i32 s14, 27
	s_cbranch_scc0 .LBB132_534
; %bb.533:
	s_mov_b64 s[6:7], 0
	global_store_dword v[2:3], v5, off
.LBB132_534:
	s_andn2_b64 vcc, exec, s[6:7]
	s_cbranch_vccnz .LBB132_536
; %bb.535:
	global_store_short v[2:3], v5, off
.LBB132_536:
	s_mov_b64 s[6:7], 0
.LBB132_537:
	s_andn2_b64 vcc, exec, s[6:7]
	s_cbranch_vccnz .LBB132_545
; %bb.538:
	v_cvt_f32_f64_e32 v5, v[34:35]
	s_mov_b32 s6, 0x43800000
	v_mov_b32_e32 v7, 0x80
	v_and_b32_e32 v6, 0x7fffffff, v5
	v_cmp_gt_u32_e32 vcc, s6, v6
	s_and_saveexec_b64 s[6:7], vcc
	s_cbranch_execz .LBB132_544
; %bb.539:
	s_mov_b32 s10, 0x3bffffff
	v_cmp_lt_u32_e32 vcc, s10, v6
	s_mov_b64 s[10:11], 0
                                        ; implicit-def: $vgpr6
	s_and_saveexec_b64 s[12:13], vcc
	s_xor_b64 s[12:13], exec, s[12:13]
	s_cbranch_execz .LBB132_989
; %bb.540:
	v_bfe_u32 v6, v5, 20, 1
	s_mov_b32 s15, 0x487ffff
	v_add3_u32 v6, v5, v6, s15
	s_mov_b64 s[10:11], exec
	v_lshrrev_b32_e32 v6, 20, v6
	s_andn2_saveexec_b64 s[12:13], s[12:13]
	s_cbranch_execnz .LBB132_990
.LBB132_541:
	s_or_b64 exec, exec, s[12:13]
	v_mov_b32_e32 v7, 0
	s_and_saveexec_b64 s[12:13], s[10:11]
.LBB132_542:
	v_lshrrev_b32_e32 v5, 24, v5
	s_movk_i32 s10, 0x80
	v_and_or_b32 v7, v5, s10, v6
.LBB132_543:
	s_or_b64 exec, exec, s[12:13]
.LBB132_544:
	s_or_b64 exec, exec, s[6:7]
	global_store_byte v[2:3], v7, off
.LBB132_545:
	s_mov_b64 s[10:11], -1
.LBB132_546:
	s_mov_b64 s[6:7], 0
.LBB132_547:
	s_and_b64 vcc, exec, s[6:7]
	s_cbranch_vccz .LBB132_587
; %bb.548:
	s_cmp_gt_i32 s14, 22
	s_mov_b64 s[6:7], -1
	s_cbranch_scc0 .LBB132_580
; %bb.549:
	s_cmp_lt_i32 s14, 24
	s_cbranch_scc1 .LBB132_569
; %bb.550:
	s_cmp_gt_i32 s14, 24
	s_cbranch_scc0 .LBB132_558
; %bb.551:
	v_cvt_f32_f64_e32 v5, v[34:35]
	s_mov_b32 s6, 0x47800000
	v_mov_b32_e32 v7, 0x80
	v_and_b32_e32 v6, 0x7fffffff, v5
	v_cmp_gt_u32_e32 vcc, s6, v6
	s_and_saveexec_b64 s[6:7], vcc
	s_cbranch_execz .LBB132_557
; %bb.552:
	s_mov_b32 s8, 0x37ffffff
	v_cmp_lt_u32_e32 vcc, s8, v6
	s_mov_b64 s[8:9], 0
                                        ; implicit-def: $vgpr6
	s_and_saveexec_b64 s[10:11], vcc
	s_xor_b64 s[10:11], exec, s[10:11]
	s_cbranch_execz .LBB132_992
; %bb.553:
	v_bfe_u32 v6, v5, 21, 1
	s_mov_b32 s12, 0x88fffff
	v_add3_u32 v6, v5, v6, s12
	s_mov_b64 s[8:9], exec
	v_lshrrev_b32_e32 v6, 21, v6
	s_andn2_saveexec_b64 s[10:11], s[10:11]
	s_cbranch_execnz .LBB132_993
.LBB132_554:
	s_or_b64 exec, exec, s[10:11]
	v_mov_b32_e32 v7, 0
	s_and_saveexec_b64 s[10:11], s[8:9]
.LBB132_555:
	v_lshrrev_b32_e32 v5, 24, v5
	s_movk_i32 s8, 0x80
	v_and_or_b32 v7, v5, s8, v6
.LBB132_556:
	s_or_b64 exec, exec, s[10:11]
.LBB132_557:
	s_or_b64 exec, exec, s[6:7]
	s_mov_b64 s[6:7], 0
	global_store_byte v[2:3], v7, off
.LBB132_558:
	s_and_b64 vcc, exec, s[6:7]
	s_cbranch_vccz .LBB132_568
; %bb.559:
	v_cvt_f32_f64_e32 v5, v[34:35]
	s_mov_b32 s6, 0x43f00000
                                        ; implicit-def: $vgpr6
	v_and_b32_e32 v7, 0x7fffffff, v5
	v_cmp_gt_u32_e32 vcc, s6, v7
	s_and_saveexec_b64 s[6:7], vcc
	s_xor_b64 s[6:7], exec, s[6:7]
	s_cbranch_execz .LBB132_565
; %bb.560:
	s_mov_b32 s8, 0x3c7fffff
	v_cmp_lt_u32_e32 vcc, s8, v7
                                        ; implicit-def: $vgpr6
	s_and_saveexec_b64 s[8:9], vcc
	s_xor_b64 s[8:9], exec, s[8:9]
; %bb.561:
	v_bfe_u32 v6, v5, 20, 1
	s_mov_b32 s10, 0x407ffff
	v_add3_u32 v6, v5, v6, s10
	v_lshrrev_b32_e32 v7, 20, v6
	v_and_b32_e32 v6, 0xff00000, v6
	s_mov_b32 s10, 0x7f00000
	v_mov_b32_e32 v8, 0x7e
	v_cmp_ne_u32_e32 vcc, s10, v6
	v_cndmask_b32_e32 v6, v8, v7, vcc
; %bb.562:
	s_andn2_saveexec_b64 s[8:9], s[8:9]
; %bb.563:
	s_mov_b32 s10, 0x46800000
	v_add_f32_e64 v6, |v5|, s10
; %bb.564:
	s_or_b64 exec, exec, s[8:9]
                                        ; implicit-def: $vgpr7
.LBB132_565:
	s_andn2_saveexec_b64 s[6:7], s[6:7]
; %bb.566:
	s_mov_b32 s8, 0x7f800000
	v_mov_b32_e32 v6, 0x7e
	v_mov_b32_e32 v8, 0x7f
	v_cmp_lt_u32_e32 vcc, s8, v7
	v_cndmask_b32_e32 v6, v6, v8, vcc
; %bb.567:
	s_or_b64 exec, exec, s[6:7]
	v_lshrrev_b32_e32 v5, 24, v5
	s_movk_i32 s6, 0x80
	v_and_or_b32 v5, v5, s6, v6
	global_store_byte v[2:3], v5, off
.LBB132_568:
	s_mov_b64 s[6:7], 0
.LBB132_569:
	s_andn2_b64 vcc, exec, s[6:7]
	s_cbranch_vccnz .LBB132_579
; %bb.570:
	v_cvt_f32_f64_e32 v5, v[34:35]
	s_mov_b32 s6, 0x47800000
                                        ; implicit-def: $vgpr6
	v_and_b32_e32 v7, 0x7fffffff, v5
	v_cmp_gt_u32_e32 vcc, s6, v7
	s_and_saveexec_b64 s[6:7], vcc
	s_xor_b64 s[6:7], exec, s[6:7]
	s_cbranch_execz .LBB132_576
; %bb.571:
	s_mov_b32 s8, 0x387fffff
	v_cmp_lt_u32_e32 vcc, s8, v7
                                        ; implicit-def: $vgpr6
	s_and_saveexec_b64 s[8:9], vcc
	s_xor_b64 s[8:9], exec, s[8:9]
; %bb.572:
	v_bfe_u32 v6, v5, 21, 1
	s_mov_b32 s10, 0x80fffff
	v_add3_u32 v6, v5, v6, s10
	v_lshrrev_b32_e32 v6, 21, v6
; %bb.573:
	s_andn2_saveexec_b64 s[8:9], s[8:9]
; %bb.574:
	s_mov_b32 s10, 0x43000000
	v_add_f32_e64 v6, |v5|, s10
; %bb.575:
	s_or_b64 exec, exec, s[8:9]
                                        ; implicit-def: $vgpr7
.LBB132_576:
	s_andn2_saveexec_b64 s[6:7], s[6:7]
; %bb.577:
	s_mov_b32 s8, 0x7f800000
	v_mov_b32_e32 v6, 0x7c
	v_mov_b32_e32 v8, 0x7f
	v_cmp_lt_u32_e32 vcc, s8, v7
	v_cndmask_b32_e32 v6, v6, v8, vcc
; %bb.578:
	s_or_b64 exec, exec, s[6:7]
	v_lshrrev_b32_e32 v5, 24, v5
	s_movk_i32 s6, 0x80
	v_and_or_b32 v5, v5, s6, v6
	global_store_byte v[2:3], v5, off
.LBB132_579:
	s_mov_b64 s[6:7], 0
	s_mov_b64 s[10:11], -1
.LBB132_580:
	s_andn2_b64 vcc, exec, s[6:7]
	s_mov_b64 s[8:9], 0
	s_cbranch_vccnz .LBB132_587
; %bb.581:
	s_cmp_gt_i32 s14, 14
	s_mov_b64 s[6:7], -1
	s_cbranch_scc0 .LBB132_585
; %bb.582:
	s_cmp_eq_u32 s14, 15
	s_mov_b64 s[4:5], -1
	s_cbranch_scc0 .LBB132_584
; %bb.583:
	v_cvt_f32_f64_e32 v5, v[34:35]
	s_movk_i32 s4, 0x7fff
	v_mov_b32_e32 v6, 0x7fc0
	s_mov_b64 s[10:11], -1
	v_bfe_u32 v7, v5, 16, 1
	v_cmp_o_f32_e32 vcc, v5, v5
	v_add3_u32 v5, v5, v7, s4
	v_cndmask_b32_sdwa v5, v6, v5, vcc dst_sel:DWORD dst_unused:UNUSED_PAD src0_sel:DWORD src1_sel:WORD_1
	global_store_short v[2:3], v5, off
	s_mov_b64 s[4:5], 0
.LBB132_584:
	s_mov_b64 s[6:7], 0
.LBB132_585:
	s_and_b64 vcc, exec, s[6:7]
	s_cbranch_vccz .LBB132_587
; %bb.586:
	s_cmp_lg_u32 s14, 11
	s_mov_b64 s[8:9], -1
	s_cselect_b64 s[4:5], -1, 0
.LBB132_587:
	s_and_b64 vcc, exec, s[4:5]
	s_mov_b64 s[6:7], s[42:43]
	s_cbranch_vccnz .LBB132_991
; %bb.588:
	s_andn2_b64 vcc, exec, s[8:9]
	s_cbranch_vccnz .LBB132_590
.LBB132_589:
	v_cmp_neq_f64_e32 vcc, 0, v[34:35]
	s_mov_b64 s[10:11], -1
	v_cndmask_b32_e64 v5, 0, 1, vcc
	global_store_byte v[2:3], v5, off
.LBB132_590:
.LBB132_591:
	s_andn2_b64 vcc, exec, s[10:11]
	s_cbranch_vccz .LBB132_631
	s_branch .LBB132_943
.LBB132_592:
	s_mov_b64 s[10:11], 0
	s_mov_b64 s[6:7], s[42:43]
	s_cbranch_execz .LBB132_591
; %bb.593:
	s_and_b32 s8, 0xffff, s16
	s_cmp_lt_i32 s8, 5
	s_mov_b64 s[4:5], -1
	s_cbranch_scc1 .LBB132_614
; %bb.594:
	s_cmp_lt_i32 s8, 8
	s_cbranch_scc1 .LBB132_604
; %bb.595:
	s_cmp_lt_i32 s8, 9
	s_cbranch_scc1 .LBB132_601
; %bb.596:
	s_cmp_gt_i32 s8, 9
	s_cbranch_scc0 .LBB132_598
; %bb.597:
	v_mov_b32_e32 v36, 0
	v_mov_b32_e32 v37, v36
	global_store_dwordx4 v[2:3], v[34:37], off
	s_mov_b64 s[4:5], 0
.LBB132_598:
	s_andn2_b64 vcc, exec, s[4:5]
	s_cbranch_vccnz .LBB132_600
; %bb.599:
	v_cvt_f32_f64_e32 v5, v[34:35]
	v_mov_b32_e32 v6, 0
	global_store_dwordx2 v[2:3], v[5:6], off
.LBB132_600:
	s_mov_b64 s[4:5], 0
.LBB132_601:
	s_andn2_b64 vcc, exec, s[4:5]
	s_cbranch_vccnz .LBB132_603
; %bb.602:
	s_movk_i32 s4, 0x1ff
	v_and_or_b32 v5, v35, s4, v34
	v_cmp_ne_u32_e32 vcc, 0, v5
	v_cndmask_b32_e64 v5, 0, 1, vcc
	v_lshrrev_b32_e32 v6, 8, v35
	s_movk_i32 s4, 0xffe
	v_bfe_u32 v7, v35, 20, 11
	v_and_or_b32 v5, v6, s4, v5
	v_sub_u32_e32 v8, 0x3f1, v7
	v_or_b32_e32 v6, 0x1000, v5
	v_med3_i32 v8, v8, 0, 13
	v_lshrrev_b32_e32 v9, v8, v6
	v_lshlrev_b32_e32 v8, v8, v9
	v_cmp_ne_u32_e32 vcc, v8, v6
	v_cndmask_b32_e64 v6, 0, 1, vcc
	v_add_u32_e32 v7, 0xfffffc10, v7
	v_or_b32_e32 v6, v9, v6
	v_lshl_or_b32 v8, v7, 12, v5
	v_cmp_gt_i32_e32 vcc, 1, v7
	v_cndmask_b32_e32 v6, v8, v6, vcc
	v_and_b32_e32 v8, 7, v6
	v_cmp_lt_i32_e32 vcc, 5, v8
	v_cndmask_b32_e64 v9, 0, 1, vcc
	v_cmp_eq_u32_e32 vcc, 3, v8
	v_cndmask_b32_e64 v8, 0, 1, vcc
	v_or_b32_e32 v8, v8, v9
	v_lshrrev_b32_e32 v6, 2, v6
	v_add_u32_e32 v6, v6, v8
	v_mov_b32_e32 v8, 0x7c00
	v_cmp_gt_i32_e32 vcc, 31, v7
	v_cndmask_b32_e32 v6, v8, v6, vcc
	v_mov_b32_e32 v9, 0x7e00
	v_cmp_ne_u32_e32 vcc, 0, v5
	s_movk_i32 s4, 0x40f
	v_cndmask_b32_e32 v5, v8, v9, vcc
	v_cmp_eq_u32_e32 vcc, s4, v7
	v_cndmask_b32_e32 v5, v6, v5, vcc
	v_lshrrev_b32_e32 v6, 16, v35
	s_mov_b32 s4, 0x8000
	v_and_or_b32 v5, v6, s4, v5
	v_and_b32_e32 v5, 0xffff, v5
	global_store_dword v[2:3], v5, off
.LBB132_603:
	s_mov_b64 s[4:5], 0
.LBB132_604:
	s_andn2_b64 vcc, exec, s[4:5]
	s_cbranch_vccnz .LBB132_613
; %bb.605:
	s_cmp_lt_i32 s8, 6
	s_mov_b64 s[4:5], -1
	s_cbranch_scc1 .LBB132_611
; %bb.606:
	s_cmp_gt_i32 s8, 6
	s_cbranch_scc0 .LBB132_608
; %bb.607:
	global_store_dwordx2 v[2:3], v[34:35], off
	s_mov_b64 s[4:5], 0
.LBB132_608:
	s_andn2_b64 vcc, exec, s[4:5]
	s_cbranch_vccnz .LBB132_610
; %bb.609:
	v_cvt_f32_f64_e32 v5, v[34:35]
	global_store_dword v[2:3], v5, off
.LBB132_610:
	s_mov_b64 s[4:5], 0
.LBB132_611:
	s_andn2_b64 vcc, exec, s[4:5]
	s_cbranch_vccnz .LBB132_613
; %bb.612:
	s_movk_i32 s4, 0x1ff
	v_and_or_b32 v5, v35, s4, v34
	v_cmp_ne_u32_e32 vcc, 0, v5
	v_cndmask_b32_e64 v5, 0, 1, vcc
	v_lshrrev_b32_e32 v6, 8, v35
	s_movk_i32 s4, 0xffe
	v_bfe_u32 v7, v35, 20, 11
	v_and_or_b32 v5, v6, s4, v5
	v_sub_u32_e32 v8, 0x3f1, v7
	v_or_b32_e32 v6, 0x1000, v5
	v_med3_i32 v8, v8, 0, 13
	v_lshrrev_b32_e32 v9, v8, v6
	v_lshlrev_b32_e32 v8, v8, v9
	v_cmp_ne_u32_e32 vcc, v8, v6
	v_cndmask_b32_e64 v6, 0, 1, vcc
	v_add_u32_e32 v7, 0xfffffc10, v7
	v_or_b32_e32 v6, v9, v6
	v_lshl_or_b32 v8, v7, 12, v5
	v_cmp_gt_i32_e32 vcc, 1, v7
	v_cndmask_b32_e32 v6, v8, v6, vcc
	v_and_b32_e32 v8, 7, v6
	v_cmp_lt_i32_e32 vcc, 5, v8
	v_cndmask_b32_e64 v9, 0, 1, vcc
	v_cmp_eq_u32_e32 vcc, 3, v8
	v_cndmask_b32_e64 v8, 0, 1, vcc
	v_or_b32_e32 v8, v8, v9
	v_lshrrev_b32_e32 v6, 2, v6
	v_add_u32_e32 v6, v6, v8
	v_mov_b32_e32 v8, 0x7c00
	v_cmp_gt_i32_e32 vcc, 31, v7
	v_cndmask_b32_e32 v6, v8, v6, vcc
	v_mov_b32_e32 v9, 0x7e00
	v_cmp_ne_u32_e32 vcc, 0, v5
	s_movk_i32 s4, 0x40f
	v_cndmask_b32_e32 v5, v8, v9, vcc
	v_cmp_eq_u32_e32 vcc, s4, v7
	v_cndmask_b32_e32 v5, v6, v5, vcc
	v_lshrrev_b32_e32 v6, 16, v35
	s_mov_b32 s4, 0x8000
	v_and_or_b32 v5, v6, s4, v5
	global_store_short v[2:3], v5, off
.LBB132_613:
	s_mov_b64 s[4:5], 0
.LBB132_614:
	s_andn2_b64 vcc, exec, s[4:5]
	s_cbranch_vccnz .LBB132_630
; %bb.615:
	s_cmp_lt_i32 s8, 2
	s_mov_b64 s[4:5], -1
	s_cbranch_scc1 .LBB132_625
; %bb.616:
	s_cmp_lt_i32 s8, 3
	s_cbranch_scc1 .LBB132_622
; %bb.617:
	s_cmp_gt_i32 s8, 3
	s_cbranch_scc0 .LBB132_619
; %bb.618:
	v_trunc_f64_e32 v[5:6], v[34:35]
	s_movk_i32 s4, 0xffe0
	v_ldexp_f64 v[7:8], v[5:6], s4
	s_mov_b32 s4, 0
	s_mov_b32 s5, 0xc1f00000
	v_floor_f64_e32 v[7:8], v[7:8]
	v_fma_f64 v[5:6], v[7:8], s[4:5], v[5:6]
	v_cvt_i32_f64_e32 v7, v[7:8]
	s_mov_b64 s[4:5], 0
	v_cvt_u32_f64_e32 v6, v[5:6]
	global_store_dwordx2 v[2:3], v[6:7], off
.LBB132_619:
	s_andn2_b64 vcc, exec, s[4:5]
	s_cbranch_vccnz .LBB132_621
; %bb.620:
	v_cvt_i32_f64_e32 v5, v[34:35]
	global_store_dword v[2:3], v5, off
.LBB132_621:
	s_mov_b64 s[4:5], 0
.LBB132_622:
	s_andn2_b64 vcc, exec, s[4:5]
	s_cbranch_vccnz .LBB132_624
; %bb.623:
	v_cvt_i32_f64_e32 v5, v[34:35]
	global_store_short v[2:3], v5, off
.LBB132_624:
	s_mov_b64 s[4:5], 0
.LBB132_625:
	s_andn2_b64 vcc, exec, s[4:5]
	s_cbranch_vccnz .LBB132_630
; %bb.626:
	s_cmp_gt_i32 s8, 0
	s_mov_b64 s[4:5], -1
	s_cbranch_scc0 .LBB132_628
; %bb.627:
	v_cvt_i32_f64_e32 v5, v[34:35]
	s_mov_b64 s[4:5], 0
	global_store_byte v[2:3], v5, off
.LBB132_628:
	s_andn2_b64 vcc, exec, s[4:5]
	s_cbranch_vccnz .LBB132_630
; %bb.629:
	v_trunc_f64_e32 v[5:6], v[34:35]
	s_movk_i32 s4, 0xffe0
	v_ldexp_f64 v[7:8], v[5:6], s4
	s_mov_b32 s4, 0
	s_mov_b32 s5, 0xc1f00000
	v_floor_f64_e32 v[7:8], v[7:8]
	v_fma_f64 v[5:6], v[7:8], s[4:5], v[5:6]
	v_cvt_u32_f64_e32 v5, v[5:6]
	global_store_byte v[2:3], v5, off
.LBB132_630:
.LBB132_631:
	s_lshl_b32 s17, s28, 7
	v_add_u32_e32 v4, s17, v4
	v_ashrrev_i32_e32 v3, 31, v4
	v_mov_b32_e32 v5, s37
	v_add_co_u32_e32 v2, vcc, s36, v4
	s_cmp_lt_i32 s16, 11
	v_addc_co_u32_e32 v3, vcc, v5, v3, vcc
	s_cbranch_scc1 .LBB132_710
; %bb.632:
	s_and_b32 s18, 0xffff, s16
	s_mov_b64 s[12:13], -1
	s_mov_b64 s[8:9], 0
	s_cmp_gt_i32 s18, 25
	s_mov_b64 s[10:11], 0
	s_mov_b64 s[4:5], 0
	s_cbranch_scc0 .LBB132_665
; %bb.633:
	s_cmp_gt_i32 s18, 28
	s_cbranch_scc0 .LBB132_648
; %bb.634:
	s_cmp_gt_i32 s18, 43
	;; [unrolled: 3-line block ×3, first 2 shown]
	s_cbranch_scc0 .LBB132_638
; %bb.636:
	s_mov_b64 s[4:5], -1
	s_mov_b64 s[12:13], 0
	s_cmp_eq_u32 s18, 46
	s_cbranch_scc0 .LBB132_638
; %bb.637:
	v_cvt_f32_f64_e32 v5, v[32:33]
	s_movk_i32 s4, 0x7fff
	v_mov_b32_e32 v6, 0x7fc0
	s_mov_b64 s[10:11], -1
	v_bfe_u32 v7, v5, 16, 1
	v_cmp_o_f32_e32 vcc, v5, v5
	v_add3_u32 v5, v5, v7, s4
	v_cndmask_b32_sdwa v5, v6, v5, vcc dst_sel:DWORD dst_unused:UNUSED_PAD src0_sel:DWORD src1_sel:WORD_1
	global_store_dword v[2:3], v5, off
	s_mov_b64 s[4:5], 0
.LBB132_638:
	s_and_b64 vcc, exec, s[12:13]
	s_cbranch_vccz .LBB132_643
; %bb.639:
	s_cmp_eq_u32 s18, 44
	s_mov_b64 s[4:5], -1
	s_cbranch_scc0 .LBB132_643
; %bb.640:
	v_cvt_f32_f64_e32 v5, v[32:33]
	s_movk_i32 s4, 0xff
	v_mov_b32_e32 v7, 0xff
	v_bfe_u32 v6, v5, 23, 8
	v_cmp_ne_u32_e32 vcc, s4, v6
	s_and_saveexec_b64 s[10:11], vcc
; %bb.641:
	s_mov_b32 s4, 0x3fffff
	v_lshrrev_b32_e32 v7, 23, v5
	v_and_b32_e32 v8, 0x400000, v5
	v_and_or_b32 v5, v5, s4, v6
	v_cmp_ne_u32_e32 vcc, 0, v8
	v_cmp_ne_u32_e64 s[4:5], 0, v5
	s_and_b64 s[4:5], vcc, s[4:5]
	v_cndmask_b32_e64 v5, 0, 1, s[4:5]
	v_add_u32_e32 v7, v7, v5
; %bb.642:
	s_or_b64 exec, exec, s[10:11]
	s_mov_b64 s[4:5], 0
	s_mov_b64 s[10:11], -1
	global_store_byte v[2:3], v7, off
.LBB132_643:
	s_mov_b64 s[12:13], 0
.LBB132_644:
	s_and_b64 vcc, exec, s[12:13]
	s_cbranch_vccz .LBB132_647
; %bb.645:
	s_cmp_eq_u32 s18, 29
	s_mov_b64 s[4:5], -1
	s_cbranch_scc0 .LBB132_647
; %bb.646:
	v_trunc_f64_e32 v[5:6], v[32:33]
	s_movk_i32 s4, 0xffe0
	s_mov_b64 s[10:11], -1
	v_ldexp_f64 v[7:8], v[5:6], s4
	s_mov_b32 s4, 0
	s_mov_b32 s5, 0xc1f00000
	v_floor_f64_e32 v[7:8], v[7:8]
	v_fma_f64 v[5:6], v[7:8], s[4:5], v[5:6]
	v_cvt_u32_f64_e32 v7, v[7:8]
	s_mov_b64 s[4:5], 0
	v_cvt_u32_f64_e32 v6, v[5:6]
	global_store_dwordx2 v[2:3], v[6:7], off
.LBB132_647:
	s_mov_b64 s[12:13], 0
.LBB132_648:
	s_and_b64 vcc, exec, s[12:13]
	s_cbranch_vccz .LBB132_664
; %bb.649:
	s_cmp_lt_i32 s18, 27
	s_mov_b64 s[10:11], -1
	s_cbranch_scc1 .LBB132_655
; %bb.650:
	v_cvt_u32_f64_e32 v5, v[32:33]
	s_cmp_gt_i32 s18, 27
	s_cbranch_scc0 .LBB132_652
; %bb.651:
	s_mov_b64 s[10:11], 0
	global_store_dword v[2:3], v5, off
.LBB132_652:
	s_andn2_b64 vcc, exec, s[10:11]
	s_cbranch_vccnz .LBB132_654
; %bb.653:
	global_store_short v[2:3], v5, off
.LBB132_654:
	s_mov_b64 s[10:11], 0
.LBB132_655:
	s_andn2_b64 vcc, exec, s[10:11]
	s_cbranch_vccnz .LBB132_663
; %bb.656:
	v_cvt_f32_f64_e32 v5, v[32:33]
	s_mov_b32 s10, 0x43800000
	v_mov_b32_e32 v7, 0x80
	v_and_b32_e32 v6, 0x7fffffff, v5
	v_cmp_gt_u32_e32 vcc, s10, v6
	s_and_saveexec_b64 s[10:11], vcc
	s_cbranch_execz .LBB132_662
; %bb.657:
	s_mov_b32 s12, 0x3bffffff
	v_cmp_lt_u32_e32 vcc, s12, v6
	s_mov_b64 s[12:13], 0
                                        ; implicit-def: $vgpr6
	s_and_saveexec_b64 s[14:15], vcc
	s_xor_b64 s[14:15], exec, s[14:15]
	s_cbranch_execz .LBB132_994
; %bb.658:
	v_bfe_u32 v6, v5, 20, 1
	s_mov_b32 s19, 0x487ffff
	v_add3_u32 v6, v5, v6, s19
	s_mov_b64 s[12:13], exec
	v_lshrrev_b32_e32 v6, 20, v6
	s_andn2_saveexec_b64 s[14:15], s[14:15]
	s_cbranch_execnz .LBB132_995
.LBB132_659:
	s_or_b64 exec, exec, s[14:15]
	v_mov_b32_e32 v7, 0
	s_and_saveexec_b64 s[14:15], s[12:13]
.LBB132_660:
	v_lshrrev_b32_e32 v5, 24, v5
	s_movk_i32 s12, 0x80
	v_and_or_b32 v7, v5, s12, v6
.LBB132_661:
	s_or_b64 exec, exec, s[14:15]
.LBB132_662:
	s_or_b64 exec, exec, s[10:11]
	global_store_byte v[2:3], v7, off
.LBB132_663:
	s_mov_b64 s[10:11], -1
.LBB132_664:
	s_mov_b64 s[12:13], 0
.LBB132_665:
	s_and_b64 vcc, exec, s[12:13]
	s_cbranch_vccz .LBB132_705
; %bb.666:
	s_cmp_gt_i32 s18, 22
	s_mov_b64 s[8:9], -1
	s_cbranch_scc0 .LBB132_698
; %bb.667:
	s_cmp_lt_i32 s18, 24
	s_cbranch_scc1 .LBB132_687
; %bb.668:
	s_cmp_gt_i32 s18, 24
	s_cbranch_scc0 .LBB132_676
; %bb.669:
	v_cvt_f32_f64_e32 v5, v[32:33]
	s_mov_b32 s8, 0x47800000
	v_mov_b32_e32 v7, 0x80
	v_and_b32_e32 v6, 0x7fffffff, v5
	v_cmp_gt_u32_e32 vcc, s8, v6
	s_and_saveexec_b64 s[8:9], vcc
	s_cbranch_execz .LBB132_675
; %bb.670:
	s_mov_b32 s10, 0x37ffffff
	v_cmp_lt_u32_e32 vcc, s10, v6
	s_mov_b64 s[10:11], 0
                                        ; implicit-def: $vgpr6
	s_and_saveexec_b64 s[12:13], vcc
	s_xor_b64 s[12:13], exec, s[12:13]
	s_cbranch_execz .LBB132_997
; %bb.671:
	v_bfe_u32 v6, v5, 21, 1
	s_mov_b32 s14, 0x88fffff
	v_add3_u32 v6, v5, v6, s14
	s_mov_b64 s[10:11], exec
	v_lshrrev_b32_e32 v6, 21, v6
	s_andn2_saveexec_b64 s[12:13], s[12:13]
	s_cbranch_execnz .LBB132_998
.LBB132_672:
	s_or_b64 exec, exec, s[12:13]
	v_mov_b32_e32 v7, 0
	s_and_saveexec_b64 s[12:13], s[10:11]
.LBB132_673:
	v_lshrrev_b32_e32 v5, 24, v5
	s_movk_i32 s10, 0x80
	v_and_or_b32 v7, v5, s10, v6
.LBB132_674:
	s_or_b64 exec, exec, s[12:13]
.LBB132_675:
	s_or_b64 exec, exec, s[8:9]
	s_mov_b64 s[8:9], 0
	global_store_byte v[2:3], v7, off
.LBB132_676:
	s_and_b64 vcc, exec, s[8:9]
	s_cbranch_vccz .LBB132_686
; %bb.677:
	v_cvt_f32_f64_e32 v5, v[32:33]
	s_mov_b32 s8, 0x43f00000
                                        ; implicit-def: $vgpr6
	v_and_b32_e32 v7, 0x7fffffff, v5
	v_cmp_gt_u32_e32 vcc, s8, v7
	s_and_saveexec_b64 s[8:9], vcc
	s_xor_b64 s[8:9], exec, s[8:9]
	s_cbranch_execz .LBB132_683
; %bb.678:
	s_mov_b32 s10, 0x3c7fffff
	v_cmp_lt_u32_e32 vcc, s10, v7
                                        ; implicit-def: $vgpr6
	s_and_saveexec_b64 s[10:11], vcc
	s_xor_b64 s[10:11], exec, s[10:11]
; %bb.679:
	v_bfe_u32 v6, v5, 20, 1
	s_mov_b32 s12, 0x407ffff
	v_add3_u32 v6, v5, v6, s12
	v_lshrrev_b32_e32 v7, 20, v6
	v_and_b32_e32 v6, 0xff00000, v6
	s_mov_b32 s12, 0x7f00000
	v_mov_b32_e32 v8, 0x7e
	v_cmp_ne_u32_e32 vcc, s12, v6
	v_cndmask_b32_e32 v6, v8, v7, vcc
; %bb.680:
	s_andn2_saveexec_b64 s[10:11], s[10:11]
; %bb.681:
	s_mov_b32 s12, 0x46800000
	v_add_f32_e64 v6, |v5|, s12
; %bb.682:
	s_or_b64 exec, exec, s[10:11]
                                        ; implicit-def: $vgpr7
.LBB132_683:
	s_andn2_saveexec_b64 s[8:9], s[8:9]
; %bb.684:
	s_mov_b32 s10, 0x7f800000
	v_mov_b32_e32 v6, 0x7e
	v_mov_b32_e32 v8, 0x7f
	v_cmp_lt_u32_e32 vcc, s10, v7
	v_cndmask_b32_e32 v6, v6, v8, vcc
; %bb.685:
	s_or_b64 exec, exec, s[8:9]
	v_lshrrev_b32_e32 v5, 24, v5
	s_movk_i32 s8, 0x80
	v_and_or_b32 v5, v5, s8, v6
	global_store_byte v[2:3], v5, off
.LBB132_686:
	s_mov_b64 s[8:9], 0
.LBB132_687:
	s_andn2_b64 vcc, exec, s[8:9]
	s_cbranch_vccnz .LBB132_697
; %bb.688:
	v_cvt_f32_f64_e32 v5, v[32:33]
	s_mov_b32 s8, 0x47800000
                                        ; implicit-def: $vgpr6
	v_and_b32_e32 v7, 0x7fffffff, v5
	v_cmp_gt_u32_e32 vcc, s8, v7
	s_and_saveexec_b64 s[8:9], vcc
	s_xor_b64 s[8:9], exec, s[8:9]
	s_cbranch_execz .LBB132_694
; %bb.689:
	s_mov_b32 s10, 0x387fffff
	v_cmp_lt_u32_e32 vcc, s10, v7
                                        ; implicit-def: $vgpr6
	s_and_saveexec_b64 s[10:11], vcc
	s_xor_b64 s[10:11], exec, s[10:11]
; %bb.690:
	v_bfe_u32 v6, v5, 21, 1
	s_mov_b32 s12, 0x80fffff
	v_add3_u32 v6, v5, v6, s12
	v_lshrrev_b32_e32 v6, 21, v6
; %bb.691:
	s_andn2_saveexec_b64 s[10:11], s[10:11]
; %bb.692:
	s_mov_b32 s12, 0x43000000
	v_add_f32_e64 v6, |v5|, s12
; %bb.693:
	s_or_b64 exec, exec, s[10:11]
                                        ; implicit-def: $vgpr7
.LBB132_694:
	s_andn2_saveexec_b64 s[8:9], s[8:9]
; %bb.695:
	s_mov_b32 s10, 0x7f800000
	v_mov_b32_e32 v6, 0x7c
	v_mov_b32_e32 v8, 0x7f
	v_cmp_lt_u32_e32 vcc, s10, v7
	v_cndmask_b32_e32 v6, v6, v8, vcc
; %bb.696:
	s_or_b64 exec, exec, s[8:9]
	v_lshrrev_b32_e32 v5, 24, v5
	s_movk_i32 s8, 0x80
	v_and_or_b32 v5, v5, s8, v6
	global_store_byte v[2:3], v5, off
.LBB132_697:
	s_mov_b64 s[8:9], 0
	s_mov_b64 s[10:11], -1
.LBB132_698:
	s_andn2_b64 vcc, exec, s[8:9]
	s_mov_b64 s[8:9], 0
	s_cbranch_vccnz .LBB132_705
; %bb.699:
	s_cmp_gt_i32 s18, 14
	s_mov_b64 s[12:13], -1
	s_cbranch_scc0 .LBB132_703
; %bb.700:
	s_cmp_eq_u32 s18, 15
	s_mov_b64 s[4:5], -1
	s_cbranch_scc0 .LBB132_702
; %bb.701:
	v_cvt_f32_f64_e32 v5, v[32:33]
	s_movk_i32 s4, 0x7fff
	v_mov_b32_e32 v6, 0x7fc0
	s_mov_b64 s[10:11], -1
	v_bfe_u32 v7, v5, 16, 1
	v_cmp_o_f32_e32 vcc, v5, v5
	v_add3_u32 v5, v5, v7, s4
	v_cndmask_b32_sdwa v5, v6, v5, vcc dst_sel:DWORD dst_unused:UNUSED_PAD src0_sel:DWORD src1_sel:WORD_1
	global_store_short v[2:3], v5, off
	s_mov_b64 s[4:5], 0
.LBB132_702:
	s_mov_b64 s[12:13], 0
.LBB132_703:
	s_and_b64 vcc, exec, s[12:13]
	s_cbranch_vccz .LBB132_705
; %bb.704:
	s_cmp_lg_u32 s18, 11
	s_mov_b64 s[8:9], -1
	s_cselect_b64 s[4:5], -1, 0
.LBB132_705:
	s_and_b64 vcc, exec, s[4:5]
	s_cbranch_vccnz .LBB132_996
; %bb.706:
	s_andn2_b64 vcc, exec, s[8:9]
	s_cbranch_vccnz .LBB132_708
.LBB132_707:
	v_cmp_neq_f64_e32 vcc, 0, v[32:33]
	s_mov_b64 s[10:11], -1
	v_cndmask_b32_e64 v5, 0, 1, vcc
	global_store_byte v[2:3], v5, off
.LBB132_708:
.LBB132_709:
	s_andn2_b64 vcc, exec, s[10:11]
	s_cbranch_vccz .LBB132_749
	s_branch .LBB132_943
.LBB132_710:
	s_mov_b64 s[10:11], 0
	s_cbranch_execz .LBB132_709
; %bb.711:
	s_and_b32 s8, 0xffff, s16
	s_cmp_lt_i32 s8, 5
	s_mov_b64 s[4:5], -1
	s_cbranch_scc1 .LBB132_732
; %bb.712:
	s_cmp_lt_i32 s8, 8
	s_cbranch_scc1 .LBB132_722
; %bb.713:
	s_cmp_lt_i32 s8, 9
	s_cbranch_scc1 .LBB132_719
; %bb.714:
	s_cmp_gt_i32 s8, 9
	s_cbranch_scc0 .LBB132_716
; %bb.715:
	v_mov_b32_e32 v34, 0
	v_mov_b32_e32 v35, v34
	global_store_dwordx4 v[2:3], v[32:35], off
	s_mov_b64 s[4:5], 0
.LBB132_716:
	s_andn2_b64 vcc, exec, s[4:5]
	s_cbranch_vccnz .LBB132_718
; %bb.717:
	v_cvt_f32_f64_e32 v5, v[32:33]
	v_mov_b32_e32 v6, 0
	global_store_dwordx2 v[2:3], v[5:6], off
.LBB132_718:
	s_mov_b64 s[4:5], 0
.LBB132_719:
	s_andn2_b64 vcc, exec, s[4:5]
	s_cbranch_vccnz .LBB132_721
; %bb.720:
	s_movk_i32 s4, 0x1ff
	v_and_or_b32 v5, v33, s4, v32
	v_cmp_ne_u32_e32 vcc, 0, v5
	v_cndmask_b32_e64 v5, 0, 1, vcc
	v_lshrrev_b32_e32 v6, 8, v33
	s_movk_i32 s4, 0xffe
	v_bfe_u32 v7, v33, 20, 11
	v_and_or_b32 v5, v6, s4, v5
	v_sub_u32_e32 v8, 0x3f1, v7
	v_or_b32_e32 v6, 0x1000, v5
	v_med3_i32 v8, v8, 0, 13
	v_lshrrev_b32_e32 v9, v8, v6
	v_lshlrev_b32_e32 v8, v8, v9
	v_cmp_ne_u32_e32 vcc, v8, v6
	v_cndmask_b32_e64 v6, 0, 1, vcc
	v_add_u32_e32 v7, 0xfffffc10, v7
	v_or_b32_e32 v6, v9, v6
	v_lshl_or_b32 v8, v7, 12, v5
	v_cmp_gt_i32_e32 vcc, 1, v7
	v_cndmask_b32_e32 v6, v8, v6, vcc
	v_and_b32_e32 v8, 7, v6
	v_cmp_lt_i32_e32 vcc, 5, v8
	v_cndmask_b32_e64 v9, 0, 1, vcc
	v_cmp_eq_u32_e32 vcc, 3, v8
	v_cndmask_b32_e64 v8, 0, 1, vcc
	v_or_b32_e32 v8, v8, v9
	v_lshrrev_b32_e32 v6, 2, v6
	v_add_u32_e32 v6, v6, v8
	v_mov_b32_e32 v8, 0x7c00
	v_cmp_gt_i32_e32 vcc, 31, v7
	v_cndmask_b32_e32 v6, v8, v6, vcc
	v_mov_b32_e32 v9, 0x7e00
	v_cmp_ne_u32_e32 vcc, 0, v5
	s_movk_i32 s4, 0x40f
	v_cndmask_b32_e32 v5, v8, v9, vcc
	v_cmp_eq_u32_e32 vcc, s4, v7
	v_cndmask_b32_e32 v5, v6, v5, vcc
	v_lshrrev_b32_e32 v6, 16, v33
	s_mov_b32 s4, 0x8000
	v_and_or_b32 v5, v6, s4, v5
	v_and_b32_e32 v5, 0xffff, v5
	global_store_dword v[2:3], v5, off
.LBB132_721:
	s_mov_b64 s[4:5], 0
.LBB132_722:
	s_andn2_b64 vcc, exec, s[4:5]
	s_cbranch_vccnz .LBB132_731
; %bb.723:
	s_cmp_lt_i32 s8, 6
	s_mov_b64 s[4:5], -1
	s_cbranch_scc1 .LBB132_729
; %bb.724:
	s_cmp_gt_i32 s8, 6
	s_cbranch_scc0 .LBB132_726
; %bb.725:
	global_store_dwordx2 v[2:3], v[32:33], off
	s_mov_b64 s[4:5], 0
.LBB132_726:
	s_andn2_b64 vcc, exec, s[4:5]
	s_cbranch_vccnz .LBB132_728
; %bb.727:
	v_cvt_f32_f64_e32 v5, v[32:33]
	global_store_dword v[2:3], v5, off
.LBB132_728:
	s_mov_b64 s[4:5], 0
.LBB132_729:
	s_andn2_b64 vcc, exec, s[4:5]
	s_cbranch_vccnz .LBB132_731
; %bb.730:
	s_movk_i32 s4, 0x1ff
	v_and_or_b32 v5, v33, s4, v32
	v_cmp_ne_u32_e32 vcc, 0, v5
	v_cndmask_b32_e64 v5, 0, 1, vcc
	v_lshrrev_b32_e32 v6, 8, v33
	s_movk_i32 s4, 0xffe
	v_bfe_u32 v7, v33, 20, 11
	v_and_or_b32 v5, v6, s4, v5
	v_sub_u32_e32 v8, 0x3f1, v7
	v_or_b32_e32 v6, 0x1000, v5
	v_med3_i32 v8, v8, 0, 13
	v_lshrrev_b32_e32 v9, v8, v6
	v_lshlrev_b32_e32 v8, v8, v9
	v_cmp_ne_u32_e32 vcc, v8, v6
	v_cndmask_b32_e64 v6, 0, 1, vcc
	v_add_u32_e32 v7, 0xfffffc10, v7
	v_or_b32_e32 v6, v9, v6
	v_lshl_or_b32 v8, v7, 12, v5
	v_cmp_gt_i32_e32 vcc, 1, v7
	v_cndmask_b32_e32 v6, v8, v6, vcc
	v_and_b32_e32 v8, 7, v6
	v_cmp_lt_i32_e32 vcc, 5, v8
	v_cndmask_b32_e64 v9, 0, 1, vcc
	v_cmp_eq_u32_e32 vcc, 3, v8
	v_cndmask_b32_e64 v8, 0, 1, vcc
	v_or_b32_e32 v8, v8, v9
	v_lshrrev_b32_e32 v6, 2, v6
	v_add_u32_e32 v6, v6, v8
	v_mov_b32_e32 v8, 0x7c00
	v_cmp_gt_i32_e32 vcc, 31, v7
	v_cndmask_b32_e32 v6, v8, v6, vcc
	v_mov_b32_e32 v9, 0x7e00
	v_cmp_ne_u32_e32 vcc, 0, v5
	s_movk_i32 s4, 0x40f
	v_cndmask_b32_e32 v5, v8, v9, vcc
	v_cmp_eq_u32_e32 vcc, s4, v7
	v_cndmask_b32_e32 v5, v6, v5, vcc
	v_lshrrev_b32_e32 v6, 16, v33
	s_mov_b32 s4, 0x8000
	v_and_or_b32 v5, v6, s4, v5
	global_store_short v[2:3], v5, off
.LBB132_731:
	s_mov_b64 s[4:5], 0
.LBB132_732:
	s_andn2_b64 vcc, exec, s[4:5]
	s_cbranch_vccnz .LBB132_748
; %bb.733:
	s_cmp_lt_i32 s8, 2
	s_mov_b64 s[4:5], -1
	s_cbranch_scc1 .LBB132_743
; %bb.734:
	s_cmp_lt_i32 s8, 3
	s_cbranch_scc1 .LBB132_740
; %bb.735:
	s_cmp_gt_i32 s8, 3
	s_cbranch_scc0 .LBB132_737
; %bb.736:
	v_trunc_f64_e32 v[5:6], v[32:33]
	s_movk_i32 s4, 0xffe0
	v_ldexp_f64 v[7:8], v[5:6], s4
	s_mov_b32 s4, 0
	s_mov_b32 s5, 0xc1f00000
	v_floor_f64_e32 v[7:8], v[7:8]
	v_fma_f64 v[5:6], v[7:8], s[4:5], v[5:6]
	v_cvt_i32_f64_e32 v7, v[7:8]
	s_mov_b64 s[4:5], 0
	v_cvt_u32_f64_e32 v6, v[5:6]
	global_store_dwordx2 v[2:3], v[6:7], off
.LBB132_737:
	s_andn2_b64 vcc, exec, s[4:5]
	s_cbranch_vccnz .LBB132_739
; %bb.738:
	v_cvt_i32_f64_e32 v5, v[32:33]
	global_store_dword v[2:3], v5, off
.LBB132_739:
	s_mov_b64 s[4:5], 0
.LBB132_740:
	s_andn2_b64 vcc, exec, s[4:5]
	s_cbranch_vccnz .LBB132_742
; %bb.741:
	v_cvt_i32_f64_e32 v5, v[32:33]
	global_store_short v[2:3], v5, off
.LBB132_742:
	s_mov_b64 s[4:5], 0
.LBB132_743:
	s_andn2_b64 vcc, exec, s[4:5]
	s_cbranch_vccnz .LBB132_748
; %bb.744:
	s_cmp_gt_i32 s8, 0
	s_mov_b64 s[4:5], -1
	s_cbranch_scc0 .LBB132_746
; %bb.745:
	v_cvt_i32_f64_e32 v5, v[32:33]
	s_mov_b64 s[4:5], 0
	global_store_byte v[2:3], v5, off
.LBB132_746:
	s_andn2_b64 vcc, exec, s[4:5]
	s_cbranch_vccnz .LBB132_748
; %bb.747:
	v_trunc_f64_e32 v[5:6], v[32:33]
	s_movk_i32 s4, 0xffe0
	v_ldexp_f64 v[7:8], v[5:6], s4
	s_mov_b32 s4, 0
	s_mov_b32 s5, 0xc1f00000
	v_floor_f64_e32 v[7:8], v[7:8]
	v_fma_f64 v[5:6], v[7:8], s[4:5], v[5:6]
	v_cvt_u32_f64_e32 v5, v[5:6]
	global_store_byte v[2:3], v5, off
.LBB132_748:
.LBB132_749:
	v_add_u32_e32 v4, s17, v4
	v_ashrrev_i32_e32 v3, 31, v4
	v_mov_b32_e32 v5, s37
	v_add_co_u32_e32 v2, vcc, s36, v4
	s_cmp_lt_i32 s16, 11
	v_addc_co_u32_e32 v3, vcc, v5, v3, vcc
	s_cbranch_scc1 .LBB132_904
; %bb.750:
	s_and_b32 s18, 0xffff, s16
	s_mov_b64 s[12:13], -1
	s_mov_b64 s[8:9], 0
	s_cmp_gt_i32 s18, 25
	s_mov_b64 s[10:11], 0
	s_mov_b64 s[4:5], 0
	s_cbranch_scc0 .LBB132_783
; %bb.751:
	s_cmp_gt_i32 s18, 28
	s_cbranch_scc0 .LBB132_766
; %bb.752:
	s_cmp_gt_i32 s18, 43
	;; [unrolled: 3-line block ×3, first 2 shown]
	s_cbranch_scc0 .LBB132_756
; %bb.754:
	s_mov_b64 s[4:5], -1
	s_mov_b64 s[12:13], 0
	s_cmp_eq_u32 s18, 46
	s_cbranch_scc0 .LBB132_756
; %bb.755:
	v_cvt_f32_f64_e32 v5, v[30:31]
	s_movk_i32 s4, 0x7fff
	v_mov_b32_e32 v6, 0x7fc0
	s_mov_b64 s[10:11], -1
	v_bfe_u32 v7, v5, 16, 1
	v_cmp_o_f32_e32 vcc, v5, v5
	v_add3_u32 v5, v5, v7, s4
	v_cndmask_b32_sdwa v5, v6, v5, vcc dst_sel:DWORD dst_unused:UNUSED_PAD src0_sel:DWORD src1_sel:WORD_1
	global_store_dword v[2:3], v5, off
	s_mov_b64 s[4:5], 0
.LBB132_756:
	s_and_b64 vcc, exec, s[12:13]
	s_cbranch_vccz .LBB132_761
; %bb.757:
	s_cmp_eq_u32 s18, 44
	s_mov_b64 s[4:5], -1
	s_cbranch_scc0 .LBB132_761
; %bb.758:
	v_cvt_f32_f64_e32 v5, v[30:31]
	s_movk_i32 s4, 0xff
	v_mov_b32_e32 v7, 0xff
	v_bfe_u32 v6, v5, 23, 8
	v_cmp_ne_u32_e32 vcc, s4, v6
	s_and_saveexec_b64 s[10:11], vcc
; %bb.759:
	s_mov_b32 s4, 0x3fffff
	v_lshrrev_b32_e32 v7, 23, v5
	v_and_b32_e32 v8, 0x400000, v5
	v_and_or_b32 v5, v5, s4, v6
	v_cmp_ne_u32_e32 vcc, 0, v8
	v_cmp_ne_u32_e64 s[4:5], 0, v5
	s_and_b64 s[4:5], vcc, s[4:5]
	v_cndmask_b32_e64 v5, 0, 1, s[4:5]
	v_add_u32_e32 v7, v7, v5
; %bb.760:
	s_or_b64 exec, exec, s[10:11]
	s_mov_b64 s[4:5], 0
	s_mov_b64 s[10:11], -1
	global_store_byte v[2:3], v7, off
.LBB132_761:
	s_mov_b64 s[12:13], 0
.LBB132_762:
	s_and_b64 vcc, exec, s[12:13]
	s_cbranch_vccz .LBB132_765
; %bb.763:
	s_cmp_eq_u32 s18, 29
	s_mov_b64 s[4:5], -1
	s_cbranch_scc0 .LBB132_765
; %bb.764:
	v_trunc_f64_e32 v[5:6], v[30:31]
	s_movk_i32 s4, 0xffe0
	s_mov_b64 s[10:11], -1
	v_ldexp_f64 v[7:8], v[5:6], s4
	s_mov_b32 s4, 0
	s_mov_b32 s5, 0xc1f00000
	v_floor_f64_e32 v[7:8], v[7:8]
	v_fma_f64 v[5:6], v[7:8], s[4:5], v[5:6]
	v_cvt_u32_f64_e32 v7, v[7:8]
	s_mov_b64 s[4:5], 0
	v_cvt_u32_f64_e32 v6, v[5:6]
	global_store_dwordx2 v[2:3], v[6:7], off
.LBB132_765:
	s_mov_b64 s[12:13], 0
.LBB132_766:
	s_and_b64 vcc, exec, s[12:13]
	s_cbranch_vccz .LBB132_782
; %bb.767:
	s_cmp_lt_i32 s18, 27
	s_mov_b64 s[10:11], -1
	s_cbranch_scc1 .LBB132_773
; %bb.768:
	v_cvt_u32_f64_e32 v5, v[30:31]
	s_cmp_gt_i32 s18, 27
	s_cbranch_scc0 .LBB132_770
; %bb.769:
	s_mov_b64 s[10:11], 0
	global_store_dword v[2:3], v5, off
.LBB132_770:
	s_andn2_b64 vcc, exec, s[10:11]
	s_cbranch_vccnz .LBB132_772
; %bb.771:
	global_store_short v[2:3], v5, off
.LBB132_772:
	s_mov_b64 s[10:11], 0
.LBB132_773:
	s_andn2_b64 vcc, exec, s[10:11]
	s_cbranch_vccnz .LBB132_781
; %bb.774:
	v_cvt_f32_f64_e32 v5, v[30:31]
	s_mov_b32 s10, 0x43800000
	v_mov_b32_e32 v7, 0x80
	v_and_b32_e32 v6, 0x7fffffff, v5
	v_cmp_gt_u32_e32 vcc, s10, v6
	s_and_saveexec_b64 s[10:11], vcc
	s_cbranch_execz .LBB132_780
; %bb.775:
	s_mov_b32 s12, 0x3bffffff
	v_cmp_lt_u32_e32 vcc, s12, v6
	s_mov_b64 s[12:13], 0
                                        ; implicit-def: $vgpr6
	s_and_saveexec_b64 s[14:15], vcc
	s_xor_b64 s[14:15], exec, s[14:15]
	s_cbranch_execz .LBB132_999
; %bb.776:
	v_bfe_u32 v6, v5, 20, 1
	s_mov_b32 s19, 0x487ffff
	v_add3_u32 v6, v5, v6, s19
	s_mov_b64 s[12:13], exec
	v_lshrrev_b32_e32 v6, 20, v6
	s_andn2_saveexec_b64 s[14:15], s[14:15]
	s_cbranch_execnz .LBB132_1000
.LBB132_777:
	s_or_b64 exec, exec, s[14:15]
	v_mov_b32_e32 v7, 0
	s_and_saveexec_b64 s[14:15], s[12:13]
.LBB132_778:
	v_lshrrev_b32_e32 v5, 24, v5
	s_movk_i32 s12, 0x80
	v_and_or_b32 v7, v5, s12, v6
.LBB132_779:
	s_or_b64 exec, exec, s[14:15]
.LBB132_780:
	s_or_b64 exec, exec, s[10:11]
	global_store_byte v[2:3], v7, off
.LBB132_781:
	s_mov_b64 s[10:11], -1
.LBB132_782:
	s_mov_b64 s[12:13], 0
.LBB132_783:
	s_and_b64 vcc, exec, s[12:13]
	s_cbranch_vccz .LBB132_823
; %bb.784:
	s_cmp_gt_i32 s18, 22
	s_mov_b64 s[8:9], -1
	s_cbranch_scc0 .LBB132_816
; %bb.785:
	s_cmp_lt_i32 s18, 24
	s_cbranch_scc1 .LBB132_805
; %bb.786:
	s_cmp_gt_i32 s18, 24
	s_cbranch_scc0 .LBB132_794
; %bb.787:
	v_cvt_f32_f64_e32 v5, v[30:31]
	s_mov_b32 s8, 0x47800000
	v_mov_b32_e32 v7, 0x80
	v_and_b32_e32 v6, 0x7fffffff, v5
	v_cmp_gt_u32_e32 vcc, s8, v6
	s_and_saveexec_b64 s[8:9], vcc
	s_cbranch_execz .LBB132_793
; %bb.788:
	s_mov_b32 s10, 0x37ffffff
	v_cmp_lt_u32_e32 vcc, s10, v6
	s_mov_b64 s[10:11], 0
                                        ; implicit-def: $vgpr6
	s_and_saveexec_b64 s[12:13], vcc
	s_xor_b64 s[12:13], exec, s[12:13]
	s_cbranch_execz .LBB132_1002
; %bb.789:
	v_bfe_u32 v6, v5, 21, 1
	s_mov_b32 s14, 0x88fffff
	v_add3_u32 v6, v5, v6, s14
	s_mov_b64 s[10:11], exec
	v_lshrrev_b32_e32 v6, 21, v6
	s_andn2_saveexec_b64 s[12:13], s[12:13]
	s_cbranch_execnz .LBB132_1003
.LBB132_790:
	s_or_b64 exec, exec, s[12:13]
	v_mov_b32_e32 v7, 0
	s_and_saveexec_b64 s[12:13], s[10:11]
.LBB132_791:
	v_lshrrev_b32_e32 v5, 24, v5
	s_movk_i32 s10, 0x80
	v_and_or_b32 v7, v5, s10, v6
.LBB132_792:
	s_or_b64 exec, exec, s[12:13]
.LBB132_793:
	s_or_b64 exec, exec, s[8:9]
	s_mov_b64 s[8:9], 0
	global_store_byte v[2:3], v7, off
.LBB132_794:
	s_and_b64 vcc, exec, s[8:9]
	s_cbranch_vccz .LBB132_804
; %bb.795:
	v_cvt_f32_f64_e32 v5, v[30:31]
	s_mov_b32 s8, 0x43f00000
                                        ; implicit-def: $vgpr6
	v_and_b32_e32 v7, 0x7fffffff, v5
	v_cmp_gt_u32_e32 vcc, s8, v7
	s_and_saveexec_b64 s[8:9], vcc
	s_xor_b64 s[8:9], exec, s[8:9]
	s_cbranch_execz .LBB132_801
; %bb.796:
	s_mov_b32 s10, 0x3c7fffff
	v_cmp_lt_u32_e32 vcc, s10, v7
                                        ; implicit-def: $vgpr6
	s_and_saveexec_b64 s[10:11], vcc
	s_xor_b64 s[10:11], exec, s[10:11]
; %bb.797:
	v_bfe_u32 v6, v5, 20, 1
	s_mov_b32 s12, 0x407ffff
	v_add3_u32 v6, v5, v6, s12
	v_lshrrev_b32_e32 v7, 20, v6
	v_and_b32_e32 v6, 0xff00000, v6
	s_mov_b32 s12, 0x7f00000
	v_mov_b32_e32 v8, 0x7e
	v_cmp_ne_u32_e32 vcc, s12, v6
	v_cndmask_b32_e32 v6, v8, v7, vcc
; %bb.798:
	s_andn2_saveexec_b64 s[10:11], s[10:11]
; %bb.799:
	s_mov_b32 s12, 0x46800000
	v_add_f32_e64 v6, |v5|, s12
; %bb.800:
	s_or_b64 exec, exec, s[10:11]
                                        ; implicit-def: $vgpr7
.LBB132_801:
	s_andn2_saveexec_b64 s[8:9], s[8:9]
; %bb.802:
	s_mov_b32 s10, 0x7f800000
	v_mov_b32_e32 v6, 0x7e
	v_mov_b32_e32 v8, 0x7f
	v_cmp_lt_u32_e32 vcc, s10, v7
	v_cndmask_b32_e32 v6, v6, v8, vcc
; %bb.803:
	s_or_b64 exec, exec, s[8:9]
	v_lshrrev_b32_e32 v5, 24, v5
	s_movk_i32 s8, 0x80
	v_and_or_b32 v5, v5, s8, v6
	global_store_byte v[2:3], v5, off
.LBB132_804:
	s_mov_b64 s[8:9], 0
.LBB132_805:
	s_andn2_b64 vcc, exec, s[8:9]
	s_cbranch_vccnz .LBB132_815
; %bb.806:
	v_cvt_f32_f64_e32 v5, v[30:31]
	s_mov_b32 s8, 0x47800000
                                        ; implicit-def: $vgpr6
	v_and_b32_e32 v7, 0x7fffffff, v5
	v_cmp_gt_u32_e32 vcc, s8, v7
	s_and_saveexec_b64 s[8:9], vcc
	s_xor_b64 s[8:9], exec, s[8:9]
	s_cbranch_execz .LBB132_812
; %bb.807:
	s_mov_b32 s10, 0x387fffff
	v_cmp_lt_u32_e32 vcc, s10, v7
                                        ; implicit-def: $vgpr6
	s_and_saveexec_b64 s[10:11], vcc
	s_xor_b64 s[10:11], exec, s[10:11]
; %bb.808:
	v_bfe_u32 v6, v5, 21, 1
	s_mov_b32 s12, 0x80fffff
	v_add3_u32 v6, v5, v6, s12
	v_lshrrev_b32_e32 v6, 21, v6
; %bb.809:
	s_andn2_saveexec_b64 s[10:11], s[10:11]
; %bb.810:
	s_mov_b32 s12, 0x43000000
	v_add_f32_e64 v6, |v5|, s12
; %bb.811:
	s_or_b64 exec, exec, s[10:11]
                                        ; implicit-def: $vgpr7
.LBB132_812:
	s_andn2_saveexec_b64 s[8:9], s[8:9]
; %bb.813:
	s_mov_b32 s10, 0x7f800000
	v_mov_b32_e32 v6, 0x7c
	v_mov_b32_e32 v8, 0x7f
	v_cmp_lt_u32_e32 vcc, s10, v7
	v_cndmask_b32_e32 v6, v6, v8, vcc
; %bb.814:
	s_or_b64 exec, exec, s[8:9]
	v_lshrrev_b32_e32 v5, 24, v5
	s_movk_i32 s8, 0x80
	v_and_or_b32 v5, v5, s8, v6
	global_store_byte v[2:3], v5, off
.LBB132_815:
	s_mov_b64 s[8:9], 0
	s_mov_b64 s[10:11], -1
.LBB132_816:
	s_andn2_b64 vcc, exec, s[8:9]
	s_mov_b64 s[8:9], 0
	s_cbranch_vccnz .LBB132_823
; %bb.817:
	s_cmp_gt_i32 s18, 14
	s_mov_b64 s[12:13], -1
	s_cbranch_scc0 .LBB132_821
; %bb.818:
	s_cmp_eq_u32 s18, 15
	s_mov_b64 s[4:5], -1
	s_cbranch_scc0 .LBB132_820
; %bb.819:
	v_cvt_f32_f64_e32 v5, v[30:31]
	s_movk_i32 s4, 0x7fff
	v_mov_b32_e32 v6, 0x7fc0
	s_mov_b64 s[10:11], -1
	v_bfe_u32 v7, v5, 16, 1
	v_cmp_o_f32_e32 vcc, v5, v5
	v_add3_u32 v5, v5, v7, s4
	v_cndmask_b32_sdwa v5, v6, v5, vcc dst_sel:DWORD dst_unused:UNUSED_PAD src0_sel:DWORD src1_sel:WORD_1
	global_store_short v[2:3], v5, off
	s_mov_b64 s[4:5], 0
.LBB132_820:
	s_mov_b64 s[12:13], 0
.LBB132_821:
	s_and_b64 vcc, exec, s[12:13]
	s_cbranch_vccz .LBB132_823
; %bb.822:
	s_cmp_lg_u32 s18, 11
	s_mov_b64 s[8:9], -1
	s_cselect_b64 s[4:5], -1, 0
.LBB132_823:
	s_and_b64 vcc, exec, s[4:5]
	s_cbranch_vccnz .LBB132_1001
; %bb.824:
	s_andn2_b64 vcc, exec, s[8:9]
	s_cbranch_vccnz .LBB132_826
.LBB132_825:
	v_cmp_neq_f64_e32 vcc, 0, v[30:31]
	s_mov_b64 s[10:11], -1
	v_cndmask_b32_e64 v5, 0, 1, vcc
	global_store_byte v[2:3], v5, off
.LBB132_826:
.LBB132_827:
	s_andn2_b64 vcc, exec, s[10:11]
	s_cbranch_vccnz .LBB132_943
.LBB132_828:
	v_add_u32_e32 v2, s17, v4
	v_ashrrev_i32_e32 v3, 31, v2
	v_mov_b32_e32 v5, s37
	v_add_co_u32_e32 v4, vcc, s36, v2
	s_cmp_lt_i32 s16, 11
	v_addc_co_u32_e32 v5, vcc, v5, v3, vcc
	s_cbranch_scc1 .LBB132_988
; %bb.829:
	s_and_b32 s17, 0xffff, s16
	s_mov_b64 s[10:11], -1
	s_mov_b64 s[8:9], 0
	s_cmp_gt_i32 s17, 25
	s_mov_b64 s[4:5], 0
	s_cbranch_scc0 .LBB132_862
; %bb.830:
	s_cmp_gt_i32 s17, 28
	s_cbranch_scc0 .LBB132_846
; %bb.831:
	s_cmp_gt_i32 s17, 43
	;; [unrolled: 3-line block ×3, first 2 shown]
	s_cbranch_scc0 .LBB132_836
; %bb.833:
	s_cmp_eq_u32 s17, 46
	s_mov_b64 s[4:5], -1
	s_cbranch_scc0 .LBB132_835
; %bb.834:
	v_cvt_f32_f64_e32 v2, v[0:1]
	s_movk_i32 s4, 0x7fff
	v_mov_b32_e32 v3, 0x7fc0
	v_bfe_u32 v6, v2, 16, 1
	v_cmp_o_f32_e32 vcc, v2, v2
	v_add3_u32 v2, v2, v6, s4
	v_cndmask_b32_sdwa v2, v3, v2, vcc dst_sel:DWORD dst_unused:UNUSED_PAD src0_sel:DWORD src1_sel:WORD_1
	global_store_dword v[4:5], v2, off
	s_mov_b64 s[4:5], 0
.LBB132_835:
	s_mov_b64 s[10:11], 0
.LBB132_836:
	s_and_b64 vcc, exec, s[10:11]
	s_cbranch_vccz .LBB132_841
; %bb.837:
	s_cmp_eq_u32 s17, 44
	s_mov_b64 s[4:5], -1
	s_cbranch_scc0 .LBB132_841
; %bb.838:
	v_cvt_f32_f64_e32 v2, v[0:1]
	s_movk_i32 s4, 0xff
	v_mov_b32_e32 v6, 0xff
	v_bfe_u32 v3, v2, 23, 8
	v_cmp_ne_u32_e32 vcc, s4, v3
	s_and_saveexec_b64 s[10:11], vcc
; %bb.839:
	s_mov_b32 s4, 0x3fffff
	v_lshrrev_b32_e32 v6, 23, v2
	v_and_b32_e32 v7, 0x400000, v2
	v_and_or_b32 v2, v2, s4, v3
	v_cmp_ne_u32_e32 vcc, 0, v7
	v_cmp_ne_u32_e64 s[4:5], 0, v2
	s_and_b64 s[4:5], vcc, s[4:5]
	v_cndmask_b32_e64 v2, 0, 1, s[4:5]
	v_add_u32_e32 v6, v6, v2
; %bb.840:
	s_or_b64 exec, exec, s[10:11]
	s_mov_b64 s[4:5], 0
	global_store_byte v[4:5], v6, off
.LBB132_841:
	s_mov_b64 s[10:11], 0
.LBB132_842:
	s_and_b64 vcc, exec, s[10:11]
	s_cbranch_vccz .LBB132_845
; %bb.843:
	s_cmp_eq_u32 s17, 29
	s_mov_b64 s[4:5], -1
	s_cbranch_scc0 .LBB132_845
; %bb.844:
	v_trunc_f64_e32 v[2:3], v[0:1]
	s_movk_i32 s4, 0xffe0
	v_ldexp_f64 v[6:7], v[2:3], s4
	s_mov_b32 s4, 0
	s_mov_b32 s5, 0xc1f00000
	v_floor_f64_e32 v[6:7], v[6:7]
	v_fma_f64 v[2:3], v[6:7], s[4:5], v[2:3]
	v_cvt_u32_f64_e32 v7, v[6:7]
	s_mov_b64 s[4:5], 0
	v_cvt_u32_f64_e32 v6, v[2:3]
	global_store_dwordx2 v[4:5], v[6:7], off
.LBB132_845:
	s_mov_b64 s[10:11], 0
.LBB132_846:
	s_and_b64 vcc, exec, s[10:11]
	s_cbranch_vccz .LBB132_861
; %bb.847:
	s_cmp_lt_i32 s17, 27
	s_mov_b64 s[10:11], -1
	s_cbranch_scc1 .LBB132_853
; %bb.848:
	v_cvt_u32_f64_e32 v2, v[0:1]
	s_cmp_gt_i32 s17, 27
	s_cbranch_scc0 .LBB132_850
; %bb.849:
	global_store_dword v[4:5], v2, off
	s_mov_b64 s[10:11], 0
.LBB132_850:
	s_andn2_b64 vcc, exec, s[10:11]
	s_cbranch_vccnz .LBB132_852
; %bb.851:
	global_store_short v[4:5], v2, off
.LBB132_852:
	s_mov_b64 s[10:11], 0
.LBB132_853:
	s_andn2_b64 vcc, exec, s[10:11]
	s_cbranch_vccnz .LBB132_861
; %bb.854:
	v_cvt_f32_f64_e32 v2, v[0:1]
	s_mov_b32 s10, 0x43800000
	v_mov_b32_e32 v6, 0x80
	v_and_b32_e32 v3, 0x7fffffff, v2
	v_cmp_gt_u32_e32 vcc, s10, v3
	s_and_saveexec_b64 s[10:11], vcc
	s_cbranch_execz .LBB132_860
; %bb.855:
	s_mov_b32 s12, 0x3bffffff
	v_cmp_lt_u32_e32 vcc, s12, v3
	s_mov_b64 s[12:13], 0
                                        ; implicit-def: $vgpr3
	s_and_saveexec_b64 s[14:15], vcc
	s_xor_b64 s[14:15], exec, s[14:15]
	s_cbranch_execz .LBB132_1004
; %bb.856:
	v_bfe_u32 v3, v2, 20, 1
	s_mov_b32 s18, 0x487ffff
	v_add3_u32 v3, v2, v3, s18
	s_mov_b64 s[12:13], exec
	v_lshrrev_b32_e32 v3, 20, v3
	s_andn2_saveexec_b64 s[14:15], s[14:15]
	s_cbranch_execnz .LBB132_1005
.LBB132_857:
	s_or_b64 exec, exec, s[14:15]
	v_mov_b32_e32 v6, 0
	s_and_saveexec_b64 s[14:15], s[12:13]
.LBB132_858:
	v_lshrrev_b32_e32 v2, 24, v2
	s_movk_i32 s12, 0x80
	v_and_or_b32 v6, v2, s12, v3
.LBB132_859:
	s_or_b64 exec, exec, s[14:15]
.LBB132_860:
	s_or_b64 exec, exec, s[10:11]
	global_store_byte v[4:5], v6, off
.LBB132_861:
	s_mov_b64 s[10:11], 0
.LBB132_862:
	s_and_b64 vcc, exec, s[10:11]
	s_cbranch_vccz .LBB132_902
; %bb.863:
	s_cmp_gt_i32 s17, 22
	s_mov_b64 s[8:9], -1
	s_cbranch_scc0 .LBB132_895
; %bb.864:
	s_cmp_lt_i32 s17, 24
	s_cbranch_scc1 .LBB132_884
; %bb.865:
	s_cmp_gt_i32 s17, 24
	s_cbranch_scc0 .LBB132_873
; %bb.866:
	v_cvt_f32_f64_e32 v2, v[0:1]
	s_mov_b32 s8, 0x47800000
	v_mov_b32_e32 v6, 0x80
	v_and_b32_e32 v3, 0x7fffffff, v2
	v_cmp_gt_u32_e32 vcc, s8, v3
	s_and_saveexec_b64 s[8:9], vcc
	s_cbranch_execz .LBB132_872
; %bb.867:
	s_mov_b32 s10, 0x37ffffff
	v_cmp_lt_u32_e32 vcc, s10, v3
	s_mov_b64 s[10:11], 0
                                        ; implicit-def: $vgpr3
	s_and_saveexec_b64 s[12:13], vcc
	s_xor_b64 s[12:13], exec, s[12:13]
	s_cbranch_execz .LBB132_1009
; %bb.868:
	v_bfe_u32 v3, v2, 21, 1
	s_mov_b32 s14, 0x88fffff
	v_add3_u32 v3, v2, v3, s14
	s_mov_b64 s[10:11], exec
	v_lshrrev_b32_e32 v3, 21, v3
	s_andn2_saveexec_b64 s[12:13], s[12:13]
	s_cbranch_execnz .LBB132_1010
.LBB132_869:
	s_or_b64 exec, exec, s[12:13]
	v_mov_b32_e32 v6, 0
	s_and_saveexec_b64 s[12:13], s[10:11]
.LBB132_870:
	v_lshrrev_b32_e32 v2, 24, v2
	s_movk_i32 s10, 0x80
	v_and_or_b32 v6, v2, s10, v3
.LBB132_871:
	s_or_b64 exec, exec, s[12:13]
.LBB132_872:
	s_or_b64 exec, exec, s[8:9]
	s_mov_b64 s[8:9], 0
	global_store_byte v[4:5], v6, off
.LBB132_873:
	s_and_b64 vcc, exec, s[8:9]
	s_cbranch_vccz .LBB132_883
; %bb.874:
	v_cvt_f32_f64_e32 v2, v[0:1]
	s_mov_b32 s8, 0x43f00000
                                        ; implicit-def: $vgpr3
	v_and_b32_e32 v6, 0x7fffffff, v2
	v_cmp_gt_u32_e32 vcc, s8, v6
	s_and_saveexec_b64 s[8:9], vcc
	s_xor_b64 s[8:9], exec, s[8:9]
	s_cbranch_execz .LBB132_880
; %bb.875:
	s_mov_b32 s10, 0x3c7fffff
	v_cmp_lt_u32_e32 vcc, s10, v6
                                        ; implicit-def: $vgpr3
	s_and_saveexec_b64 s[10:11], vcc
	s_xor_b64 s[10:11], exec, s[10:11]
; %bb.876:
	v_bfe_u32 v3, v2, 20, 1
	s_mov_b32 s12, 0x407ffff
	v_add3_u32 v3, v2, v3, s12
	v_lshrrev_b32_e32 v6, 20, v3
	v_and_b32_e32 v3, 0xff00000, v3
	s_mov_b32 s12, 0x7f00000
	v_mov_b32_e32 v7, 0x7e
	v_cmp_ne_u32_e32 vcc, s12, v3
	v_cndmask_b32_e32 v3, v7, v6, vcc
; %bb.877:
	s_andn2_saveexec_b64 s[10:11], s[10:11]
; %bb.878:
	s_mov_b32 s12, 0x46800000
	v_add_f32_e64 v3, |v2|, s12
; %bb.879:
	s_or_b64 exec, exec, s[10:11]
                                        ; implicit-def: $vgpr6
.LBB132_880:
	s_andn2_saveexec_b64 s[8:9], s[8:9]
; %bb.881:
	s_mov_b32 s10, 0x7f800000
	v_mov_b32_e32 v3, 0x7e
	v_mov_b32_e32 v7, 0x7f
	v_cmp_lt_u32_e32 vcc, s10, v6
	v_cndmask_b32_e32 v3, v3, v7, vcc
; %bb.882:
	s_or_b64 exec, exec, s[8:9]
	v_lshrrev_b32_e32 v2, 24, v2
	s_movk_i32 s8, 0x80
	v_and_or_b32 v2, v2, s8, v3
	global_store_byte v[4:5], v2, off
.LBB132_883:
	s_mov_b64 s[8:9], 0
.LBB132_884:
	s_andn2_b64 vcc, exec, s[8:9]
	s_cbranch_vccnz .LBB132_894
; %bb.885:
	v_cvt_f32_f64_e32 v2, v[0:1]
	s_mov_b32 s8, 0x47800000
                                        ; implicit-def: $vgpr3
	v_and_b32_e32 v6, 0x7fffffff, v2
	v_cmp_gt_u32_e32 vcc, s8, v6
	s_and_saveexec_b64 s[8:9], vcc
	s_xor_b64 s[8:9], exec, s[8:9]
	s_cbranch_execz .LBB132_891
; %bb.886:
	s_mov_b32 s10, 0x387fffff
	v_cmp_lt_u32_e32 vcc, s10, v6
                                        ; implicit-def: $vgpr3
	s_and_saveexec_b64 s[10:11], vcc
	s_xor_b64 s[10:11], exec, s[10:11]
; %bb.887:
	v_bfe_u32 v3, v2, 21, 1
	s_mov_b32 s12, 0x80fffff
	v_add3_u32 v3, v2, v3, s12
	v_lshrrev_b32_e32 v3, 21, v3
; %bb.888:
	s_andn2_saveexec_b64 s[10:11], s[10:11]
; %bb.889:
	s_mov_b32 s12, 0x43000000
	v_add_f32_e64 v3, |v2|, s12
; %bb.890:
	s_or_b64 exec, exec, s[10:11]
                                        ; implicit-def: $vgpr6
.LBB132_891:
	s_andn2_saveexec_b64 s[8:9], s[8:9]
; %bb.892:
	s_mov_b32 s10, 0x7f800000
	v_mov_b32_e32 v3, 0x7c
	v_mov_b32_e32 v7, 0x7f
	v_cmp_lt_u32_e32 vcc, s10, v6
	v_cndmask_b32_e32 v3, v3, v7, vcc
; %bb.893:
	s_or_b64 exec, exec, s[8:9]
	v_lshrrev_b32_e32 v2, 24, v2
	s_movk_i32 s8, 0x80
	v_and_or_b32 v2, v2, s8, v3
	global_store_byte v[4:5], v2, off
.LBB132_894:
	s_mov_b64 s[8:9], 0
.LBB132_895:
	s_andn2_b64 vcc, exec, s[8:9]
	s_mov_b64 s[8:9], 0
	s_cbranch_vccnz .LBB132_902
; %bb.896:
	s_cmp_gt_i32 s17, 14
	s_mov_b64 s[10:11], -1
	s_cbranch_scc0 .LBB132_900
; %bb.897:
	s_cmp_eq_u32 s17, 15
	s_mov_b64 s[4:5], -1
	s_cbranch_scc0 .LBB132_899
; %bb.898:
	v_cvt_f32_f64_e32 v2, v[0:1]
	s_movk_i32 s4, 0x7fff
	v_mov_b32_e32 v3, 0x7fc0
	v_bfe_u32 v6, v2, 16, 1
	v_cmp_o_f32_e32 vcc, v2, v2
	v_add3_u32 v2, v2, v6, s4
	v_cndmask_b32_sdwa v2, v3, v2, vcc dst_sel:DWORD dst_unused:UNUSED_PAD src0_sel:DWORD src1_sel:WORD_1
	global_store_short v[4:5], v2, off
	s_mov_b64 s[4:5], 0
.LBB132_899:
	s_mov_b64 s[10:11], 0
.LBB132_900:
	s_and_b64 vcc, exec, s[10:11]
	s_cbranch_vccz .LBB132_902
; %bb.901:
	s_cmp_lg_u32 s17, 11
	s_mov_b64 s[8:9], -1
	s_cselect_b64 s[4:5], -1, 0
.LBB132_902:
	s_and_b64 vcc, exec, s[4:5]
	s_cbranch_vccnz .LBB132_1006
.LBB132_903:
	s_mov_b64 s[4:5], 0
	s_branch .LBB132_944
.LBB132_904:
	s_mov_b64 s[10:11], 0
	s_cbranch_execz .LBB132_827
; %bb.905:
	s_and_b32 s8, 0xffff, s16
	s_cmp_lt_i32 s8, 5
	s_mov_b64 s[4:5], -1
	s_cbranch_scc1 .LBB132_926
; %bb.906:
	s_cmp_lt_i32 s8, 8
	s_cbranch_scc1 .LBB132_916
; %bb.907:
	s_cmp_lt_i32 s8, 9
	s_cbranch_scc1 .LBB132_913
; %bb.908:
	s_cmp_gt_i32 s8, 9
	s_cbranch_scc0 .LBB132_910
; %bb.909:
	v_mov_b32_e32 v32, 0
	v_mov_b32_e32 v33, v32
	global_store_dwordx4 v[2:3], v[30:33], off
	s_mov_b64 s[4:5], 0
.LBB132_910:
	s_andn2_b64 vcc, exec, s[4:5]
	s_cbranch_vccnz .LBB132_912
; %bb.911:
	v_cvt_f32_f64_e32 v5, v[30:31]
	v_mov_b32_e32 v6, 0
	global_store_dwordx2 v[2:3], v[5:6], off
.LBB132_912:
	s_mov_b64 s[4:5], 0
.LBB132_913:
	s_andn2_b64 vcc, exec, s[4:5]
	s_cbranch_vccnz .LBB132_915
; %bb.914:
	s_movk_i32 s4, 0x1ff
	v_and_or_b32 v5, v31, s4, v30
	v_cmp_ne_u32_e32 vcc, 0, v5
	v_cndmask_b32_e64 v5, 0, 1, vcc
	v_lshrrev_b32_e32 v6, 8, v31
	s_movk_i32 s4, 0xffe
	v_bfe_u32 v7, v31, 20, 11
	v_and_or_b32 v5, v6, s4, v5
	v_sub_u32_e32 v8, 0x3f1, v7
	v_or_b32_e32 v6, 0x1000, v5
	v_med3_i32 v8, v8, 0, 13
	v_lshrrev_b32_e32 v9, v8, v6
	v_lshlrev_b32_e32 v8, v8, v9
	v_cmp_ne_u32_e32 vcc, v8, v6
	v_cndmask_b32_e64 v6, 0, 1, vcc
	v_add_u32_e32 v7, 0xfffffc10, v7
	v_or_b32_e32 v6, v9, v6
	v_lshl_or_b32 v8, v7, 12, v5
	v_cmp_gt_i32_e32 vcc, 1, v7
	v_cndmask_b32_e32 v6, v8, v6, vcc
	v_and_b32_e32 v8, 7, v6
	v_cmp_lt_i32_e32 vcc, 5, v8
	v_cndmask_b32_e64 v9, 0, 1, vcc
	v_cmp_eq_u32_e32 vcc, 3, v8
	v_cndmask_b32_e64 v8, 0, 1, vcc
	v_or_b32_e32 v8, v8, v9
	v_lshrrev_b32_e32 v6, 2, v6
	v_add_u32_e32 v6, v6, v8
	v_mov_b32_e32 v8, 0x7c00
	v_cmp_gt_i32_e32 vcc, 31, v7
	v_cndmask_b32_e32 v6, v8, v6, vcc
	v_mov_b32_e32 v9, 0x7e00
	v_cmp_ne_u32_e32 vcc, 0, v5
	s_movk_i32 s4, 0x40f
	v_cndmask_b32_e32 v5, v8, v9, vcc
	v_cmp_eq_u32_e32 vcc, s4, v7
	v_cndmask_b32_e32 v5, v6, v5, vcc
	v_lshrrev_b32_e32 v6, 16, v31
	s_mov_b32 s4, 0x8000
	v_and_or_b32 v5, v6, s4, v5
	v_and_b32_e32 v5, 0xffff, v5
	global_store_dword v[2:3], v5, off
.LBB132_915:
	s_mov_b64 s[4:5], 0
.LBB132_916:
	s_andn2_b64 vcc, exec, s[4:5]
	s_cbranch_vccnz .LBB132_925
; %bb.917:
	s_cmp_lt_i32 s8, 6
	s_mov_b64 s[4:5], -1
	s_cbranch_scc1 .LBB132_923
; %bb.918:
	s_cmp_gt_i32 s8, 6
	s_cbranch_scc0 .LBB132_920
; %bb.919:
	global_store_dwordx2 v[2:3], v[30:31], off
	s_mov_b64 s[4:5], 0
.LBB132_920:
	s_andn2_b64 vcc, exec, s[4:5]
	s_cbranch_vccnz .LBB132_922
; %bb.921:
	v_cvt_f32_f64_e32 v5, v[30:31]
	global_store_dword v[2:3], v5, off
.LBB132_922:
	s_mov_b64 s[4:5], 0
.LBB132_923:
	s_andn2_b64 vcc, exec, s[4:5]
	s_cbranch_vccnz .LBB132_925
; %bb.924:
	s_movk_i32 s4, 0x1ff
	v_and_or_b32 v5, v31, s4, v30
	v_cmp_ne_u32_e32 vcc, 0, v5
	v_cndmask_b32_e64 v5, 0, 1, vcc
	v_lshrrev_b32_e32 v6, 8, v31
	s_movk_i32 s4, 0xffe
	v_bfe_u32 v7, v31, 20, 11
	v_and_or_b32 v5, v6, s4, v5
	v_sub_u32_e32 v8, 0x3f1, v7
	v_or_b32_e32 v6, 0x1000, v5
	v_med3_i32 v8, v8, 0, 13
	v_lshrrev_b32_e32 v9, v8, v6
	v_lshlrev_b32_e32 v8, v8, v9
	v_cmp_ne_u32_e32 vcc, v8, v6
	v_cndmask_b32_e64 v6, 0, 1, vcc
	v_add_u32_e32 v7, 0xfffffc10, v7
	v_or_b32_e32 v6, v9, v6
	v_lshl_or_b32 v8, v7, 12, v5
	v_cmp_gt_i32_e32 vcc, 1, v7
	v_cndmask_b32_e32 v6, v8, v6, vcc
	v_and_b32_e32 v8, 7, v6
	v_cmp_lt_i32_e32 vcc, 5, v8
	v_cndmask_b32_e64 v9, 0, 1, vcc
	v_cmp_eq_u32_e32 vcc, 3, v8
	v_cndmask_b32_e64 v8, 0, 1, vcc
	v_or_b32_e32 v8, v8, v9
	v_lshrrev_b32_e32 v6, 2, v6
	v_add_u32_e32 v6, v6, v8
	v_mov_b32_e32 v8, 0x7c00
	v_cmp_gt_i32_e32 vcc, 31, v7
	v_cndmask_b32_e32 v6, v8, v6, vcc
	v_mov_b32_e32 v9, 0x7e00
	v_cmp_ne_u32_e32 vcc, 0, v5
	s_movk_i32 s4, 0x40f
	v_cndmask_b32_e32 v5, v8, v9, vcc
	v_cmp_eq_u32_e32 vcc, s4, v7
	v_cndmask_b32_e32 v5, v6, v5, vcc
	v_lshrrev_b32_e32 v6, 16, v31
	s_mov_b32 s4, 0x8000
	v_and_or_b32 v5, v6, s4, v5
	global_store_short v[2:3], v5, off
.LBB132_925:
	s_mov_b64 s[4:5], 0
.LBB132_926:
	s_andn2_b64 vcc, exec, s[4:5]
	s_cbranch_vccnz .LBB132_942
; %bb.927:
	s_cmp_lt_i32 s8, 2
	s_mov_b64 s[4:5], -1
	s_cbranch_scc1 .LBB132_937
; %bb.928:
	s_cmp_lt_i32 s8, 3
	s_cbranch_scc1 .LBB132_934
; %bb.929:
	s_cmp_gt_i32 s8, 3
	s_cbranch_scc0 .LBB132_931
; %bb.930:
	v_trunc_f64_e32 v[5:6], v[30:31]
	s_movk_i32 s4, 0xffe0
	v_ldexp_f64 v[7:8], v[5:6], s4
	s_mov_b32 s4, 0
	s_mov_b32 s5, 0xc1f00000
	v_floor_f64_e32 v[7:8], v[7:8]
	v_fma_f64 v[5:6], v[7:8], s[4:5], v[5:6]
	v_cvt_i32_f64_e32 v7, v[7:8]
	s_mov_b64 s[4:5], 0
	v_cvt_u32_f64_e32 v6, v[5:6]
	global_store_dwordx2 v[2:3], v[6:7], off
.LBB132_931:
	s_andn2_b64 vcc, exec, s[4:5]
	s_cbranch_vccnz .LBB132_933
; %bb.932:
	v_cvt_i32_f64_e32 v5, v[30:31]
	global_store_dword v[2:3], v5, off
.LBB132_933:
	s_mov_b64 s[4:5], 0
.LBB132_934:
	s_andn2_b64 vcc, exec, s[4:5]
	s_cbranch_vccnz .LBB132_936
; %bb.935:
	v_cvt_i32_f64_e32 v5, v[30:31]
	global_store_short v[2:3], v5, off
.LBB132_936:
	s_mov_b64 s[4:5], 0
.LBB132_937:
	s_andn2_b64 vcc, exec, s[4:5]
	s_cbranch_vccnz .LBB132_942
; %bb.938:
	s_cmp_gt_i32 s8, 0
	s_mov_b64 s[4:5], -1
	s_cbranch_scc0 .LBB132_940
; %bb.939:
	v_cvt_i32_f64_e32 v5, v[30:31]
	s_mov_b64 s[4:5], 0
	global_store_byte v[2:3], v5, off
.LBB132_940:
	s_andn2_b64 vcc, exec, s[4:5]
	s_cbranch_vccnz .LBB132_942
; %bb.941:
	v_trunc_f64_e32 v[5:6], v[30:31]
	s_movk_i32 s4, 0xffe0
	v_ldexp_f64 v[7:8], v[5:6], s4
	s_mov_b32 s4, 0
	s_mov_b32 s5, 0xc1f00000
	v_floor_f64_e32 v[7:8], v[7:8]
	v_fma_f64 v[5:6], v[7:8], s[4:5], v[5:6]
	v_cvt_u32_f64_e32 v5, v[5:6]
	global_store_byte v[2:3], v5, off
.LBB132_942:
	s_branch .LBB132_828
.LBB132_943:
	s_mov_b64 s[4:5], 0
	s_mov_b64 s[8:9], 0
                                        ; implicit-def: $sgpr16
                                        ; implicit-def: $vgpr4_vgpr5
.LBB132_944:
	s_and_b64 s[34:35], s[8:9], exec
	s_andn2_b64 s[8:9], s[42:43], exec
	s_and_b64 s[6:7], s[6:7], exec
	s_and_b64 s[4:5], s[4:5], exec
	s_or_b64 s[42:43], s[8:9], s[6:7]
.LBB132_945:
	s_or_b64 exec, exec, s[40:41]
	s_and_saveexec_b64 s[6:7], s[42:43]
	s_cbranch_execz .LBB132_948
; %bb.946:
	; divergent unreachable
	s_or_b64 exec, exec, s[6:7]
	s_and_saveexec_b64 s[6:7], s[34:35]
	s_xor_b64 s[6:7], exec, s[6:7]
	s_cbranch_execnz .LBB132_949
.LBB132_947:
	s_or_b64 exec, exec, s[6:7]
	s_and_saveexec_b64 s[6:7], s[4:5]
	s_cbranch_execnz .LBB132_950
	s_branch .LBB132_987
.LBB132_948:
	s_or_b64 exec, exec, s[6:7]
	s_and_saveexec_b64 s[6:7], s[34:35]
	s_xor_b64 s[6:7], exec, s[6:7]
	s_cbranch_execz .LBB132_947
.LBB132_949:
	v_cmp_neq_f64_e32 vcc, 0, v[0:1]
	v_cndmask_b32_e64 v2, 0, 1, vcc
	global_store_byte v[4:5], v2, off
	s_or_b64 exec, exec, s[6:7]
	s_and_saveexec_b64 s[6:7], s[4:5]
	s_cbranch_execz .LBB132_987
.LBB132_950:
	s_sext_i32_i16 s6, s16
	s_cmp_lt_i32 s6, 5
	s_mov_b64 s[4:5], -1
	s_cbranch_scc1 .LBB132_971
; %bb.951:
	s_cmp_lt_i32 s6, 8
	s_cbranch_scc1 .LBB132_961
; %bb.952:
	s_cmp_lt_i32 s6, 9
	s_cbranch_scc1 .LBB132_958
; %bb.953:
	s_cmp_gt_i32 s6, 9
	s_cbranch_scc0 .LBB132_955
; %bb.954:
	v_mov_b32_e32 v2, 0
	v_mov_b32_e32 v3, v2
	global_store_dwordx4 v[4:5], v[0:3], off
	s_mov_b64 s[4:5], 0
.LBB132_955:
	s_andn2_b64 vcc, exec, s[4:5]
	s_cbranch_vccnz .LBB132_957
; %bb.956:
	v_cvt_f32_f64_e32 v2, v[0:1]
	v_mov_b32_e32 v3, 0
	global_store_dwordx2 v[4:5], v[2:3], off
.LBB132_957:
	s_mov_b64 s[4:5], 0
.LBB132_958:
	s_andn2_b64 vcc, exec, s[4:5]
	s_cbranch_vccnz .LBB132_960
; %bb.959:
	s_movk_i32 s4, 0x1ff
	v_and_or_b32 v2, v1, s4, v0
	v_cmp_ne_u32_e32 vcc, 0, v2
	v_cndmask_b32_e64 v2, 0, 1, vcc
	v_lshrrev_b32_e32 v3, 8, v1
	s_movk_i32 s4, 0xffe
	v_bfe_u32 v6, v1, 20, 11
	v_and_or_b32 v2, v3, s4, v2
	v_sub_u32_e32 v7, 0x3f1, v6
	v_or_b32_e32 v3, 0x1000, v2
	v_med3_i32 v7, v7, 0, 13
	v_lshrrev_b32_e32 v8, v7, v3
	v_lshlrev_b32_e32 v7, v7, v8
	v_cmp_ne_u32_e32 vcc, v7, v3
	v_cndmask_b32_e64 v3, 0, 1, vcc
	v_add_u32_e32 v6, 0xfffffc10, v6
	v_or_b32_e32 v3, v8, v3
	v_lshl_or_b32 v7, v6, 12, v2
	v_cmp_gt_i32_e32 vcc, 1, v6
	v_cndmask_b32_e32 v3, v7, v3, vcc
	v_and_b32_e32 v7, 7, v3
	v_cmp_lt_i32_e32 vcc, 5, v7
	v_cndmask_b32_e64 v8, 0, 1, vcc
	v_cmp_eq_u32_e32 vcc, 3, v7
	v_cndmask_b32_e64 v7, 0, 1, vcc
	v_or_b32_e32 v7, v7, v8
	v_lshrrev_b32_e32 v3, 2, v3
	v_add_u32_e32 v3, v3, v7
	v_mov_b32_e32 v7, 0x7c00
	v_cmp_gt_i32_e32 vcc, 31, v6
	v_cndmask_b32_e32 v3, v7, v3, vcc
	v_mov_b32_e32 v8, 0x7e00
	v_cmp_ne_u32_e32 vcc, 0, v2
	s_movk_i32 s4, 0x40f
	v_cndmask_b32_e32 v2, v7, v8, vcc
	v_cmp_eq_u32_e32 vcc, s4, v6
	v_cndmask_b32_e32 v2, v3, v2, vcc
	v_lshrrev_b32_e32 v3, 16, v1
	s_mov_b32 s4, 0x8000
	v_and_or_b32 v2, v3, s4, v2
	v_and_b32_e32 v2, 0xffff, v2
	global_store_dword v[4:5], v2, off
.LBB132_960:
	s_mov_b64 s[4:5], 0
.LBB132_961:
	s_andn2_b64 vcc, exec, s[4:5]
	s_cbranch_vccnz .LBB132_970
; %bb.962:
	s_sext_i32_i16 s6, s16
	s_cmp_lt_i32 s6, 6
	s_mov_b64 s[4:5], -1
	s_cbranch_scc1 .LBB132_968
; %bb.963:
	s_cmp_gt_i32 s6, 6
	s_cbranch_scc0 .LBB132_965
; %bb.964:
	global_store_dwordx2 v[4:5], v[0:1], off
	s_mov_b64 s[4:5], 0
.LBB132_965:
	s_andn2_b64 vcc, exec, s[4:5]
	s_cbranch_vccnz .LBB132_967
; %bb.966:
	v_cvt_f32_f64_e32 v2, v[0:1]
	global_store_dword v[4:5], v2, off
.LBB132_967:
	s_mov_b64 s[4:5], 0
.LBB132_968:
	s_andn2_b64 vcc, exec, s[4:5]
	s_cbranch_vccnz .LBB132_970
; %bb.969:
	s_movk_i32 s4, 0x1ff
	v_and_or_b32 v2, v1, s4, v0
	v_cmp_ne_u32_e32 vcc, 0, v2
	v_cndmask_b32_e64 v2, 0, 1, vcc
	v_lshrrev_b32_e32 v3, 8, v1
	s_movk_i32 s4, 0xffe
	v_bfe_u32 v6, v1, 20, 11
	v_and_or_b32 v2, v3, s4, v2
	v_sub_u32_e32 v7, 0x3f1, v6
	v_or_b32_e32 v3, 0x1000, v2
	v_med3_i32 v7, v7, 0, 13
	v_lshrrev_b32_e32 v8, v7, v3
	v_lshlrev_b32_e32 v7, v7, v8
	v_cmp_ne_u32_e32 vcc, v7, v3
	v_cndmask_b32_e64 v3, 0, 1, vcc
	v_add_u32_e32 v6, 0xfffffc10, v6
	v_or_b32_e32 v3, v8, v3
	v_lshl_or_b32 v7, v6, 12, v2
	v_cmp_gt_i32_e32 vcc, 1, v6
	v_cndmask_b32_e32 v3, v7, v3, vcc
	v_and_b32_e32 v7, 7, v3
	v_cmp_lt_i32_e32 vcc, 5, v7
	v_cndmask_b32_e64 v8, 0, 1, vcc
	v_cmp_eq_u32_e32 vcc, 3, v7
	v_cndmask_b32_e64 v7, 0, 1, vcc
	v_or_b32_e32 v7, v7, v8
	v_lshrrev_b32_e32 v3, 2, v3
	v_add_u32_e32 v3, v3, v7
	v_mov_b32_e32 v7, 0x7c00
	v_cmp_gt_i32_e32 vcc, 31, v6
	v_cndmask_b32_e32 v3, v7, v3, vcc
	v_mov_b32_e32 v8, 0x7e00
	v_cmp_ne_u32_e32 vcc, 0, v2
	s_movk_i32 s4, 0x40f
	v_cndmask_b32_e32 v2, v7, v8, vcc
	v_cmp_eq_u32_e32 vcc, s4, v6
	v_cndmask_b32_e32 v2, v3, v2, vcc
	v_lshrrev_b32_e32 v3, 16, v1
	s_mov_b32 s4, 0x8000
	v_and_or_b32 v2, v3, s4, v2
	global_store_short v[4:5], v2, off
.LBB132_970:
	s_mov_b64 s[4:5], 0
.LBB132_971:
	s_andn2_b64 vcc, exec, s[4:5]
	s_cbranch_vccnz .LBB132_987
; %bb.972:
	s_sext_i32_i16 s6, s16
	s_cmp_lt_i32 s6, 2
	s_mov_b64 s[4:5], -1
	s_cbranch_scc1 .LBB132_982
; %bb.973:
	s_cmp_lt_i32 s6, 3
	s_cbranch_scc1 .LBB132_979
; %bb.974:
	s_cmp_gt_i32 s6, 3
	s_cbranch_scc0 .LBB132_976
; %bb.975:
	v_trunc_f64_e32 v[2:3], v[0:1]
	s_movk_i32 s4, 0xffe0
	v_ldexp_f64 v[6:7], v[2:3], s4
	s_mov_b32 s4, 0
	s_mov_b32 s5, 0xc1f00000
	v_floor_f64_e32 v[6:7], v[6:7]
	v_fma_f64 v[2:3], v[6:7], s[4:5], v[2:3]
	v_cvt_i32_f64_e32 v7, v[6:7]
	s_mov_b64 s[4:5], 0
	v_cvt_u32_f64_e32 v6, v[2:3]
	global_store_dwordx2 v[4:5], v[6:7], off
.LBB132_976:
	s_andn2_b64 vcc, exec, s[4:5]
	s_cbranch_vccnz .LBB132_978
; %bb.977:
	v_cvt_i32_f64_e32 v2, v[0:1]
	global_store_dword v[4:5], v2, off
.LBB132_978:
	s_mov_b64 s[4:5], 0
.LBB132_979:
	s_andn2_b64 vcc, exec, s[4:5]
	s_cbranch_vccnz .LBB132_981
; %bb.980:
	v_cvt_i32_f64_e32 v2, v[0:1]
	global_store_short v[4:5], v2, off
.LBB132_981:
	s_mov_b64 s[4:5], 0
.LBB132_982:
	s_andn2_b64 vcc, exec, s[4:5]
	s_cbranch_vccnz .LBB132_987
; %bb.983:
	s_sext_i32_i16 s4, s16
	s_cmp_gt_i32 s4, 0
	s_mov_b64 s[4:5], -1
	s_cbranch_scc0 .LBB132_985
; %bb.984:
	v_cvt_i32_f64_e32 v2, v[0:1]
	s_mov_b64 s[4:5], 0
	global_store_byte v[4:5], v2, off
.LBB132_985:
	s_andn2_b64 vcc, exec, s[4:5]
	s_cbranch_vccnz .LBB132_987
; %bb.986:
	v_trunc_f64_e32 v[0:1], v[0:1]
	s_movk_i32 s4, 0xffe0
	v_ldexp_f64 v[2:3], v[0:1], s4
	s_mov_b32 s4, 0
	s_mov_b32 s5, 0xc1f00000
	v_floor_f64_e32 v[2:3], v[2:3]
	v_fma_f64 v[0:1], v[2:3], s[4:5], v[0:1]
	v_cvt_u32_f64_e32 v0, v[0:1]
	global_store_byte v[4:5], v0, off
	s_endpgm
.LBB132_987:
	s_endpgm
.LBB132_988:
	s_mov_b64 s[8:9], 0
	s_mov_b64 s[4:5], -1
	s_branch .LBB132_944
.LBB132_989:
	s_andn2_saveexec_b64 s[12:13], s[12:13]
	s_cbranch_execz .LBB132_541
.LBB132_990:
	s_mov_b32 s15, 0x46000000
	v_add_f32_e64 v6, |v5|, s15
	v_and_b32_e32 v6, 0xff, v6
	v_cmp_ne_u32_e32 vcc, 0, v6
	s_andn2_b64 s[10:11], s[10:11], exec
	s_and_b64 s[18:19], vcc, exec
	s_or_b64 s[10:11], s[10:11], s[18:19]
	s_or_b64 exec, exec, s[12:13]
	v_mov_b32_e32 v7, 0
	s_and_saveexec_b64 s[12:13], s[10:11]
	s_cbranch_execnz .LBB132_542
	s_branch .LBB132_543
.LBB132_991:
	s_or_b64 s[6:7], s[42:43], exec
	s_trap 2
	s_cbranch_execz .LBB132_589
	s_branch .LBB132_590
.LBB132_992:
	s_andn2_saveexec_b64 s[10:11], s[10:11]
	s_cbranch_execz .LBB132_554
.LBB132_993:
	s_mov_b32 s12, 0x42800000
	v_add_f32_e64 v6, |v5|, s12
	v_and_b32_e32 v6, 0xff, v6
	v_cmp_ne_u32_e32 vcc, 0, v6
	s_andn2_b64 s[8:9], s[8:9], exec
	s_and_b64 s[12:13], vcc, exec
	s_or_b64 s[8:9], s[8:9], s[12:13]
	s_or_b64 exec, exec, s[10:11]
	v_mov_b32_e32 v7, 0
	s_and_saveexec_b64 s[10:11], s[8:9]
	s_cbranch_execnz .LBB132_555
	s_branch .LBB132_556
.LBB132_994:
	s_andn2_saveexec_b64 s[14:15], s[14:15]
	s_cbranch_execz .LBB132_659
.LBB132_995:
	s_mov_b32 s19, 0x46000000
	v_add_f32_e64 v6, |v5|, s19
	v_and_b32_e32 v6, 0xff, v6
	v_cmp_ne_u32_e32 vcc, 0, v6
	s_andn2_b64 s[12:13], s[12:13], exec
	s_and_b64 s[20:21], vcc, exec
	s_or_b64 s[12:13], s[12:13], s[20:21]
	s_or_b64 exec, exec, s[14:15]
	v_mov_b32_e32 v7, 0
	s_and_saveexec_b64 s[14:15], s[12:13]
	s_cbranch_execnz .LBB132_660
	s_branch .LBB132_661
.LBB132_996:
	s_trap 2
	s_or_b64 s[6:7], s[6:7], exec
	s_cbranch_execz .LBB132_707
	s_branch .LBB132_708
.LBB132_997:
	s_andn2_saveexec_b64 s[12:13], s[12:13]
	s_cbranch_execz .LBB132_672
.LBB132_998:
	s_mov_b32 s14, 0x42800000
	v_add_f32_e64 v6, |v5|, s14
	v_and_b32_e32 v6, 0xff, v6
	v_cmp_ne_u32_e32 vcc, 0, v6
	s_andn2_b64 s[10:11], s[10:11], exec
	s_and_b64 s[14:15], vcc, exec
	s_or_b64 s[10:11], s[10:11], s[14:15]
	s_or_b64 exec, exec, s[12:13]
	v_mov_b32_e32 v7, 0
	s_and_saveexec_b64 s[12:13], s[10:11]
	s_cbranch_execnz .LBB132_673
	s_branch .LBB132_674
.LBB132_999:
	s_andn2_saveexec_b64 s[14:15], s[14:15]
	s_cbranch_execz .LBB132_777
.LBB132_1000:
	s_mov_b32 s19, 0x46000000
	v_add_f32_e64 v6, |v5|, s19
	v_and_b32_e32 v6, 0xff, v6
	v_cmp_ne_u32_e32 vcc, 0, v6
	s_andn2_b64 s[12:13], s[12:13], exec
	s_and_b64 s[20:21], vcc, exec
	s_or_b64 s[12:13], s[12:13], s[20:21]
	s_or_b64 exec, exec, s[14:15]
	v_mov_b32_e32 v7, 0
	s_and_saveexec_b64 s[14:15], s[12:13]
	s_cbranch_execnz .LBB132_778
	s_branch .LBB132_779
.LBB132_1001:
	s_trap 2
	s_or_b64 s[6:7], s[6:7], exec
	s_cbranch_execz .LBB132_825
	s_branch .LBB132_826
.LBB132_1002:
	s_andn2_saveexec_b64 s[12:13], s[12:13]
	s_cbranch_execz .LBB132_790
.LBB132_1003:
	s_mov_b32 s14, 0x42800000
	v_add_f32_e64 v6, |v5|, s14
	v_and_b32_e32 v6, 0xff, v6
	v_cmp_ne_u32_e32 vcc, 0, v6
	s_andn2_b64 s[10:11], s[10:11], exec
	s_and_b64 s[14:15], vcc, exec
	s_or_b64 s[10:11], s[10:11], s[14:15]
	s_or_b64 exec, exec, s[12:13]
	v_mov_b32_e32 v7, 0
	s_and_saveexec_b64 s[12:13], s[10:11]
	s_cbranch_execnz .LBB132_791
	s_branch .LBB132_792
.LBB132_1004:
	s_andn2_saveexec_b64 s[14:15], s[14:15]
	s_cbranch_execz .LBB132_857
.LBB132_1005:
	s_mov_b32 s18, 0x46000000
	v_add_f32_e64 v3, |v2|, s18
	v_and_b32_e32 v3, 0xff, v3
	v_cmp_ne_u32_e32 vcc, 0, v3
	s_andn2_b64 s[12:13], s[12:13], exec
	s_and_b64 s[18:19], vcc, exec
	s_or_b64 s[12:13], s[12:13], s[18:19]
	s_or_b64 exec, exec, s[14:15]
	v_mov_b32_e32 v6, 0
	s_and_saveexec_b64 s[14:15], s[12:13]
	s_cbranch_execnz .LBB132_858
	s_branch .LBB132_859
.LBB132_1006:
	s_mov_b64 s[8:9], 0
	s_or_b64 s[6:7], s[6:7], exec
	s_trap 2
	s_branch .LBB132_903
.LBB132_1007:
	s_andn2_saveexec_b64 s[10:11], s[10:11]
	s_cbranch_execz .LBB132_422
.LBB132_1008:
	s_mov_b32 s12, 0x46000000
	v_add_f32_e64 v3, |v2|, s12
	v_and_b32_e32 v3, 0xff, v3
	v_cmp_ne_u32_e32 vcc, 0, v3
	s_andn2_b64 s[8:9], s[8:9], exec
	s_and_b64 s[12:13], vcc, exec
	s_or_b64 s[8:9], s[8:9], s[12:13]
	s_or_b64 exec, exec, s[10:11]
	v_mov_b32_e32 v6, 0
	s_and_saveexec_b64 s[10:11], s[8:9]
	s_cbranch_execnz .LBB132_423
	s_branch .LBB132_424
.LBB132_1009:
	s_andn2_saveexec_b64 s[12:13], s[12:13]
	s_cbranch_execz .LBB132_869
.LBB132_1010:
	s_mov_b32 s14, 0x42800000
	v_add_f32_e64 v3, |v2|, s14
	v_and_b32_e32 v3, 0xff, v3
	v_cmp_ne_u32_e32 vcc, 0, v3
	s_andn2_b64 s[10:11], s[10:11], exec
	s_and_b64 s[14:15], vcc, exec
	s_or_b64 s[10:11], s[10:11], s[14:15]
	s_or_b64 exec, exec, s[12:13]
	v_mov_b32_e32 v6, 0
	s_and_saveexec_b64 s[12:13], s[10:11]
	s_cbranch_execnz .LBB132_870
	s_branch .LBB132_871
.LBB132_1011:
	s_andn2_saveexec_b64 s[12:13], s[12:13]
	s_cbranch_execz .LBB132_434
.LBB132_1012:
	s_mov_b32 s16, 0x42800000
	v_add_f32_e64 v3, |v2|, s16
	v_and_b32_e32 v3, 0xff, v3
	v_cmp_ne_u32_e32 vcc, 0, v3
	s_andn2_b64 s[10:11], s[10:11], exec
	s_and_b64 s[16:17], vcc, exec
	s_or_b64 s[10:11], s[10:11], s[16:17]
	s_or_b64 exec, exec, s[12:13]
	v_mov_b32_e32 v6, 0
	s_and_saveexec_b64 s[12:13], s[10:11]
	s_cbranch_execnz .LBB132_435
	s_branch .LBB132_436
	.section	.rodata,"a",@progbits
	.p2align	6, 0x0
	.amdhsa_kernel _ZN2at6native32elementwise_kernel_manual_unrollILi128ELi4EZNS0_15gpu_kernel_implIZZZNS0_18lgamma_kernel_cudaERNS_18TensorIteratorBaseEENKUlvE_clEvENKUlvE_clEvEUldE_EEvS4_RKT_EUlibE_EEviT1_
		.amdhsa_group_segment_fixed_size 0
		.amdhsa_private_segment_fixed_size 0
		.amdhsa_kernarg_size 40
		.amdhsa_user_sgpr_count 6
		.amdhsa_user_sgpr_private_segment_buffer 1
		.amdhsa_user_sgpr_dispatch_ptr 0
		.amdhsa_user_sgpr_queue_ptr 0
		.amdhsa_user_sgpr_kernarg_segment_ptr 1
		.amdhsa_user_sgpr_dispatch_id 0
		.amdhsa_user_sgpr_flat_scratch_init 0
		.amdhsa_user_sgpr_private_segment_size 0
		.amdhsa_uses_dynamic_stack 0
		.amdhsa_system_sgpr_private_segment_wavefront_offset 0
		.amdhsa_system_sgpr_workgroup_id_x 1
		.amdhsa_system_sgpr_workgroup_id_y 0
		.amdhsa_system_sgpr_workgroup_id_z 0
		.amdhsa_system_sgpr_workgroup_info 0
		.amdhsa_system_vgpr_workitem_id 0
		.amdhsa_next_free_vgpr 39
		.amdhsa_next_free_sgpr 56
		.amdhsa_reserve_vcc 1
		.amdhsa_reserve_flat_scratch 0
		.amdhsa_float_round_mode_32 0
		.amdhsa_float_round_mode_16_64 0
		.amdhsa_float_denorm_mode_32 3
		.amdhsa_float_denorm_mode_16_64 3
		.amdhsa_dx10_clamp 1
		.amdhsa_ieee_mode 1
		.amdhsa_fp16_overflow 0
		.amdhsa_exception_fp_ieee_invalid_op 0
		.amdhsa_exception_fp_denorm_src 0
		.amdhsa_exception_fp_ieee_div_zero 0
		.amdhsa_exception_fp_ieee_overflow 0
		.amdhsa_exception_fp_ieee_underflow 0
		.amdhsa_exception_fp_ieee_inexact 0
		.amdhsa_exception_int_div_zero 0
	.end_amdhsa_kernel
	.section	.text._ZN2at6native32elementwise_kernel_manual_unrollILi128ELi4EZNS0_15gpu_kernel_implIZZZNS0_18lgamma_kernel_cudaERNS_18TensorIteratorBaseEENKUlvE_clEvENKUlvE_clEvEUldE_EEvS4_RKT_EUlibE_EEviT1_,"axG",@progbits,_ZN2at6native32elementwise_kernel_manual_unrollILi128ELi4EZNS0_15gpu_kernel_implIZZZNS0_18lgamma_kernel_cudaERNS_18TensorIteratorBaseEENKUlvE_clEvENKUlvE_clEvEUldE_EEvS4_RKT_EUlibE_EEviT1_,comdat
.Lfunc_end132:
	.size	_ZN2at6native32elementwise_kernel_manual_unrollILi128ELi4EZNS0_15gpu_kernel_implIZZZNS0_18lgamma_kernel_cudaERNS_18TensorIteratorBaseEENKUlvE_clEvENKUlvE_clEvEUldE_EEvS4_RKT_EUlibE_EEviT1_, .Lfunc_end132-_ZN2at6native32elementwise_kernel_manual_unrollILi128ELi4EZNS0_15gpu_kernel_implIZZZNS0_18lgamma_kernel_cudaERNS_18TensorIteratorBaseEENKUlvE_clEvENKUlvE_clEvEUldE_EEvS4_RKT_EUlibE_EEviT1_
                                        ; -- End function
	.set _ZN2at6native32elementwise_kernel_manual_unrollILi128ELi4EZNS0_15gpu_kernel_implIZZZNS0_18lgamma_kernel_cudaERNS_18TensorIteratorBaseEENKUlvE_clEvENKUlvE_clEvEUldE_EEvS4_RKT_EUlibE_EEviT1_.num_vgpr, max(39, .L_ZN2at6native6invokeIZZZNS0_18lgamma_kernel_cudaERNS_18TensorIteratorBaseEENKUlvE_clEvENKUlvE_clEvEUldE_i15function_traitsIS6_EEENT1_11result_typeERKT_PrKPcPKT0_PKN3c1010ScalarTypeEi.num_vgpr)
	.set _ZN2at6native32elementwise_kernel_manual_unrollILi128ELi4EZNS0_15gpu_kernel_implIZZZNS0_18lgamma_kernel_cudaERNS_18TensorIteratorBaseEENKUlvE_clEvENKUlvE_clEvEUldE_EEvS4_RKT_EUlibE_EEviT1_.num_agpr, max(0, .L_ZN2at6native6invokeIZZZNS0_18lgamma_kernel_cudaERNS_18TensorIteratorBaseEENKUlvE_clEvENKUlvE_clEvEUldE_i15function_traitsIS6_EEENT1_11result_typeERKT_PrKPcPKT0_PKN3c1010ScalarTypeEi.num_agpr)
	.set _ZN2at6native32elementwise_kernel_manual_unrollILi128ELi4EZNS0_15gpu_kernel_implIZZZNS0_18lgamma_kernel_cudaERNS_18TensorIteratorBaseEENKUlvE_clEvENKUlvE_clEvEUldE_EEvS4_RKT_EUlibE_EEviT1_.numbered_sgpr, max(56, .L_ZN2at6native6invokeIZZZNS0_18lgamma_kernel_cudaERNS_18TensorIteratorBaseEENKUlvE_clEvENKUlvE_clEvEUldE_i15function_traitsIS6_EEENT1_11result_typeERKT_PrKPcPKT0_PKN3c1010ScalarTypeEi.numbered_sgpr)
	.set _ZN2at6native32elementwise_kernel_manual_unrollILi128ELi4EZNS0_15gpu_kernel_implIZZZNS0_18lgamma_kernel_cudaERNS_18TensorIteratorBaseEENKUlvE_clEvENKUlvE_clEvEUldE_EEvS4_RKT_EUlibE_EEviT1_.num_named_barrier, max(0, .L_ZN2at6native6invokeIZZZNS0_18lgamma_kernel_cudaERNS_18TensorIteratorBaseEENKUlvE_clEvENKUlvE_clEvEUldE_i15function_traitsIS6_EEENT1_11result_typeERKT_PrKPcPKT0_PKN3c1010ScalarTypeEi.num_named_barrier)
	.set _ZN2at6native32elementwise_kernel_manual_unrollILi128ELi4EZNS0_15gpu_kernel_implIZZZNS0_18lgamma_kernel_cudaERNS_18TensorIteratorBaseEENKUlvE_clEvENKUlvE_clEvEUldE_EEvS4_RKT_EUlibE_EEviT1_.private_seg_size, 0+max(.L_ZN2at6native6invokeIZZZNS0_18lgamma_kernel_cudaERNS_18TensorIteratorBaseEENKUlvE_clEvENKUlvE_clEvEUldE_i15function_traitsIS6_EEENT1_11result_typeERKT_PrKPcPKT0_PKN3c1010ScalarTypeEi.private_seg_size)
	.set _ZN2at6native32elementwise_kernel_manual_unrollILi128ELi4EZNS0_15gpu_kernel_implIZZZNS0_18lgamma_kernel_cudaERNS_18TensorIteratorBaseEENKUlvE_clEvENKUlvE_clEvEUldE_EEvS4_RKT_EUlibE_EEviT1_.uses_vcc, or(1, .L_ZN2at6native6invokeIZZZNS0_18lgamma_kernel_cudaERNS_18TensorIteratorBaseEENKUlvE_clEvENKUlvE_clEvEUldE_i15function_traitsIS6_EEENT1_11result_typeERKT_PrKPcPKT0_PKN3c1010ScalarTypeEi.uses_vcc)
	.set _ZN2at6native32elementwise_kernel_manual_unrollILi128ELi4EZNS0_15gpu_kernel_implIZZZNS0_18lgamma_kernel_cudaERNS_18TensorIteratorBaseEENKUlvE_clEvENKUlvE_clEvEUldE_EEvS4_RKT_EUlibE_EEviT1_.uses_flat_scratch, or(0, .L_ZN2at6native6invokeIZZZNS0_18lgamma_kernel_cudaERNS_18TensorIteratorBaseEENKUlvE_clEvENKUlvE_clEvEUldE_i15function_traitsIS6_EEENT1_11result_typeERKT_PrKPcPKT0_PKN3c1010ScalarTypeEi.uses_flat_scratch)
	.set _ZN2at6native32elementwise_kernel_manual_unrollILi128ELi4EZNS0_15gpu_kernel_implIZZZNS0_18lgamma_kernel_cudaERNS_18TensorIteratorBaseEENKUlvE_clEvENKUlvE_clEvEUldE_EEvS4_RKT_EUlibE_EEviT1_.has_dyn_sized_stack, or(0, .L_ZN2at6native6invokeIZZZNS0_18lgamma_kernel_cudaERNS_18TensorIteratorBaseEENKUlvE_clEvENKUlvE_clEvEUldE_i15function_traitsIS6_EEENT1_11result_typeERKT_PrKPcPKT0_PKN3c1010ScalarTypeEi.has_dyn_sized_stack)
	.set _ZN2at6native32elementwise_kernel_manual_unrollILi128ELi4EZNS0_15gpu_kernel_implIZZZNS0_18lgamma_kernel_cudaERNS_18TensorIteratorBaseEENKUlvE_clEvENKUlvE_clEvEUldE_EEvS4_RKT_EUlibE_EEviT1_.has_recursion, or(0, .L_ZN2at6native6invokeIZZZNS0_18lgamma_kernel_cudaERNS_18TensorIteratorBaseEENKUlvE_clEvENKUlvE_clEvEUldE_i15function_traitsIS6_EEENT1_11result_typeERKT_PrKPcPKT0_PKN3c1010ScalarTypeEi.has_recursion)
	.set _ZN2at6native32elementwise_kernel_manual_unrollILi128ELi4EZNS0_15gpu_kernel_implIZZZNS0_18lgamma_kernel_cudaERNS_18TensorIteratorBaseEENKUlvE_clEvENKUlvE_clEvEUldE_EEvS4_RKT_EUlibE_EEviT1_.has_indirect_call, or(0, .L_ZN2at6native6invokeIZZZNS0_18lgamma_kernel_cudaERNS_18TensorIteratorBaseEENKUlvE_clEvENKUlvE_clEvEUldE_i15function_traitsIS6_EEENT1_11result_typeERKT_PrKPcPKT0_PKN3c1010ScalarTypeEi.has_indirect_call)
	.section	.AMDGPU.csdata,"",@progbits
; Kernel info:
; codeLenInByte = 20628
; TotalNumSgprs: 60
; NumVgprs: 39
; ScratchSize: 0
; MemoryBound: 0
; FloatMode: 240
; IeeeMode: 1
; LDSByteSize: 0 bytes/workgroup (compile time only)
; SGPRBlocks: 7
; VGPRBlocks: 9
; NumSGPRsForWavesPerEU: 60
; NumVGPRsForWavesPerEU: 39
; Occupancy: 6
; WaveLimiterHint : 0
; COMPUTE_PGM_RSRC2:SCRATCH_EN: 0
; COMPUTE_PGM_RSRC2:USER_SGPR: 6
; COMPUTE_PGM_RSRC2:TRAP_HANDLER: 0
; COMPUTE_PGM_RSRC2:TGID_X_EN: 1
; COMPUTE_PGM_RSRC2:TGID_Y_EN: 0
; COMPUTE_PGM_RSRC2:TGID_Z_EN: 0
; COMPUTE_PGM_RSRC2:TIDIG_COMP_CNT: 0
	.text
	.p2align	2                               ; -- Begin function _ZN2at6native6invokeIZZZNS0_18lgamma_kernel_cudaERNS_18TensorIteratorBaseEENKUlvE_clEvENKUlvE_clEvEUldE_j15function_traitsIS6_EEENT1_11result_typeERKT_PrKPcPKT0_PKN3c1010ScalarTypeEi
	.type	_ZN2at6native6invokeIZZZNS0_18lgamma_kernel_cudaERNS_18TensorIteratorBaseEENKUlvE_clEvENKUlvE_clEvEUldE_j15function_traitsIS6_EEENT1_11result_typeERKT_PrKPcPKT0_PKN3c1010ScalarTypeEi,@function
_ZN2at6native6invokeIZZZNS0_18lgamma_kernel_cudaERNS_18TensorIteratorBaseEENKUlvE_clEvENKUlvE_clEvEUldE_j15function_traitsIS6_EEENT1_11result_typeERKT_PrKPcPKT0_PKN3c1010ScalarTypeEi: ; @_ZN2at6native6invokeIZZZNS0_18lgamma_kernel_cudaERNS_18TensorIteratorBaseEENKUlvE_clEvENKUlvE_clEvEUldE_j15function_traitsIS6_EEENT1_11result_typeERKT_PrKPcPKT0_PKN3c1010ScalarTypeEi
; %bb.0:
	s_waitcnt vmcnt(0) expcnt(0) lgkmcnt(0)
	v_add_co_u32_e32 v0, vcc, v0, v2
	v_mov_b32_e32 v2, 10
	v_addc_co_u32_e32 v1, vcc, 0, v1, vcc
	v_cmp_gt_i16_sdwa s[4:5], v3, v2 src0_sel:BYTE_0 src1_sel:DWORD
	s_mov_b64 s[6:7], 0
                                        ; implicit-def: $vgpr4_vgpr5
	s_and_saveexec_b64 s[8:9], s[4:5]
	s_xor_b64 s[4:5], exec, s[8:9]
	s_cbranch_execnz .LBB133_4
; %bb.1:
	s_andn2_saveexec_b64 s[4:5], s[4:5]
	s_cbranch_execnz .LBB133_10
.LBB133_2:
	s_or_b64 exec, exec, s[4:5]
                                        ; implicit-def: $vgpr0_vgpr1
	s_and_saveexec_b64 s[8:9], s[6:7]
	s_cbranch_execnz .LBB133_51
.LBB133_3:
	s_or_b64 exec, exec, s[8:9]
	s_waitcnt vmcnt(0) lgkmcnt(0)
	s_setpc_b64 s[30:31]
.LBB133_4:
	v_mov_b32_e32 v2, 25
	v_cmp_gt_i16_sdwa s[10:11], v3, v2 src0_sel:BYTE_0 src1_sel:DWORD
	s_mov_b64 s[12:13], 0
	s_mov_b64 s[8:9], 0
                                        ; implicit-def: $vgpr4_vgpr5
	s_and_saveexec_b64 s[14:15], s[10:11]
	s_xor_b64 s[10:11], exec, s[14:15]
	s_cbranch_execnz .LBB133_86
; %bb.5:
	s_andn2_saveexec_b64 s[10:11], s[10:11]
	s_cbranch_execnz .LBB133_121
.LBB133_6:
	s_or_b64 exec, exec, s[10:11]
	s_and_saveexec_b64 s[10:11], s[12:13]
	s_cbranch_execnz .LBB133_148
.LBB133_7:
	s_or_b64 exec, exec, s[10:11]
	s_and_saveexec_b64 s[10:11], s[6:7]
	s_xor_b64 s[6:7], exec, s[10:11]
	s_cbranch_execz .LBB133_9
.LBB133_8:
	flat_load_ubyte v0, v[0:1]
	v_mov_b32_e32 v1, 0x3ff00000
	v_mov_b32_e32 v4, 0
	s_or_b64 s[8:9], s[8:9], exec
	s_waitcnt vmcnt(0) lgkmcnt(0)
	v_cmp_ne_u16_e32 vcc, 0, v0
	v_cndmask_b32_e32 v5, 0, v1, vcc
.LBB133_9:
	s_or_b64 exec, exec, s[6:7]
	s_and_b64 s[6:7], s[8:9], exec
                                        ; implicit-def: $vgpr3
                                        ; implicit-def: $vgpr0_vgpr1
	s_andn2_saveexec_b64 s[4:5], s[4:5]
	s_cbranch_execz .LBB133_2
.LBB133_10:
	v_mov_b32_e32 v2, 4
	v_cmp_gt_i16_sdwa s[8:9], v3, v2 src0_sel:BYTE_0 src1_sel:DWORD
                                        ; implicit-def: $vgpr4_vgpr5
	s_and_saveexec_b64 s[10:11], s[8:9]
	s_xor_b64 s[8:9], exec, s[10:11]
	s_cbranch_execz .LBB133_32
; %bb.11:
	v_mov_b32_e32 v2, 7
	v_cmp_gt_i16_sdwa s[10:11], v3, v2 src0_sel:BYTE_0 src1_sel:DWORD
                                        ; implicit-def: $vgpr4_vgpr5
	s_and_saveexec_b64 s[12:13], s[10:11]
	s_xor_b64 s[10:11], exec, s[12:13]
	s_cbranch_execz .LBB133_21
; %bb.12:
	;; [unrolled: 7-line block ×4, first 2 shown]
	flat_load_dwordx2 v[4:5], v[0:1]
                                        ; implicit-def: $vgpr0_vgpr1
.LBB133_15:
	s_andn2_saveexec_b64 s[14:15], s[14:15]
	s_cbranch_execz .LBB133_17
; %bb.16:
	flat_load_dword v0, v[0:1]
	s_waitcnt vmcnt(0) lgkmcnt(0)
	v_cvt_f64_f32_e32 v[4:5], v0
.LBB133_17:
	s_or_b64 exec, exec, s[14:15]
                                        ; implicit-def: $vgpr0_vgpr1
.LBB133_18:
	s_andn2_saveexec_b64 s[12:13], s[12:13]
	s_cbranch_execz .LBB133_20
; %bb.19:
	flat_load_dword v0, v[0:1]
	s_waitcnt vmcnt(0) lgkmcnt(0)
	v_cvt_f32_f16_e32 v0, v0
	v_cvt_f64_f32_e32 v[4:5], v0
.LBB133_20:
	s_or_b64 exec, exec, s[12:13]
                                        ; implicit-def: $vgpr0_vgpr1
                                        ; implicit-def: $vgpr3
.LBB133_21:
	s_andn2_saveexec_b64 s[10:11], s[10:11]
	s_cbranch_execz .LBB133_31
; %bb.22:
	v_mov_b32_e32 v2, 5
	v_cmp_gt_i16_sdwa s[12:13], v3, v2 src0_sel:BYTE_0 src1_sel:DWORD
                                        ; implicit-def: $vgpr4_vgpr5
	s_and_saveexec_b64 s[14:15], s[12:13]
	s_xor_b64 s[12:13], exec, s[14:15]
	s_cbranch_execz .LBB133_28
; %bb.23:
	v_mov_b32_e32 v2, 6
	v_cmp_gt_i16_sdwa s[14:15], v3, v2 src0_sel:BYTE_0 src1_sel:DWORD
                                        ; implicit-def: $vgpr4_vgpr5
	s_and_saveexec_b64 s[16:17], s[14:15]
	s_xor_b64 s[14:15], exec, s[16:17]
	s_cbranch_execz .LBB133_25
; %bb.24:
	s_waitcnt vmcnt(0) lgkmcnt(0)
	flat_load_dwordx2 v[4:5], v[0:1]
                                        ; implicit-def: $vgpr0_vgpr1
.LBB133_25:
	s_andn2_saveexec_b64 s[14:15], s[14:15]
	s_cbranch_execz .LBB133_27
; %bb.26:
	flat_load_dword v0, v[0:1]
	s_waitcnt vmcnt(0) lgkmcnt(0)
	v_cvt_f64_f32_e32 v[4:5], v0
.LBB133_27:
	s_or_b64 exec, exec, s[14:15]
                                        ; implicit-def: $vgpr0_vgpr1
.LBB133_28:
	s_andn2_saveexec_b64 s[12:13], s[12:13]
	s_cbranch_execz .LBB133_30
; %bb.29:
	flat_load_ushort v0, v[0:1]
	s_waitcnt vmcnt(0) lgkmcnt(0)
	v_cvt_f32_f16_e32 v0, v0
	v_cvt_f64_f32_e32 v[4:5], v0
.LBB133_30:
	s_or_b64 exec, exec, s[12:13]
.LBB133_31:
	s_or_b64 exec, exec, s[10:11]
                                        ; implicit-def: $vgpr3
                                        ; implicit-def: $vgpr0_vgpr1
.LBB133_32:
	s_andn2_saveexec_b64 s[8:9], s[8:9]
	s_cbranch_execz .LBB133_50
; %bb.33:
	v_mov_b32_e32 v2, 1
	v_cmp_gt_i16_sdwa s[10:11], v3, v2 src0_sel:BYTE_0 src1_sel:DWORD
                                        ; implicit-def: $vgpr4_vgpr5
	s_and_saveexec_b64 s[12:13], s[10:11]
	s_xor_b64 s[10:11], exec, s[12:13]
	s_cbranch_execz .LBB133_43
; %bb.34:
	v_mov_b32_e32 v2, 2
	v_cmp_gt_i16_sdwa s[12:13], v3, v2 src0_sel:BYTE_0 src1_sel:DWORD
                                        ; implicit-def: $vgpr4_vgpr5
	s_and_saveexec_b64 s[14:15], s[12:13]
	s_xor_b64 s[12:13], exec, s[14:15]
	s_cbranch_execz .LBB133_40
; %bb.35:
	v_mov_b32_e32 v2, 3
	v_cmp_gt_i16_sdwa s[14:15], v3, v2 src0_sel:BYTE_0 src1_sel:DWORD
                                        ; implicit-def: $vgpr4_vgpr5
	s_and_saveexec_b64 s[16:17], s[14:15]
	s_xor_b64 s[14:15], exec, s[16:17]
	s_cbranch_execz .LBB133_37
; %bb.36:
	flat_load_dwordx2 v[0:1], v[0:1]
	s_waitcnt vmcnt(0) lgkmcnt(0)
	v_cvt_f64_i32_e32 v[1:2], v1
	v_cvt_f64_u32_e32 v[3:4], v0
	v_ldexp_f64 v[1:2], v[1:2], 32
	v_add_f64 v[4:5], v[1:2], v[3:4]
                                        ; implicit-def: $vgpr0_vgpr1
.LBB133_37:
	s_andn2_saveexec_b64 s[14:15], s[14:15]
	s_cbranch_execz .LBB133_39
; %bb.38:
	flat_load_dword v0, v[0:1]
	s_waitcnt vmcnt(0) lgkmcnt(0)
	v_cvt_f64_i32_e32 v[4:5], v0
.LBB133_39:
	s_or_b64 exec, exec, s[14:15]
                                        ; implicit-def: $vgpr0_vgpr1
.LBB133_40:
	s_andn2_saveexec_b64 s[12:13], s[12:13]
	s_cbranch_execz .LBB133_42
; %bb.41:
	flat_load_sshort v0, v[0:1]
	s_waitcnt vmcnt(0) lgkmcnt(0)
	v_cvt_f64_i32_e32 v[4:5], v0
.LBB133_42:
	s_or_b64 exec, exec, s[12:13]
                                        ; implicit-def: $vgpr0_vgpr1
                                        ; implicit-def: $vgpr3
.LBB133_43:
	s_andn2_saveexec_b64 s[10:11], s[10:11]
	s_cbranch_execz .LBB133_49
; %bb.44:
	v_mov_b32_e32 v2, 0
	v_cmp_gt_i16_sdwa s[12:13], v3, v2 src0_sel:BYTE_0 src1_sel:DWORD
                                        ; implicit-def: $vgpr4_vgpr5
	s_and_saveexec_b64 s[14:15], s[12:13]
	s_xor_b64 s[12:13], exec, s[14:15]
	s_cbranch_execz .LBB133_46
; %bb.45:
	flat_load_sbyte v0, v[0:1]
	s_waitcnt vmcnt(0) lgkmcnt(0)
	v_cvt_f64_i32_e32 v[4:5], v0
                                        ; implicit-def: $vgpr0_vgpr1
.LBB133_46:
	s_andn2_saveexec_b64 s[12:13], s[12:13]
	s_cbranch_execz .LBB133_48
; %bb.47:
	flat_load_ubyte v0, v[0:1]
	s_waitcnt vmcnt(0) lgkmcnt(0)
	v_cvt_f64_u32_e32 v[4:5], v0
.LBB133_48:
	s_or_b64 exec, exec, s[12:13]
.LBB133_49:
	s_or_b64 exec, exec, s[10:11]
.LBB133_50:
	s_or_b64 exec, exec, s[8:9]
	s_or_b64 s[6:7], s[6:7], exec
	s_or_b64 exec, exec, s[4:5]
                                        ; implicit-def: $vgpr0_vgpr1
	s_and_saveexec_b64 s[8:9], s[6:7]
	s_cbranch_execz .LBB133_3
.LBB133_51:
	s_waitcnt vmcnt(0) lgkmcnt(0)
	v_and_b32_e32 v1, 0x7fffffff, v5
	s_mov_b32 s4, 0x3f6fffff
	v_mov_b32_e32 v0, v4
	v_cmp_lt_u32_e32 vcc, s4, v1
                                        ; implicit-def: $vgpr2_vgpr3
	s_and_saveexec_b64 s[4:5], vcc
	s_xor_b64 s[10:11], exec, s[4:5]
	s_cbranch_execz .LBB133_77
; %bb.52:
	s_brev_b32 s4, -4
	v_cmp_lt_u32_e32 vcc, s4, v1
                                        ; implicit-def: $vgpr2_vgpr3
	s_and_saveexec_b64 s[4:5], vcc
	s_xor_b64 s[6:7], exec, s[4:5]
	s_cbranch_execz .LBB133_62
; %bb.53:
	s_mov_b32 s4, 0x401fffff
	v_cmp_lt_u32_e32 vcc, s4, v1
                                        ; implicit-def: $vgpr2_vgpr3
	s_and_saveexec_b64 s[4:5], vcc
	s_xor_b64 s[12:13], exec, s[4:5]
	s_cbranch_execz .LBB133_59
; %bb.54:
	s_mov_b32 s4, 0x438fffff
	v_cmp_lt_u32_e32 vcc, s4, v1
                                        ; implicit-def: $vgpr2_vgpr3
	s_and_saveexec_b64 s[4:5], vcc
	s_xor_b64 s[14:15], exec, s[4:5]
	s_cbranch_execz .LBB133_56
; %bb.55:
	v_frexp_mant_f64_e64 v[2:3], |v[4:5]|
	s_mov_b32 s5, 0x3fe55555
	s_mov_b32 s4, 0x55555555
	;; [unrolled: 1-line block ×4, first 2 shown]
	v_cmp_gt_f64_e32 vcc, s[4:5], v[2:3]
	s_mov_b32 s4, 0x55555780
	v_cndmask_b32_e64 v0, 0, 1, vcc
	v_ldexp_f64 v[2:3], v[2:3], v0
	v_frexp_exp_i32_f64_e32 v0, v[4:5]
	v_add_f64 v[6:7], v[2:3], 1.0
	v_add_f64 v[12:13], v[2:3], -1.0
	v_subbrev_co_u32_e32 v0, vcc, 0, v0, vcc
	v_rcp_f64_e32 v[8:9], v[6:7]
	v_add_f64 v[14:15], v[6:7], -1.0
	v_add_f64 v[2:3], v[2:3], -v[14:15]
	v_fma_f64 v[10:11], -v[6:7], v[8:9], 1.0
	v_fma_f64 v[8:9], v[10:11], v[8:9], v[8:9]
	v_fma_f64 v[10:11], -v[6:7], v[8:9], 1.0
	v_fma_f64 v[8:9], v[10:11], v[8:9], v[8:9]
	v_mul_f64 v[10:11], v[12:13], v[8:9]
	v_mul_f64 v[16:17], v[6:7], v[10:11]
	v_fma_f64 v[6:7], v[10:11], v[6:7], -v[16:17]
	v_fma_f64 v[2:3], v[10:11], v[2:3], v[6:7]
	v_add_f64 v[6:7], v[16:17], v[2:3]
	v_add_f64 v[14:15], v[12:13], -v[6:7]
	v_add_f64 v[16:17], v[6:7], -v[16:17]
	;; [unrolled: 1-line block ×5, first 2 shown]
	v_mov_b32_e32 v12, 0x6b47b09a
	v_mov_b32_e32 v13, 0x3fc38538
	v_add_f64 v[2:3], v[2:3], v[6:7]
	v_add_f64 v[2:3], v[14:15], v[2:3]
	v_mul_f64 v[2:3], v[8:9], v[2:3]
	v_add_f64 v[6:7], v[10:11], v[2:3]
	v_mul_f64 v[8:9], v[6:7], v[6:7]
	v_fma_f64 v[12:13], v[8:9], s[16:17], v[12:13]
	s_mov_b32 s16, 0xd7f4df2e
	s_mov_b32 s17, 0x3fc7474d
	v_mul_f64 v[14:15], v[6:7], v[8:9]
	v_fma_f64 v[12:13], v[8:9], v[12:13], s[16:17]
	s_mov_b32 s16, 0x16291751
	s_mov_b32 s17, 0x3fcc71c0
	v_fma_f64 v[12:13], v[8:9], v[12:13], s[16:17]
	s_mov_b32 s16, 0x9b27acf1
	s_mov_b32 s17, 0x3fd24924
	;; [unrolled: 3-line block ×3, first 2 shown]
	v_fma_f64 v[12:13], v[8:9], v[12:13], s[16:17]
	v_fma_f64 v[8:9], v[8:9], v[12:13], s[4:5]
	v_ldexp_f64 v[12:13], v[6:7], 1
	v_add_f64 v[6:7], v[6:7], -v[10:11]
	s_mov_b32 s4, 0xfefa39ef
	s_mov_b32 s5, 0x3fe62e42
	v_mul_f64 v[8:9], v[14:15], v[8:9]
	v_cvt_f64_i32_e32 v[14:15], v0
	v_add_f64 v[2:3], v[2:3], -v[6:7]
	v_mov_b32_e32 v0, 0x7ff00000
	v_mul_f64 v[16:17], v[14:15], s[4:5]
	v_add_f64 v[10:11], v[12:13], v[8:9]
	v_ldexp_f64 v[2:3], v[2:3], 1
	v_add_f64 v[6:7], v[10:11], -v[12:13]
	v_fma_f64 v[12:13], v[14:15], s[4:5], -v[16:17]
	s_mov_b32 s4, 0x3b39803f
	s_mov_b32 s5, 0x3c7abc9e
	v_add_f64 v[6:7], v[8:9], -v[6:7]
	v_fma_f64 v[8:9], v[14:15], s[4:5], v[12:13]
	s_mov_b32 s4, 0
	s_mov_b32 s5, 0x7ff00000
	v_cmp_neq_f64_e64 vcc, |v[4:5]|, s[4:5]
	v_cmp_neq_f64_e64 s[4:5], 0, v[4:5]
	v_add_f64 v[2:3], v[2:3], v[6:7]
	v_add_f64 v[6:7], v[16:17], v[8:9]
	;; [unrolled: 1-line block ×3, first 2 shown]
	v_add_f64 v[16:17], v[6:7], -v[16:17]
	v_add_f64 v[14:15], v[6:7], v[12:13]
	v_add_f64 v[10:11], v[12:13], -v[10:11]
	v_add_f64 v[8:9], v[8:9], -v[16:17]
	;; [unrolled: 1-line block ×6, first 2 shown]
	v_add_f64 v[12:13], v[8:9], v[2:3]
	v_add_f64 v[6:7], v[6:7], -v[20:21]
	v_add_f64 v[6:7], v[10:11], v[6:7]
	v_add_f64 v[10:11], v[12:13], -v[8:9]
	;; [unrolled: 2-line block ×3, first 2 shown]
	v_add_f64 v[2:3], v[2:3], -v[10:11]
	v_add_f64 v[16:17], v[14:15], v[6:7]
	v_add_f64 v[8:9], v[8:9], -v[12:13]
	v_add_f64 v[10:11], v[16:17], -v[14:15]
	v_add_f64 v[2:3], v[2:3], v[8:9]
	v_add_f64 v[6:7], v[6:7], -v[10:11]
	v_add_f64 v[2:3], v[2:3], v[6:7]
	v_mov_b32_e32 v6, 0xfff00000
	v_add_f64 v[2:3], v[16:17], v[2:3]
	v_cndmask_b32_e32 v0, v0, v3, vcc
	s_and_b64 vcc, s[4:5], vcc
	v_cndmask_b32_e64 v3, v6, v0, s[4:5]
	v_cndmask_b32_e32 v2, 0, v2, vcc
	v_fma_f64 v[2:3], |v[4:5]|, v[2:3], -|v[4:5]|
.LBB133_56:
	s_andn2_saveexec_b64 s[14:15], s[14:15]
	s_cbranch_execz .LBB133_58
; %bb.57:
	v_frexp_mant_f64_e64 v[2:3], |v[4:5]|
	s_mov_b32 s5, 0x3fe55555
	s_mov_b32 s4, 0x55555555
	;; [unrolled: 1-line block ×6, first 2 shown]
	v_cmp_gt_f64_e32 vcc, s[4:5], v[2:3]
	s_mov_b32 s4, 0x55555780
	v_cndmask_b32_e64 v0, 0, 1, vcc
	v_ldexp_f64 v[6:7], v[2:3], v0
	v_frexp_exp_i32_f64_e32 v0, v[4:5]
	v_add_f64 v[8:9], v[6:7], 1.0
	v_add_f64 v[12:13], v[6:7], -1.0
	v_subbrev_co_u32_e32 v0, vcc, 0, v0, vcc
	v_rcp_f64_e32 v[2:3], v[8:9]
	v_add_f64 v[14:15], v[8:9], -1.0
	v_add_f64 v[6:7], v[6:7], -v[14:15]
	v_fma_f64 v[10:11], -v[8:9], v[2:3], 1.0
	v_fma_f64 v[2:3], v[10:11], v[2:3], v[2:3]
	v_fma_f64 v[10:11], -v[8:9], v[2:3], 1.0
	v_fma_f64 v[10:11], v[10:11], v[2:3], v[2:3]
	v_mul_f64 v[2:3], v[12:13], v[10:11]
	v_mul_f64 v[16:17], v[8:9], v[2:3]
	v_fma_f64 v[8:9], v[2:3], v[8:9], -v[16:17]
	v_fma_f64 v[6:7], v[2:3], v[6:7], v[8:9]
	v_add_f64 v[8:9], v[16:17], v[6:7]
	v_add_f64 v[14:15], v[12:13], -v[8:9]
	v_add_f64 v[16:17], v[8:9], -v[16:17]
	;; [unrolled: 1-line block ×5, first 2 shown]
	v_mov_b32_e32 v12, 0x6b47b09a
	v_mov_b32_e32 v13, 0x3fc38538
	v_add_f64 v[6:7], v[6:7], v[8:9]
	v_add_f64 v[6:7], v[14:15], v[6:7]
	v_mul_f64 v[6:7], v[10:11], v[6:7]
	v_add_f64 v[8:9], v[2:3], v[6:7]
	v_mul_f64 v[10:11], v[8:9], v[8:9]
	v_ldexp_f64 v[18:19], v[8:9], 1
	v_add_f64 v[2:3], v[8:9], -v[2:3]
	v_fma_f64 v[12:13], v[10:11], s[16:17], v[12:13]
	s_mov_b32 s16, 0xd7f4df2e
	s_mov_b32 s17, 0x3fc7474d
	v_mul_f64 v[14:15], v[8:9], v[10:11]
	v_add_f64 v[2:3], v[6:7], -v[2:3]
	v_fma_f64 v[12:13], v[10:11], v[12:13], s[16:17]
	s_mov_b32 s16, 0x16291751
	s_mov_b32 s17, 0x3fcc71c0
	v_ldexp_f64 v[2:3], v[2:3], 1
	v_fma_f64 v[12:13], v[10:11], v[12:13], s[16:17]
	s_mov_b32 s16, 0x9b27acf1
	s_mov_b32 s17, 0x3fd24924
	v_fma_f64 v[12:13], v[10:11], v[12:13], s[16:17]
	s_mov_b32 s16, 0x998ef7b6
	s_mov_b32 s17, 0x3fd99999
	;; [unrolled: 3-line block ×3, first 2 shown]
	v_fma_f64 v[10:11], v[10:11], v[12:13], s[4:5]
	v_and_b32_e32 v13, 0x7fffffff, v5
	v_mov_b32_e32 v12, v4
	v_div_scale_f64 v[16:17], s[4:5], v[12:13], v[12:13], 1.0
	s_mov_b32 s4, 0xfefa39ef
	s_mov_b32 s5, 0x3fe62e42
	v_div_scale_f64 v[12:13], vcc, 1.0, v[12:13], 1.0
	v_mul_f64 v[10:11], v[14:15], v[10:11]
	v_cvt_f64_i32_e32 v[14:15], v0
	v_mov_b32_e32 v0, 0x7ff00000
	v_mul_f64 v[22:23], v[14:15], s[4:5]
	v_add_f64 v[8:9], v[18:19], v[10:11]
	v_rcp_f64_e32 v[20:21], v[16:17]
	v_add_f64 v[6:7], v[8:9], -v[18:19]
	v_fma_f64 v[18:19], v[14:15], s[4:5], -v[22:23]
	s_mov_b32 s4, 0x3b39803f
	s_mov_b32 s5, 0x3c7abc9e
	v_add_f64 v[6:7], v[10:11], -v[6:7]
	v_fma_f64 v[14:15], v[14:15], s[4:5], v[18:19]
	v_fma_f64 v[10:11], -v[16:17], v[20:21], 1.0
	s_mov_b32 s4, 0xb9e43e4
	s_mov_b32 s5, 0xbf5ab89d
	v_add_f64 v[2:3], v[2:3], v[6:7]
	v_fma_f64 v[6:7], v[20:21], v[10:11], v[20:21]
	v_add_f64 v[10:11], v[22:23], v[14:15]
	v_add_f64 v[18:19], v[8:9], v[2:3]
	v_fma_f64 v[20:21], -v[16:17], v[6:7], 1.0
	v_add_f64 v[22:23], v[10:11], -v[22:23]
	v_add_f64 v[24:25], v[10:11], v[18:19]
	v_add_f64 v[8:9], v[18:19], -v[8:9]
	v_fma_f64 v[6:7], v[6:7], v[20:21], v[6:7]
	v_add_f64 v[14:15], v[14:15], -v[22:23]
	v_add_f64 v[20:21], v[24:25], -v[10:11]
	;; [unrolled: 1-line block ×3, first 2 shown]
	v_mul_f64 v[26:27], v[12:13], v[6:7]
	v_add_f64 v[28:29], v[24:25], -v[20:21]
	v_add_f64 v[8:9], v[18:19], -v[20:21]
	v_fma_f64 v[12:13], -v[16:17], v[26:27], v[12:13]
	v_mov_b32_e32 v20, 0x4cdad5d1
	v_mov_b32_e32 v21, 0x3f4b67ba
	v_add_f64 v[10:11], v[10:11], -v[28:29]
	v_div_fmas_f64 v[6:7], v[12:13], v[6:7], v[26:27]
	v_add_f64 v[12:13], v[14:15], v[2:3]
	v_cmp_neq_f64_e64 vcc, |v[4:5]|, s[18:19]
	v_add_f64 v[8:9], v[8:9], v[10:11]
	v_add_f64 v[10:11], v[12:13], -v[14:15]
	v_add_f64 v[8:9], v[12:13], v[8:9]
	v_div_fixup_f64 v[6:7], v[6:7], |v[4:5]|, 1.0
	v_add_f64 v[12:13], v[12:13], -v[10:11]
	v_add_f64 v[2:3], v[2:3], -v[10:11]
	v_add_f64 v[16:17], v[24:25], v[8:9]
	v_mul_f64 v[18:19], v[6:7], v[6:7]
	v_add_f64 v[10:11], v[14:15], -v[12:13]
	v_add_f64 v[12:13], v[16:17], -v[24:25]
	v_fma_f64 v[14:15], v[18:19], s[4:5], v[20:21]
	s_mov_b32 s4, 0x8c0fe741
	s_mov_b32 s5, 0xbf4380cb
	v_add_f64 v[2:3], v[2:3], v[10:11]
	v_add_f64 v[8:9], v[8:9], -v[12:13]
	v_mov_b32_e32 v12, 0xfff00000
	v_fma_f64 v[10:11], v[18:19], v[14:15], s[4:5]
	s_mov_b32 s4, 0x98cf38b6
	s_mov_b32 s5, 0x3f4a019f
	v_add_f64 v[2:3], v[2:3], v[8:9]
	v_fma_f64 v[8:9], v[18:19], v[10:11], s[4:5]
	s_mov_b32 s4, 0x16b02e5c
	s_mov_b32 s5, 0xbf66c16c
	v_add_f64 v[10:11], |v[4:5]|, -0.5
	v_add_f64 v[2:3], v[16:17], v[2:3]
	v_fma_f64 v[8:9], v[18:19], v[8:9], s[4:5]
	s_mov_b32 s4, 0x5555553b
	s_mov_b32 s5, 0x3fb55555
	v_add_f64 v[2:3], v[2:3], -1.0
	v_fma_f64 v[8:9], v[18:19], v[8:9], s[4:5]
	v_cmp_neq_f64_e64 s[4:5], 0, v[4:5]
	v_cndmask_b32_e32 v0, v0, v3, vcc
	v_fma_f64 v[6:7], v[6:7], v[8:9], s[16:17]
	s_and_b64 vcc, s[4:5], vcc
	v_cndmask_b32_e64 v3, v12, v0, s[4:5]
	v_cndmask_b32_e32 v2, 0, v2, vcc
	v_fma_f64 v[2:3], v[10:11], v[2:3], v[6:7]
.LBB133_58:
	s_or_b64 exec, exec, s[14:15]
.LBB133_59:
	s_andn2_saveexec_b64 s[12:13], s[12:13]
	s_cbranch_execz .LBB133_61
; %bb.60:
	v_cvt_i32_f64_e32 v0, v[0:1]
	s_mov_b32 s4, 0xdd17e945
	v_mov_b32_e32 v6, 0x7368f239
	v_mov_b32_e32 v7, 0x3f5e26b6
	v_cvt_f64_i32_e32 v[2:3], v0
	s_mov_b32 s5, 0x3f00bfec
	s_mov_b32 s14, 0xa5b38140
	v_mov_b32_e32 v8, 0xca41a95b
	v_add_f64 v[2:3], |v[4:5]|, -v[2:3]
	v_mov_b32_e32 v9, 0x3f497dda
	s_mov_b32 s15, 0x3edebaf7
	v_mov_b32_e32 v20, 0x3ff00000
	v_cmp_lt_i32_e32 vcc, 2, v0
	v_fma_f64 v[6:7], v[2:3], s[4:5], v[6:7]
	s_mov_b32 s4, 0x7e939961
	s_mov_b32 s5, 0x3f9b481c
	v_fma_f64 v[8:9], v[2:3], s[14:15], v[8:9]
	s_mov_b32 s14, 0x742ed475
	s_mov_b32 s15, 0x3f9317ea
	v_add_f64 v[16:17], v[2:3], 4.0
	v_fma_f64 v[6:7], v[2:3], v[6:7], s[4:5]
	s_mov_b32 s4, 0xbee5f2f7
	s_mov_b32 s5, 0x3fc2bb9c
	v_fma_f64 v[8:9], v[2:3], v[8:9], s[14:15]
	s_mov_b32 s14, 0xccfbdf27
	s_mov_b32 s15, 0x3fc601ed
	;; [unrolled: 3-line block ×8, first 2 shown]
	v_fma_f64 v[10:11], v[2:3], v[6:7], s[4:5]
	v_fma_f64 v[6:7], v[2:3], v[8:9], 1.0
	v_mul_f64 v[8:9], v[2:3], v[10:11]
	v_add_f64 v[10:11], v[2:3], 2.0
	v_div_scale_f64 v[12:13], s[4:5], v[6:7], v[6:7], v[8:9]
	s_mov_b32 s4, 0
	s_mov_b32 s5, 0x40080000
	v_add_f64 v[14:15], v[2:3], s[4:5]
	v_cndmask_b32_e32 v11, v20, v11, vcc
	v_cndmask_b32_e32 v10, 0, v10, vcc
	v_cmp_lt_i32_e32 vcc, 3, v0
	s_mov_b32 s4, 0
	s_mov_b32 s5, 0x40140000
	v_add_f64 v[18:19], v[2:3], s[4:5]
	s_mov_b32 s4, 0
	v_cndmask_b32_e32 v15, v20, v15, vcc
	v_cndmask_b32_e32 v14, 0, v14, vcc
	v_mul_f64 v[10:11], v[10:11], v[14:15]
	v_cmp_lt_i32_e32 vcc, 4, v0
	v_cndmask_b32_e32 v17, v20, v17, vcc
	v_cndmask_b32_e32 v16, 0, v16, vcc
	v_rcp_f64_e32 v[14:15], v[12:13]
	s_mov_b32 s5, 0x40180000
	v_cmp_lt_i32_e32 vcc, 5, v0
	v_cndmask_b32_e32 v19, v20, v19, vcc
	v_mul_f64 v[10:11], v[16:17], v[10:11]
	v_add_f64 v[16:17], v[2:3], s[4:5]
	v_cndmask_b32_e32 v18, 0, v18, vcc
	v_cmp_lt_i32_e32 vcc, 6, v0
	v_mul_f64 v[10:11], v[18:19], v[10:11]
	v_cndmask_b32_e32 v17, v20, v17, vcc
	v_cndmask_b32_e32 v16, 0, v16, vcc
	v_fma_f64 v[18:19], -v[12:13], v[14:15], 1.0
	v_mul_f64 v[10:11], v[16:17], v[10:11]
	v_div_scale_f64 v[16:17], vcc, v[8:9], v[6:7], v[8:9]
	v_fma_f64 v[14:15], v[14:15], v[18:19], v[14:15]
	v_frexp_mant_f64_e32 v[20:21], v[10:11]
	v_fma_f64 v[18:19], -v[12:13], v[14:15], 1.0
	v_cmp_gt_f64_e64 s[4:5], s[14:15], v[20:21]
	s_mov_b32 s14, 0x55555780
	v_fma_f64 v[18:19], v[14:15], v[18:19], v[14:15]
	v_cndmask_b32_e64 v0, 0, 1, s[4:5]
	v_ldexp_f64 v[14:15], v[20:21], v0
	v_frexp_exp_i32_f64_e32 v0, v[10:11]
	v_mul_f64 v[20:21], v[16:17], v[18:19]
	v_add_f64 v[22:23], v[14:15], 1.0
	v_fma_f64 v[12:13], -v[12:13], v[20:21], v[16:17]
	v_rcp_f64_e32 v[16:17], v[22:23]
	v_div_fmas_f64 v[12:13], v[12:13], v[18:19], v[20:21]
	v_add_f64 v[20:21], v[22:23], -1.0
	v_subbrev_co_u32_e64 v0, vcc, 0, v0, s[4:5]
	s_mov_b32 s4, 0xfefa39ef
	s_mov_b32 s5, 0x3fe62e42
	v_fma_f64 v[24:25], -v[22:23], v[16:17], 1.0
	v_div_fixup_f64 v[6:7], v[12:13], v[6:7], v[8:9]
	v_mov_b32_e32 v12, 0xfff00000
	v_fma_f64 v[16:17], v[24:25], v[16:17], v[16:17]
	v_fma_f64 v[2:3], v[2:3], 0.5, v[6:7]
	v_fma_f64 v[18:19], -v[22:23], v[16:17], 1.0
	v_fma_f64 v[16:17], v[18:19], v[16:17], v[16:17]
	v_add_f64 v[18:19], v[14:15], -1.0
	v_add_f64 v[14:15], v[14:15], -v[20:21]
	v_mul_f64 v[20:21], v[18:19], v[16:17]
	v_mul_f64 v[24:25], v[22:23], v[20:21]
	v_fma_f64 v[22:23], v[20:21], v[22:23], -v[24:25]
	v_fma_f64 v[14:15], v[20:21], v[14:15], v[22:23]
	v_add_f64 v[22:23], v[24:25], v[14:15]
	v_add_f64 v[24:25], v[22:23], -v[24:25]
	v_add_f64 v[14:15], v[24:25], -v[14:15]
	;; [unrolled: 1-line block ×5, first 2 shown]
	v_add_f64 v[14:15], v[14:15], v[18:19]
	v_cvt_f64_i32_e32 v[18:19], v0
	v_mov_b32_e32 v0, 0x7ff80000
	v_mul_f64 v[22:23], v[18:19], s[4:5]
	v_add_f64 v[14:15], v[24:25], v[14:15]
	v_mul_f64 v[14:15], v[16:17], v[14:15]
	v_fma_f64 v[16:17], v[18:19], s[4:5], -v[22:23]
	s_mov_b32 s4, 0x3b39803f
	s_mov_b32 s5, 0x3c7abc9e
	v_fma_f64 v[16:17], v[18:19], s[4:5], v[16:17]
	v_add_f64 v[18:19], v[20:21], v[14:15]
	s_mov_b32 s4, 0xbf559e2b
	s_mov_b32 s5, 0x3fc3ab76
	v_add_f64 v[20:21], v[18:19], -v[20:21]
	v_mul_f64 v[24:25], v[18:19], v[18:19]
	v_add_f64 v[14:15], v[14:15], -v[20:21]
	v_mov_b32_e32 v20, 0x6b47b09a
	v_mov_b32_e32 v21, 0x3fc38538
	v_fma_f64 v[20:21], v[24:25], s[4:5], v[20:21]
	s_mov_b32 s4, 0xd7f4df2e
	s_mov_b32 s5, 0x3fc7474d
	v_ldexp_f64 v[14:15], v[14:15], 1
	v_fma_f64 v[20:21], v[24:25], v[20:21], s[4:5]
	s_mov_b32 s4, 0x16291751
	s_mov_b32 s5, 0x3fcc71c0
	v_fma_f64 v[20:21], v[24:25], v[20:21], s[4:5]
	s_mov_b32 s4, 0x9b27acf1
	s_mov_b32 s5, 0x3fd24924
	v_fma_f64 v[20:21], v[24:25], v[20:21], s[4:5]
	s_mov_b32 s4, 0x998ef7b6
	s_mov_b32 s5, 0x3fd99999
	v_fma_f64 v[20:21], v[24:25], v[20:21], s[4:5]
	s_movk_i32 s4, 0x204
	v_cmp_class_f64_e64 vcc, v[10:11], s4
	v_fma_f64 v[20:21], v[24:25], v[20:21], s[14:15]
	v_mul_f64 v[24:25], v[18:19], v[24:25]
	v_ldexp_f64 v[18:19], v[18:19], 1
	v_mul_f64 v[20:21], v[24:25], v[20:21]
	v_add_f64 v[24:25], v[18:19], v[20:21]
	v_add_f64 v[18:19], v[24:25], -v[18:19]
	v_add_f64 v[18:19], v[20:21], -v[18:19]
	v_add_f64 v[14:15], v[14:15], v[18:19]
	v_add_f64 v[18:19], v[22:23], v[16:17]
	v_add_f64 v[20:21], v[18:19], -v[22:23]
	v_add_f64 v[16:17], v[16:17], -v[20:21]
	v_add_f64 v[20:21], v[24:25], v[14:15]
	v_add_f64 v[22:23], v[20:21], -v[24:25]
	v_add_f64 v[24:25], v[18:19], v[20:21]
	v_add_f64 v[14:15], v[14:15], -v[22:23]
	v_add_f64 v[26:27], v[24:25], -v[18:19]
	;; [unrolled: 1-line block ×5, first 2 shown]
	v_add_f64 v[18:19], v[20:21], v[18:19]
	v_add_f64 v[20:21], v[16:17], v[14:15]
	v_add_f64 v[22:23], v[20:21], -v[16:17]
	v_add_f64 v[18:19], v[20:21], v[18:19]
	v_add_f64 v[20:21], v[20:21], -v[22:23]
	v_add_f64 v[14:15], v[14:15], -v[22:23]
	;; [unrolled: 1-line block ×3, first 2 shown]
	v_add_f64 v[20:21], v[24:25], v[18:19]
	v_add_f64 v[14:15], v[14:15], v[16:17]
	v_add_f64 v[22:23], v[20:21], -v[24:25]
	v_add_f64 v[16:17], v[18:19], -v[22:23]
	v_add_f64 v[14:15], v[14:15], v[16:17]
	v_add_f64 v[8:9], v[20:21], v[14:15]
	v_cndmask_b32_e32 v6, v8, v10, vcc
	v_cndmask_b32_e32 v7, v9, v11, vcc
	v_cmp_ngt_f64_e32 vcc, 0, v[10:11]
	v_cndmask_b32_e32 v0, v0, v7, vcc
	v_cmp_nge_f64_e32 vcc, 0, v[10:11]
	v_cndmask_b32_e32 v6, 0, v6, vcc
	v_cmp_neq_f64_e32 vcc, 0, v[10:11]
	v_cndmask_b32_e32 v7, v12, v0, vcc
	v_add_f64 v[2:3], v[2:3], v[6:7]
.LBB133_61:
	s_or_b64 exec, exec, s[12:13]
.LBB133_62:
	s_andn2_saveexec_b64 s[12:13], s[6:7]
	s_cbranch_execz .LBB133_76
; %bb.63:
	s_mov_b32 s4, 0x3feccccc
	v_cmp_lt_u32_e32 vcc, s4, v1
                                        ; implicit-def: $vgpr0
                                        ; implicit-def: $vgpr6_vgpr7
	s_and_saveexec_b64 s[4:5], vcc
	s_xor_b64 s[4:5], exec, s[4:5]
	s_cbranch_execz .LBB133_65
; %bb.64:
	s_mov_b32 s6, 0x6356be3f
	s_mov_b32 s7, 0xbff762d8
	v_add_f64 v[2:3], -|v[4:5]|, 2.0
	v_add_f64 v[6:7], |v[4:5]|, s[6:7]
	v_add_f64 v[8:9], |v[4:5]|, -1.0
	s_mov_b32 s6, 0x3ffbb4c3
	v_cmp_gt_u32_e32 vcc, s6, v1
	s_mov_b32 s6, 0x3ff3b4c4
	v_cndmask_b32_e32 v0, v2, v6, vcc
	v_cndmask_b32_e32 v2, v3, v7, vcc
	v_cndmask_b32_e64 v3, 0, 1, vcc
	v_cmp_gt_u32_e32 vcc, s6, v1
	v_cndmask_b32_e32 v7, v2, v9, vcc
	v_cndmask_b32_e32 v6, v0, v8, vcc
	v_cndmask_b32_e64 v0, v3, 2, vcc
.LBB133_65:
	s_or_saveexec_b64 s[14:15], s[4:5]
	v_mov_b32_e32 v2, 0
	v_mov_b32_e32 v3, 0
	s_xor_b64 exec, exec, s[14:15]
	s_cbranch_execz .LBB133_67
; %bb.66:
	v_frexp_mant_f64_e64 v[2:3], |v[4:5]|
	s_mov_b32 s5, 0x3fe55555
	s_mov_b32 s4, 0x55555555
	;; [unrolled: 1-line block ×5, first 2 shown]
	v_cmp_gt_f64_e32 vcc, s[4:5], v[2:3]
	s_mov_b32 s4, 0x55555780
	v_cndmask_b32_e64 v0, 0, 1, vcc
	v_ldexp_f64 v[2:3], v[2:3], v0
	v_frexp_exp_i32_f64_e32 v0, v[4:5]
	v_add_f64 v[6:7], v[2:3], 1.0
	v_add_f64 v[12:13], v[2:3], -1.0
	v_subbrev_co_u32_e32 v0, vcc, 0, v0, vcc
	v_rcp_f64_e32 v[8:9], v[6:7]
	v_add_f64 v[14:15], v[6:7], -1.0
	v_add_f64 v[2:3], v[2:3], -v[14:15]
	v_fma_f64 v[10:11], -v[6:7], v[8:9], 1.0
	v_fma_f64 v[8:9], v[10:11], v[8:9], v[8:9]
	v_fma_f64 v[10:11], -v[6:7], v[8:9], 1.0
	v_fma_f64 v[8:9], v[10:11], v[8:9], v[8:9]
	v_mul_f64 v[10:11], v[12:13], v[8:9]
	v_mul_f64 v[16:17], v[6:7], v[10:11]
	v_fma_f64 v[6:7], v[10:11], v[6:7], -v[16:17]
	v_fma_f64 v[2:3], v[10:11], v[2:3], v[6:7]
	v_add_f64 v[6:7], v[16:17], v[2:3]
	v_add_f64 v[14:15], v[12:13], -v[6:7]
	v_add_f64 v[16:17], v[6:7], -v[16:17]
	;; [unrolled: 1-line block ×5, first 2 shown]
	v_mov_b32_e32 v12, 0x6b47b09a
	v_mov_b32_e32 v13, 0x3fc38538
	v_add_f64 v[2:3], v[2:3], v[6:7]
	v_add_f64 v[2:3], v[14:15], v[2:3]
	v_mul_f64 v[2:3], v[8:9], v[2:3]
	v_add_f64 v[6:7], v[10:11], v[2:3]
	v_mul_f64 v[8:9], v[6:7], v[6:7]
	v_fma_f64 v[12:13], v[8:9], s[6:7], v[12:13]
	s_mov_b32 s6, 0xd7f4df2e
	s_mov_b32 s7, 0x3fc7474d
	v_mul_f64 v[14:15], v[6:7], v[8:9]
	v_fma_f64 v[12:13], v[8:9], v[12:13], s[6:7]
	s_mov_b32 s6, 0x16291751
	s_mov_b32 s7, 0x3fcc71c0
	v_fma_f64 v[12:13], v[8:9], v[12:13], s[6:7]
	s_mov_b32 s6, 0x9b27acf1
	s_mov_b32 s7, 0x3fd24924
	v_fma_f64 v[12:13], v[8:9], v[12:13], s[6:7]
	s_mov_b32 s6, 0x998ef7b6
	s_mov_b32 s7, 0x3fd99999
	v_fma_f64 v[12:13], v[8:9], v[12:13], s[6:7]
	s_mov_b32 s6, 0x8d5af8fc
	s_mov_b32 s7, 0xbfdd8b61
	v_fma_f64 v[8:9], v[8:9], v[12:13], s[4:5]
	v_ldexp_f64 v[12:13], v[6:7], 1
	v_add_f64 v[6:7], v[6:7], -v[10:11]
	s_mov_b32 s4, 0xfefa39ef
	s_mov_b32 s5, 0x3fe62e42
	v_mul_f64 v[8:9], v[14:15], v[8:9]
	v_cvt_f64_i32_e32 v[14:15], v0
	v_add_f64 v[2:3], v[2:3], -v[6:7]
	v_and_b32_e32 v0, 0x7fffffff, v5
	v_mul_f64 v[16:17], v[14:15], s[4:5]
	v_add_f64 v[10:11], v[12:13], v[8:9]
	v_ldexp_f64 v[2:3], v[2:3], 1
	v_add_f64 v[6:7], v[10:11], -v[12:13]
	v_fma_f64 v[12:13], v[14:15], s[4:5], -v[16:17]
	s_mov_b32 s4, 0x3b39803f
	s_mov_b32 s5, 0x3c7abc9e
	v_add_f64 v[6:7], v[8:9], -v[6:7]
	v_fma_f64 v[8:9], v[14:15], s[4:5], v[12:13]
	s_mov_b32 s4, 0
	s_mov_b32 s5, 0x7ff00000
	v_cmp_neq_f64_e64 vcc, |v[4:5]|, s[4:5]
	v_cmp_neq_f64_e64 s[4:5], 0, v[4:5]
	v_add_f64 v[2:3], v[2:3], v[6:7]
	v_add_f64 v[6:7], v[16:17], v[8:9]
	v_add_f64 v[12:13], v[10:11], v[2:3]
	v_add_f64 v[16:17], v[6:7], -v[16:17]
	v_add_f64 v[14:15], v[6:7], v[12:13]
	v_add_f64 v[10:11], v[12:13], -v[10:11]
	v_add_f64 v[8:9], v[8:9], -v[16:17]
	;; [unrolled: 1-line block ×6, first 2 shown]
	v_add_f64 v[12:13], v[8:9], v[2:3]
	v_add_f64 v[6:7], v[6:7], -v[20:21]
	v_add_f64 v[6:7], v[10:11], v[6:7]
	v_add_f64 v[10:11], v[12:13], -v[8:9]
	;; [unrolled: 2-line block ×3, first 2 shown]
	v_add_f64 v[2:3], v[2:3], -v[10:11]
	v_add_f64 v[16:17], v[14:15], v[6:7]
	v_add_f64 v[8:9], v[8:9], -v[12:13]
	v_add_f64 v[10:11], v[16:17], -v[14:15]
	v_add_f64 v[2:3], v[2:3], v[8:9]
	v_add_f64 v[8:9], |v[4:5]|, s[6:7]
	s_mov_b32 s6, 0x3fe76944
	v_cmp_gt_u32_e64 s[6:7], s6, v1
	v_add_f64 v[6:7], v[6:7], -v[10:11]
	v_mov_b32_e32 v10, 0xfff00000
	v_mov_b32_e32 v11, 0x7ff00000
	v_add_f64 v[2:3], v[2:3], v[6:7]
	v_add_f64 v[6:7], -|v[4:5]|, 1.0
	v_add_f64 v[2:3], v[16:17], v[2:3]
	v_cndmask_b32_e64 v6, v6, v8, s[6:7]
	v_cndmask_b32_e64 v7, v7, v9, s[6:7]
	;; [unrolled: 1-line block ×3, first 2 shown]
	v_cmp_gt_u32_e64 s[6:7], s16, v1
	v_cndmask_b32_e64 v7, v7, v0, s[6:7]
	v_cndmask_b32_e64 v6, v6, v4, s[6:7]
	;; [unrolled: 1-line block ×3, first 2 shown]
	v_xor_b32_e32 v3, 0x80000000, v3
	v_cndmask_b32_e32 v3, v10, v3, vcc
	s_and_b64 vcc, s[4:5], vcc
	v_cndmask_b32_e64 v3, v11, v3, s[4:5]
	v_cndmask_b32_e32 v2, 0, v2, vcc
.LBB133_67:
	s_or_b64 exec, exec, s[14:15]
	v_cmp_lt_i32_e32 vcc, 1, v0
                                        ; implicit-def: $vgpr10_vgpr11
	s_and_saveexec_b64 s[4:5], vcc
	s_xor_b64 s[4:5], exec, s[4:5]
	s_cbranch_execz .LBB133_69
; %bb.68:
	s_mov_b32 s6, 0xbf2bab09
	v_mov_b32_e32 v8, 0xf6010924
	v_mov_b32_e32 v9, 0x3fcd4eae
	s_mov_b32 s7, 0x3f8b678b
	v_fma_f64 v[8:9], v[6:7], s[6:7], v[8:9]
	s_mov_b32 s6, 0x44ea8450
	s_mov_b32 s14, 0x57d0cf61
	;; [unrolled: 1-line block ×3, first 2 shown]
	v_mov_b32_e32 v10, 0xd6537c88
	v_mov_b32_e32 v11, 0x3fbaae55
	s_mov_b32 s15, 0x3f6a5abb
	v_fma_f64 v[10:11], v[6:7], s[14:15], v[10:11]
	v_fma_f64 v[8:9], v[6:7], v[8:9], s[6:7]
	s_mov_b32 s6, 0xd119bd6f
	s_mov_b32 s14, 0xe45050af
	;; [unrolled: 1-line block ×4, first 2 shown]
                                        ; implicit-def: $vgpr0
	v_fma_f64 v[10:11], v[6:7], v[10:11], s[14:15]
	v_fma_f64 v[8:9], v[6:7], v[8:9], s[6:7]
	s_mov_b32 s6, 0x8b005dff
	s_mov_b32 s14, 0xa42b18f5
	;; [unrolled: 1-line block ×4, first 2 shown]
	v_fma_f64 v[10:11], v[6:7], v[10:11], s[14:15]
	v_fma_f64 v[8:9], v[6:7], v[8:9], s[6:7]
	s_mov_b32 s6, 0xe37db0c8
	s_mov_b32 s14, 0xc2bd619c
	;; [unrolled: 1-line block ×4, first 2 shown]
	v_fma_f64 v[10:11], v[6:7], v[10:11], s[14:15]
	v_fma_f64 v[8:9], v[6:7], v[8:9], s[6:7]
	v_fma_f64 v[10:11], v[6:7], v[10:11], 1.0
	v_mul_f64 v[8:9], v[6:7], v[8:9]
	v_div_scale_f64 v[12:13], s[6:7], v[10:11], v[10:11], v[8:9]
	v_div_scale_f64 v[18:19], vcc, v[8:9], v[10:11], v[8:9]
	v_rcp_f64_e32 v[14:15], v[12:13]
	v_fma_f64 v[16:17], -v[12:13], v[14:15], 1.0
	v_fma_f64 v[14:15], v[14:15], v[16:17], v[14:15]
	v_fma_f64 v[16:17], -v[12:13], v[14:15], 1.0
	v_fma_f64 v[14:15], v[14:15], v[16:17], v[14:15]
	v_mul_f64 v[16:17], v[18:19], v[14:15]
	v_fma_f64 v[12:13], -v[12:13], v[16:17], v[18:19]
	v_div_fmas_f64 v[12:13], v[12:13], v[14:15], v[16:17]
	v_div_fixup_f64 v[8:9], v[12:13], v[10:11], v[8:9]
	v_fma_f64 v[10:11], v[6:7], -0.5, v[8:9]
                                        ; implicit-def: $vgpr6_vgpr7
.LBB133_69:
	s_andn2_saveexec_b64 s[4:5], s[4:5]
	s_cbranch_execz .LBB133_75
; %bb.70:
	v_mul_f64 v[8:9], v[6:7], v[6:7]
	v_cmp_ne_u32_e32 vcc, 1, v0
                                        ; implicit-def: $vgpr10_vgpr11
	s_and_saveexec_b64 s[6:7], vcc
	s_xor_b64 s[6:7], exec, s[6:7]
	s_cbranch_execz .LBB133_72
; %bb.71:
	s_mov_b32 s14, 0x90a45837
	v_mov_b32_e32 v10, 0x987dfb07
	v_mov_b32_e32 v11, 0x3f1c5088
	s_mov_b32 s15, 0x3f07858e
	v_fma_f64 v[10:11], v[8:9], s[14:15], v[10:11]
	s_mov_b32 s14, 0x428cfa52
	v_mov_b32_e32 v12, 0xed10e54d
	v_mov_b32_e32 v13, 0x3f2cf2ec
	s_mov_b32 s15, 0x3efa7074
	v_fma_f64 v[12:13], v[8:9], s[14:15], v[12:13]
	s_mov_b32 s14, 0x89b99c00
	s_mov_b32 s15, 0x3f40b6c6
	v_fma_f64 v[10:11], v[8:9], v[10:11], s[14:15]
	s_mov_b32 s14, 0x116f3f5d
	;; [unrolled: 3-line block ×8, first 2 shown]
	s_mov_b32 s15, 0x3fb3c467
	v_fma_f64 v[12:13], v[8:9], v[12:13], s[14:15]
	v_mul_f64 v[8:9], v[8:9], v[10:11]
	v_fma_f64 v[8:9], v[6:7], v[12:13], v[8:9]
	v_fma_f64 v[10:11], v[6:7], -0.5, v[8:9]
                                        ; implicit-def: $vgpr6_vgpr7
                                        ; implicit-def: $vgpr8_vgpr9
.LBB133_72:
	s_andn2_saveexec_b64 s[6:7], s[6:7]
	s_cbranch_execz .LBB133_74
; %bb.73:
	v_mul_f64 v[10:11], v[6:7], v[8:9]
	s_mov_b32 s14, 0xecc38c38
	v_mov_b32_e32 v14, 0xef61a8e9
	v_mov_b32_e32 v15, 0x3f4cdf0c
	s_mov_b32 s15, 0xbf347f24
	v_mov_b32_e32 v16, 0x9c73e0ec
	v_mov_b32_e32 v17, 0xbf41a610
	s_mov_b32 s16, 0xb3e914d7
	v_fma_f64 v[14:15], v[10:11], s[14:15], v[14:15]
	s_mov_b32 s14, 0xe8c2d3f4
	s_mov_b32 s15, 0x3f35fd3e
	v_fma_f64 v[16:17], v[10:11], s[14:15], v[16:17]
	s_mov_b32 s17, 0xbf6e2eff
	s_mov_b32 s14, 0x6c0ebbf7
	v_mov_b32_e32 v12, 0xbf2d1af1
	v_mov_b32_e32 v13, 0xbf56fe8e
	v_fma_f64 v[14:15], v[10:11], v[14:15], s[16:17]
	s_mov_b32 s16, 0x2e15c915
	s_mov_b32 s17, 0x3f6282d3
	v_fma_f64 v[16:17], v[10:11], v[16:17], s[16:17]
	s_mov_b32 s15, 0x3f34af6d
	v_fma_f64 v[12:13], v[10:11], s[14:15], v[12:13]
	s_mov_b32 s16, 0x970af9ec
	s_mov_b32 s17, 0x3f9266e7
	v_fma_f64 v[14:15], v[10:11], v[14:15], s[16:17]
	s_mov_b32 s16, 0xba91ec6a
	;; [unrolled: 3-line block ×7, first 2 shown]
	s_mov_b32 s15, 0x3fdef72b
	v_fma_f64 v[6:7], v[6:7], v[16:17], v[14:15]
	v_fma_f64 v[12:13], v[10:11], v[12:13], s[14:15]
	s_mov_b32 s14, 0xa48a971f
	s_mov_b32 s15, 0xbc50c7ca
	v_fma_f64 v[6:7], v[10:11], -v[6:7], s[14:15]
	s_mov_b32 s14, 0xbcc38a42
	s_mov_b32 s15, 0xbfbf19b9
	v_fma_f64 v[6:7], v[8:9], v[12:13], -v[6:7]
	v_add_f64 v[10:11], v[6:7], s[14:15]
.LBB133_74:
	s_or_b64 exec, exec, s[6:7]
.LBB133_75:
	s_or_b64 exec, exec, s[4:5]
	v_add_f64 v[2:3], v[2:3], v[10:11]
.LBB133_76:
	s_or_b64 exec, exec, s[12:13]
.LBB133_77:
	s_andn2_saveexec_b64 s[6:7], s[10:11]
	s_cbranch_execz .LBB133_79
; %bb.78:
	v_frexp_mant_f64_e64 v[2:3], |v[4:5]|
	s_mov_b32 s5, 0x3fe55555
	s_mov_b32 s4, 0x55555555
	;; [unrolled: 1-line block ×6, first 2 shown]
	v_cmp_gt_f64_e32 vcc, s[4:5], v[2:3]
	s_mov_b32 s4, 0x55555780
	v_cndmask_b32_e64 v0, 0, 1, vcc
	v_ldexp_f64 v[2:3], v[2:3], v0
	v_frexp_exp_i32_f64_e32 v0, v[4:5]
	v_add_f64 v[6:7], v[2:3], 1.0
	v_add_f64 v[12:13], v[2:3], -1.0
	v_subbrev_co_u32_e32 v0, vcc, 0, v0, vcc
	v_cmp_neq_f64_e64 vcc, |v[4:5]|, s[12:13]
	v_rcp_f64_e32 v[8:9], v[6:7]
	v_add_f64 v[14:15], v[6:7], -1.0
	v_add_f64 v[2:3], v[2:3], -v[14:15]
	v_fma_f64 v[10:11], -v[6:7], v[8:9], 1.0
	v_fma_f64 v[8:9], v[10:11], v[8:9], v[8:9]
	v_fma_f64 v[10:11], -v[6:7], v[8:9], 1.0
	v_fma_f64 v[8:9], v[10:11], v[8:9], v[8:9]
	v_mul_f64 v[10:11], v[12:13], v[8:9]
	v_mul_f64 v[16:17], v[6:7], v[10:11]
	v_fma_f64 v[6:7], v[10:11], v[6:7], -v[16:17]
	v_fma_f64 v[2:3], v[10:11], v[2:3], v[6:7]
	v_add_f64 v[6:7], v[16:17], v[2:3]
	v_add_f64 v[14:15], v[12:13], -v[6:7]
	v_add_f64 v[16:17], v[6:7], -v[16:17]
	;; [unrolled: 1-line block ×5, first 2 shown]
	v_mov_b32_e32 v12, 0x6b47b09a
	v_mov_b32_e32 v13, 0x3fc38538
	v_add_f64 v[2:3], v[2:3], v[6:7]
	v_add_f64 v[2:3], v[14:15], v[2:3]
	v_mul_f64 v[2:3], v[8:9], v[2:3]
	v_add_f64 v[6:7], v[10:11], v[2:3]
	v_mul_f64 v[8:9], v[6:7], v[6:7]
	v_fma_f64 v[12:13], v[8:9], s[10:11], v[12:13]
	s_mov_b32 s10, 0xd7f4df2e
	s_mov_b32 s11, 0x3fc7474d
	v_mul_f64 v[14:15], v[6:7], v[8:9]
	v_fma_f64 v[12:13], v[8:9], v[12:13], s[10:11]
	s_mov_b32 s10, 0x16291751
	s_mov_b32 s11, 0x3fcc71c0
	v_fma_f64 v[12:13], v[8:9], v[12:13], s[10:11]
	s_mov_b32 s10, 0x9b27acf1
	s_mov_b32 s11, 0x3fd24924
	;; [unrolled: 3-line block ×4, first 2 shown]
	v_fma_f64 v[8:9], v[8:9], v[12:13], s[4:5]
	v_ldexp_f64 v[12:13], v[6:7], 1
	v_add_f64 v[6:7], v[6:7], -v[10:11]
	s_mov_b32 s4, 0xfefa39ef
	s_mov_b32 s5, 0x3fe62e42
	v_mul_f64 v[8:9], v[14:15], v[8:9]
	v_cvt_f64_i32_e32 v[14:15], v0
	v_add_f64 v[2:3], v[2:3], -v[6:7]
	v_mov_b32_e32 v0, 0xfff00000
	v_mul_f64 v[16:17], v[14:15], s[4:5]
	v_add_f64 v[10:11], v[12:13], v[8:9]
	v_ldexp_f64 v[2:3], v[2:3], 1
	v_add_f64 v[6:7], v[10:11], -v[12:13]
	v_fma_f64 v[12:13], v[14:15], s[4:5], -v[16:17]
	s_mov_b32 s4, 0x3b39803f
	s_mov_b32 s5, 0x3c7abc9e
	v_add_f64 v[6:7], v[8:9], -v[6:7]
	v_fma_f64 v[8:9], v[14:15], s[4:5], v[12:13]
	s_mov_b32 s4, 0x17aa6149
	s_mov_b32 s5, 0xbfca8b9c
	v_add_f64 v[2:3], v[2:3], v[6:7]
	v_add_f64 v[6:7], v[16:17], v[8:9]
	;; [unrolled: 1-line block ×3, first 2 shown]
	v_add_f64 v[16:17], v[6:7], -v[16:17]
	v_add_f64 v[14:15], v[6:7], v[12:13]
	v_add_f64 v[10:11], v[12:13], -v[10:11]
	v_add_f64 v[8:9], v[8:9], -v[16:17]
	;; [unrolled: 1-line block ×6, first 2 shown]
	v_add_f64 v[12:13], v[8:9], v[2:3]
	v_add_f64 v[6:7], v[6:7], -v[20:21]
	v_add_f64 v[6:7], v[10:11], v[6:7]
	v_add_f64 v[10:11], v[12:13], -v[8:9]
	v_add_f64 v[6:7], v[12:13], v[6:7]
	v_add_f64 v[12:13], v[12:13], -v[10:11]
	v_add_f64 v[2:3], v[2:3], -v[10:11]
	v_add_f64 v[16:17], v[14:15], v[6:7]
	v_add_f64 v[8:9], v[8:9], -v[12:13]
	v_add_f64 v[10:11], v[16:17], -v[14:15]
	v_add_f64 v[2:3], v[2:3], v[8:9]
	v_mov_b32_e32 v8, 0x2ac7d848
	v_mov_b32_e32 v9, 0x3fd15132
	v_fma_f64 v[8:9], |v[4:5]|, s[4:5], v[8:9]
	s_mov_b32 s4, 0x5beab2d7
	s_mov_b32 s5, 0xbfd9a4d5
	v_add_f64 v[6:7], v[6:7], -v[10:11]
	v_add_f64 v[2:3], v[2:3], v[6:7]
	v_fma_f64 v[6:7], |v[4:5]|, v[8:9], s[4:5]
	s_mov_b32 s4, 0x625307d3
	s_mov_b32 s5, 0x3fea51a6
	v_mov_b32_e32 v8, 0x7ff00000
	v_add_f64 v[2:3], v[16:17], v[2:3]
	v_fma_f64 v[6:7], |v[4:5]|, v[6:7], s[4:5]
	v_cmp_neq_f64_e64 s[4:5], 0, v[4:5]
	v_xor_b32_e32 v3, 0x80000000, v3
	v_fma_f64 v[6:7], |v[4:5]|, v[6:7], s[10:11]
	v_cndmask_b32_e32 v0, v0, v3, vcc
	s_and_b64 vcc, s[4:5], vcc
	v_cndmask_b32_e64 v3, v8, v0, s[4:5]
	v_cndmask_b32_e32 v2, 0, v2, vcc
	v_fma_f64 v[2:3], |v[4:5]|, v[6:7], v[2:3]
.LBB133_79:
	s_or_b64 exec, exec, s[6:7]
	v_cmp_le_f64_e32 vcc, 0, v[4:5]
	s_and_saveexec_b64 s[4:5], vcc
	s_xor_b64 s[6:7], exec, s[4:5]
	s_cbranch_execz .LBB133_81
; %bb.80:
	v_cmp_eq_f64_e32 vcc, 1.0, v[4:5]
	v_cmp_eq_f64_e64 s[4:5], 2.0, v[4:5]
	s_or_b64 s[4:5], vcc, s[4:5]
	v_cndmask_b32_e64 v3, v3, 0, s[4:5]
	v_cndmask_b32_e64 v2, v2, 0, s[4:5]
.LBB133_81:
	s_andn2_saveexec_b64 s[6:7], s[6:7]
	s_cbranch_execz .LBB133_85
; %bb.82:
	v_add_u32_e32 v0, 0xc32fffff, v1
	s_mov_b32 s4, 0x65fffff
	v_cmp_gt_u32_e32 vcc, s4, v0
	s_and_saveexec_b64 s[10:11], vcc
	s_cbranch_execz .LBB133_84
; %bb.83:
	v_mul_f64 v[6:7], |v[4:5]|, 0.5
	s_mov_b32 s4, 0
	s_mov_b32 s5, 0x7ff00000
	v_and_b32_e32 v0, 0x7fffffff, v5
	s_mov_b32 s12, 0x2e21c33
	v_mov_b32_e32 v10, 0x6fdffd2b
	v_mov_b32_e32 v11, 0xbf7e2fe7
	;; [unrolled: 1-line block ×3, first 2 shown]
	v_fract_f64_e32 v[8:9], v[6:7]
	v_cmp_neq_f64_e64 vcc, |v[6:7]|, s[4:5]
	s_mov_b32 s4, 0xf99eb0bb
	s_mov_b32 s5, 0x3f3e357e
	v_mov_b32_e32 v15, 0x3f5f9c89
	s_mov_b32 s13, 0xbf1b1673
	v_add_f64 v[8:9], v[8:9], v[8:9]
	v_cndmask_b32_e32 v6, 0, v8, vcc
	v_cndmask_b32_e32 v7, 0, v9, vcc
	v_cmp_gt_f64_e64 vcc, |v[4:5]|, 1.0
	v_cndmask_b32_e32 v7, v0, v7, vcc
	v_cndmask_b32_e32 v6, v4, v6, vcc
	v_add_f64 v[8:9], v[6:7], v[6:7]
	v_rndne_f64_e32 v[8:9], v[8:9]
	v_fma_f64 v[6:7], v[8:9], -0.5, v[6:7]
	v_cvt_i32_f64_e32 v0, v[8:9]
	v_and_b32_e32 v8, 1, v0
	v_lshlrev_b32_e32 v0, 30, v0
	v_cmp_eq_u32_e32 vcc, 0, v8
	v_mul_f64 v[12:13], v[6:7], v[6:7]
	v_xor_b32_e32 v0, v0, v5
	v_and_b32_e32 v0, 0x80000000, v0
	v_mov_b32_e32 v8, 0x7ff80000
	v_fma_f64 v[10:11], v[12:13], s[4:5], v[10:11]
	v_fma_f64 v[14:15], v[12:13], s[12:13], v[14:15]
	s_mov_b32 s4, 0xd5f14825
	s_mov_b32 s12, 0x7294bff9
	;; [unrolled: 1-line block ×4, first 2 shown]
	v_mul_f64 v[16:17], v[6:7], v[12:13]
	v_fma_f64 v[10:11], v[12:13], v[10:11], s[4:5]
	v_fma_f64 v[14:15], v[12:13], v[14:15], s[12:13]
	s_mov_b32 s4, 0xcdfe9424
	s_mov_b32 s12, 0x67b90b37
	s_mov_b32 s5, 0xbfe32d2c
	s_mov_b32 s13, 0x3fce1f50
	v_fma_f64 v[10:11], v[12:13], v[10:11], s[4:5]
	v_fma_f64 v[14:15], v[12:13], v[14:15], s[12:13]
	s_mov_b32 s4, 0x67754fff
	s_mov_b32 s12, 0x7e3c325b
	s_mov_b32 s5, 0x400466bc
	s_mov_b32 s13, 0xbff55d3c
	;; [unrolled: 6-line block ×4, first 2 shown]
	v_mul_f64 v[10:11], v[16:17], v[10:11]
	v_fma_f64 v[14:15], v[12:13], v[14:15], s[4:5]
	s_movk_i32 s4, 0x1f8
	v_cmp_class_f64_e64 s[4:5], v[4:5], s4
	v_fma_f64 v[6:7], v[6:7], s[12:13], v[10:11]
	v_fma_f64 v[10:11], v[12:13], v[14:15], 1.0
	v_cndmask_b32_e32 v7, v11, v7, vcc
	v_cndmask_b32_e32 v6, v10, v6, vcc
	v_xor_b32_e32 v0, v7, v0
	v_cndmask_b32_e64 v6, 0, v6, s[4:5]
	v_cndmask_b32_e64 v7, v8, v0, s[4:5]
	v_mul_f64 v[6:7], v[4:5], v[6:7]
	v_and_b32_e32 v9, 0x7fffffff, v7
	v_mov_b32_e32 v8, v6
	v_div_scale_f64 v[10:11], s[4:5], v[8:9], v[8:9], s[12:13]
	v_div_scale_f64 v[8:9], vcc, s[12:13], v[8:9], s[12:13]
	s_mov_b32 s5, 0x3fe55555
	s_mov_b32 s4, 0x55555555
	v_rcp_f64_e32 v[12:13], v[10:11]
	v_fma_f64 v[14:15], -v[10:11], v[12:13], 1.0
	v_fma_f64 v[12:13], v[12:13], v[14:15], v[12:13]
	v_fma_f64 v[14:15], -v[10:11], v[12:13], 1.0
	v_fma_f64 v[12:13], v[12:13], v[14:15], v[12:13]
	v_mul_f64 v[14:15], v[8:9], v[12:13]
	v_fma_f64 v[8:9], -v[10:11], v[14:15], v[8:9]
	v_div_fmas_f64 v[8:9], v[8:9], v[12:13], v[14:15]
	v_div_fixup_f64 v[6:7], v[8:9], |v[6:7]|, s[12:13]
	s_mov_b32 s12, 0xbf559e2b
	s_mov_b32 s13, 0x3fc3ab76
	v_frexp_mant_f64_e32 v[8:9], v[6:7]
	v_cmp_gt_f64_e32 vcc, s[4:5], v[8:9]
	s_mov_b32 s4, 0x55555780
	v_cndmask_b32_e64 v0, 0, 1, vcc
	v_ldexp_f64 v[8:9], v[8:9], v0
	v_frexp_exp_i32_f64_e32 v0, v[6:7]
	v_add_f64 v[10:11], v[8:9], 1.0
	v_add_f64 v[16:17], v[8:9], -1.0
	v_subbrev_co_u32_e32 v0, vcc, 0, v0, vcc
	v_rcp_f64_e32 v[12:13], v[10:11]
	v_add_f64 v[18:19], v[10:11], -1.0
	v_add_f64 v[8:9], v[8:9], -v[18:19]
	v_fma_f64 v[14:15], -v[10:11], v[12:13], 1.0
	v_fma_f64 v[12:13], v[14:15], v[12:13], v[12:13]
	v_fma_f64 v[14:15], -v[10:11], v[12:13], 1.0
	v_fma_f64 v[12:13], v[14:15], v[12:13], v[12:13]
	v_mul_f64 v[14:15], v[16:17], v[12:13]
	v_mul_f64 v[20:21], v[10:11], v[14:15]
	v_fma_f64 v[10:11], v[14:15], v[10:11], -v[20:21]
	v_fma_f64 v[8:9], v[14:15], v[8:9], v[10:11]
	v_add_f64 v[10:11], v[20:21], v[8:9]
	v_add_f64 v[18:19], v[16:17], -v[10:11]
	v_add_f64 v[20:21], v[10:11], -v[20:21]
	;; [unrolled: 1-line block ×5, first 2 shown]
	v_mov_b32_e32 v16, 0x6b47b09a
	v_mov_b32_e32 v17, 0x3fc38538
	v_add_f64 v[8:9], v[8:9], v[10:11]
	v_add_f64 v[8:9], v[18:19], v[8:9]
	v_mul_f64 v[8:9], v[12:13], v[8:9]
	v_add_f64 v[10:11], v[14:15], v[8:9]
	v_mul_f64 v[12:13], v[10:11], v[10:11]
	v_fma_f64 v[16:17], v[12:13], s[12:13], v[16:17]
	s_mov_b32 s12, 0xd7f4df2e
	s_mov_b32 s13, 0x3fc7474d
	v_mul_f64 v[18:19], v[10:11], v[12:13]
	v_fma_f64 v[16:17], v[12:13], v[16:17], s[12:13]
	s_mov_b32 s12, 0x16291751
	s_mov_b32 s13, 0x3fcc71c0
	v_fma_f64 v[16:17], v[12:13], v[16:17], s[12:13]
	s_mov_b32 s12, 0x9b27acf1
	s_mov_b32 s13, 0x3fd24924
	;; [unrolled: 3-line block ×3, first 2 shown]
	v_fma_f64 v[16:17], v[12:13], v[16:17], s[12:13]
	v_fma_f64 v[12:13], v[12:13], v[16:17], s[4:5]
	v_ldexp_f64 v[16:17], v[10:11], 1
	v_add_f64 v[10:11], v[10:11], -v[14:15]
	s_mov_b32 s4, 0xfefa39ef
	s_mov_b32 s5, 0x3fe62e42
	v_mul_f64 v[12:13], v[18:19], v[12:13]
	v_cvt_f64_i32_e32 v[18:19], v0
	v_add_f64 v[8:9], v[8:9], -v[10:11]
	v_mov_b32_e32 v0, 0xfff00000
	v_mul_f64 v[20:21], v[18:19], s[4:5]
	v_add_f64 v[14:15], v[16:17], v[12:13]
	v_ldexp_f64 v[8:9], v[8:9], 1
	v_add_f64 v[10:11], v[14:15], -v[16:17]
	v_fma_f64 v[16:17], v[18:19], s[4:5], -v[20:21]
	s_mov_b32 s4, 0x3b39803f
	s_mov_b32 s5, 0x3c7abc9e
	v_add_f64 v[10:11], v[12:13], -v[10:11]
	v_fma_f64 v[12:13], v[18:19], s[4:5], v[16:17]
	s_movk_i32 s4, 0x204
	v_cmp_class_f64_e64 vcc, v[6:7], s4
	v_cmp_class_f64_e64 s[12:13], v[4:5], s4
	v_add_f64 v[8:9], v[8:9], v[10:11]
	v_add_f64 v[10:11], v[20:21], v[12:13]
	;; [unrolled: 1-line block ×3, first 2 shown]
	v_add_f64 v[20:21], v[10:11], -v[20:21]
	v_add_f64 v[18:19], v[10:11], v[16:17]
	v_add_f64 v[14:15], v[16:17], -v[14:15]
	v_add_f64 v[12:13], v[12:13], -v[20:21]
	;; [unrolled: 1-line block ×6, first 2 shown]
	v_add_f64 v[16:17], v[12:13], v[8:9]
	v_add_f64 v[10:11], v[10:11], -v[24:25]
	v_add_f64 v[10:11], v[14:15], v[10:11]
	v_add_f64 v[14:15], v[16:17], -v[12:13]
	;; [unrolled: 2-line block ×3, first 2 shown]
	v_add_f64 v[8:9], v[8:9], -v[14:15]
	v_add_f64 v[20:21], v[18:19], v[10:11]
	v_add_f64 v[12:13], v[12:13], -v[16:17]
	v_add_f64 v[14:15], v[20:21], -v[18:19]
	v_add_f64 v[8:9], v[8:9], v[12:13]
	v_add_f64 v[10:11], v[10:11], -v[14:15]
	v_add_f64 v[8:9], v[8:9], v[10:11]
	v_fract_f64_e32 v[10:11], v[4:5]
	v_add_f64 v[8:9], v[20:21], v[8:9]
	v_cmp_eq_f64_e64 s[4:5], 0, v[10:11]
	v_cndmask_b32_e32 v8, v8, v6, vcc
	v_cndmask_b32_e32 v9, v9, v7, vcc
	v_cmp_neq_f64_e32 vcc, 0, v[6:7]
	v_cndmask_b32_e32 v7, v0, v9, vcc
	v_cndmask_b32_e32 v6, 0, v8, vcc
	v_add_f64 v[2:3], v[6:7], -v[2:3]
	v_mov_b32_e32 v0, 0x7ff00000
	s_or_b64 vcc, s[12:13], s[4:5]
	v_cndmask_b32_e32 v3, v3, v0, vcc
	v_cndmask_b32_e64 v2, v2, 0, vcc
.LBB133_84:
	s_or_b64 exec, exec, s[10:11]
.LBB133_85:
	s_or_b64 exec, exec, s[6:7]
	v_mov_b32_e32 v0, 0x264
	v_cmp_gt_f64_e32 vcc, 0, v[4:5]
	v_cmp_class_f64_e64 s[4:5], v[4:5], v0
	s_mov_b32 s6, 0x432fffff
	v_cmp_lt_u32_e64 s[6:7], s6, v1
	v_mov_b32_e32 v0, 0x7ff00000
	s_and_b64 s[6:7], vcc, s[6:7]
	s_or_b64 vcc, s[4:5], s[6:7]
	v_cndmask_b32_e64 v2, v2, 0, vcc
	v_cndmask_b32_e32 v0, v3, v0, vcc
	v_cmp_u_f64_e32 vcc, v[4:5], v[4:5]
	v_cndmask_b32_e32 v1, v0, v5, vcc
	v_cndmask_b32_e32 v0, v2, v4, vcc
	s_or_b64 exec, exec, s[8:9]
	s_setpc_b64 s[30:31]
.LBB133_86:
	v_mov_b32_e32 v2, 28
	v_cmp_gt_i16_sdwa s[8:9], v3, v2 src0_sel:BYTE_0 src1_sel:DWORD
	s_mov_b64 s[14:15], 0
                                        ; implicit-def: $vgpr4_vgpr5
	s_and_saveexec_b64 s[16:17], s[8:9]
	s_xor_b64 s[8:9], exec, s[16:17]
	s_cbranch_execz .LBB133_102
; %bb.87:
	v_mov_b32_e32 v2, 43
	v_cmp_gt_i16_sdwa s[12:13], v3, v2 src0_sel:BYTE_0 src1_sel:DWORD
	s_mov_b64 s[16:17], 0
	s_mov_b64 s[18:19], 0
                                        ; implicit-def: $vgpr4_vgpr5
	s_and_saveexec_b64 s[14:15], s[12:13]
	s_xor_b64 s[12:13], exec, s[14:15]
	s_cbranch_execz .LBB133_97
; %bb.88:
	v_mov_b32_e32 v2, 45
	v_cmp_gt_i16_sdwa s[18:19], v3, v2 src0_sel:BYTE_0 src1_sel:DWORD
	s_mov_b64 s[14:15], 0
                                        ; implicit-def: $vgpr4_vgpr5
	s_and_saveexec_b64 s[20:21], s[18:19]
	s_xor_b64 s[18:19], exec, s[20:21]
	s_cbranch_execz .LBB133_92
; %bb.89:
	v_mov_b32_e32 v2, 46
	v_cmp_eq_u16_sdwa s[22:23], v3, v2 src0_sel:BYTE_0 src1_sel:DWORD
	s_mov_b64 s[20:21], -1
                                        ; implicit-def: $vgpr4_vgpr5
	s_and_saveexec_b64 s[16:17], s[22:23]
	s_cbranch_execz .LBB133_91
; %bb.90:
	flat_load_dword v2, v[0:1]
	s_mov_b64 s[14:15], exec
	s_xor_b64 s[20:21], exec, -1
	s_waitcnt vmcnt(0) lgkmcnt(0)
	v_lshlrev_b32_e32 v2, 16, v2
	v_cvt_f64_f32_e32 v[4:5], v2
.LBB133_91:
	s_or_b64 exec, exec, s[16:17]
	s_and_b64 s[16:17], s[14:15], exec
	s_and_b64 s[14:15], s[20:21], exec
                                        ; implicit-def: $vgpr3
.LBB133_92:
	s_andn2_saveexec_b64 s[18:19], s[18:19]
	s_cbranch_execz .LBB133_96
; %bb.93:
	v_mov_b32_e32 v2, 44
	v_cmp_eq_u16_sdwa s[26:27], v3, v2 src0_sel:BYTE_0 src1_sel:DWORD
	s_mov_b64 s[24:25], -1
	s_mov_b64 s[22:23], s[16:17]
                                        ; implicit-def: $vgpr4_vgpr5
	s_and_saveexec_b64 s[20:21], s[26:27]
	s_cbranch_execz .LBB133_95
; %bb.94:
	flat_load_ubyte v4, v[0:1]
	s_movk_i32 s24, 0xff
	v_bfrev_b32_e32 v5, 4
	v_mov_b32_e32 v6, 0x7ff80000
	v_bfrev_b32_e32 v7, 28
	s_or_b64 s[22:23], s[16:17], exec
	s_waitcnt vmcnt(0) lgkmcnt(0)
	v_lshlrev_b32_e32 v2, 23, v4
	v_cvt_f64_f32_e32 v[2:3], v2
	v_cmp_ne_u32_e32 vcc, s24, v4
	s_xor_b64 s[24:25], exec, -1
	v_cndmask_b32_e32 v2, v5, v2, vcc
	v_cndmask_b32_e32 v3, v6, v3, vcc
	v_cmp_ne_u32_e32 vcc, 0, v4
	v_cndmask_b32_e32 v5, v7, v3, vcc
	v_cndmask_b32_e32 v4, 0, v2, vcc
.LBB133_95:
	s_or_b64 exec, exec, s[20:21]
	s_andn2_b64 s[16:17], s[16:17], exec
	s_and_b64 s[20:21], s[22:23], exec
	s_or_b64 s[16:17], s[16:17], s[20:21]
	s_andn2_b64 s[14:15], s[14:15], exec
	s_and_b64 s[20:21], s[24:25], exec
	s_or_b64 s[14:15], s[14:15], s[20:21]
.LBB133_96:
	s_or_b64 exec, exec, s[18:19]
	s_and_b64 s[18:19], s[16:17], exec
	s_and_b64 s[16:17], s[14:15], exec
                                        ; implicit-def: $vgpr3
.LBB133_97:
	s_andn2_saveexec_b64 s[12:13], s[12:13]
	s_cbranch_execz .LBB133_101
; %bb.98:
	v_mov_b32_e32 v2, 29
	v_cmp_eq_u16_sdwa s[24:25], v3, v2 src0_sel:BYTE_0 src1_sel:DWORD
	s_mov_b64 s[14:15], -1
	s_mov_b64 s[20:21], s[18:19]
                                        ; implicit-def: $vgpr4_vgpr5
	s_and_saveexec_b64 s[22:23], s[24:25]
	s_cbranch_execz .LBB133_100
; %bb.99:
	flat_load_dwordx2 v[2:3], v[0:1]
	s_or_b64 s[20:21], s[18:19], exec
	s_xor_b64 s[14:15], exec, -1
	s_waitcnt vmcnt(0) lgkmcnt(0)
	v_cvt_f64_u32_e32 v[3:4], v3
	v_cvt_f64_u32_e32 v[5:6], v2
	v_ldexp_f64 v[3:4], v[3:4], 32
	v_add_f64 v[4:5], v[3:4], v[5:6]
.LBB133_100:
	s_or_b64 exec, exec, s[22:23]
	s_andn2_b64 s[18:19], s[18:19], exec
	s_and_b64 s[20:21], s[20:21], exec
	s_andn2_b64 s[16:17], s[16:17], exec
	s_and_b64 s[14:15], s[14:15], exec
	s_or_b64 s[18:19], s[18:19], s[20:21]
	s_or_b64 s[16:17], s[16:17], s[14:15]
.LBB133_101:
	s_or_b64 exec, exec, s[12:13]
	s_and_b64 s[14:15], s[18:19], exec
	s_and_b64 s[12:13], s[16:17], exec
                                        ; implicit-def: $vgpr3
.LBB133_102:
	s_andn2_saveexec_b64 s[8:9], s[8:9]
	s_cbranch_execz .LBB133_120
; %bb.103:
	v_mov_b32_e32 v2, 26
	v_cmp_gt_i16_sdwa s[16:17], v3, v2 src0_sel:BYTE_0 src1_sel:DWORD
                                        ; implicit-def: $vgpr4_vgpr5
	s_and_saveexec_b64 s[18:19], s[16:17]
	s_xor_b64 s[16:17], exec, s[18:19]
	s_cbranch_execz .LBB133_109
; %bb.104:
	v_mov_b32_e32 v2, 27
	v_cmp_gt_i16_sdwa s[18:19], v3, v2 src0_sel:BYTE_0 src1_sel:DWORD
                                        ; implicit-def: $vgpr4_vgpr5
	s_and_saveexec_b64 s[20:21], s[18:19]
	s_xor_b64 s[18:19], exec, s[20:21]
	s_cbranch_execz .LBB133_106
; %bb.105:
	flat_load_dword v2, v[0:1]
	s_waitcnt vmcnt(0) lgkmcnt(0)
	v_cvt_f64_u32_e32 v[4:5], v2
.LBB133_106:
	s_andn2_saveexec_b64 s[18:19], s[18:19]
	s_cbranch_execz .LBB133_108
; %bb.107:
	flat_load_ushort v2, v[0:1]
	s_waitcnt vmcnt(0) lgkmcnt(0)
	v_cvt_f64_u32_e32 v[4:5], v2
.LBB133_108:
	s_or_b64 exec, exec, s[18:19]
.LBB133_109:
	s_andn2_saveexec_b64 s[16:17], s[16:17]
	s_cbranch_execz .LBB133_119
; %bb.110:
	flat_load_ubyte v2, v[0:1]
	s_movk_i32 s18, 0x7f
	s_waitcnt vmcnt(0) lgkmcnt(0)
	v_cmp_lt_i16_e32 vcc, s18, v2
	s_mov_b64 s[18:19], 0
	s_and_saveexec_b64 s[20:21], vcc
	s_xor_b64 s[20:21], exec, s[20:21]
	s_cbranch_execz .LBB133_114
; %bb.111:
	s_movk_i32 s18, 0x80
	v_cmp_eq_u16_e32 vcc, s18, v2
	s_mov_b64 s[18:19], -1
	s_and_saveexec_b64 s[22:23], vcc
; %bb.112:
	s_xor_b64 s[18:19], exec, -1
; %bb.113:
	s_or_b64 exec, exec, s[22:23]
	s_and_b64 s[18:19], s[18:19], exec
.LBB133_114:
	s_or_saveexec_b64 s[20:21], s[20:21]
	v_bfrev_b32_e32 v4, 4
	v_mov_b32_e32 v5, 0x7ff80000
	s_xor_b64 exec, exec, s[20:21]
; %bb.115:
	v_cmp_ne_u16_e32 vcc, 0, v2
	v_mov_b32_e32 v4, 0
	s_andn2_b64 s[18:19], s[18:19], exec
	s_and_b64 s[22:23], vcc, exec
	v_mov_b32_e32 v5, 0
	s_or_b64 s[18:19], s[18:19], s[22:23]
; %bb.116:
	s_or_b64 exec, exec, s[20:21]
	s_and_saveexec_b64 s[20:21], s[18:19]
	s_cbranch_execz .LBB133_118
; %bb.117:
	v_lshlrev_b32_e32 v3, 24, v2
	v_and_b32_e32 v2, 0xffff, v2
	v_and_b32_e32 v4, 7, v2
	v_ffbh_u32_e32 v6, v4
	v_min_u32_e32 v6, 32, v6
	v_subrev_u32_e32 v7, 28, v6
	v_bfe_u32 v5, v2, 3, 4
	v_lshlrev_b32_e32 v2, v7, v2
	v_sub_u32_e32 v6, 29, v6
	v_and_b32_e32 v2, 7, v2
	v_cmp_eq_u32_e32 vcc, 0, v5
	v_cndmask_b32_e32 v5, v5, v6, vcc
	v_cndmask_b32_e32 v2, v4, v2, vcc
	v_mov_b32_e32 v4, 0x3b800000
	v_lshlrev_b32_e32 v2, 20, v2
	v_and_b32_e32 v3, 0x80000000, v3
	v_lshl_add_u32 v4, v5, 23, v4
	v_or3_b32 v2, v3, v4, v2
	v_cvt_f64_f32_e32 v[4:5], v2
.LBB133_118:
	s_or_b64 exec, exec, s[20:21]
.LBB133_119:
	s_or_b64 exec, exec, s[16:17]
	s_or_b64 s[14:15], s[14:15], exec
.LBB133_120:
	s_or_b64 exec, exec, s[8:9]
	s_and_b64 s[8:9], s[14:15], exec
	s_and_b64 s[12:13], s[12:13], exec
                                        ; implicit-def: $vgpr3
	s_andn2_saveexec_b64 s[10:11], s[10:11]
	s_cbranch_execz .LBB133_6
.LBB133_121:
	v_mov_b32_e32 v2, 22
	v_cmp_gt_i16_sdwa s[6:7], v3, v2 src0_sel:BYTE_0 src1_sel:DWORD
	s_mov_b64 s[14:15], s[8:9]
                                        ; implicit-def: $vgpr4_vgpr5
	s_and_saveexec_b64 s[16:17], s[6:7]
	s_xor_b64 s[6:7], exec, s[16:17]
	s_cbranch_execz .LBB133_139
; %bb.122:
	v_mov_b32_e32 v2, 23
	v_cmp_gt_i16_sdwa s[14:15], v3, v2 src0_sel:BYTE_0 src1_sel:DWORD
                                        ; implicit-def: $vgpr4_vgpr5
	s_and_saveexec_b64 s[16:17], s[14:15]
	s_xor_b64 s[14:15], exec, s[16:17]
	s_cbranch_execz .LBB133_136
; %bb.123:
	v_mov_b32_e32 v2, 24
	v_cmp_gt_i16_sdwa s[16:17], v3, v2 src0_sel:BYTE_0 src1_sel:DWORD
                                        ; implicit-def: $vgpr4_vgpr5
	s_and_saveexec_b64 s[18:19], s[16:17]
	s_xor_b64 s[16:17], exec, s[18:19]
	s_cbranch_execz .LBB133_133
; %bb.124:
	flat_load_ubyte v2, v[0:1]
	s_movk_i32 s18, 0x7f
	s_waitcnt vmcnt(0) lgkmcnt(0)
	v_cmp_lt_i16_e32 vcc, s18, v2
	s_mov_b64 s[18:19], 0
	s_and_saveexec_b64 s[20:21], vcc
	s_xor_b64 s[20:21], exec, s[20:21]
	s_cbranch_execz .LBB133_128
; %bb.125:
	s_movk_i32 s18, 0x80
	v_cmp_eq_u16_e32 vcc, s18, v2
	s_mov_b64 s[18:19], -1
	s_and_saveexec_b64 s[22:23], vcc
; %bb.126:
	s_xor_b64 s[18:19], exec, -1
; %bb.127:
	s_or_b64 exec, exec, s[22:23]
	s_and_b64 s[18:19], s[18:19], exec
.LBB133_128:
	s_or_saveexec_b64 s[20:21], s[20:21]
	v_bfrev_b32_e32 v4, 4
	v_mov_b32_e32 v5, 0x7ff80000
	s_xor_b64 exec, exec, s[20:21]
; %bb.129:
	v_cmp_ne_u16_e32 vcc, 0, v2
	v_mov_b32_e32 v4, 0
	s_andn2_b64 s[18:19], s[18:19], exec
	s_and_b64 s[22:23], vcc, exec
	v_mov_b32_e32 v5, 0
	s_or_b64 s[18:19], s[18:19], s[22:23]
; %bb.130:
	s_or_b64 exec, exec, s[20:21]
	s_and_saveexec_b64 s[20:21], s[18:19]
	s_cbranch_execz .LBB133_132
; %bb.131:
	v_lshlrev_b32_e32 v3, 24, v2
	v_and_b32_e32 v2, 0xffff, v2
	v_and_b32_e32 v4, 3, v2
	v_ffbh_u32_e32 v6, v4
	v_min_u32_e32 v6, 32, v6
	v_subrev_u32_e32 v7, 29, v6
	v_bfe_u32 v5, v2, 2, 5
	v_lshlrev_b32_e32 v2, v7, v2
	v_sub_u32_e32 v6, 30, v6
	v_and_b32_e32 v2, 3, v2
	v_cmp_eq_u32_e32 vcc, 0, v5
	v_cndmask_b32_e32 v5, v5, v6, vcc
	v_cndmask_b32_e32 v2, v4, v2, vcc
	v_mov_b32_e32 v4, 0x37800000
	v_lshlrev_b32_e32 v2, 21, v2
	v_and_b32_e32 v3, 0x80000000, v3
	v_lshl_add_u32 v4, v5, 23, v4
	v_or3_b32 v2, v3, v4, v2
	v_cvt_f64_f32_e32 v[4:5], v2
.LBB133_132:
	s_or_b64 exec, exec, s[20:21]
.LBB133_133:
	s_andn2_saveexec_b64 s[16:17], s[16:17]
	s_cbranch_execz .LBB133_135
; %bb.134:
	flat_load_ubyte v2, v[0:1]
	s_mov_b32 s18, 0x7f800000
	s_waitcnt vmcnt(0) lgkmcnt(0)
	v_lshlrev_b32_e32 v2, 24, v2
	v_and_b32_e32 v3, 0x7f000000, v2
	v_ffbh_u32_e32 v4, v3
	v_min_u32_e32 v4, 32, v4
	v_sub_u32_e64 v4, v4, 4 clamp
	v_lshlrev_b32_e32 v6, v4, v3
	v_lshlrev_b32_e32 v4, 23, v4
	v_lshrrev_b32_e32 v6, 4, v6
	v_add_u32_e32 v5, 0x1000000, v3
	v_sub_u32_e32 v4, v6, v4
	v_ashrrev_i32_e32 v5, 8, v5
	v_add_u32_e32 v4, 0x3c000000, v4
	v_and_or_b32 v4, v5, s18, v4
	v_cmp_ne_u32_e32 vcc, 0, v3
	v_cndmask_b32_e32 v3, 0, v4, vcc
	s_brev_b32 s18, 1
	v_and_or_b32 v2, v2, s18, v3
	v_cvt_f64_f32_e32 v[4:5], v2
.LBB133_135:
	s_or_b64 exec, exec, s[16:17]
.LBB133_136:
	s_andn2_saveexec_b64 s[14:15], s[14:15]
	s_cbranch_execz .LBB133_138
; %bb.137:
	flat_load_ubyte v2, v[0:1]
	s_movk_i32 s16, 0x7f00
	s_brev_b32 s17, 16
	s_waitcnt vmcnt(0) lgkmcnt(0)
	v_lshlrev_b16_e32 v3, 8, v2
	v_lshlrev_b32_e32 v2, 25, v2
	v_lshrrev_b32_e32 v4, 4, v2
	v_and_or_b32 v5, v3, s16, 0.5
	v_or_b32_e32 v4, 0x70000000, v4
	v_add_f32_e32 v5, -0.5, v5
	v_mul_f32_e32 v4, 0x7800000, v4
	v_cmp_gt_u32_e32 vcc, s17, v2
	v_bfe_i32 v3, v3, 0, 16
	v_cndmask_b32_e32 v2, v4, v5, vcc
	s_brev_b32 s16, 1
	v_and_or_b32 v2, v3, s16, v2
	v_cvt_f64_f32_e32 v[4:5], v2
.LBB133_138:
	s_or_b64 exec, exec, s[14:15]
	s_or_b64 s[14:15], s[8:9], exec
                                        ; implicit-def: $vgpr3
.LBB133_139:
	s_or_saveexec_b64 s[6:7], s[6:7]
	s_mov_b64 s[18:19], 0
	s_mov_b64 s[16:17], s[12:13]
	s_xor_b64 exec, exec, s[6:7]
	s_cbranch_execz .LBB133_147
; %bb.140:
	v_mov_b32_e32 v2, 14
	v_cmp_gt_i16_sdwa s[20:21], v3, v2 src0_sel:BYTE_0 src1_sel:DWORD
	s_mov_b64 s[16:17], s[12:13]
	s_mov_b64 s[18:19], s[14:15]
                                        ; implicit-def: $vgpr4_vgpr5
	s_and_saveexec_b64 s[22:23], s[20:21]
	s_xor_b64 s[20:21], exec, s[22:23]
	s_cbranch_execz .LBB133_144
; %bb.141:
	v_mov_b32_e32 v2, 15
	v_cmp_eq_u16_sdwa s[24:25], v3, v2 src0_sel:BYTE_0 src1_sel:DWORD
	s_mov_b64 s[16:17], -1
	s_mov_b64 s[18:19], s[14:15]
                                        ; implicit-def: $vgpr4_vgpr5
	s_and_saveexec_b64 s[22:23], s[24:25]
	s_cbranch_execz .LBB133_143
; %bb.142:
	flat_load_ushort v2, v[0:1]
	s_or_b64 s[18:19], s[14:15], exec
	s_xor_b64 s[16:17], exec, -1
	s_waitcnt vmcnt(0) lgkmcnt(0)
	v_lshlrev_b32_e32 v2, 16, v2
	v_cvt_f64_f32_e32 v[4:5], v2
.LBB133_143:
	s_or_b64 exec, exec, s[22:23]
	s_andn2_b64 s[22:23], s[14:15], exec
	s_and_b64 s[18:19], s[18:19], exec
	s_or_b64 s[18:19], s[22:23], s[18:19]
	s_andn2_b64 s[22:23], s[12:13], exec
	s_and_b64 s[16:17], s[16:17], exec
	s_or_b64 s[16:17], s[22:23], s[16:17]
                                        ; implicit-def: $vgpr3
.LBB133_144:
	s_or_saveexec_b64 s[20:21], s[20:21]
	s_mov_b64 s[22:23], 0
	s_xor_b64 exec, exec, s[20:21]
; %bb.145:
	v_mov_b32_e32 v2, 11
	v_cmp_ne_u16_sdwa s[24:25], v3, v2 src0_sel:BYTE_0 src1_sel:DWORD
	s_andn2_b64 s[16:17], s[16:17], exec
	s_and_b64 s[24:25], s[24:25], exec
	s_mov_b64 s[22:23], exec
	s_or_b64 s[16:17], s[16:17], s[24:25]
; %bb.146:
	s_or_b64 exec, exec, s[20:21]
	s_andn2_b64 s[14:15], s[14:15], exec
	s_and_b64 s[18:19], s[18:19], exec
	s_andn2_b64 s[20:21], s[12:13], exec
	s_and_b64 s[16:17], s[16:17], exec
	s_or_b64 s[14:15], s[14:15], s[18:19]
	s_and_b64 s[18:19], s[22:23], exec
	s_or_b64 s[16:17], s[20:21], s[16:17]
.LBB133_147:
	s_or_b64 exec, exec, s[6:7]
	s_andn2_b64 s[6:7], s[8:9], exec
	s_and_b64 s[8:9], s[14:15], exec
	s_andn2_b64 s[12:13], s[12:13], exec
	s_and_b64 s[14:15], s[16:17], exec
	s_or_b64 s[8:9], s[6:7], s[8:9]
	s_and_b64 s[6:7], s[18:19], exec
	s_or_b64 s[12:13], s[12:13], s[14:15]
	s_or_b64 exec, exec, s[10:11]
	s_and_saveexec_b64 s[10:11], s[12:13]
	s_cbranch_execz .LBB133_7
.LBB133_148:
	s_trap 2
	; divergent unreachable
	s_andn2_b64 s[6:7], s[6:7], exec
	s_or_b64 exec, exec, s[10:11]
	s_and_saveexec_b64 s[10:11], s[6:7]
	s_xor_b64 s[6:7], exec, s[10:11]
	s_cbranch_execnz .LBB133_8
	s_branch .LBB133_9
.Lfunc_end133:
	.size	_ZN2at6native6invokeIZZZNS0_18lgamma_kernel_cudaERNS_18TensorIteratorBaseEENKUlvE_clEvENKUlvE_clEvEUldE_j15function_traitsIS6_EEENT1_11result_typeERKT_PrKPcPKT0_PKN3c1010ScalarTypeEi, .Lfunc_end133-_ZN2at6native6invokeIZZZNS0_18lgamma_kernel_cudaERNS_18TensorIteratorBaseEENKUlvE_clEvENKUlvE_clEvEUldE_j15function_traitsIS6_EEENT1_11result_typeERKT_PrKPcPKT0_PKN3c1010ScalarTypeEi
                                        ; -- End function
	.set .L_ZN2at6native6invokeIZZZNS0_18lgamma_kernel_cudaERNS_18TensorIteratorBaseEENKUlvE_clEvENKUlvE_clEvEUldE_j15function_traitsIS6_EEENT1_11result_typeERKT_PrKPcPKT0_PKN3c1010ScalarTypeEi.num_vgpr, 30
	.set .L_ZN2at6native6invokeIZZZNS0_18lgamma_kernel_cudaERNS_18TensorIteratorBaseEENKUlvE_clEvENKUlvE_clEvEUldE_j15function_traitsIS6_EEENT1_11result_typeERKT_PrKPcPKT0_PKN3c1010ScalarTypeEi.num_agpr, 0
	.set .L_ZN2at6native6invokeIZZZNS0_18lgamma_kernel_cudaERNS_18TensorIteratorBaseEENKUlvE_clEvENKUlvE_clEvEUldE_j15function_traitsIS6_EEENT1_11result_typeERKT_PrKPcPKT0_PKN3c1010ScalarTypeEi.numbered_sgpr, 32
	.set .L_ZN2at6native6invokeIZZZNS0_18lgamma_kernel_cudaERNS_18TensorIteratorBaseEENKUlvE_clEvENKUlvE_clEvEUldE_j15function_traitsIS6_EEENT1_11result_typeERKT_PrKPcPKT0_PKN3c1010ScalarTypeEi.num_named_barrier, 0
	.set .L_ZN2at6native6invokeIZZZNS0_18lgamma_kernel_cudaERNS_18TensorIteratorBaseEENKUlvE_clEvENKUlvE_clEvEUldE_j15function_traitsIS6_EEENT1_11result_typeERKT_PrKPcPKT0_PKN3c1010ScalarTypeEi.private_seg_size, 0
	.set .L_ZN2at6native6invokeIZZZNS0_18lgamma_kernel_cudaERNS_18TensorIteratorBaseEENKUlvE_clEvENKUlvE_clEvEUldE_j15function_traitsIS6_EEENT1_11result_typeERKT_PrKPcPKT0_PKN3c1010ScalarTypeEi.uses_vcc, 1
	.set .L_ZN2at6native6invokeIZZZNS0_18lgamma_kernel_cudaERNS_18TensorIteratorBaseEENKUlvE_clEvENKUlvE_clEvEUldE_j15function_traitsIS6_EEENT1_11result_typeERKT_PrKPcPKT0_PKN3c1010ScalarTypeEi.uses_flat_scratch, 0
	.set .L_ZN2at6native6invokeIZZZNS0_18lgamma_kernel_cudaERNS_18TensorIteratorBaseEENKUlvE_clEvENKUlvE_clEvEUldE_j15function_traitsIS6_EEENT1_11result_typeERKT_PrKPcPKT0_PKN3c1010ScalarTypeEi.has_dyn_sized_stack, 0
	.set .L_ZN2at6native6invokeIZZZNS0_18lgamma_kernel_cudaERNS_18TensorIteratorBaseEENKUlvE_clEvENKUlvE_clEvEUldE_j15function_traitsIS6_EEENT1_11result_typeERKT_PrKPcPKT0_PKN3c1010ScalarTypeEi.has_recursion, 0
	.set .L_ZN2at6native6invokeIZZZNS0_18lgamma_kernel_cudaERNS_18TensorIteratorBaseEENKUlvE_clEvENKUlvE_clEvEUldE_j15function_traitsIS6_EEENT1_11result_typeERKT_PrKPcPKT0_PKN3c1010ScalarTypeEi.has_indirect_call, 0
	.section	.AMDGPU.csdata,"",@progbits
; Function info:
; codeLenInByte = 10496
; TotalNumSgprs: 36
; NumVgprs: 30
; ScratchSize: 0
; MemoryBound: 1
	.section	.text._ZN2at6native32elementwise_kernel_manual_unrollILi128ELi4EZNS0_15gpu_kernel_implIZZZNS0_18lgamma_kernel_cudaERNS_18TensorIteratorBaseEENKUlvE_clEvENKUlvE_clEvEUldE_EEvS4_RKT_EUlibE0_EEviT1_,"axG",@progbits,_ZN2at6native32elementwise_kernel_manual_unrollILi128ELi4EZNS0_15gpu_kernel_implIZZZNS0_18lgamma_kernel_cudaERNS_18TensorIteratorBaseEENKUlvE_clEvENKUlvE_clEvEUldE_EEvS4_RKT_EUlibE0_EEviT1_,comdat
	.globl	_ZN2at6native32elementwise_kernel_manual_unrollILi128ELi4EZNS0_15gpu_kernel_implIZZZNS0_18lgamma_kernel_cudaERNS_18TensorIteratorBaseEENKUlvE_clEvENKUlvE_clEvEUldE_EEvS4_RKT_EUlibE0_EEviT1_ ; -- Begin function _ZN2at6native32elementwise_kernel_manual_unrollILi128ELi4EZNS0_15gpu_kernel_implIZZZNS0_18lgamma_kernel_cudaERNS_18TensorIteratorBaseEENKUlvE_clEvENKUlvE_clEvEUldE_EEvS4_RKT_EUlibE0_EEviT1_
	.p2align	8
	.type	_ZN2at6native32elementwise_kernel_manual_unrollILi128ELi4EZNS0_15gpu_kernel_implIZZZNS0_18lgamma_kernel_cudaERNS_18TensorIteratorBaseEENKUlvE_clEvENKUlvE_clEvEUldE_EEvS4_RKT_EUlibE0_EEviT1_,@function
_ZN2at6native32elementwise_kernel_manual_unrollILi128ELi4EZNS0_15gpu_kernel_implIZZZNS0_18lgamma_kernel_cudaERNS_18TensorIteratorBaseEENKUlvE_clEvENKUlvE_clEvEUldE_EEvS4_RKT_EUlibE0_EEviT1_: ; @_ZN2at6native32elementwise_kernel_manual_unrollILi128ELi4EZNS0_15gpu_kernel_implIZZZNS0_18lgamma_kernel_cudaERNS_18TensorIteratorBaseEENKUlvE_clEvENKUlvE_clEvEUldE_EEvS4_RKT_EUlibE0_EEviT1_
; %bb.0:
	s_load_dword s74, s[4:5], 0x0
	s_load_dword s33, s[4:5], 0x8
	s_add_u32 s0, s0, s7
	s_addc_u32 s1, s1, 0
	s_mov_b64 s[28:29], s[4:5]
	s_add_u32 s34, s28, 8
	s_addc_u32 s35, s29, 0
	v_lshl_or_b32 v33, s6, 9, v0
	s_waitcnt lgkmcnt(0)
	s_add_i32 s76, s33, -1
	v_or_b32_e32 v6, 0x180, v33
	s_cmp_gt_u32 s76, 1
	v_cmp_le_i32_e32 vcc, s74, v6
	s_cselect_b64 s[50:51], -1, 0
	s_mov_b64 s[48:49], 0
	s_mov_b64 s[40:41], 0
	s_mov_b32 s32, 0
	s_and_saveexec_b64 s[4:5], vcc
	s_xor_b64 s[52:53], exec, s[4:5]
	s_cbranch_execz .LBB134_570
; %bb.1:
	v_mov_b32_e32 v0, 0
	global_load_ushort v0, v0, s[34:35] offset:345
	s_load_dwordx4 s[44:47], s[34:35], 0x4
	s_load_dwordx2 s[54:55], s[34:35], 0x14
	s_load_dwordx4 s[40:43], s[34:35], 0xc4
	s_load_dwordx4 s[36:39], s[34:35], 0x148
	s_cmp_lg_u32 s33, 0
	s_cselect_b64 s[60:61], -1, 0
	s_add_u32 s58, s34, 0xc4
	s_addc_u32 s59, s35, 0
	s_min_u32 s78, s76, 15
	v_mov_b32_e32 v1, 8
	s_cmp_gt_u32 s33, 1
	v_cmp_gt_i32_e32 vcc, s74, v33
	s_mov_b64 s[4:5], -1
	s_mov_b64 s[68:69], 0
	s_cselect_b64 s[56:57], -1, 0
	s_mov_b64 s[62:63], 0
	s_waitcnt vmcnt(0)
	v_readfirstlane_b32 s77, v0
	v_lshrrev_b32_sdwa v30, v1, v0 dst_sel:DWORD dst_unused:UNUSED_PAD src0_sel:DWORD src1_sel:WORD_0
	s_and_saveexec_b64 s[64:65], vcc
                                        ; implicit-def: $vgpr2_vgpr3
	s_cbranch_execz .LBB134_138
; %bb.2:
	s_andn2_b64 vcc, exec, s[50:51]
	s_cbranch_vccnz .LBB134_7
; %bb.3:
	s_andn2_b64 vcc, exec, s[60:61]
	s_cbranch_vccnz .LBB134_8
; %bb.4:
	s_add_i32 s31, s78, 1
	s_cmp_eq_u32 s76, 2
	s_cbranch_scc1 .LBB134_9
; %bb.5:
	s_and_b32 s30, s31, 28
	v_mov_b32_e32 v2, 0
	s_mov_b32 s62, 0
	s_mov_b64 s[24:25], s[34:35]
	s_mov_b64 s[26:27], s[58:59]
	v_mov_b32_e32 v31, 0
	v_mov_b32_e32 v0, v33
.LBB134_6:                              ; =>This Inner Loop Header: Depth=1
	s_load_dwordx8 s[12:19], s[24:25], 0x4
	s_load_dwordx4 s[20:23], s[24:25], 0x24
	s_load_dwordx8 s[4:11], s[26:27], 0x0
	s_add_u32 s24, s24, 48
	s_addc_u32 s25, s25, 0
	s_waitcnt lgkmcnt(0)
	v_mul_hi_u32 v1, s13, v0
	s_add_i32 s62, s62, 4
	s_add_u32 s26, s26, 32
	s_addc_u32 s27, s27, 0
	v_add_u32_e32 v1, v0, v1
	v_lshrrev_b32_e32 v1, s14, v1
	v_mul_lo_u32 v3, v1, s12
	v_mul_hi_u32 v4, s16, v1
	s_cmp_lg_u32 s30, s62
	v_sub_u32_e32 v0, v0, v3
	v_add_u32_e32 v3, v1, v4
	v_mul_lo_u32 v4, v0, s4
	v_mul_lo_u32 v5, v0, s5
	v_lshrrev_b32_e32 v0, s17, v3
	v_mul_lo_u32 v3, v0, s15
	v_mul_hi_u32 v6, s19, v0
	v_sub_u32_e32 v1, v1, v3
	v_add_u32_e32 v3, v0, v6
	v_lshrrev_b32_e32 v3, s20, v3
	v_mul_hi_u32 v7, s22, v3
	v_mul_lo_u32 v8, v3, s18
	v_mul_lo_u32 v6, v1, s6
	;; [unrolled: 1-line block ×3, first 2 shown]
	v_sub_u32_e32 v8, v0, v8
	v_add_u32_e32 v0, v3, v7
	v_lshrrev_b32_e32 v0, s23, v0
	v_mul_lo_u32 v7, v0, s21
	v_mul_lo_u32 v9, v8, s8
	v_mul_lo_u32 v8, v8, s9
	v_add3_u32 v4, v4, v31, v6
	v_sub_u32_e32 v3, v3, v7
	v_mul_lo_u32 v7, v3, s10
	v_mul_lo_u32 v3, v3, s11
	v_add3_u32 v1, v5, v2, v1
	v_add3_u32 v31, v9, v4, v7
	;; [unrolled: 1-line block ×3, first 2 shown]
	s_cbranch_scc1 .LBB134_6
	s_branch .LBB134_10
.LBB134_7:
                                        ; implicit-def: $vgpr31
                                        ; implicit-def: $vgpr2
	s_andn2_b64 vcc, exec, s[4:5]
	s_cbranch_vccz .LBB134_14
	s_branch .LBB134_16
.LBB134_8:
	v_mov_b32_e32 v31, 0
	v_mov_b32_e32 v2, 0
	s_branch .LBB134_13
.LBB134_9:
	s_mov_b32 s30, 0
	v_mov_b32_e32 v31, 0
	v_mov_b32_e32 v2, 0
	v_mov_b32_e32 v0, v33
.LBB134_10:
	s_and_b32 s8, s31, 3
	s_cmp_eq_u32 s8, 0
	s_cbranch_scc1 .LBB134_13
; %bb.11:
	s_lshl_b32 s4, s30, 3
	s_add_u32 s4, s34, s4
	s_addc_u32 s5, s35, 0
	s_add_u32 s4, s4, 0xc4
	s_addc_u32 s5, s5, 0
	s_mul_i32 s6, s30, 12
	s_add_u32 s6, s34, s6
	s_addc_u32 s7, s35, 0
.LBB134_12:                             ; =>This Inner Loop Header: Depth=1
	s_load_dwordx2 s[10:11], s[6:7], 0x4
	s_load_dword s9, s[6:7], 0xc
	s_load_dwordx2 s[12:13], s[4:5], 0x0
	s_add_u32 s6, s6, 12
	s_addc_u32 s7, s7, 0
	s_waitcnt lgkmcnt(0)
	v_mul_hi_u32 v1, s11, v0
	s_add_u32 s4, s4, 8
	s_addc_u32 s5, s5, 0
	s_add_i32 s8, s8, -1
	v_add_u32_e32 v1, v0, v1
	v_lshrrev_b32_e32 v1, s9, v1
	v_mul_lo_u32 v3, v1, s10
	s_cmp_lg_u32 s8, 0
	v_sub_u32_e32 v0, v0, v3
	v_mad_u64_u32 v[31:32], s[10:11], v0, s12, v[31:32]
	v_mad_u64_u32 v[2:3], s[10:11], v0, s13, v[2:3]
	v_mov_b32_e32 v0, v1
	s_cbranch_scc1 .LBB134_12
.LBB134_13:
	s_cbranch_execnz .LBB134_16
.LBB134_14:
	s_waitcnt lgkmcnt(0)
	v_mul_hi_u32 v0, s45, v33
	s_andn2_b64 vcc, exec, s[56:57]
	v_add_u32_e32 v0, v33, v0
	v_lshrrev_b32_e32 v0, s46, v0
	v_mul_lo_u32 v1, v0, s44
	v_sub_u32_e32 v1, v33, v1
	v_mul_lo_u32 v31, v1, s40
	v_mul_lo_u32 v2, v1, s41
	s_cbranch_vccnz .LBB134_16
; %bb.15:
	v_mul_hi_u32 v1, s54, v0
	v_add_u32_e32 v1, v0, v1
	v_lshrrev_b32_e32 v1, s55, v1
	v_mul_lo_u32 v1, v1, s47
	v_sub_u32_e32 v0, v0, v1
	v_mad_u64_u32 v[31:32], s[4:5], v0, s42, v[31:32]
	v_mad_u64_u32 v[2:3], s[4:5], v0, s43, v[2:3]
.LBB134_16:
	s_getpc_b64 s[4:5]
	s_add_u32 s4, s4, _ZN2at6native6invokeIZZZNS0_18lgamma_kernel_cudaERNS_18TensorIteratorBaseEENKUlvE_clEvENKUlvE_clEvEUldE_j15function_traitsIS6_EEENT1_11result_typeERKT_PrKPcPKT0_PKN3c1010ScalarTypeEi@rel32@lo+4
	s_addc_u32 s5, s5, _ZN2at6native6invokeIZZZNS0_18lgamma_kernel_cudaERNS_18TensorIteratorBaseEENKUlvE_clEvENKUlvE_clEvEUldE_j15function_traitsIS6_EEENT1_11result_typeERKT_PrKPcPKT0_PKN3c1010ScalarTypeEi@rel32@hi+12
	s_waitcnt lgkmcnt(0)
	v_mov_b32_e32 v0, s38
	v_mov_b32_e32 v1, s39
	;; [unrolled: 1-line block ×3, first 2 shown]
	s_swappc_b64 s[30:31], s[4:5]
	v_mov_b32_e32 v2, s37
	s_and_b32 s12, s77, 0xff
	v_add_co_u32_e32 v4, vcc, s36, v31
	s_cmp_lt_i32 s12, 11
	v_addc_co_u32_e32 v5, vcc, 0, v2, vcc
	s_cbranch_scc1 .LBB134_23
; %bb.17:
	s_and_b32 s13, 0xffff, s12
	s_cmp_gt_i32 s13, 25
	s_cbranch_scc0 .LBB134_26
; %bb.18:
	s_cmp_gt_i32 s13, 28
	s_cbranch_scc0 .LBB134_27
; %bb.19:
	;; [unrolled: 3-line block ×4, first 2 shown]
	s_mov_b64 s[8:9], 0
	s_mov_b64 s[4:5], -1
	s_cmp_eq_u32 s13, 46
	s_mov_b64 s[6:7], 0
	s_cbranch_scc0 .LBB134_30
; %bb.22:
	v_cvt_f32_f64_e32 v2, v[0:1]
	s_movk_i32 s4, 0x7fff
	v_mov_b32_e32 v3, 0x7fc0
	s_mov_b64 s[6:7], -1
	v_bfe_u32 v6, v2, 16, 1
	v_cmp_o_f32_e32 vcc, v2, v2
	v_add3_u32 v2, v2, v6, s4
	v_cndmask_b32_sdwa v2, v3, v2, vcc dst_sel:DWORD dst_unused:UNUSED_PAD src0_sel:DWORD src1_sel:WORD_1
	global_store_dword v[4:5], v2, off
	s_mov_b64 s[4:5], 0
	s_branch .LBB134_30
.LBB134_23:
	s_mov_b64 s[4:5], 0
	s_mov_b64 s[6:7], 0
	s_cbranch_execnz .LBB134_98
.LBB134_24:
	s_andn2_b64 vcc, exec, s[6:7]
	s_cbranch_vccnz .LBB134_136
.LBB134_25:
	v_add_u32_e32 v33, 0x80, v33
	s_mov_b64 s[6:7], -1
	s_branch .LBB134_137
.LBB134_26:
	s_mov_b64 s[4:5], 0
	s_mov_b64 s[6:7], 0
	s_cbranch_execnz .LBB134_57
	s_branch .LBB134_97
.LBB134_27:
	s_mov_b64 s[8:9], -1
	s_mov_b64 s[4:5], 0
	s_mov_b64 s[6:7], 0
	s_branch .LBB134_40
.LBB134_28:
	s_mov_b64 s[8:9], -1
	s_mov_b64 s[4:5], 0
	s_mov_b64 s[6:7], 0
	s_branch .LBB134_36
.LBB134_29:
	s_mov_b64 s[8:9], -1
	s_mov_b64 s[4:5], 0
	s_mov_b64 s[6:7], 0
.LBB134_30:
	s_and_b64 vcc, exec, s[8:9]
	s_cbranch_vccz .LBB134_35
; %bb.31:
	s_cmp_eq_u32 s13, 44
	s_mov_b64 s[4:5], -1
	s_cbranch_scc0 .LBB134_35
; %bb.32:
	v_cvt_f32_f64_e32 v2, v[0:1]
	s_movk_i32 s4, 0xff
	v_mov_b32_e32 v6, 0xff
	v_bfe_u32 v3, v2, 23, 8
	v_cmp_ne_u32_e32 vcc, s4, v3
	s_and_saveexec_b64 s[6:7], vcc
; %bb.33:
	s_mov_b32 s4, 0x3fffff
	v_lshrrev_b32_e32 v6, 23, v2
	v_and_b32_e32 v7, 0x400000, v2
	v_and_or_b32 v2, v2, s4, v3
	v_cmp_ne_u32_e32 vcc, 0, v7
	v_cmp_ne_u32_e64 s[4:5], 0, v2
	s_and_b64 s[4:5], vcc, s[4:5]
	v_cndmask_b32_e64 v2, 0, 1, s[4:5]
	v_add_u32_e32 v6, v6, v2
; %bb.34:
	s_or_b64 exec, exec, s[6:7]
	s_mov_b64 s[6:7], -1
	s_mov_b64 s[4:5], 0
	global_store_byte v[4:5], v6, off
.LBB134_35:
	s_mov_b64 s[8:9], 0
.LBB134_36:
	s_and_b64 vcc, exec, s[8:9]
	s_cbranch_vccz .LBB134_39
; %bb.37:
	s_cmp_eq_u32 s13, 29
	s_mov_b64 s[4:5], -1
	s_cbranch_scc0 .LBB134_39
; %bb.38:
	v_trunc_f64_e32 v[2:3], v[0:1]
	s_movk_i32 s4, 0xffe0
	s_mov_b64 s[6:7], -1
	s_mov_b64 s[8:9], 0
	v_ldexp_f64 v[6:7], v[2:3], s4
	s_mov_b32 s4, 0
	s_mov_b32 s5, 0xc1f00000
	v_floor_f64_e32 v[6:7], v[6:7]
	v_fma_f64 v[2:3], v[6:7], s[4:5], v[2:3]
	v_cvt_u32_f64_e32 v7, v[6:7]
	s_mov_b64 s[4:5], 0
	v_cvt_u32_f64_e32 v6, v[2:3]
	global_store_dwordx2 v[4:5], v[6:7], off
	s_branch .LBB134_40
.LBB134_39:
	s_mov_b64 s[8:9], 0
.LBB134_40:
	s_and_b64 vcc, exec, s[8:9]
	s_cbranch_vccz .LBB134_56
; %bb.41:
	s_cmp_lt_i32 s13, 27
	s_mov_b64 s[6:7], -1
	s_cbranch_scc1 .LBB134_47
; %bb.42:
	s_cmp_gt_i32 s13, 27
	s_cbranch_scc0 .LBB134_44
; %bb.43:
	v_cvt_u32_f64_e32 v2, v[0:1]
	s_mov_b64 s[6:7], 0
	global_store_dword v[4:5], v2, off
.LBB134_44:
	s_andn2_b64 vcc, exec, s[6:7]
	s_cbranch_vccnz .LBB134_46
; %bb.45:
	v_cvt_u32_f64_e32 v2, v[0:1]
	global_store_short v[4:5], v2, off
.LBB134_46:
	s_mov_b64 s[6:7], 0
.LBB134_47:
	s_andn2_b64 vcc, exec, s[6:7]
	s_cbranch_vccnz .LBB134_55
; %bb.48:
	v_cvt_f32_f64_e32 v2, v[0:1]
	s_mov_b32 s6, 0x43800000
	v_mov_b32_e32 v6, 0x80
	v_and_b32_e32 v3, 0x7fffffff, v2
	v_cmp_gt_u32_e32 vcc, s6, v3
	s_and_saveexec_b64 s[6:7], vcc
	s_cbranch_execz .LBB134_54
; %bb.49:
	s_mov_b32 s8, 0x3bffffff
	v_cmp_lt_u32_e32 vcc, s8, v3
	s_mov_b64 s[8:9], 0
                                        ; implicit-def: $vgpr3
	s_and_saveexec_b64 s[10:11], vcc
	s_xor_b64 s[10:11], exec, s[10:11]
	s_cbranch_execz .LBB134_169
; %bb.50:
	v_bfe_u32 v3, v2, 20, 1
	s_mov_b32 s14, 0x487ffff
	v_add3_u32 v3, v2, v3, s14
	s_mov_b64 s[8:9], exec
	v_lshrrev_b32_e32 v3, 20, v3
	s_andn2_saveexec_b64 s[10:11], s[10:11]
	s_cbranch_execnz .LBB134_170
.LBB134_51:
	s_or_b64 exec, exec, s[10:11]
	v_mov_b32_e32 v6, 0
	s_and_saveexec_b64 s[10:11], s[8:9]
.LBB134_52:
	v_lshrrev_b32_e32 v2, 24, v2
	s_movk_i32 s8, 0x80
	v_and_or_b32 v6, v2, s8, v3
.LBB134_53:
	s_or_b64 exec, exec, s[10:11]
.LBB134_54:
	s_or_b64 exec, exec, s[6:7]
	global_store_byte v[4:5], v6, off
.LBB134_55:
	s_mov_b64 s[6:7], -1
.LBB134_56:
	s_branch .LBB134_97
.LBB134_57:
	s_cmp_gt_i32 s13, 22
	s_mov_b64 s[8:9], -1
	s_cbranch_scc0 .LBB134_89
; %bb.58:
	s_cmp_lt_i32 s13, 24
	s_mov_b64 s[6:7], -1
	s_cbranch_scc1 .LBB134_78
; %bb.59:
	s_cmp_gt_i32 s13, 24
	s_cbranch_scc0 .LBB134_67
; %bb.60:
	v_cvt_f32_f64_e32 v2, v[0:1]
	s_mov_b32 s6, 0x47800000
	v_mov_b32_e32 v6, 0x80
	v_and_b32_e32 v3, 0x7fffffff, v2
	v_cmp_gt_u32_e32 vcc, s6, v3
	s_and_saveexec_b64 s[6:7], vcc
	s_cbranch_execz .LBB134_66
; %bb.61:
	s_mov_b32 s8, 0x37ffffff
	v_cmp_lt_u32_e32 vcc, s8, v3
	s_mov_b64 s[8:9], 0
                                        ; implicit-def: $vgpr3
	s_and_saveexec_b64 s[10:11], vcc
	s_xor_b64 s[10:11], exec, s[10:11]
	s_cbranch_execz .LBB134_172
; %bb.62:
	v_bfe_u32 v3, v2, 21, 1
	s_mov_b32 s14, 0x88fffff
	v_add3_u32 v3, v2, v3, s14
	s_mov_b64 s[8:9], exec
	v_lshrrev_b32_e32 v3, 21, v3
	s_andn2_saveexec_b64 s[10:11], s[10:11]
	s_cbranch_execnz .LBB134_173
.LBB134_63:
	s_or_b64 exec, exec, s[10:11]
	v_mov_b32_e32 v6, 0
	s_and_saveexec_b64 s[10:11], s[8:9]
.LBB134_64:
	v_lshrrev_b32_e32 v2, 24, v2
	s_movk_i32 s8, 0x80
	v_and_or_b32 v6, v2, s8, v3
.LBB134_65:
	s_or_b64 exec, exec, s[10:11]
.LBB134_66:
	s_or_b64 exec, exec, s[6:7]
	s_mov_b64 s[6:7], 0
	global_store_byte v[4:5], v6, off
.LBB134_67:
	s_and_b64 vcc, exec, s[6:7]
	s_cbranch_vccz .LBB134_77
; %bb.68:
	v_cvt_f32_f64_e32 v2, v[0:1]
	s_mov_b32 s6, 0x43f00000
                                        ; implicit-def: $vgpr3
	v_and_b32_e32 v6, 0x7fffffff, v2
	v_cmp_gt_u32_e32 vcc, s6, v6
	s_and_saveexec_b64 s[6:7], vcc
	s_xor_b64 s[6:7], exec, s[6:7]
	s_cbranch_execz .LBB134_74
; %bb.69:
	s_mov_b32 s8, 0x3c7fffff
	v_cmp_lt_u32_e32 vcc, s8, v6
                                        ; implicit-def: $vgpr3
	s_and_saveexec_b64 s[8:9], vcc
	s_xor_b64 s[8:9], exec, s[8:9]
; %bb.70:
	v_bfe_u32 v3, v2, 20, 1
	s_mov_b32 s10, 0x407ffff
	v_add3_u32 v3, v2, v3, s10
	v_lshrrev_b32_e32 v6, 20, v3
	v_and_b32_e32 v3, 0xff00000, v3
	s_mov_b32 s10, 0x7f00000
	v_mov_b32_e32 v7, 0x7e
	v_cmp_ne_u32_e32 vcc, s10, v3
	v_cndmask_b32_e32 v3, v7, v6, vcc
; %bb.71:
	s_andn2_saveexec_b64 s[8:9], s[8:9]
; %bb.72:
	s_mov_b32 s10, 0x46800000
	v_add_f32_e64 v3, |v2|, s10
; %bb.73:
	s_or_b64 exec, exec, s[8:9]
                                        ; implicit-def: $vgpr6
.LBB134_74:
	s_andn2_saveexec_b64 s[6:7], s[6:7]
; %bb.75:
	s_mov_b32 s8, 0x7f800000
	v_mov_b32_e32 v3, 0x7e
	v_mov_b32_e32 v7, 0x7f
	v_cmp_lt_u32_e32 vcc, s8, v6
	v_cndmask_b32_e32 v3, v3, v7, vcc
; %bb.76:
	s_or_b64 exec, exec, s[6:7]
	v_lshrrev_b32_e32 v2, 24, v2
	s_movk_i32 s6, 0x80
	v_and_or_b32 v2, v2, s6, v3
	global_store_byte v[4:5], v2, off
.LBB134_77:
	s_mov_b64 s[6:7], 0
.LBB134_78:
	s_andn2_b64 vcc, exec, s[6:7]
	s_cbranch_vccnz .LBB134_88
; %bb.79:
	v_cvt_f32_f64_e32 v2, v[0:1]
	s_mov_b32 s6, 0x47800000
                                        ; implicit-def: $vgpr3
	v_and_b32_e32 v6, 0x7fffffff, v2
	v_cmp_gt_u32_e32 vcc, s6, v6
	s_and_saveexec_b64 s[6:7], vcc
	s_xor_b64 s[6:7], exec, s[6:7]
	s_cbranch_execz .LBB134_85
; %bb.80:
	s_mov_b32 s8, 0x387fffff
	v_cmp_lt_u32_e32 vcc, s8, v6
                                        ; implicit-def: $vgpr3
	s_and_saveexec_b64 s[8:9], vcc
	s_xor_b64 s[8:9], exec, s[8:9]
; %bb.81:
	v_bfe_u32 v3, v2, 21, 1
	s_mov_b32 s10, 0x80fffff
	v_add3_u32 v3, v2, v3, s10
	v_lshrrev_b32_e32 v3, 21, v3
; %bb.82:
	s_andn2_saveexec_b64 s[8:9], s[8:9]
; %bb.83:
	s_mov_b32 s10, 0x43000000
	v_add_f32_e64 v3, |v2|, s10
; %bb.84:
	s_or_b64 exec, exec, s[8:9]
                                        ; implicit-def: $vgpr6
.LBB134_85:
	s_andn2_saveexec_b64 s[6:7], s[6:7]
; %bb.86:
	s_mov_b32 s8, 0x7f800000
	v_mov_b32_e32 v3, 0x7c
	v_mov_b32_e32 v7, 0x7f
	v_cmp_lt_u32_e32 vcc, s8, v6
	v_cndmask_b32_e32 v3, v3, v7, vcc
; %bb.87:
	s_or_b64 exec, exec, s[6:7]
	v_lshrrev_b32_e32 v2, 24, v2
	s_movk_i32 s6, 0x80
	v_and_or_b32 v2, v2, s6, v3
	global_store_byte v[4:5], v2, off
.LBB134_88:
	s_mov_b64 s[8:9], 0
	s_mov_b64 s[6:7], -1
.LBB134_89:
	s_andn2_b64 vcc, exec, s[8:9]
	s_cbranch_vccnz .LBB134_97
; %bb.90:
	s_cmp_gt_i32 s13, 14
	s_mov_b64 s[8:9], -1
	s_cbranch_scc0 .LBB134_94
; %bb.91:
	s_cmp_eq_u32 s13, 15
	s_mov_b64 s[4:5], -1
	s_cbranch_scc0 .LBB134_93
; %bb.92:
	v_cvt_f32_f64_e32 v2, v[0:1]
	s_movk_i32 s4, 0x7fff
	v_mov_b32_e32 v3, 0x7fc0
	s_mov_b64 s[6:7], -1
	v_bfe_u32 v6, v2, 16, 1
	v_cmp_o_f32_e32 vcc, v2, v2
	v_add3_u32 v2, v2, v6, s4
	v_cndmask_b32_sdwa v2, v3, v2, vcc dst_sel:DWORD dst_unused:UNUSED_PAD src0_sel:DWORD src1_sel:WORD_1
	global_store_short v[4:5], v2, off
	s_mov_b64 s[4:5], 0
.LBB134_93:
	s_mov_b64 s[8:9], 0
.LBB134_94:
	s_and_b64 vcc, exec, s[8:9]
	s_cbranch_vccz .LBB134_97
; %bb.95:
	s_cmp_eq_u32 s13, 11
	s_mov_b64 s[4:5], -1
	s_cbranch_scc0 .LBB134_97
; %bb.96:
	v_cmp_neq_f64_e32 vcc, 0, v[0:1]
	s_mov_b64 s[4:5], 0
	s_mov_b64 s[6:7], -1
	v_cndmask_b32_e64 v2, 0, 1, vcc
	global_store_byte v[4:5], v2, off
.LBB134_97:
	s_branch .LBB134_24
.LBB134_98:
	s_and_b32 s8, 0xffff, s12
	s_cmp_lt_i32 s8, 5
	s_mov_b64 s[6:7], -1
	s_cbranch_scc1 .LBB134_119
; %bb.99:
	s_cmp_lt_i32 s8, 8
	s_cbranch_scc1 .LBB134_109
; %bb.100:
	s_cmp_lt_i32 s8, 9
	s_cbranch_scc1 .LBB134_106
; %bb.101:
	s_cmp_gt_i32 s8, 9
	s_cbranch_scc0 .LBB134_103
; %bb.102:
	v_mov_b32_e32 v2, 0
	v_mov_b32_e32 v3, v2
	global_store_dwordx4 v[4:5], v[0:3], off
	s_mov_b64 s[6:7], 0
.LBB134_103:
	s_andn2_b64 vcc, exec, s[6:7]
	s_cbranch_vccnz .LBB134_105
; %bb.104:
	v_cvt_f32_f64_e32 v2, v[0:1]
	v_mov_b32_e32 v3, 0
	global_store_dwordx2 v[4:5], v[2:3], off
.LBB134_105:
	s_mov_b64 s[6:7], 0
.LBB134_106:
	s_andn2_b64 vcc, exec, s[6:7]
	s_cbranch_vccnz .LBB134_108
; %bb.107:
	s_movk_i32 s6, 0x1ff
	v_and_or_b32 v2, v1, s6, v0
	v_cmp_ne_u32_e32 vcc, 0, v2
	v_cndmask_b32_e64 v2, 0, 1, vcc
	v_lshrrev_b32_e32 v3, 8, v1
	s_movk_i32 s6, 0xffe
	v_bfe_u32 v6, v1, 20, 11
	v_and_or_b32 v2, v3, s6, v2
	v_sub_u32_e32 v7, 0x3f1, v6
	v_or_b32_e32 v3, 0x1000, v2
	v_med3_i32 v7, v7, 0, 13
	v_lshrrev_b32_e32 v8, v7, v3
	v_lshlrev_b32_e32 v7, v7, v8
	v_cmp_ne_u32_e32 vcc, v7, v3
	v_cndmask_b32_e64 v3, 0, 1, vcc
	v_add_u32_e32 v6, 0xfffffc10, v6
	v_or_b32_e32 v3, v8, v3
	v_lshl_or_b32 v7, v6, 12, v2
	v_cmp_gt_i32_e32 vcc, 1, v6
	v_cndmask_b32_e32 v3, v7, v3, vcc
	v_and_b32_e32 v7, 7, v3
	v_cmp_lt_i32_e32 vcc, 5, v7
	v_cndmask_b32_e64 v8, 0, 1, vcc
	v_cmp_eq_u32_e32 vcc, 3, v7
	v_cndmask_b32_e64 v7, 0, 1, vcc
	v_or_b32_e32 v7, v7, v8
	v_lshrrev_b32_e32 v3, 2, v3
	v_add_u32_e32 v3, v3, v7
	v_mov_b32_e32 v7, 0x7c00
	v_cmp_gt_i32_e32 vcc, 31, v6
	v_cndmask_b32_e32 v3, v7, v3, vcc
	v_mov_b32_e32 v8, 0x7e00
	v_cmp_ne_u32_e32 vcc, 0, v2
	s_movk_i32 s6, 0x40f
	v_cndmask_b32_e32 v2, v7, v8, vcc
	v_cmp_eq_u32_e32 vcc, s6, v6
	v_cndmask_b32_e32 v2, v3, v2, vcc
	v_lshrrev_b32_e32 v3, 16, v1
	s_mov_b32 s6, 0x8000
	v_and_or_b32 v2, v3, s6, v2
	v_and_b32_e32 v2, 0xffff, v2
	global_store_dword v[4:5], v2, off
.LBB134_108:
	s_mov_b64 s[6:7], 0
.LBB134_109:
	s_andn2_b64 vcc, exec, s[6:7]
	s_cbranch_vccnz .LBB134_118
; %bb.110:
	s_cmp_lt_i32 s8, 6
	s_mov_b64 s[6:7], -1
	s_cbranch_scc1 .LBB134_116
; %bb.111:
	s_cmp_gt_i32 s8, 6
	s_cbranch_scc0 .LBB134_113
; %bb.112:
	global_store_dwordx2 v[4:5], v[0:1], off
	s_mov_b64 s[6:7], 0
.LBB134_113:
	s_andn2_b64 vcc, exec, s[6:7]
	s_cbranch_vccnz .LBB134_115
; %bb.114:
	v_cvt_f32_f64_e32 v2, v[0:1]
	global_store_dword v[4:5], v2, off
.LBB134_115:
	s_mov_b64 s[6:7], 0
.LBB134_116:
	s_andn2_b64 vcc, exec, s[6:7]
	s_cbranch_vccnz .LBB134_118
; %bb.117:
	s_movk_i32 s6, 0x1ff
	v_and_or_b32 v2, v1, s6, v0
	v_cmp_ne_u32_e32 vcc, 0, v2
	v_cndmask_b32_e64 v2, 0, 1, vcc
	v_lshrrev_b32_e32 v3, 8, v1
	s_movk_i32 s6, 0xffe
	v_bfe_u32 v6, v1, 20, 11
	v_and_or_b32 v2, v3, s6, v2
	v_sub_u32_e32 v7, 0x3f1, v6
	v_or_b32_e32 v3, 0x1000, v2
	v_med3_i32 v7, v7, 0, 13
	v_lshrrev_b32_e32 v8, v7, v3
	v_lshlrev_b32_e32 v7, v7, v8
	v_cmp_ne_u32_e32 vcc, v7, v3
	v_cndmask_b32_e64 v3, 0, 1, vcc
	v_add_u32_e32 v6, 0xfffffc10, v6
	v_or_b32_e32 v3, v8, v3
	v_lshl_or_b32 v7, v6, 12, v2
	v_cmp_gt_i32_e32 vcc, 1, v6
	v_cndmask_b32_e32 v3, v7, v3, vcc
	v_and_b32_e32 v7, 7, v3
	v_cmp_lt_i32_e32 vcc, 5, v7
	v_cndmask_b32_e64 v8, 0, 1, vcc
	v_cmp_eq_u32_e32 vcc, 3, v7
	v_cndmask_b32_e64 v7, 0, 1, vcc
	v_or_b32_e32 v7, v7, v8
	v_lshrrev_b32_e32 v3, 2, v3
	v_add_u32_e32 v3, v3, v7
	v_mov_b32_e32 v7, 0x7c00
	v_cmp_gt_i32_e32 vcc, 31, v6
	v_cndmask_b32_e32 v3, v7, v3, vcc
	v_mov_b32_e32 v8, 0x7e00
	v_cmp_ne_u32_e32 vcc, 0, v2
	s_movk_i32 s6, 0x40f
	v_cndmask_b32_e32 v2, v7, v8, vcc
	v_cmp_eq_u32_e32 vcc, s6, v6
	v_cndmask_b32_e32 v2, v3, v2, vcc
	v_lshrrev_b32_e32 v3, 16, v1
	s_mov_b32 s6, 0x8000
	v_and_or_b32 v2, v3, s6, v2
	global_store_short v[4:5], v2, off
.LBB134_118:
	s_mov_b64 s[6:7], 0
.LBB134_119:
	s_andn2_b64 vcc, exec, s[6:7]
	s_cbranch_vccnz .LBB134_135
; %bb.120:
	s_cmp_lt_i32 s8, 2
	s_mov_b64 s[6:7], -1
	s_cbranch_scc1 .LBB134_130
; %bb.121:
	s_cmp_lt_i32 s8, 3
	s_cbranch_scc1 .LBB134_127
; %bb.122:
	s_cmp_gt_i32 s8, 3
	s_cbranch_scc0 .LBB134_124
; %bb.123:
	v_trunc_f64_e32 v[2:3], v[0:1]
	s_movk_i32 s6, 0xffe0
	v_ldexp_f64 v[6:7], v[2:3], s6
	s_mov_b32 s6, 0
	s_mov_b32 s7, 0xc1f00000
	v_floor_f64_e32 v[6:7], v[6:7]
	v_fma_f64 v[2:3], v[6:7], s[6:7], v[2:3]
	v_cvt_i32_f64_e32 v7, v[6:7]
	s_mov_b64 s[6:7], 0
	v_cvt_u32_f64_e32 v6, v[2:3]
	global_store_dwordx2 v[4:5], v[6:7], off
.LBB134_124:
	s_andn2_b64 vcc, exec, s[6:7]
	s_cbranch_vccnz .LBB134_126
; %bb.125:
	v_cvt_i32_f64_e32 v2, v[0:1]
	global_store_dword v[4:5], v2, off
.LBB134_126:
	s_mov_b64 s[6:7], 0
.LBB134_127:
	s_andn2_b64 vcc, exec, s[6:7]
	s_cbranch_vccnz .LBB134_129
; %bb.128:
	v_cvt_i32_f64_e32 v2, v[0:1]
	global_store_short v[4:5], v2, off
.LBB134_129:
	s_mov_b64 s[6:7], 0
.LBB134_130:
	s_andn2_b64 vcc, exec, s[6:7]
	s_cbranch_vccnz .LBB134_135
; %bb.131:
	s_cmp_gt_i32 s8, 0
	s_mov_b64 s[6:7], -1
	s_cbranch_scc0 .LBB134_133
; %bb.132:
	v_cvt_i32_f64_e32 v2, v[0:1]
	s_mov_b64 s[6:7], 0
	global_store_byte v[4:5], v2, off
.LBB134_133:
	s_andn2_b64 vcc, exec, s[6:7]
	s_cbranch_vccnz .LBB134_135
; %bb.134:
	v_trunc_f64_e32 v[0:1], v[0:1]
	s_movk_i32 s6, 0xffe0
	v_ldexp_f64 v[2:3], v[0:1], s6
	s_mov_b32 s6, 0
	s_mov_b32 s7, 0xc1f00000
	v_floor_f64_e32 v[2:3], v[2:3]
	v_fma_f64 v[0:1], v[2:3], s[6:7], v[0:1]
	v_cvt_u32_f64_e32 v0, v[0:1]
	global_store_byte v[4:5], v0, off
.LBB134_135:
	s_branch .LBB134_25
.LBB134_136:
	s_mov_b64 s[6:7], 0
                                        ; implicit-def: $vgpr33
.LBB134_137:
	s_and_b64 s[62:63], s[4:5], exec
	s_orn2_b64 s[4:5], s[6:7], exec
.LBB134_138:
	s_or_b64 exec, exec, s[64:65]
	s_mov_b64 s[6:7], 0
                                        ; implicit-def: $sgpr14
                                        ; implicit-def: $vgpr4_vgpr5
                                        ; implicit-def: $vgpr0_vgpr1
	s_and_saveexec_b64 s[64:65], s[4:5]
	s_cbranch_execz .LBB134_145
; %bb.139:
	v_cmp_gt_i32_e32 vcc, s74, v33
	s_mov_b64 s[8:9], -1
	s_mov_b64 s[66:67], s[62:63]
	s_and_saveexec_b64 s[68:69], vcc
	s_cbranch_execz .LBB134_284
; %bb.140:
	s_andn2_b64 vcc, exec, s[50:51]
	s_cbranch_vccnz .LBB134_148
; %bb.141:
	s_andn2_b64 vcc, exec, s[60:61]
	s_cbranch_vccnz .LBB134_149
; %bb.142:
	s_add_i32 s31, s78, 1
	s_cmp_eq_u32 s76, 2
	s_cbranch_scc1 .LBB134_150
; %bb.143:
	s_and_b32 s30, s31, 28
	v_mov_b32_e32 v2, 0
	s_mov_b32 s66, 0
	s_mov_b64 s[24:25], s[34:35]
	s_mov_b64 s[26:27], s[58:59]
	v_mov_b32_e32 v31, 0
	v_mov_b32_e32 v0, v33
.LBB134_144:                            ; =>This Inner Loop Header: Depth=1
	s_load_dwordx8 s[12:19], s[24:25], 0x4
	s_load_dwordx4 s[20:23], s[24:25], 0x24
	s_load_dwordx8 s[4:11], s[26:27], 0x0
	s_add_u32 s24, s24, 48
	s_addc_u32 s25, s25, 0
	s_waitcnt lgkmcnt(0)
	v_mul_hi_u32 v1, s13, v0
	s_add_i32 s66, s66, 4
	s_add_u32 s26, s26, 32
	s_addc_u32 s27, s27, 0
	v_add_u32_e32 v1, v0, v1
	v_lshrrev_b32_e32 v1, s14, v1
	v_mul_lo_u32 v3, v1, s12
	v_mul_hi_u32 v4, s16, v1
	s_cmp_eq_u32 s30, s66
	v_sub_u32_e32 v0, v0, v3
	v_add_u32_e32 v3, v1, v4
	v_mul_lo_u32 v4, v0, s4
	v_mul_lo_u32 v5, v0, s5
	v_lshrrev_b32_e32 v0, s17, v3
	v_mul_lo_u32 v3, v0, s15
	v_mul_hi_u32 v6, s19, v0
	v_sub_u32_e32 v1, v1, v3
	v_add_u32_e32 v3, v0, v6
	v_lshrrev_b32_e32 v3, s20, v3
	v_mul_hi_u32 v7, s22, v3
	v_mul_lo_u32 v8, v3, s18
	v_mul_lo_u32 v6, v1, s6
	;; [unrolled: 1-line block ×3, first 2 shown]
	v_sub_u32_e32 v8, v0, v8
	v_add_u32_e32 v0, v3, v7
	v_lshrrev_b32_e32 v0, s23, v0
	v_mul_lo_u32 v7, v0, s21
	v_mul_lo_u32 v9, v8, s8
	v_mul_lo_u32 v8, v8, s9
	v_add3_u32 v4, v4, v31, v6
	v_sub_u32_e32 v3, v3, v7
	v_mul_lo_u32 v7, v3, s10
	v_mul_lo_u32 v3, v3, s11
	v_add3_u32 v1, v5, v2, v1
	v_add3_u32 v31, v9, v4, v7
	;; [unrolled: 1-line block ×3, first 2 shown]
	s_cbranch_scc0 .LBB134_144
	s_branch .LBB134_151
.LBB134_145:
	s_or_b64 exec, exec, s[64:65]
	s_mov_b64 s[4:5], 0
	s_and_saveexec_b64 s[8:9], s[62:63]
	s_cbranch_execnz .LBB134_530
.LBB134_146:
	s_or_b64 exec, exec, s[8:9]
	s_and_saveexec_b64 s[8:9], s[68:69]
	s_xor_b64 s[8:9], exec, s[8:9]
	s_cbranch_execz .LBB134_531
.LBB134_147:
	v_cmp_neq_f64_e32 vcc, 0, v[0:1]
	v_cndmask_b32_e64 v2, 0, 1, vcc
	global_store_byte v[4:5], v2, off
	s_or_b64 exec, exec, s[8:9]
	s_and_saveexec_b64 s[8:9], s[6:7]
	s_xor_b64 s[6:7], exec, s[8:9]
	s_cbranch_execz .LBB134_569
	s_branch .LBB134_532
.LBB134_148:
                                        ; implicit-def: $vgpr31
                                        ; implicit-def: $vgpr2
	s_branch .LBB134_155
.LBB134_149:
	v_mov_b32_e32 v31, 0
	v_mov_b32_e32 v2, 0
	s_branch .LBB134_154
.LBB134_150:
	s_mov_b32 s30, 0
	v_mov_b32_e32 v31, 0
	v_mov_b32_e32 v2, 0
	;; [unrolled: 1-line block ×3, first 2 shown]
.LBB134_151:
	s_and_b32 s8, s31, 3
	s_cmp_eq_u32 s8, 0
	s_cbranch_scc1 .LBB134_154
; %bb.152:
	s_lshl_b32 s4, s30, 3
	s_add_u32 s4, s34, s4
	s_addc_u32 s5, s35, 0
	s_add_u32 s4, s4, 0xc4
	s_addc_u32 s5, s5, 0
	s_mul_i32 s6, s30, 12
	s_add_u32 s6, s34, s6
	s_addc_u32 s7, s35, 0
.LBB134_153:                            ; =>This Inner Loop Header: Depth=1
	s_load_dwordx2 s[10:11], s[6:7], 0x4
	s_load_dword s9, s[6:7], 0xc
	s_load_dwordx2 s[12:13], s[4:5], 0x0
	s_add_u32 s6, s6, 12
	s_addc_u32 s7, s7, 0
	s_waitcnt lgkmcnt(0)
	v_mul_hi_u32 v1, s11, v0
	s_add_u32 s4, s4, 8
	s_addc_u32 s5, s5, 0
	s_add_i32 s8, s8, -1
	v_add_u32_e32 v1, v0, v1
	v_lshrrev_b32_e32 v1, s9, v1
	v_mul_lo_u32 v3, v1, s10
	s_cmp_lg_u32 s8, 0
	v_sub_u32_e32 v0, v0, v3
	v_mad_u64_u32 v[31:32], s[10:11], v0, s12, v[31:32]
	v_mad_u64_u32 v[2:3], s[10:11], v0, s13, v[2:3]
	v_mov_b32_e32 v0, v1
	s_cbranch_scc1 .LBB134_153
.LBB134_154:
	s_cbranch_execnz .LBB134_157
.LBB134_155:
	s_waitcnt lgkmcnt(0)
	v_mul_hi_u32 v0, s45, v33
	s_andn2_b64 vcc, exec, s[56:57]
	v_add_u32_e32 v0, v33, v0
	v_lshrrev_b32_e32 v0, s46, v0
	v_mul_lo_u32 v1, v0, s44
	v_sub_u32_e32 v1, v33, v1
	v_mul_lo_u32 v31, v1, s40
	v_mul_lo_u32 v2, v1, s41
	s_cbranch_vccnz .LBB134_157
; %bb.156:
	v_mul_hi_u32 v1, s54, v0
	v_add_u32_e32 v1, v0, v1
	v_lshrrev_b32_e32 v1, s55, v1
	v_mul_lo_u32 v1, v1, s47
	v_sub_u32_e32 v0, v0, v1
	v_mad_u64_u32 v[31:32], s[4:5], v0, s42, v[31:32]
	v_mad_u64_u32 v[2:3], s[4:5], v0, s43, v[2:3]
.LBB134_157:
	s_getpc_b64 s[4:5]
	s_add_u32 s4, s4, _ZN2at6native6invokeIZZZNS0_18lgamma_kernel_cudaERNS_18TensorIteratorBaseEENKUlvE_clEvENKUlvE_clEvEUldE_j15function_traitsIS6_EEENT1_11result_typeERKT_PrKPcPKT0_PKN3c1010ScalarTypeEi@rel32@lo+4
	s_addc_u32 s5, s5, _ZN2at6native6invokeIZZZNS0_18lgamma_kernel_cudaERNS_18TensorIteratorBaseEENKUlvE_clEvENKUlvE_clEvEUldE_j15function_traitsIS6_EEENT1_11result_typeERKT_PrKPcPKT0_PKN3c1010ScalarTypeEi@rel32@hi+12
	s_waitcnt lgkmcnt(0)
	v_mov_b32_e32 v0, s38
	v_mov_b32_e32 v1, s39
	;; [unrolled: 1-line block ×3, first 2 shown]
	s_swappc_b64 s[30:31], s[4:5]
	v_mov_b32_e32 v2, s37
	s_and_b32 s12, s77, 0xff
	v_add_co_u32_e32 v4, vcc, s36, v31
	s_cmp_lt_i32 s12, 11
	v_addc_co_u32_e32 v5, vcc, 0, v2, vcc
	s_cbranch_scc1 .LBB134_164
; %bb.158:
	s_and_b32 s13, 0xffff, s12
	s_cmp_gt_i32 s13, 25
	s_cbranch_scc0 .LBB134_167
; %bb.159:
	s_cmp_gt_i32 s13, 28
	s_cbranch_scc0 .LBB134_168
; %bb.160:
	;; [unrolled: 3-line block ×4, first 2 shown]
	s_mov_b64 s[8:9], 0
	s_mov_b64 s[4:5], -1
	s_cmp_eq_u32 s13, 46
	s_mov_b64 s[6:7], 0
	s_cbranch_scc0 .LBB134_175
; %bb.163:
	v_cvt_f32_f64_e32 v2, v[0:1]
	s_movk_i32 s4, 0x7fff
	v_mov_b32_e32 v3, 0x7fc0
	s_mov_b64 s[6:7], -1
	v_bfe_u32 v6, v2, 16, 1
	v_cmp_o_f32_e32 vcc, v2, v2
	v_add3_u32 v2, v2, v6, s4
	v_cndmask_b32_sdwa v2, v3, v2, vcc dst_sel:DWORD dst_unused:UNUSED_PAD src0_sel:DWORD src1_sel:WORD_1
	global_store_dword v[4:5], v2, off
	s_mov_b64 s[4:5], 0
	s_branch .LBB134_175
.LBB134_164:
	s_mov_b64 s[6:7], 0
	s_mov_b64 s[4:5], s[62:63]
	s_cbranch_execnz .LBB134_244
.LBB134_165:
	s_andn2_b64 vcc, exec, s[6:7]
	s_cbranch_vccnz .LBB134_282
.LBB134_166:
	v_add_u32_e32 v33, 0x80, v33
	s_mov_b64 s[6:7], -1
	s_branch .LBB134_283
.LBB134_167:
	s_mov_b64 s[8:9], -1
	s_mov_b64 s[6:7], 0
	s_mov_b64 s[4:5], s[62:63]
	s_branch .LBB134_202
.LBB134_168:
	s_mov_b64 s[8:9], -1
	s_mov_b64 s[6:7], 0
	s_mov_b64 s[4:5], s[62:63]
	s_branch .LBB134_185
.LBB134_169:
	s_andn2_saveexec_b64 s[10:11], s[10:11]
	s_cbranch_execz .LBB134_51
.LBB134_170:
	s_mov_b32 s14, 0x46000000
	v_add_f32_e64 v3, |v2|, s14
	v_and_b32_e32 v3, 0xff, v3
	v_cmp_ne_u32_e32 vcc, 0, v3
	s_andn2_b64 s[8:9], s[8:9], exec
	s_and_b64 s[14:15], vcc, exec
	s_or_b64 s[8:9], s[8:9], s[14:15]
	s_or_b64 exec, exec, s[10:11]
	v_mov_b32_e32 v6, 0
	s_and_saveexec_b64 s[10:11], s[8:9]
	s_cbranch_execnz .LBB134_52
	s_branch .LBB134_53
.LBB134_171:
	s_mov_b64 s[8:9], -1
	s_mov_b64 s[6:7], 0
	s_mov_b64 s[4:5], s[62:63]
	s_branch .LBB134_181
.LBB134_172:
	s_andn2_saveexec_b64 s[10:11], s[10:11]
	s_cbranch_execz .LBB134_63
.LBB134_173:
	s_mov_b32 s14, 0x42800000
	v_add_f32_e64 v3, |v2|, s14
	v_and_b32_e32 v3, 0xff, v3
	v_cmp_ne_u32_e32 vcc, 0, v3
	s_andn2_b64 s[8:9], s[8:9], exec
	s_and_b64 s[14:15], vcc, exec
	s_or_b64 s[8:9], s[8:9], s[14:15]
	s_or_b64 exec, exec, s[10:11]
	v_mov_b32_e32 v6, 0
	s_and_saveexec_b64 s[10:11], s[8:9]
	s_cbranch_execnz .LBB134_64
	s_branch .LBB134_65
.LBB134_174:
	s_mov_b64 s[8:9], -1
	s_mov_b64 s[6:7], 0
	s_mov_b64 s[4:5], s[62:63]
.LBB134_175:
	s_and_b64 vcc, exec, s[8:9]
	s_cbranch_vccz .LBB134_180
; %bb.176:
	s_cmp_eq_u32 s13, 44
	s_mov_b64 s[4:5], -1
	s_cbranch_scc0 .LBB134_180
; %bb.177:
	v_cvt_f32_f64_e32 v2, v[0:1]
	s_movk_i32 s4, 0xff
	v_mov_b32_e32 v6, 0xff
	v_bfe_u32 v3, v2, 23, 8
	v_cmp_ne_u32_e32 vcc, s4, v3
	s_and_saveexec_b64 s[6:7], vcc
; %bb.178:
	s_mov_b32 s4, 0x3fffff
	v_lshrrev_b32_e32 v6, 23, v2
	v_and_b32_e32 v7, 0x400000, v2
	v_and_or_b32 v2, v2, s4, v3
	v_cmp_ne_u32_e32 vcc, 0, v7
	v_cmp_ne_u32_e64 s[4:5], 0, v2
	s_and_b64 s[4:5], vcc, s[4:5]
	v_cndmask_b32_e64 v2, 0, 1, s[4:5]
	v_add_u32_e32 v6, v6, v2
; %bb.179:
	s_or_b64 exec, exec, s[6:7]
	s_mov_b64 s[6:7], -1
	s_mov_b64 s[4:5], 0
	global_store_byte v[4:5], v6, off
.LBB134_180:
	s_mov_b64 s[8:9], 0
.LBB134_181:
	s_and_b64 vcc, exec, s[8:9]
	s_cbranch_vccz .LBB134_184
; %bb.182:
	s_cmp_eq_u32 s13, 29
	s_mov_b64 s[4:5], -1
	s_cbranch_scc0 .LBB134_184
; %bb.183:
	v_trunc_f64_e32 v[2:3], v[0:1]
	s_movk_i32 s4, 0xffe0
	s_mov_b64 s[6:7], -1
	s_mov_b64 s[8:9], 0
	v_ldexp_f64 v[6:7], v[2:3], s4
	s_mov_b32 s4, 0
	s_mov_b32 s5, 0xc1f00000
	v_floor_f64_e32 v[6:7], v[6:7]
	v_fma_f64 v[2:3], v[6:7], s[4:5], v[2:3]
	v_cvt_u32_f64_e32 v7, v[6:7]
	s_mov_b64 s[4:5], 0
	v_cvt_u32_f64_e32 v6, v[2:3]
	global_store_dwordx2 v[4:5], v[6:7], off
	s_branch .LBB134_185
.LBB134_184:
	s_mov_b64 s[8:9], 0
.LBB134_185:
	s_and_b64 vcc, exec, s[8:9]
	s_cbranch_vccz .LBB134_201
; %bb.186:
	s_cmp_lt_i32 s13, 27
	s_mov_b64 s[6:7], -1
	s_cbranch_scc1 .LBB134_192
; %bb.187:
	v_cvt_u32_f64_e32 v2, v[0:1]
	s_cmp_gt_i32 s13, 27
	s_cbranch_scc0 .LBB134_189
; %bb.188:
	s_mov_b64 s[6:7], 0
	global_store_dword v[4:5], v2, off
.LBB134_189:
	s_andn2_b64 vcc, exec, s[6:7]
	s_cbranch_vccnz .LBB134_191
; %bb.190:
	global_store_short v[4:5], v2, off
.LBB134_191:
	s_mov_b64 s[6:7], 0
.LBB134_192:
	s_andn2_b64 vcc, exec, s[6:7]
	s_cbranch_vccnz .LBB134_200
; %bb.193:
	v_cvt_f32_f64_e32 v2, v[0:1]
	s_mov_b32 s6, 0x43800000
	v_mov_b32_e32 v6, 0x80
	v_and_b32_e32 v3, 0x7fffffff, v2
	v_cmp_gt_u32_e32 vcc, s6, v3
	s_and_saveexec_b64 s[6:7], vcc
	s_cbranch_execz .LBB134_199
; %bb.194:
	s_mov_b32 s8, 0x3bffffff
	v_cmp_lt_u32_e32 vcc, s8, v3
	s_mov_b64 s[8:9], 0
                                        ; implicit-def: $vgpr3
	s_and_saveexec_b64 s[10:11], vcc
	s_xor_b64 s[10:11], exec, s[10:11]
	s_cbranch_execz .LBB134_311
; %bb.195:
	v_bfe_u32 v3, v2, 20, 1
	s_mov_b32 s14, 0x487ffff
	v_add3_u32 v3, v2, v3, s14
	s_mov_b64 s[8:9], exec
	v_lshrrev_b32_e32 v3, 20, v3
	s_andn2_saveexec_b64 s[10:11], s[10:11]
	s_cbranch_execnz .LBB134_312
.LBB134_196:
	s_or_b64 exec, exec, s[10:11]
	v_mov_b32_e32 v6, 0
	s_and_saveexec_b64 s[10:11], s[8:9]
.LBB134_197:
	v_lshrrev_b32_e32 v2, 24, v2
	s_movk_i32 s8, 0x80
	v_and_or_b32 v6, v2, s8, v3
.LBB134_198:
	s_or_b64 exec, exec, s[10:11]
.LBB134_199:
	s_or_b64 exec, exec, s[6:7]
	global_store_byte v[4:5], v6, off
.LBB134_200:
	s_mov_b64 s[6:7], -1
.LBB134_201:
	s_mov_b64 s[8:9], 0
.LBB134_202:
	s_and_b64 vcc, exec, s[8:9]
	s_cbranch_vccz .LBB134_243
; %bb.203:
	s_cmp_gt_i32 s13, 22
	s_mov_b64 s[8:9], -1
	s_cbranch_scc0 .LBB134_235
; %bb.204:
	s_cmp_lt_i32 s13, 24
	s_mov_b64 s[6:7], -1
	s_cbranch_scc1 .LBB134_224
; %bb.205:
	s_cmp_gt_i32 s13, 24
	s_cbranch_scc0 .LBB134_213
; %bb.206:
	v_cvt_f32_f64_e32 v2, v[0:1]
	s_mov_b32 s6, 0x47800000
	v_mov_b32_e32 v6, 0x80
	v_and_b32_e32 v3, 0x7fffffff, v2
	v_cmp_gt_u32_e32 vcc, s6, v3
	s_and_saveexec_b64 s[6:7], vcc
	s_cbranch_execz .LBB134_212
; %bb.207:
	s_mov_b32 s8, 0x37ffffff
	v_cmp_lt_u32_e32 vcc, s8, v3
	s_mov_b64 s[8:9], 0
                                        ; implicit-def: $vgpr3
	s_and_saveexec_b64 s[10:11], vcc
	s_xor_b64 s[10:11], exec, s[10:11]
	s_cbranch_execz .LBB134_314
; %bb.208:
	v_bfe_u32 v3, v2, 21, 1
	s_mov_b32 s14, 0x88fffff
	v_add3_u32 v3, v2, v3, s14
	s_mov_b64 s[8:9], exec
	v_lshrrev_b32_e32 v3, 21, v3
	s_andn2_saveexec_b64 s[10:11], s[10:11]
	s_cbranch_execnz .LBB134_315
.LBB134_209:
	s_or_b64 exec, exec, s[10:11]
	v_mov_b32_e32 v6, 0
	s_and_saveexec_b64 s[10:11], s[8:9]
.LBB134_210:
	v_lshrrev_b32_e32 v2, 24, v2
	s_movk_i32 s8, 0x80
	v_and_or_b32 v6, v2, s8, v3
.LBB134_211:
	s_or_b64 exec, exec, s[10:11]
.LBB134_212:
	s_or_b64 exec, exec, s[6:7]
	s_mov_b64 s[6:7], 0
	global_store_byte v[4:5], v6, off
.LBB134_213:
	s_and_b64 vcc, exec, s[6:7]
	s_cbranch_vccz .LBB134_223
; %bb.214:
	v_cvt_f32_f64_e32 v2, v[0:1]
	s_mov_b32 s6, 0x43f00000
                                        ; implicit-def: $vgpr3
	v_and_b32_e32 v6, 0x7fffffff, v2
	v_cmp_gt_u32_e32 vcc, s6, v6
	s_and_saveexec_b64 s[6:7], vcc
	s_xor_b64 s[6:7], exec, s[6:7]
	s_cbranch_execz .LBB134_220
; %bb.215:
	s_mov_b32 s8, 0x3c7fffff
	v_cmp_lt_u32_e32 vcc, s8, v6
                                        ; implicit-def: $vgpr3
	s_and_saveexec_b64 s[8:9], vcc
	s_xor_b64 s[8:9], exec, s[8:9]
; %bb.216:
	v_bfe_u32 v3, v2, 20, 1
	s_mov_b32 s10, 0x407ffff
	v_add3_u32 v3, v2, v3, s10
	v_lshrrev_b32_e32 v6, 20, v3
	v_and_b32_e32 v3, 0xff00000, v3
	s_mov_b32 s10, 0x7f00000
	v_mov_b32_e32 v7, 0x7e
	v_cmp_ne_u32_e32 vcc, s10, v3
	v_cndmask_b32_e32 v3, v7, v6, vcc
; %bb.217:
	s_andn2_saveexec_b64 s[8:9], s[8:9]
; %bb.218:
	s_mov_b32 s10, 0x46800000
	v_add_f32_e64 v3, |v2|, s10
; %bb.219:
	s_or_b64 exec, exec, s[8:9]
                                        ; implicit-def: $vgpr6
.LBB134_220:
	s_andn2_saveexec_b64 s[6:7], s[6:7]
; %bb.221:
	s_mov_b32 s8, 0x7f800000
	v_mov_b32_e32 v3, 0x7e
	v_mov_b32_e32 v7, 0x7f
	v_cmp_lt_u32_e32 vcc, s8, v6
	v_cndmask_b32_e32 v3, v3, v7, vcc
; %bb.222:
	s_or_b64 exec, exec, s[6:7]
	v_lshrrev_b32_e32 v2, 24, v2
	s_movk_i32 s6, 0x80
	v_and_or_b32 v2, v2, s6, v3
	global_store_byte v[4:5], v2, off
.LBB134_223:
	s_mov_b64 s[6:7], 0
.LBB134_224:
	s_andn2_b64 vcc, exec, s[6:7]
	s_cbranch_vccnz .LBB134_234
; %bb.225:
	v_cvt_f32_f64_e32 v2, v[0:1]
	s_mov_b32 s6, 0x47800000
                                        ; implicit-def: $vgpr3
	v_and_b32_e32 v6, 0x7fffffff, v2
	v_cmp_gt_u32_e32 vcc, s6, v6
	s_and_saveexec_b64 s[6:7], vcc
	s_xor_b64 s[6:7], exec, s[6:7]
	s_cbranch_execz .LBB134_231
; %bb.226:
	s_mov_b32 s8, 0x387fffff
	v_cmp_lt_u32_e32 vcc, s8, v6
                                        ; implicit-def: $vgpr3
	s_and_saveexec_b64 s[8:9], vcc
	s_xor_b64 s[8:9], exec, s[8:9]
; %bb.227:
	v_bfe_u32 v3, v2, 21, 1
	s_mov_b32 s10, 0x80fffff
	v_add3_u32 v3, v2, v3, s10
	v_lshrrev_b32_e32 v3, 21, v3
; %bb.228:
	s_andn2_saveexec_b64 s[8:9], s[8:9]
; %bb.229:
	s_mov_b32 s10, 0x43000000
	v_add_f32_e64 v3, |v2|, s10
; %bb.230:
	s_or_b64 exec, exec, s[8:9]
                                        ; implicit-def: $vgpr6
.LBB134_231:
	s_andn2_saveexec_b64 s[6:7], s[6:7]
; %bb.232:
	s_mov_b32 s8, 0x7f800000
	v_mov_b32_e32 v3, 0x7c
	v_mov_b32_e32 v7, 0x7f
	v_cmp_lt_u32_e32 vcc, s8, v6
	v_cndmask_b32_e32 v3, v3, v7, vcc
; %bb.233:
	s_or_b64 exec, exec, s[6:7]
	v_lshrrev_b32_e32 v2, 24, v2
	s_movk_i32 s6, 0x80
	v_and_or_b32 v2, v2, s6, v3
	global_store_byte v[4:5], v2, off
.LBB134_234:
	s_mov_b64 s[8:9], 0
	s_mov_b64 s[6:7], -1
.LBB134_235:
	s_andn2_b64 vcc, exec, s[8:9]
	s_cbranch_vccnz .LBB134_243
; %bb.236:
	s_cmp_gt_i32 s13, 14
	s_mov_b64 s[8:9], -1
	s_cbranch_scc0 .LBB134_240
; %bb.237:
	s_cmp_eq_u32 s13, 15
	s_mov_b64 s[4:5], -1
	s_cbranch_scc0 .LBB134_239
; %bb.238:
	v_cvt_f32_f64_e32 v2, v[0:1]
	s_movk_i32 s4, 0x7fff
	v_mov_b32_e32 v3, 0x7fc0
	s_mov_b64 s[6:7], -1
	v_bfe_u32 v6, v2, 16, 1
	v_cmp_o_f32_e32 vcc, v2, v2
	v_add3_u32 v2, v2, v6, s4
	v_cndmask_b32_sdwa v2, v3, v2, vcc dst_sel:DWORD dst_unused:UNUSED_PAD src0_sel:DWORD src1_sel:WORD_1
	global_store_short v[4:5], v2, off
	s_mov_b64 s[4:5], 0
.LBB134_239:
	s_mov_b64 s[8:9], 0
.LBB134_240:
	s_and_b64 vcc, exec, s[8:9]
	s_cbranch_vccz .LBB134_243
; %bb.241:
	s_cmp_eq_u32 s13, 11
	s_mov_b64 s[4:5], -1
	s_cbranch_scc0 .LBB134_243
; %bb.242:
	v_cmp_neq_f64_e32 vcc, 0, v[0:1]
	s_mov_b64 s[4:5], 0
	s_mov_b64 s[6:7], -1
	v_cndmask_b32_e64 v2, 0, 1, vcc
	global_store_byte v[4:5], v2, off
.LBB134_243:
	s_branch .LBB134_165
.LBB134_244:
	s_and_b32 s8, 0xffff, s12
	s_cmp_lt_i32 s8, 5
	s_mov_b64 s[6:7], -1
	s_cbranch_scc1 .LBB134_265
; %bb.245:
	s_cmp_lt_i32 s8, 8
	s_cbranch_scc1 .LBB134_255
; %bb.246:
	s_cmp_lt_i32 s8, 9
	s_cbranch_scc1 .LBB134_252
; %bb.247:
	s_cmp_gt_i32 s8, 9
	s_cbranch_scc0 .LBB134_249
; %bb.248:
	v_mov_b32_e32 v2, 0
	v_mov_b32_e32 v3, v2
	s_mov_b64 s[6:7], 0
	global_store_dwordx4 v[4:5], v[0:3], off
.LBB134_249:
	s_andn2_b64 vcc, exec, s[6:7]
	s_cbranch_vccnz .LBB134_251
; %bb.250:
	v_cvt_f32_f64_e32 v2, v[0:1]
	v_mov_b32_e32 v3, 0
	global_store_dwordx2 v[4:5], v[2:3], off
.LBB134_251:
	s_mov_b64 s[6:7], 0
.LBB134_252:
	s_andn2_b64 vcc, exec, s[6:7]
	s_cbranch_vccnz .LBB134_254
; %bb.253:
	s_movk_i32 s6, 0x1ff
	v_and_or_b32 v2, v1, s6, v0
	v_cmp_ne_u32_e32 vcc, 0, v2
	v_cndmask_b32_e64 v2, 0, 1, vcc
	v_lshrrev_b32_e32 v3, 8, v1
	s_movk_i32 s6, 0xffe
	v_bfe_u32 v6, v1, 20, 11
	v_and_or_b32 v2, v3, s6, v2
	v_sub_u32_e32 v7, 0x3f1, v6
	v_or_b32_e32 v3, 0x1000, v2
	v_med3_i32 v7, v7, 0, 13
	v_lshrrev_b32_e32 v8, v7, v3
	v_lshlrev_b32_e32 v7, v7, v8
	v_cmp_ne_u32_e32 vcc, v7, v3
	v_cndmask_b32_e64 v3, 0, 1, vcc
	v_add_u32_e32 v6, 0xfffffc10, v6
	v_or_b32_e32 v3, v8, v3
	v_lshl_or_b32 v7, v6, 12, v2
	v_cmp_gt_i32_e32 vcc, 1, v6
	v_cndmask_b32_e32 v3, v7, v3, vcc
	v_and_b32_e32 v7, 7, v3
	v_cmp_lt_i32_e32 vcc, 5, v7
	v_cndmask_b32_e64 v8, 0, 1, vcc
	v_cmp_eq_u32_e32 vcc, 3, v7
	v_cndmask_b32_e64 v7, 0, 1, vcc
	v_or_b32_e32 v7, v7, v8
	v_lshrrev_b32_e32 v3, 2, v3
	v_add_u32_e32 v3, v3, v7
	v_mov_b32_e32 v7, 0x7c00
	v_cmp_gt_i32_e32 vcc, 31, v6
	v_cndmask_b32_e32 v3, v7, v3, vcc
	v_mov_b32_e32 v8, 0x7e00
	v_cmp_ne_u32_e32 vcc, 0, v2
	s_movk_i32 s6, 0x40f
	v_cndmask_b32_e32 v2, v7, v8, vcc
	v_cmp_eq_u32_e32 vcc, s6, v6
	v_cndmask_b32_e32 v2, v3, v2, vcc
	v_lshrrev_b32_e32 v3, 16, v1
	s_mov_b32 s6, 0x8000
	v_and_or_b32 v2, v3, s6, v2
	v_and_b32_e32 v2, 0xffff, v2
	global_store_dword v[4:5], v2, off
.LBB134_254:
	s_mov_b64 s[6:7], 0
.LBB134_255:
	s_andn2_b64 vcc, exec, s[6:7]
	s_cbranch_vccnz .LBB134_264
; %bb.256:
	s_cmp_lt_i32 s8, 6
	s_mov_b64 s[6:7], -1
	s_cbranch_scc1 .LBB134_262
; %bb.257:
	s_cmp_gt_i32 s8, 6
	s_cbranch_scc0 .LBB134_259
; %bb.258:
	s_mov_b64 s[6:7], 0
	global_store_dwordx2 v[4:5], v[0:1], off
.LBB134_259:
	s_andn2_b64 vcc, exec, s[6:7]
	s_cbranch_vccnz .LBB134_261
; %bb.260:
	v_cvt_f32_f64_e32 v2, v[0:1]
	global_store_dword v[4:5], v2, off
.LBB134_261:
	s_mov_b64 s[6:7], 0
.LBB134_262:
	s_andn2_b64 vcc, exec, s[6:7]
	s_cbranch_vccnz .LBB134_264
; %bb.263:
	s_movk_i32 s6, 0x1ff
	v_and_or_b32 v2, v1, s6, v0
	v_cmp_ne_u32_e32 vcc, 0, v2
	v_cndmask_b32_e64 v2, 0, 1, vcc
	v_lshrrev_b32_e32 v3, 8, v1
	s_movk_i32 s6, 0xffe
	v_bfe_u32 v6, v1, 20, 11
	v_and_or_b32 v2, v3, s6, v2
	v_sub_u32_e32 v7, 0x3f1, v6
	v_or_b32_e32 v3, 0x1000, v2
	v_med3_i32 v7, v7, 0, 13
	v_lshrrev_b32_e32 v8, v7, v3
	v_lshlrev_b32_e32 v7, v7, v8
	v_cmp_ne_u32_e32 vcc, v7, v3
	v_cndmask_b32_e64 v3, 0, 1, vcc
	v_add_u32_e32 v6, 0xfffffc10, v6
	v_or_b32_e32 v3, v8, v3
	v_lshl_or_b32 v7, v6, 12, v2
	v_cmp_gt_i32_e32 vcc, 1, v6
	v_cndmask_b32_e32 v3, v7, v3, vcc
	v_and_b32_e32 v7, 7, v3
	v_cmp_lt_i32_e32 vcc, 5, v7
	v_cndmask_b32_e64 v8, 0, 1, vcc
	v_cmp_eq_u32_e32 vcc, 3, v7
	v_cndmask_b32_e64 v7, 0, 1, vcc
	v_or_b32_e32 v7, v7, v8
	v_lshrrev_b32_e32 v3, 2, v3
	v_add_u32_e32 v3, v3, v7
	v_mov_b32_e32 v7, 0x7c00
	v_cmp_gt_i32_e32 vcc, 31, v6
	v_cndmask_b32_e32 v3, v7, v3, vcc
	v_mov_b32_e32 v8, 0x7e00
	v_cmp_ne_u32_e32 vcc, 0, v2
	s_movk_i32 s6, 0x40f
	v_cndmask_b32_e32 v2, v7, v8, vcc
	v_cmp_eq_u32_e32 vcc, s6, v6
	v_cndmask_b32_e32 v2, v3, v2, vcc
	v_lshrrev_b32_e32 v3, 16, v1
	s_mov_b32 s6, 0x8000
	v_and_or_b32 v2, v3, s6, v2
	global_store_short v[4:5], v2, off
.LBB134_264:
	s_mov_b64 s[6:7], 0
.LBB134_265:
	s_andn2_b64 vcc, exec, s[6:7]
	s_cbranch_vccnz .LBB134_281
; %bb.266:
	s_cmp_lt_i32 s8, 2
	s_mov_b64 s[6:7], -1
	s_cbranch_scc1 .LBB134_276
; %bb.267:
	s_cmp_lt_i32 s8, 3
	s_cbranch_scc1 .LBB134_273
; %bb.268:
	s_cmp_gt_i32 s8, 3
	s_cbranch_scc0 .LBB134_270
; %bb.269:
	v_trunc_f64_e32 v[2:3], v[0:1]
	s_movk_i32 s6, 0xffe0
	v_ldexp_f64 v[6:7], v[2:3], s6
	s_mov_b32 s6, 0
	s_mov_b32 s7, 0xc1f00000
	v_floor_f64_e32 v[6:7], v[6:7]
	v_fma_f64 v[2:3], v[6:7], s[6:7], v[2:3]
	v_cvt_i32_f64_e32 v7, v[6:7]
	s_mov_b64 s[6:7], 0
	v_cvt_u32_f64_e32 v6, v[2:3]
	global_store_dwordx2 v[4:5], v[6:7], off
.LBB134_270:
	s_andn2_b64 vcc, exec, s[6:7]
	s_cbranch_vccnz .LBB134_272
; %bb.271:
	v_cvt_i32_f64_e32 v2, v[0:1]
	global_store_dword v[4:5], v2, off
.LBB134_272:
	s_mov_b64 s[6:7], 0
.LBB134_273:
	s_andn2_b64 vcc, exec, s[6:7]
	s_cbranch_vccnz .LBB134_275
; %bb.274:
	v_cvt_i32_f64_e32 v2, v[0:1]
	global_store_short v[4:5], v2, off
.LBB134_275:
	s_mov_b64 s[6:7], 0
.LBB134_276:
	s_andn2_b64 vcc, exec, s[6:7]
	s_cbranch_vccnz .LBB134_281
; %bb.277:
	s_cmp_gt_i32 s8, 0
	s_mov_b64 s[6:7], -1
	s_cbranch_scc0 .LBB134_279
; %bb.278:
	v_cvt_i32_f64_e32 v2, v[0:1]
	s_mov_b64 s[6:7], 0
	global_store_byte v[4:5], v2, off
.LBB134_279:
	s_andn2_b64 vcc, exec, s[6:7]
	s_cbranch_vccnz .LBB134_281
; %bb.280:
	v_trunc_f64_e32 v[0:1], v[0:1]
	s_movk_i32 s6, 0xffe0
	v_ldexp_f64 v[2:3], v[0:1], s6
	s_mov_b32 s6, 0
	s_mov_b32 s7, 0xc1f00000
	v_floor_f64_e32 v[2:3], v[2:3]
	v_fma_f64 v[0:1], v[2:3], s[6:7], v[0:1]
	v_cvt_u32_f64_e32 v0, v[0:1]
	global_store_byte v[4:5], v0, off
.LBB134_281:
	s_branch .LBB134_166
.LBB134_282:
	s_mov_b64 s[6:7], 0
                                        ; implicit-def: $vgpr33
.LBB134_283:
	s_andn2_b64 s[8:9], s[62:63], exec
	s_and_b64 s[4:5], s[4:5], exec
	s_or_b64 s[66:67], s[8:9], s[4:5]
	s_orn2_b64 s[8:9], s[6:7], exec
.LBB134_284:
	s_or_b64 exec, exec, s[68:69]
	s_mov_b64 s[4:5], 0
	s_mov_b64 s[6:7], 0
                                        ; implicit-def: $sgpr14
                                        ; implicit-def: $vgpr4_vgpr5
                                        ; implicit-def: $vgpr0_vgpr1
	s_and_saveexec_b64 s[68:69], s[8:9]
	s_cbranch_execz .LBB134_529
; %bb.285:
	v_cmp_gt_i32_e32 vcc, s74, v33
	s_mov_b64 s[6:7], -1
	s_mov_b64 s[72:73], s[66:67]
	s_and_saveexec_b64 s[70:71], vcc
	s_cbranch_execz .LBB134_429
; %bb.286:
	s_andn2_b64 vcc, exec, s[50:51]
	s_cbranch_vccnz .LBB134_291
; %bb.287:
	s_andn2_b64 vcc, exec, s[60:61]
	s_cbranch_vccnz .LBB134_292
; %bb.288:
	s_add_i32 s31, s78, 1
	s_cmp_eq_u32 s76, 2
	s_cbranch_scc1 .LBB134_293
; %bb.289:
	s_and_b32 s30, s31, 28
	v_mov_b32_e32 v2, 0
	s_mov_b32 s72, 0
	s_mov_b64 s[24:25], s[34:35]
	s_mov_b64 s[26:27], s[58:59]
	v_mov_b32_e32 v31, 0
	v_mov_b32_e32 v0, v33
.LBB134_290:                            ; =>This Inner Loop Header: Depth=1
	s_load_dwordx8 s[12:19], s[24:25], 0x4
	s_load_dwordx4 s[20:23], s[24:25], 0x24
	s_load_dwordx8 s[4:11], s[26:27], 0x0
	s_add_u32 s24, s24, 48
	s_addc_u32 s25, s25, 0
	s_waitcnt lgkmcnt(0)
	v_mul_hi_u32 v1, s13, v0
	s_add_i32 s72, s72, 4
	s_add_u32 s26, s26, 32
	s_addc_u32 s27, s27, 0
	v_add_u32_e32 v1, v0, v1
	v_lshrrev_b32_e32 v1, s14, v1
	v_mul_lo_u32 v3, v1, s12
	v_mul_hi_u32 v4, s16, v1
	s_cmp_eq_u32 s30, s72
	v_sub_u32_e32 v0, v0, v3
	v_add_u32_e32 v3, v1, v4
	v_mul_lo_u32 v4, v0, s4
	v_mul_lo_u32 v5, v0, s5
	v_lshrrev_b32_e32 v0, s17, v3
	v_mul_lo_u32 v3, v0, s15
	v_mul_hi_u32 v6, s19, v0
	v_sub_u32_e32 v1, v1, v3
	v_add_u32_e32 v3, v0, v6
	v_lshrrev_b32_e32 v3, s20, v3
	v_mul_hi_u32 v7, s22, v3
	v_mul_lo_u32 v8, v3, s18
	v_mul_lo_u32 v6, v1, s6
	;; [unrolled: 1-line block ×3, first 2 shown]
	v_sub_u32_e32 v8, v0, v8
	v_add_u32_e32 v0, v3, v7
	v_lshrrev_b32_e32 v0, s23, v0
	v_mul_lo_u32 v7, v0, s21
	v_mul_lo_u32 v9, v8, s8
	;; [unrolled: 1-line block ×3, first 2 shown]
	v_add3_u32 v4, v4, v31, v6
	v_sub_u32_e32 v3, v3, v7
	v_mul_lo_u32 v7, v3, s10
	v_mul_lo_u32 v3, v3, s11
	v_add3_u32 v1, v5, v2, v1
	v_add3_u32 v31, v9, v4, v7
	;; [unrolled: 1-line block ×3, first 2 shown]
	s_cbranch_scc0 .LBB134_290
	s_branch .LBB134_294
.LBB134_291:
	s_mov_b64 s[4:5], -1
                                        ; implicit-def: $vgpr31
                                        ; implicit-def: $vgpr2
	s_branch .LBB134_298
.LBB134_292:
	v_mov_b32_e32 v31, 0
	v_mov_b32_e32 v2, 0
	s_branch .LBB134_297
.LBB134_293:
	s_mov_b32 s30, 0
	v_mov_b32_e32 v31, 0
	v_mov_b32_e32 v2, 0
	;; [unrolled: 1-line block ×3, first 2 shown]
.LBB134_294:
	s_and_b32 s8, s31, 3
	s_cmp_eq_u32 s8, 0
	s_cbranch_scc1 .LBB134_297
; %bb.295:
	s_lshl_b32 s4, s30, 3
	s_add_u32 s4, s34, s4
	s_addc_u32 s5, s35, 0
	s_add_u32 s4, s4, 0xc4
	s_addc_u32 s5, s5, 0
	s_mul_i32 s6, s30, 12
	s_add_u32 s6, s34, s6
	s_addc_u32 s7, s35, 0
.LBB134_296:                            ; =>This Inner Loop Header: Depth=1
	s_load_dwordx2 s[10:11], s[6:7], 0x4
	s_load_dword s9, s[6:7], 0xc
	s_load_dwordx2 s[12:13], s[4:5], 0x0
	s_add_u32 s6, s6, 12
	s_addc_u32 s7, s7, 0
	s_waitcnt lgkmcnt(0)
	v_mul_hi_u32 v1, s11, v0
	s_add_u32 s4, s4, 8
	s_addc_u32 s5, s5, 0
	s_add_i32 s8, s8, -1
	v_add_u32_e32 v1, v0, v1
	v_lshrrev_b32_e32 v1, s9, v1
	v_mul_lo_u32 v3, v1, s10
	s_cmp_lg_u32 s8, 0
	v_sub_u32_e32 v0, v0, v3
	v_mad_u64_u32 v[31:32], s[10:11], v0, s12, v[31:32]
	v_mad_u64_u32 v[2:3], s[10:11], v0, s13, v[2:3]
	v_mov_b32_e32 v0, v1
	s_cbranch_scc1 .LBB134_296
.LBB134_297:
	s_mov_b64 s[4:5], 0
.LBB134_298:
	s_andn2_b64 vcc, exec, s[4:5]
	s_cbranch_vccnz .LBB134_301
; %bb.299:
	s_waitcnt lgkmcnt(0)
	v_mul_hi_u32 v0, s45, v33
	s_andn2_b64 vcc, exec, s[56:57]
	v_add_u32_e32 v0, v33, v0
	v_lshrrev_b32_e32 v0, s46, v0
	v_mul_lo_u32 v1, v0, s44
	v_sub_u32_e32 v1, v33, v1
	v_mul_lo_u32 v31, v1, s40
	v_mul_lo_u32 v2, v1, s41
	s_cbranch_vccnz .LBB134_301
; %bb.300:
	v_mul_hi_u32 v1, s54, v0
	v_add_u32_e32 v1, v0, v1
	v_lshrrev_b32_e32 v1, s55, v1
	v_mul_lo_u32 v1, v1, s47
	v_sub_u32_e32 v0, v0, v1
	v_mad_u64_u32 v[31:32], s[4:5], v0, s42, v[31:32]
	v_mad_u64_u32 v[2:3], s[4:5], v0, s43, v[2:3]
.LBB134_301:
	s_getpc_b64 s[4:5]
	s_add_u32 s4, s4, _ZN2at6native6invokeIZZZNS0_18lgamma_kernel_cudaERNS_18TensorIteratorBaseEENKUlvE_clEvENKUlvE_clEvEUldE_j15function_traitsIS6_EEENT1_11result_typeERKT_PrKPcPKT0_PKN3c1010ScalarTypeEi@rel32@lo+4
	s_addc_u32 s5, s5, _ZN2at6native6invokeIZZZNS0_18lgamma_kernel_cudaERNS_18TensorIteratorBaseEENKUlvE_clEvENKUlvE_clEvEUldE_j15function_traitsIS6_EEENT1_11result_typeERKT_PrKPcPKT0_PKN3c1010ScalarTypeEi@rel32@hi+12
	s_waitcnt lgkmcnt(0)
	v_mov_b32_e32 v0, s38
	v_mov_b32_e32 v1, s39
	v_mov_b32_e32 v3, v30
	s_swappc_b64 s[30:31], s[4:5]
	v_mov_b32_e32 v2, s37
	s_and_b32 s12, s77, 0xff
	v_add_co_u32_e32 v4, vcc, s36, v31
	s_cmp_lt_i32 s12, 11
	v_addc_co_u32_e32 v5, vcc, 0, v2, vcc
	s_cbranch_scc1 .LBB134_308
; %bb.302:
	s_and_b32 s13, 0xffff, s12
	s_cmp_gt_i32 s13, 25
	s_cbranch_scc0 .LBB134_309
; %bb.303:
	s_cmp_gt_i32 s13, 28
	s_cbranch_scc0 .LBB134_310
; %bb.304:
	;; [unrolled: 3-line block ×4, first 2 shown]
	s_mov_b64 s[8:9], 0
	s_mov_b64 s[4:5], -1
	s_cmp_eq_u32 s13, 46
	s_mov_b64 s[6:7], 0
	s_cbranch_scc0 .LBB134_317
; %bb.307:
	v_cvt_f32_f64_e32 v2, v[0:1]
	s_movk_i32 s4, 0x7fff
	v_mov_b32_e32 v3, 0x7fc0
	s_mov_b64 s[6:7], -1
	v_bfe_u32 v6, v2, 16, 1
	v_cmp_o_f32_e32 vcc, v2, v2
	v_add3_u32 v2, v2, v6, s4
	v_cndmask_b32_sdwa v2, v3, v2, vcc dst_sel:DWORD dst_unused:UNUSED_PAD src0_sel:DWORD src1_sel:WORD_1
	global_store_dword v[4:5], v2, off
	s_mov_b64 s[4:5], 0
	s_branch .LBB134_317
.LBB134_308:
	s_mov_b64 s[8:9], -1
	s_mov_b64 s[6:7], 0
	s_mov_b64 s[4:5], s[66:67]
	s_branch .LBB134_386
.LBB134_309:
	s_mov_b64 s[8:9], -1
	s_mov_b64 s[6:7], 0
	s_mov_b64 s[4:5], s[66:67]
	s_branch .LBB134_344
.LBB134_310:
	s_mov_b64 s[8:9], -1
	s_mov_b64 s[6:7], 0
	s_mov_b64 s[4:5], s[66:67]
	s_branch .LBB134_327
.LBB134_311:
	s_andn2_saveexec_b64 s[10:11], s[10:11]
	s_cbranch_execz .LBB134_196
.LBB134_312:
	s_mov_b32 s14, 0x46000000
	v_add_f32_e64 v3, |v2|, s14
	v_and_b32_e32 v3, 0xff, v3
	v_cmp_ne_u32_e32 vcc, 0, v3
	s_andn2_b64 s[8:9], s[8:9], exec
	s_and_b64 s[14:15], vcc, exec
	s_or_b64 s[8:9], s[8:9], s[14:15]
	s_or_b64 exec, exec, s[10:11]
	v_mov_b32_e32 v6, 0
	s_and_saveexec_b64 s[10:11], s[8:9]
	s_cbranch_execnz .LBB134_197
	s_branch .LBB134_198
.LBB134_313:
	s_mov_b64 s[8:9], -1
	s_mov_b64 s[6:7], 0
	s_mov_b64 s[4:5], s[66:67]
	s_branch .LBB134_323
.LBB134_314:
	s_andn2_saveexec_b64 s[10:11], s[10:11]
	s_cbranch_execz .LBB134_209
.LBB134_315:
	s_mov_b32 s14, 0x42800000
	v_add_f32_e64 v3, |v2|, s14
	v_and_b32_e32 v3, 0xff, v3
	v_cmp_ne_u32_e32 vcc, 0, v3
	s_andn2_b64 s[8:9], s[8:9], exec
	s_and_b64 s[14:15], vcc, exec
	s_or_b64 s[8:9], s[8:9], s[14:15]
	s_or_b64 exec, exec, s[10:11]
	v_mov_b32_e32 v6, 0
	s_and_saveexec_b64 s[10:11], s[8:9]
	s_cbranch_execnz .LBB134_210
	s_branch .LBB134_211
.LBB134_316:
	s_mov_b64 s[8:9], -1
	s_mov_b64 s[6:7], 0
	s_mov_b64 s[4:5], s[66:67]
.LBB134_317:
	s_and_b64 vcc, exec, s[8:9]
	s_cbranch_vccz .LBB134_322
; %bb.318:
	s_cmp_eq_u32 s13, 44
	s_mov_b64 s[4:5], -1
	s_cbranch_scc0 .LBB134_322
; %bb.319:
	v_cvt_f32_f64_e32 v2, v[0:1]
	s_movk_i32 s4, 0xff
	v_mov_b32_e32 v6, 0xff
	v_bfe_u32 v3, v2, 23, 8
	v_cmp_ne_u32_e32 vcc, s4, v3
	s_and_saveexec_b64 s[6:7], vcc
; %bb.320:
	s_mov_b32 s4, 0x3fffff
	v_lshrrev_b32_e32 v6, 23, v2
	v_and_b32_e32 v7, 0x400000, v2
	v_and_or_b32 v2, v2, s4, v3
	v_cmp_ne_u32_e32 vcc, 0, v7
	v_cmp_ne_u32_e64 s[4:5], 0, v2
	s_and_b64 s[4:5], vcc, s[4:5]
	v_cndmask_b32_e64 v2, 0, 1, s[4:5]
	v_add_u32_e32 v6, v6, v2
; %bb.321:
	s_or_b64 exec, exec, s[6:7]
	s_mov_b64 s[6:7], -1
	s_mov_b64 s[4:5], 0
	global_store_byte v[4:5], v6, off
.LBB134_322:
	s_mov_b64 s[8:9], 0
.LBB134_323:
	s_and_b64 vcc, exec, s[8:9]
	s_cbranch_vccz .LBB134_326
; %bb.324:
	s_cmp_eq_u32 s13, 29
	s_mov_b64 s[4:5], -1
	s_cbranch_scc0 .LBB134_326
; %bb.325:
	v_trunc_f64_e32 v[2:3], v[0:1]
	s_movk_i32 s4, 0xffe0
	s_mov_b64 s[6:7], -1
	s_mov_b64 s[8:9], 0
	v_ldexp_f64 v[6:7], v[2:3], s4
	s_mov_b32 s4, 0
	s_mov_b32 s5, 0xc1f00000
	v_floor_f64_e32 v[6:7], v[6:7]
	v_fma_f64 v[2:3], v[6:7], s[4:5], v[2:3]
	v_cvt_u32_f64_e32 v7, v[6:7]
	s_mov_b64 s[4:5], 0
	v_cvt_u32_f64_e32 v6, v[2:3]
	global_store_dwordx2 v[4:5], v[6:7], off
	s_branch .LBB134_327
.LBB134_326:
	s_mov_b64 s[8:9], 0
.LBB134_327:
	s_and_b64 vcc, exec, s[8:9]
	s_cbranch_vccz .LBB134_343
; %bb.328:
	s_cmp_lt_i32 s13, 27
	s_mov_b64 s[6:7], -1
	s_cbranch_scc1 .LBB134_334
; %bb.329:
	v_cvt_u32_f64_e32 v2, v[0:1]
	s_cmp_gt_i32 s13, 27
	s_cbranch_scc0 .LBB134_331
; %bb.330:
	s_mov_b64 s[6:7], 0
	global_store_dword v[4:5], v2, off
.LBB134_331:
	s_andn2_b64 vcc, exec, s[6:7]
	s_cbranch_vccnz .LBB134_333
; %bb.332:
	global_store_short v[4:5], v2, off
.LBB134_333:
	s_mov_b64 s[6:7], 0
.LBB134_334:
	s_andn2_b64 vcc, exec, s[6:7]
	s_cbranch_vccnz .LBB134_342
; %bb.335:
	v_cvt_f32_f64_e32 v2, v[0:1]
	s_mov_b32 s6, 0x43800000
	v_mov_b32_e32 v6, 0x80
	v_and_b32_e32 v3, 0x7fffffff, v2
	v_cmp_gt_u32_e32 vcc, s6, v3
	s_and_saveexec_b64 s[6:7], vcc
	s_cbranch_execz .LBB134_341
; %bb.336:
	s_mov_b32 s8, 0x3bffffff
	v_cmp_lt_u32_e32 vcc, s8, v3
	s_mov_b64 s[8:9], 0
                                        ; implicit-def: $vgpr3
	s_and_saveexec_b64 s[10:11], vcc
	s_xor_b64 s[10:11], exec, s[10:11]
	s_cbranch_execz .LBB134_454
; %bb.337:
	v_bfe_u32 v3, v2, 20, 1
	s_mov_b32 s14, 0x487ffff
	v_add3_u32 v3, v2, v3, s14
	s_mov_b64 s[8:9], exec
	v_lshrrev_b32_e32 v3, 20, v3
	s_andn2_saveexec_b64 s[10:11], s[10:11]
	s_cbranch_execnz .LBB134_455
.LBB134_338:
	s_or_b64 exec, exec, s[10:11]
	v_mov_b32_e32 v6, 0
	s_and_saveexec_b64 s[10:11], s[8:9]
.LBB134_339:
	v_lshrrev_b32_e32 v2, 24, v2
	s_movk_i32 s8, 0x80
	v_and_or_b32 v6, v2, s8, v3
.LBB134_340:
	s_or_b64 exec, exec, s[10:11]
.LBB134_341:
	s_or_b64 exec, exec, s[6:7]
	global_store_byte v[4:5], v6, off
.LBB134_342:
	s_mov_b64 s[6:7], -1
.LBB134_343:
	s_mov_b64 s[8:9], 0
.LBB134_344:
	s_and_b64 vcc, exec, s[8:9]
	s_cbranch_vccz .LBB134_385
; %bb.345:
	s_cmp_gt_i32 s13, 22
	s_mov_b64 s[8:9], -1
	s_cbranch_scc0 .LBB134_377
; %bb.346:
	s_cmp_lt_i32 s13, 24
	s_mov_b64 s[6:7], -1
	s_cbranch_scc1 .LBB134_366
; %bb.347:
	s_cmp_gt_i32 s13, 24
	s_cbranch_scc0 .LBB134_355
; %bb.348:
	v_cvt_f32_f64_e32 v2, v[0:1]
	s_mov_b32 s6, 0x47800000
	v_mov_b32_e32 v6, 0x80
	v_and_b32_e32 v3, 0x7fffffff, v2
	v_cmp_gt_u32_e32 vcc, s6, v3
	s_and_saveexec_b64 s[6:7], vcc
	s_cbranch_execz .LBB134_354
; %bb.349:
	s_mov_b32 s8, 0x37ffffff
	v_cmp_lt_u32_e32 vcc, s8, v3
	s_mov_b64 s[8:9], 0
                                        ; implicit-def: $vgpr3
	s_and_saveexec_b64 s[10:11], vcc
	s_xor_b64 s[10:11], exec, s[10:11]
	s_cbranch_execz .LBB134_456
; %bb.350:
	v_bfe_u32 v3, v2, 21, 1
	s_mov_b32 s14, 0x88fffff
	v_add3_u32 v3, v2, v3, s14
	s_mov_b64 s[8:9], exec
	v_lshrrev_b32_e32 v3, 21, v3
	s_andn2_saveexec_b64 s[10:11], s[10:11]
	s_cbranch_execnz .LBB134_457
.LBB134_351:
	s_or_b64 exec, exec, s[10:11]
	v_mov_b32_e32 v6, 0
	s_and_saveexec_b64 s[10:11], s[8:9]
.LBB134_352:
	v_lshrrev_b32_e32 v2, 24, v2
	s_movk_i32 s8, 0x80
	v_and_or_b32 v6, v2, s8, v3
.LBB134_353:
	s_or_b64 exec, exec, s[10:11]
.LBB134_354:
	s_or_b64 exec, exec, s[6:7]
	s_mov_b64 s[6:7], 0
	global_store_byte v[4:5], v6, off
.LBB134_355:
	s_and_b64 vcc, exec, s[6:7]
	s_cbranch_vccz .LBB134_365
; %bb.356:
	v_cvt_f32_f64_e32 v2, v[0:1]
	s_mov_b32 s6, 0x43f00000
                                        ; implicit-def: $vgpr3
	v_and_b32_e32 v6, 0x7fffffff, v2
	v_cmp_gt_u32_e32 vcc, s6, v6
	s_and_saveexec_b64 s[6:7], vcc
	s_xor_b64 s[6:7], exec, s[6:7]
	s_cbranch_execz .LBB134_362
; %bb.357:
	s_mov_b32 s8, 0x3c7fffff
	v_cmp_lt_u32_e32 vcc, s8, v6
                                        ; implicit-def: $vgpr3
	s_and_saveexec_b64 s[8:9], vcc
	s_xor_b64 s[8:9], exec, s[8:9]
; %bb.358:
	v_bfe_u32 v3, v2, 20, 1
	s_mov_b32 s10, 0x407ffff
	v_add3_u32 v3, v2, v3, s10
	v_lshrrev_b32_e32 v6, 20, v3
	v_and_b32_e32 v3, 0xff00000, v3
	s_mov_b32 s10, 0x7f00000
	v_mov_b32_e32 v7, 0x7e
	v_cmp_ne_u32_e32 vcc, s10, v3
	v_cndmask_b32_e32 v3, v7, v6, vcc
; %bb.359:
	s_andn2_saveexec_b64 s[8:9], s[8:9]
; %bb.360:
	s_mov_b32 s10, 0x46800000
	v_add_f32_e64 v3, |v2|, s10
; %bb.361:
	s_or_b64 exec, exec, s[8:9]
                                        ; implicit-def: $vgpr6
.LBB134_362:
	s_andn2_saveexec_b64 s[6:7], s[6:7]
; %bb.363:
	s_mov_b32 s8, 0x7f800000
	v_mov_b32_e32 v3, 0x7e
	v_mov_b32_e32 v7, 0x7f
	v_cmp_lt_u32_e32 vcc, s8, v6
	v_cndmask_b32_e32 v3, v3, v7, vcc
; %bb.364:
	s_or_b64 exec, exec, s[6:7]
	v_lshrrev_b32_e32 v2, 24, v2
	s_movk_i32 s6, 0x80
	v_and_or_b32 v2, v2, s6, v3
	global_store_byte v[4:5], v2, off
.LBB134_365:
	s_mov_b64 s[6:7], 0
.LBB134_366:
	s_andn2_b64 vcc, exec, s[6:7]
	s_cbranch_vccnz .LBB134_376
; %bb.367:
	v_cvt_f32_f64_e32 v2, v[0:1]
	s_mov_b32 s6, 0x47800000
                                        ; implicit-def: $vgpr3
	v_and_b32_e32 v6, 0x7fffffff, v2
	v_cmp_gt_u32_e32 vcc, s6, v6
	s_and_saveexec_b64 s[6:7], vcc
	s_xor_b64 s[6:7], exec, s[6:7]
	s_cbranch_execz .LBB134_373
; %bb.368:
	s_mov_b32 s8, 0x387fffff
	v_cmp_lt_u32_e32 vcc, s8, v6
                                        ; implicit-def: $vgpr3
	s_and_saveexec_b64 s[8:9], vcc
	s_xor_b64 s[8:9], exec, s[8:9]
; %bb.369:
	v_bfe_u32 v3, v2, 21, 1
	s_mov_b32 s10, 0x80fffff
	v_add3_u32 v3, v2, v3, s10
	v_lshrrev_b32_e32 v3, 21, v3
; %bb.370:
	s_andn2_saveexec_b64 s[8:9], s[8:9]
; %bb.371:
	s_mov_b32 s10, 0x43000000
	v_add_f32_e64 v3, |v2|, s10
; %bb.372:
	s_or_b64 exec, exec, s[8:9]
                                        ; implicit-def: $vgpr6
.LBB134_373:
	s_andn2_saveexec_b64 s[6:7], s[6:7]
; %bb.374:
	s_mov_b32 s8, 0x7f800000
	v_mov_b32_e32 v3, 0x7c
	v_mov_b32_e32 v7, 0x7f
	v_cmp_lt_u32_e32 vcc, s8, v6
	v_cndmask_b32_e32 v3, v3, v7, vcc
; %bb.375:
	s_or_b64 exec, exec, s[6:7]
	v_lshrrev_b32_e32 v2, 24, v2
	s_movk_i32 s6, 0x80
	v_and_or_b32 v2, v2, s6, v3
	global_store_byte v[4:5], v2, off
.LBB134_376:
	s_mov_b64 s[8:9], 0
	s_mov_b64 s[6:7], -1
.LBB134_377:
	s_andn2_b64 vcc, exec, s[8:9]
	s_cbranch_vccnz .LBB134_385
; %bb.378:
	s_cmp_gt_i32 s13, 14
	s_mov_b64 s[8:9], -1
	s_cbranch_scc0 .LBB134_382
; %bb.379:
	s_cmp_eq_u32 s13, 15
	s_mov_b64 s[4:5], -1
	s_cbranch_scc0 .LBB134_381
; %bb.380:
	v_cvt_f32_f64_e32 v2, v[0:1]
	s_movk_i32 s4, 0x7fff
	v_mov_b32_e32 v3, 0x7fc0
	s_mov_b64 s[6:7], -1
	v_bfe_u32 v6, v2, 16, 1
	v_cmp_o_f32_e32 vcc, v2, v2
	v_add3_u32 v2, v2, v6, s4
	v_cndmask_b32_sdwa v2, v3, v2, vcc dst_sel:DWORD dst_unused:UNUSED_PAD src0_sel:DWORD src1_sel:WORD_1
	global_store_short v[4:5], v2, off
	s_mov_b64 s[4:5], 0
.LBB134_381:
	s_mov_b64 s[8:9], 0
.LBB134_382:
	s_and_b64 vcc, exec, s[8:9]
	s_cbranch_vccz .LBB134_385
; %bb.383:
	s_cmp_eq_u32 s13, 11
	s_mov_b64 s[4:5], -1
	s_cbranch_scc0 .LBB134_385
; %bb.384:
	v_cmp_neq_f64_e32 vcc, 0, v[0:1]
	s_mov_b64 s[4:5], 0
	s_mov_b64 s[6:7], -1
	v_cndmask_b32_e64 v2, 0, 1, vcc
	global_store_byte v[4:5], v2, off
.LBB134_385:
	s_mov_b64 s[8:9], 0
.LBB134_386:
	s_and_b64 vcc, exec, s[8:9]
	s_cbranch_vccz .LBB134_425
; %bb.387:
	s_and_b32 s8, 0xffff, s12
	s_cmp_lt_i32 s8, 5
	s_mov_b64 s[6:7], -1
	s_cbranch_scc1 .LBB134_408
; %bb.388:
	s_cmp_lt_i32 s8, 8
	s_cbranch_scc1 .LBB134_398
; %bb.389:
	s_cmp_lt_i32 s8, 9
	s_cbranch_scc1 .LBB134_395
; %bb.390:
	s_cmp_gt_i32 s8, 9
	s_cbranch_scc0 .LBB134_392
; %bb.391:
	v_mov_b32_e32 v2, 0
	v_mov_b32_e32 v3, v2
	s_mov_b64 s[6:7], 0
	global_store_dwordx4 v[4:5], v[0:3], off
.LBB134_392:
	s_andn2_b64 vcc, exec, s[6:7]
	s_cbranch_vccnz .LBB134_394
; %bb.393:
	v_cvt_f32_f64_e32 v2, v[0:1]
	v_mov_b32_e32 v3, 0
	global_store_dwordx2 v[4:5], v[2:3], off
.LBB134_394:
	s_mov_b64 s[6:7], 0
.LBB134_395:
	s_andn2_b64 vcc, exec, s[6:7]
	s_cbranch_vccnz .LBB134_397
; %bb.396:
	s_movk_i32 s6, 0x1ff
	v_and_or_b32 v2, v1, s6, v0
	v_cmp_ne_u32_e32 vcc, 0, v2
	v_cndmask_b32_e64 v2, 0, 1, vcc
	v_lshrrev_b32_e32 v3, 8, v1
	s_movk_i32 s6, 0xffe
	v_bfe_u32 v6, v1, 20, 11
	v_and_or_b32 v2, v3, s6, v2
	v_sub_u32_e32 v7, 0x3f1, v6
	v_or_b32_e32 v3, 0x1000, v2
	v_med3_i32 v7, v7, 0, 13
	v_lshrrev_b32_e32 v8, v7, v3
	v_lshlrev_b32_e32 v7, v7, v8
	v_cmp_ne_u32_e32 vcc, v7, v3
	v_cndmask_b32_e64 v3, 0, 1, vcc
	v_add_u32_e32 v6, 0xfffffc10, v6
	v_or_b32_e32 v3, v8, v3
	v_lshl_or_b32 v7, v6, 12, v2
	v_cmp_gt_i32_e32 vcc, 1, v6
	v_cndmask_b32_e32 v3, v7, v3, vcc
	v_and_b32_e32 v7, 7, v3
	v_cmp_lt_i32_e32 vcc, 5, v7
	v_cndmask_b32_e64 v8, 0, 1, vcc
	v_cmp_eq_u32_e32 vcc, 3, v7
	v_cndmask_b32_e64 v7, 0, 1, vcc
	v_or_b32_e32 v7, v7, v8
	v_lshrrev_b32_e32 v3, 2, v3
	v_add_u32_e32 v3, v3, v7
	v_mov_b32_e32 v7, 0x7c00
	v_cmp_gt_i32_e32 vcc, 31, v6
	v_cndmask_b32_e32 v3, v7, v3, vcc
	v_mov_b32_e32 v8, 0x7e00
	v_cmp_ne_u32_e32 vcc, 0, v2
	s_movk_i32 s6, 0x40f
	v_cndmask_b32_e32 v2, v7, v8, vcc
	v_cmp_eq_u32_e32 vcc, s6, v6
	v_cndmask_b32_e32 v2, v3, v2, vcc
	v_lshrrev_b32_e32 v3, 16, v1
	s_mov_b32 s6, 0x8000
	v_and_or_b32 v2, v3, s6, v2
	v_and_b32_e32 v2, 0xffff, v2
	global_store_dword v[4:5], v2, off
.LBB134_397:
	s_mov_b64 s[6:7], 0
.LBB134_398:
	s_andn2_b64 vcc, exec, s[6:7]
	s_cbranch_vccnz .LBB134_407
; %bb.399:
	s_cmp_lt_i32 s8, 6
	s_mov_b64 s[6:7], -1
	s_cbranch_scc1 .LBB134_405
; %bb.400:
	s_cmp_gt_i32 s8, 6
	s_cbranch_scc0 .LBB134_402
; %bb.401:
	s_mov_b64 s[6:7], 0
	global_store_dwordx2 v[4:5], v[0:1], off
.LBB134_402:
	s_andn2_b64 vcc, exec, s[6:7]
	s_cbranch_vccnz .LBB134_404
; %bb.403:
	v_cvt_f32_f64_e32 v2, v[0:1]
	global_store_dword v[4:5], v2, off
.LBB134_404:
	s_mov_b64 s[6:7], 0
.LBB134_405:
	s_andn2_b64 vcc, exec, s[6:7]
	s_cbranch_vccnz .LBB134_407
; %bb.406:
	s_movk_i32 s6, 0x1ff
	v_and_or_b32 v2, v1, s6, v0
	v_cmp_ne_u32_e32 vcc, 0, v2
	v_cndmask_b32_e64 v2, 0, 1, vcc
	v_lshrrev_b32_e32 v3, 8, v1
	s_movk_i32 s6, 0xffe
	v_bfe_u32 v6, v1, 20, 11
	v_and_or_b32 v2, v3, s6, v2
	v_sub_u32_e32 v7, 0x3f1, v6
	v_or_b32_e32 v3, 0x1000, v2
	v_med3_i32 v7, v7, 0, 13
	v_lshrrev_b32_e32 v8, v7, v3
	v_lshlrev_b32_e32 v7, v7, v8
	v_cmp_ne_u32_e32 vcc, v7, v3
	v_cndmask_b32_e64 v3, 0, 1, vcc
	v_add_u32_e32 v6, 0xfffffc10, v6
	v_or_b32_e32 v3, v8, v3
	v_lshl_or_b32 v7, v6, 12, v2
	v_cmp_gt_i32_e32 vcc, 1, v6
	v_cndmask_b32_e32 v3, v7, v3, vcc
	v_and_b32_e32 v7, 7, v3
	v_cmp_lt_i32_e32 vcc, 5, v7
	v_cndmask_b32_e64 v8, 0, 1, vcc
	v_cmp_eq_u32_e32 vcc, 3, v7
	v_cndmask_b32_e64 v7, 0, 1, vcc
	v_or_b32_e32 v7, v7, v8
	v_lshrrev_b32_e32 v3, 2, v3
	v_add_u32_e32 v3, v3, v7
	v_mov_b32_e32 v7, 0x7c00
	v_cmp_gt_i32_e32 vcc, 31, v6
	v_cndmask_b32_e32 v3, v7, v3, vcc
	v_mov_b32_e32 v8, 0x7e00
	v_cmp_ne_u32_e32 vcc, 0, v2
	s_movk_i32 s6, 0x40f
	v_cndmask_b32_e32 v2, v7, v8, vcc
	v_cmp_eq_u32_e32 vcc, s6, v6
	v_cndmask_b32_e32 v2, v3, v2, vcc
	v_lshrrev_b32_e32 v3, 16, v1
	s_mov_b32 s6, 0x8000
	v_and_or_b32 v2, v3, s6, v2
	global_store_short v[4:5], v2, off
.LBB134_407:
	s_mov_b64 s[6:7], 0
.LBB134_408:
	s_andn2_b64 vcc, exec, s[6:7]
	s_cbranch_vccnz .LBB134_424
; %bb.409:
	s_cmp_lt_i32 s8, 2
	s_mov_b64 s[6:7], -1
	s_cbranch_scc1 .LBB134_419
; %bb.410:
	s_cmp_lt_i32 s8, 3
	s_cbranch_scc1 .LBB134_416
; %bb.411:
	s_cmp_gt_i32 s8, 3
	s_cbranch_scc0 .LBB134_413
; %bb.412:
	v_trunc_f64_e32 v[2:3], v[0:1]
	s_movk_i32 s6, 0xffe0
	v_ldexp_f64 v[6:7], v[2:3], s6
	s_mov_b32 s6, 0
	s_mov_b32 s7, 0xc1f00000
	v_floor_f64_e32 v[6:7], v[6:7]
	v_fma_f64 v[2:3], v[6:7], s[6:7], v[2:3]
	v_cvt_i32_f64_e32 v7, v[6:7]
	s_mov_b64 s[6:7], 0
	v_cvt_u32_f64_e32 v6, v[2:3]
	global_store_dwordx2 v[4:5], v[6:7], off
.LBB134_413:
	s_andn2_b64 vcc, exec, s[6:7]
	s_cbranch_vccnz .LBB134_415
; %bb.414:
	v_cvt_i32_f64_e32 v2, v[0:1]
	global_store_dword v[4:5], v2, off
.LBB134_415:
	s_mov_b64 s[6:7], 0
.LBB134_416:
	s_andn2_b64 vcc, exec, s[6:7]
	s_cbranch_vccnz .LBB134_418
; %bb.417:
	v_cvt_i32_f64_e32 v2, v[0:1]
	global_store_short v[4:5], v2, off
.LBB134_418:
	s_mov_b64 s[6:7], 0
.LBB134_419:
	s_andn2_b64 vcc, exec, s[6:7]
	s_cbranch_vccnz .LBB134_424
; %bb.420:
	s_cmp_gt_i32 s8, 0
	s_mov_b64 s[6:7], -1
	s_cbranch_scc0 .LBB134_422
; %bb.421:
	v_cvt_i32_f64_e32 v2, v[0:1]
	s_mov_b64 s[6:7], 0
	global_store_byte v[4:5], v2, off
.LBB134_422:
	s_andn2_b64 vcc, exec, s[6:7]
	s_cbranch_vccnz .LBB134_424
; %bb.423:
	v_trunc_f64_e32 v[0:1], v[0:1]
	s_movk_i32 s6, 0xffe0
	v_ldexp_f64 v[2:3], v[0:1], s6
	s_mov_b32 s6, 0
	s_mov_b32 s7, 0xc1f00000
	v_floor_f64_e32 v[2:3], v[2:3]
	v_fma_f64 v[0:1], v[2:3], s[6:7], v[0:1]
	v_cvt_u32_f64_e32 v0, v[0:1]
	global_store_byte v[4:5], v0, off
.LBB134_424:
	s_mov_b64 s[6:7], -1
.LBB134_425:
	s_andn2_b64 vcc, exec, s[6:7]
	s_cbranch_vccnz .LBB134_427
; %bb.426:
	v_add_u32_e32 v33, 0x80, v33
	s_mov_b64 s[6:7], -1
	s_branch .LBB134_428
.LBB134_427:
	s_mov_b64 s[6:7], 0
                                        ; implicit-def: $vgpr33
.LBB134_428:
	s_andn2_b64 s[8:9], s[66:67], exec
	s_and_b64 s[4:5], s[4:5], exec
	s_or_b64 s[72:73], s[8:9], s[4:5]
	s_orn2_b64 s[6:7], s[6:7], exec
.LBB134_429:
	s_or_b64 exec, exec, s[70:71]
	s_mov_b64 s[4:5], 0
	s_mov_b64 s[10:11], 0
                                        ; implicit-def: $sgpr14
                                        ; implicit-def: $vgpr4_vgpr5
                                        ; implicit-def: $vgpr0_vgpr1
	s_and_saveexec_b64 s[70:71], s[6:7]
	s_cbranch_execz .LBB134_528
; %bb.430:
	v_cmp_gt_i32_e32 vcc, s74, v33
	s_mov_b64 s[6:7], 0
	s_mov_b64 s[8:9], s[72:73]
                                        ; implicit-def: $sgpr14
                                        ; implicit-def: $vgpr4_vgpr5
                                        ; implicit-def: $vgpr0_vgpr1
	s_and_saveexec_b64 s[74:75], vcc
	s_cbranch_execz .LBB134_527
; %bb.431:
	s_andn2_b64 vcc, exec, s[50:51]
	s_cbranch_vccnz .LBB134_436
; %bb.432:
	s_andn2_b64 vcc, exec, s[60:61]
	s_cbranch_vccnz .LBB134_437
; %bb.433:
	s_add_i32 s78, s78, 1
	s_cmp_eq_u32 s76, 2
	s_cbranch_scc1 .LBB134_438
; %bb.434:
	s_and_b32 s26, s78, 28
	v_mov_b32_e32 v2, 0
	s_mov_b32 s27, 0
	s_mov_b64 s[24:25], s[34:35]
	v_mov_b32_e32 v31, 0
	v_mov_b32_e32 v0, v33
.LBB134_435:                            ; =>This Inner Loop Header: Depth=1
	s_load_dwordx8 s[12:19], s[24:25], 0x4
	s_load_dwordx4 s[20:23], s[24:25], 0x24
	s_load_dwordx8 s[4:11], s[58:59], 0x0
	s_add_u32 s24, s24, 48
	s_addc_u32 s25, s25, 0
	s_waitcnt lgkmcnt(0)
	v_mul_hi_u32 v1, s13, v0
	s_add_i32 s27, s27, 4
	s_add_u32 s58, s58, 32
	s_addc_u32 s59, s59, 0
	v_add_u32_e32 v1, v0, v1
	v_lshrrev_b32_e32 v1, s14, v1
	v_mul_lo_u32 v3, v1, s12
	v_mul_hi_u32 v4, s16, v1
	s_cmp_eq_u32 s26, s27
	v_sub_u32_e32 v0, v0, v3
	v_add_u32_e32 v3, v1, v4
	v_mul_lo_u32 v4, v0, s4
	v_mul_lo_u32 v5, v0, s5
	v_lshrrev_b32_e32 v0, s17, v3
	v_mul_lo_u32 v3, v0, s15
	v_mul_hi_u32 v6, s19, v0
	v_sub_u32_e32 v1, v1, v3
	v_add_u32_e32 v3, v0, v6
	v_lshrrev_b32_e32 v3, s20, v3
	v_mul_hi_u32 v7, s22, v3
	v_mul_lo_u32 v8, v3, s18
	v_mul_lo_u32 v6, v1, s6
	v_mul_lo_u32 v1, v1, s7
	v_sub_u32_e32 v8, v0, v8
	v_add_u32_e32 v0, v3, v7
	v_lshrrev_b32_e32 v0, s23, v0
	v_mul_lo_u32 v7, v0, s21
	v_mul_lo_u32 v9, v8, s8
	;; [unrolled: 1-line block ×3, first 2 shown]
	v_add3_u32 v4, v4, v31, v6
	v_sub_u32_e32 v3, v3, v7
	v_mul_lo_u32 v7, v3, s10
	v_mul_lo_u32 v3, v3, s11
	v_add3_u32 v1, v5, v2, v1
	v_add3_u32 v31, v9, v4, v7
	;; [unrolled: 1-line block ×3, first 2 shown]
	s_cbranch_scc0 .LBB134_435
	s_branch .LBB134_439
.LBB134_436:
	s_mov_b64 s[4:5], -1
                                        ; implicit-def: $vgpr31
                                        ; implicit-def: $vgpr2
	s_branch .LBB134_443
.LBB134_437:
	v_mov_b32_e32 v31, 0
	v_mov_b32_e32 v2, 0
	s_branch .LBB134_442
.LBB134_438:
	s_mov_b32 s26, 0
	v_mov_b32_e32 v31, 0
	v_mov_b32_e32 v2, 0
	;; [unrolled: 1-line block ×3, first 2 shown]
.LBB134_439:
	s_and_b32 s8, s78, 3
	s_cmp_eq_u32 s8, 0
	s_cbranch_scc1 .LBB134_442
; %bb.440:
	s_lshl_b32 s4, s26, 3
	s_add_u32 s4, s34, s4
	s_addc_u32 s5, s35, 0
	s_add_u32 s4, s4, 0xc4
	s_addc_u32 s5, s5, 0
	s_mul_i32 s6, s26, 12
	s_add_u32 s6, s34, s6
	s_addc_u32 s7, s35, 0
.LBB134_441:                            ; =>This Inner Loop Header: Depth=1
	s_load_dwordx2 s[10:11], s[6:7], 0x4
	s_load_dword s9, s[6:7], 0xc
	s_load_dwordx2 s[12:13], s[4:5], 0x0
	s_add_u32 s6, s6, 12
	s_addc_u32 s7, s7, 0
	s_waitcnt lgkmcnt(0)
	v_mul_hi_u32 v1, s11, v0
	s_add_u32 s4, s4, 8
	s_addc_u32 s5, s5, 0
	s_add_i32 s8, s8, -1
	v_add_u32_e32 v1, v0, v1
	v_lshrrev_b32_e32 v1, s9, v1
	v_mul_lo_u32 v3, v1, s10
	s_cmp_lg_u32 s8, 0
	v_sub_u32_e32 v0, v0, v3
	v_mad_u64_u32 v[31:32], s[10:11], v0, s12, v[31:32]
	v_mad_u64_u32 v[2:3], s[10:11], v0, s13, v[2:3]
	v_mov_b32_e32 v0, v1
	s_cbranch_scc1 .LBB134_441
.LBB134_442:
	s_mov_b64 s[4:5], 0
.LBB134_443:
	s_andn2_b64 vcc, exec, s[4:5]
	s_cbranch_vccnz .LBB134_446
; %bb.444:
	s_waitcnt lgkmcnt(0)
	v_mul_hi_u32 v0, s45, v33
	s_andn2_b64 vcc, exec, s[56:57]
	v_add_u32_e32 v0, v33, v0
	v_lshrrev_b32_e32 v0, s46, v0
	v_mul_lo_u32 v1, v0, s44
	v_sub_u32_e32 v1, v33, v1
	v_mul_lo_u32 v31, v1, s40
	v_mul_lo_u32 v2, v1, s41
	s_cbranch_vccnz .LBB134_446
; %bb.445:
	v_mul_hi_u32 v1, s54, v0
	v_add_u32_e32 v1, v0, v1
	v_lshrrev_b32_e32 v1, s55, v1
	v_mul_lo_u32 v1, v1, s47
	v_sub_u32_e32 v0, v0, v1
	v_mad_u64_u32 v[31:32], s[4:5], v0, s42, v[31:32]
	v_mad_u64_u32 v[2:3], s[4:5], v0, s43, v[2:3]
.LBB134_446:
	s_getpc_b64 s[4:5]
	s_add_u32 s4, s4, _ZN2at6native6invokeIZZZNS0_18lgamma_kernel_cudaERNS_18TensorIteratorBaseEENKUlvE_clEvENKUlvE_clEvEUldE_j15function_traitsIS6_EEENT1_11result_typeERKT_PrKPcPKT0_PKN3c1010ScalarTypeEi@rel32@lo+4
	s_addc_u32 s5, s5, _ZN2at6native6invokeIZZZNS0_18lgamma_kernel_cudaERNS_18TensorIteratorBaseEENKUlvE_clEvENKUlvE_clEvEUldE_j15function_traitsIS6_EEENT1_11result_typeERKT_PrKPcPKT0_PKN3c1010ScalarTypeEi@rel32@hi+12
	s_waitcnt lgkmcnt(0)
	v_mov_b32_e32 v0, s38
	v_mov_b32_e32 v1, s39
	;; [unrolled: 1-line block ×3, first 2 shown]
	s_swappc_b64 s[30:31], s[4:5]
	v_mov_b32_e32 v2, s37
	s_and_b32 s14, s77, 0xff
	v_add_co_u32_e32 v4, vcc, s36, v31
	s_cmp_lt_i32 s14, 11
	v_addc_co_u32_e32 v5, vcc, 0, v2, vcc
	s_cbranch_scc1 .LBB134_453
; %bb.447:
	s_and_b32 s15, 0xffff, s14
	s_mov_b64 s[8:9], -1
	s_cmp_gt_i32 s15, 25
	s_mov_b64 s[4:5], s[72:73]
	s_cbranch_scc0 .LBB134_485
; %bb.448:
	s_mov_b64 s[6:7], -1
	s_cmp_gt_i32 s15, 28
	s_mov_b64 s[4:5], s[72:73]
	s_cbranch_scc0 .LBB134_469
; %bb.449:
	s_cmp_gt_i32 s15, 43
	s_mov_b64 s[4:5], s[72:73]
	s_cbranch_scc0 .LBB134_465
; %bb.450:
	s_cmp_gt_i32 s15, 45
	s_mov_b64 s[4:5], s[72:73]
	s_cbranch_scc0 .LBB134_459
; %bb.451:
	s_cmp_eq_u32 s15, 46
	s_mov_b64 s[4:5], -1
	s_cbranch_scc0 .LBB134_458
; %bb.452:
	v_cvt_f32_f64_e32 v2, v[0:1]
	s_movk_i32 s4, 0x7fff
	v_mov_b32_e32 v3, 0x7fc0
	s_mov_b64 s[6:7], 0
	v_bfe_u32 v6, v2, 16, 1
	v_cmp_o_f32_e32 vcc, v2, v2
	v_add3_u32 v2, v2, v6, s4
	v_cndmask_b32_sdwa v2, v3, v2, vcc dst_sel:DWORD dst_unused:UNUSED_PAD src0_sel:DWORD src1_sel:WORD_1
	global_store_dword v[4:5], v2, off
	s_mov_b64 s[4:5], 0
	s_branch .LBB134_459
.LBB134_453:
	s_mov_b64 s[8:9], 0
	s_mov_b64 s[6:7], -1
	s_mov_b64 s[4:5], s[72:73]
	s_branch .LBB134_526
.LBB134_454:
	s_andn2_saveexec_b64 s[10:11], s[10:11]
	s_cbranch_execz .LBB134_338
.LBB134_455:
	s_mov_b32 s14, 0x46000000
	v_add_f32_e64 v3, |v2|, s14
	v_and_b32_e32 v3, 0xff, v3
	v_cmp_ne_u32_e32 vcc, 0, v3
	s_andn2_b64 s[8:9], s[8:9], exec
	s_and_b64 s[14:15], vcc, exec
	s_or_b64 s[8:9], s[8:9], s[14:15]
	s_or_b64 exec, exec, s[10:11]
	v_mov_b32_e32 v6, 0
	s_and_saveexec_b64 s[10:11], s[8:9]
	s_cbranch_execnz .LBB134_339
	s_branch .LBB134_340
.LBB134_456:
	s_andn2_saveexec_b64 s[10:11], s[10:11]
	s_cbranch_execz .LBB134_351
.LBB134_457:
	s_mov_b32 s14, 0x42800000
	v_add_f32_e64 v3, |v2|, s14
	v_and_b32_e32 v3, 0xff, v3
	v_cmp_ne_u32_e32 vcc, 0, v3
	s_andn2_b64 s[8:9], s[8:9], exec
	s_and_b64 s[14:15], vcc, exec
	s_or_b64 s[8:9], s[8:9], s[14:15]
	s_or_b64 exec, exec, s[10:11]
	v_mov_b32_e32 v6, 0
	s_and_saveexec_b64 s[10:11], s[8:9]
	s_cbranch_execnz .LBB134_352
	s_branch .LBB134_353
.LBB134_458:
	s_mov_b64 s[6:7], 0
.LBB134_459:
	s_and_b64 vcc, exec, s[6:7]
	s_cbranch_vccz .LBB134_464
; %bb.460:
	s_cmp_eq_u32 s15, 44
	s_mov_b64 s[4:5], -1
	s_cbranch_scc0 .LBB134_464
; %bb.461:
	v_cvt_f32_f64_e32 v2, v[0:1]
	s_movk_i32 s4, 0xff
	v_mov_b32_e32 v6, 0xff
	v_bfe_u32 v3, v2, 23, 8
	v_cmp_ne_u32_e32 vcc, s4, v3
	s_and_saveexec_b64 s[6:7], vcc
; %bb.462:
	s_mov_b32 s4, 0x3fffff
	v_lshrrev_b32_e32 v6, 23, v2
	v_and_b32_e32 v7, 0x400000, v2
	v_and_or_b32 v2, v2, s4, v3
	v_cmp_ne_u32_e32 vcc, 0, v7
	v_cmp_ne_u32_e64 s[4:5], 0, v2
	s_and_b64 s[4:5], vcc, s[4:5]
	v_cndmask_b32_e64 v2, 0, 1, s[4:5]
	v_add_u32_e32 v6, v6, v2
; %bb.463:
	s_or_b64 exec, exec, s[6:7]
	s_mov_b64 s[4:5], 0
	global_store_byte v[4:5], v6, off
.LBB134_464:
	s_mov_b64 s[6:7], 0
.LBB134_465:
	s_and_b64 vcc, exec, s[6:7]
	s_cbranch_vccz .LBB134_468
; %bb.466:
	s_cmp_eq_u32 s15, 29
	s_mov_b64 s[4:5], -1
	s_cbranch_scc0 .LBB134_468
; %bb.467:
	v_trunc_f64_e32 v[2:3], v[0:1]
	s_movk_i32 s4, 0xffe0
	s_mov_b64 s[6:7], 0
	v_ldexp_f64 v[6:7], v[2:3], s4
	s_mov_b32 s4, 0
	s_mov_b32 s5, 0xc1f00000
	v_floor_f64_e32 v[6:7], v[6:7]
	v_fma_f64 v[2:3], v[6:7], s[4:5], v[2:3]
	v_cvt_u32_f64_e32 v7, v[6:7]
	s_mov_b64 s[4:5], 0
	v_cvt_u32_f64_e32 v6, v[2:3]
	global_store_dwordx2 v[4:5], v[6:7], off
	s_branch .LBB134_469
.LBB134_468:
	s_mov_b64 s[6:7], 0
.LBB134_469:
	s_and_b64 vcc, exec, s[6:7]
	s_cbranch_vccz .LBB134_484
; %bb.470:
	s_cmp_lt_i32 s15, 27
	s_mov_b64 s[6:7], -1
	s_cbranch_scc1 .LBB134_476
; %bb.471:
	v_cvt_u32_f64_e32 v2, v[0:1]
	s_cmp_gt_i32 s15, 27
	s_cbranch_scc0 .LBB134_473
; %bb.472:
	s_mov_b64 s[6:7], 0
	global_store_dword v[4:5], v2, off
.LBB134_473:
	s_andn2_b64 vcc, exec, s[6:7]
	s_cbranch_vccnz .LBB134_475
; %bb.474:
	global_store_short v[4:5], v2, off
.LBB134_475:
	s_mov_b64 s[6:7], 0
.LBB134_476:
	s_andn2_b64 vcc, exec, s[6:7]
	s_cbranch_vccnz .LBB134_484
; %bb.477:
	v_cvt_f32_f64_e32 v2, v[0:1]
	s_mov_b32 s6, 0x43800000
	v_mov_b32_e32 v6, 0x80
	v_and_b32_e32 v3, 0x7fffffff, v2
	v_cmp_gt_u32_e32 vcc, s6, v3
	s_and_saveexec_b64 s[6:7], vcc
	s_cbranch_execz .LBB134_483
; %bb.478:
	s_mov_b32 s8, 0x3bffffff
	v_cmp_lt_u32_e32 vcc, s8, v3
	s_mov_b64 s[8:9], 0
                                        ; implicit-def: $vgpr3
	s_and_saveexec_b64 s[10:11], vcc
	s_xor_b64 s[10:11], exec, s[10:11]
	s_cbranch_execz .LBB134_1121
; %bb.479:
	v_bfe_u32 v3, v2, 20, 1
	s_mov_b32 s12, 0x487ffff
	v_add3_u32 v3, v2, v3, s12
	s_mov_b64 s[8:9], exec
	v_lshrrev_b32_e32 v3, 20, v3
	s_andn2_saveexec_b64 s[10:11], s[10:11]
	s_cbranch_execnz .LBB134_1122
.LBB134_480:
	s_or_b64 exec, exec, s[10:11]
	v_mov_b32_e32 v6, 0
	s_and_saveexec_b64 s[10:11], s[8:9]
.LBB134_481:
	v_lshrrev_b32_e32 v2, 24, v2
	s_movk_i32 s8, 0x80
	v_and_or_b32 v6, v2, s8, v3
.LBB134_482:
	s_or_b64 exec, exec, s[10:11]
.LBB134_483:
	s_or_b64 exec, exec, s[6:7]
	global_store_byte v[4:5], v6, off
.LBB134_484:
	s_mov_b64 s[8:9], 0
.LBB134_485:
	s_mov_b64 s[6:7], 0
	s_and_b64 vcc, exec, s[8:9]
	s_cbranch_vccz .LBB134_525
; %bb.486:
	s_cmp_gt_i32 s15, 22
	s_mov_b64 s[8:9], -1
	s_cbranch_scc0 .LBB134_518
; %bb.487:
	s_cmp_lt_i32 s15, 24
	s_cbranch_scc1 .LBB134_507
; %bb.488:
	s_cmp_gt_i32 s15, 24
	s_cbranch_scc0 .LBB134_496
; %bb.489:
	v_cvt_f32_f64_e32 v2, v[0:1]
	s_mov_b32 s8, 0x47800000
	v_mov_b32_e32 v6, 0x80
	v_and_b32_e32 v3, 0x7fffffff, v2
	v_cmp_gt_u32_e32 vcc, s8, v3
	s_and_saveexec_b64 s[8:9], vcc
	s_cbranch_execz .LBB134_495
; %bb.490:
	s_mov_b32 s10, 0x37ffffff
	v_cmp_lt_u32_e32 vcc, s10, v3
	s_mov_b64 s[10:11], 0
                                        ; implicit-def: $vgpr3
	s_and_saveexec_b64 s[12:13], vcc
	s_xor_b64 s[12:13], exec, s[12:13]
	s_cbranch_execz .LBB134_1125
; %bb.491:
	v_bfe_u32 v3, v2, 21, 1
	s_mov_b32 s16, 0x88fffff
	v_add3_u32 v3, v2, v3, s16
	s_mov_b64 s[10:11], exec
	v_lshrrev_b32_e32 v3, 21, v3
	s_andn2_saveexec_b64 s[12:13], s[12:13]
	s_cbranch_execnz .LBB134_1126
.LBB134_492:
	s_or_b64 exec, exec, s[12:13]
	v_mov_b32_e32 v6, 0
	s_and_saveexec_b64 s[12:13], s[10:11]
.LBB134_493:
	v_lshrrev_b32_e32 v2, 24, v2
	s_movk_i32 s10, 0x80
	v_and_or_b32 v6, v2, s10, v3
.LBB134_494:
	s_or_b64 exec, exec, s[12:13]
.LBB134_495:
	s_or_b64 exec, exec, s[8:9]
	s_mov_b64 s[8:9], 0
	global_store_byte v[4:5], v6, off
.LBB134_496:
	s_and_b64 vcc, exec, s[8:9]
	s_cbranch_vccz .LBB134_506
; %bb.497:
	v_cvt_f32_f64_e32 v2, v[0:1]
	s_mov_b32 s8, 0x43f00000
                                        ; implicit-def: $vgpr3
	v_and_b32_e32 v6, 0x7fffffff, v2
	v_cmp_gt_u32_e32 vcc, s8, v6
	s_and_saveexec_b64 s[8:9], vcc
	s_xor_b64 s[8:9], exec, s[8:9]
	s_cbranch_execz .LBB134_503
; %bb.498:
	s_mov_b32 s10, 0x3c7fffff
	v_cmp_lt_u32_e32 vcc, s10, v6
                                        ; implicit-def: $vgpr3
	s_and_saveexec_b64 s[10:11], vcc
	s_xor_b64 s[10:11], exec, s[10:11]
; %bb.499:
	v_bfe_u32 v3, v2, 20, 1
	s_mov_b32 s12, 0x407ffff
	v_add3_u32 v3, v2, v3, s12
	v_lshrrev_b32_e32 v6, 20, v3
	v_and_b32_e32 v3, 0xff00000, v3
	s_mov_b32 s12, 0x7f00000
	v_mov_b32_e32 v7, 0x7e
	v_cmp_ne_u32_e32 vcc, s12, v3
	v_cndmask_b32_e32 v3, v7, v6, vcc
; %bb.500:
	s_andn2_saveexec_b64 s[10:11], s[10:11]
; %bb.501:
	s_mov_b32 s12, 0x46800000
	v_add_f32_e64 v3, |v2|, s12
; %bb.502:
	s_or_b64 exec, exec, s[10:11]
                                        ; implicit-def: $vgpr6
.LBB134_503:
	s_andn2_saveexec_b64 s[8:9], s[8:9]
; %bb.504:
	s_mov_b32 s10, 0x7f800000
	v_mov_b32_e32 v3, 0x7e
	v_mov_b32_e32 v7, 0x7f
	v_cmp_lt_u32_e32 vcc, s10, v6
	v_cndmask_b32_e32 v3, v3, v7, vcc
; %bb.505:
	s_or_b64 exec, exec, s[8:9]
	v_lshrrev_b32_e32 v2, 24, v2
	s_movk_i32 s8, 0x80
	v_and_or_b32 v2, v2, s8, v3
	global_store_byte v[4:5], v2, off
.LBB134_506:
	s_mov_b64 s[8:9], 0
.LBB134_507:
	s_andn2_b64 vcc, exec, s[8:9]
	s_cbranch_vccnz .LBB134_517
; %bb.508:
	v_cvt_f32_f64_e32 v2, v[0:1]
	s_mov_b32 s8, 0x47800000
                                        ; implicit-def: $vgpr3
	v_and_b32_e32 v6, 0x7fffffff, v2
	v_cmp_gt_u32_e32 vcc, s8, v6
	s_and_saveexec_b64 s[8:9], vcc
	s_xor_b64 s[8:9], exec, s[8:9]
	s_cbranch_execz .LBB134_514
; %bb.509:
	s_mov_b32 s10, 0x387fffff
	v_cmp_lt_u32_e32 vcc, s10, v6
                                        ; implicit-def: $vgpr3
	s_and_saveexec_b64 s[10:11], vcc
	s_xor_b64 s[10:11], exec, s[10:11]
; %bb.510:
	v_bfe_u32 v3, v2, 21, 1
	s_mov_b32 s12, 0x80fffff
	v_add3_u32 v3, v2, v3, s12
	v_lshrrev_b32_e32 v3, 21, v3
; %bb.511:
	s_andn2_saveexec_b64 s[10:11], s[10:11]
; %bb.512:
	s_mov_b32 s12, 0x43000000
	v_add_f32_e64 v3, |v2|, s12
; %bb.513:
	s_or_b64 exec, exec, s[10:11]
                                        ; implicit-def: $vgpr6
.LBB134_514:
	s_andn2_saveexec_b64 s[8:9], s[8:9]
; %bb.515:
	s_mov_b32 s10, 0x7f800000
	v_mov_b32_e32 v3, 0x7c
	v_mov_b32_e32 v7, 0x7f
	v_cmp_lt_u32_e32 vcc, s10, v6
	v_cndmask_b32_e32 v3, v3, v7, vcc
; %bb.516:
	s_or_b64 exec, exec, s[8:9]
	v_lshrrev_b32_e32 v2, 24, v2
	s_movk_i32 s8, 0x80
	v_and_or_b32 v2, v2, s8, v3
	global_store_byte v[4:5], v2, off
.LBB134_517:
	s_mov_b64 s[8:9], 0
.LBB134_518:
	s_andn2_b64 vcc, exec, s[8:9]
	s_mov_b64 s[8:9], 0
	s_cbranch_vccnz .LBB134_526
; %bb.519:
	s_cmp_gt_i32 s15, 14
	s_mov_b64 s[10:11], -1
	s_cbranch_scc0 .LBB134_523
; %bb.520:
	s_cmp_eq_u32 s15, 15
	s_mov_b64 s[4:5], -1
	s_cbranch_scc0 .LBB134_522
; %bb.521:
	v_cvt_f32_f64_e32 v2, v[0:1]
	s_movk_i32 s4, 0x7fff
	v_mov_b32_e32 v3, 0x7fc0
	v_bfe_u32 v6, v2, 16, 1
	v_cmp_o_f32_e32 vcc, v2, v2
	v_add3_u32 v2, v2, v6, s4
	v_cndmask_b32_sdwa v2, v3, v2, vcc dst_sel:DWORD dst_unused:UNUSED_PAD src0_sel:DWORD src1_sel:WORD_1
	global_store_short v[4:5], v2, off
	s_mov_b64 s[4:5], 0
.LBB134_522:
	s_mov_b64 s[10:11], 0
.LBB134_523:
	s_and_b64 vcc, exec, s[10:11]
	s_cbranch_vccz .LBB134_526
; %bb.524:
	s_cmp_lg_u32 s15, 11
	s_cselect_b64 s[10:11], -1, 0
	s_andn2_b64 s[4:5], s[4:5], exec
	s_and_b64 s[10:11], s[10:11], exec
	s_mov_b64 s[8:9], -1
	s_or_b64 s[4:5], s[4:5], s[10:11]
	s_branch .LBB134_526
.LBB134_525:
	s_mov_b64 s[8:9], 0
.LBB134_526:
	s_and_b64 s[10:11], s[6:7], exec
	s_and_b64 s[6:7], s[8:9], exec
	s_andn2_b64 s[8:9], s[72:73], exec
	s_and_b64 s[4:5], s[4:5], exec
	s_or_b64 s[8:9], s[8:9], s[4:5]
.LBB134_527:
	s_or_b64 exec, exec, s[74:75]
	s_and_b64 s[4:5], s[6:7], exec
	s_andn2_b64 s[6:7], s[72:73], exec
	s_and_b64 s[8:9], s[8:9], exec
	s_and_b64 s[10:11], s[10:11], exec
	s_or_b64 s[72:73], s[6:7], s[8:9]
.LBB134_528:
	s_or_b64 exec, exec, s[70:71]
	s_and_b64 s[6:7], s[10:11], exec
	s_andn2_b64 s[8:9], s[66:67], exec
	s_and_b64 s[10:11], s[72:73], exec
	s_and_b64 s[4:5], s[4:5], exec
	s_or_b64 s[66:67], s[8:9], s[10:11]
.LBB134_529:
	s_or_b64 exec, exec, s[68:69]
	s_and_b64 s[68:69], s[4:5], exec
	s_andn2_b64 s[4:5], s[62:63], exec
	s_and_b64 s[8:9], s[66:67], exec
	s_and_b64 s[6:7], s[6:7], exec
	s_or_b64 s[62:63], s[4:5], s[8:9]
	s_or_b64 exec, exec, s[64:65]
	s_mov_b64 s[4:5], 0
	s_and_saveexec_b64 s[8:9], s[62:63]
	s_cbranch_execz .LBB134_146
.LBB134_530:
	s_mov_b64 s[4:5], exec
	s_andn2_b64 s[68:69], s[68:69], exec
	s_trap 2
	s_or_b64 exec, exec, s[8:9]
	s_and_saveexec_b64 s[8:9], s[68:69]
	s_xor_b64 s[8:9], exec, s[8:9]
	s_cbranch_execnz .LBB134_147
.LBB134_531:
	s_or_b64 exec, exec, s[8:9]
	s_and_saveexec_b64 s[8:9], s[6:7]
	s_xor_b64 s[6:7], exec, s[8:9]
	s_cbranch_execz .LBB134_569
.LBB134_532:
	s_sext_i32_i16 s10, s14
	s_cmp_lt_i32 s10, 5
	s_mov_b64 s[8:9], -1
	s_cbranch_scc1 .LBB134_553
; %bb.533:
	s_cmp_lt_i32 s10, 8
	s_cbranch_scc1 .LBB134_543
; %bb.534:
	s_cmp_lt_i32 s10, 9
	s_cbranch_scc1 .LBB134_540
; %bb.535:
	s_cmp_gt_i32 s10, 9
	s_cbranch_scc0 .LBB134_537
; %bb.536:
	v_mov_b32_e32 v2, 0
	v_mov_b32_e32 v3, v2
	s_mov_b64 s[8:9], 0
	global_store_dwordx4 v[4:5], v[0:3], off
.LBB134_537:
	s_andn2_b64 vcc, exec, s[8:9]
	s_cbranch_vccnz .LBB134_539
; %bb.538:
	v_cvt_f32_f64_e32 v2, v[0:1]
	v_mov_b32_e32 v3, 0
	global_store_dwordx2 v[4:5], v[2:3], off
.LBB134_539:
	s_mov_b64 s[8:9], 0
.LBB134_540:
	s_andn2_b64 vcc, exec, s[8:9]
	s_cbranch_vccnz .LBB134_542
; %bb.541:
	s_movk_i32 s8, 0x1ff
	v_and_or_b32 v2, v1, s8, v0
	v_cmp_ne_u32_e32 vcc, 0, v2
	v_cndmask_b32_e64 v2, 0, 1, vcc
	v_lshrrev_b32_e32 v3, 8, v1
	s_movk_i32 s8, 0xffe
	v_bfe_u32 v6, v1, 20, 11
	v_and_or_b32 v2, v3, s8, v2
	v_sub_u32_e32 v7, 0x3f1, v6
	v_or_b32_e32 v3, 0x1000, v2
	v_med3_i32 v7, v7, 0, 13
	v_lshrrev_b32_e32 v8, v7, v3
	v_lshlrev_b32_e32 v7, v7, v8
	v_cmp_ne_u32_e32 vcc, v7, v3
	v_cndmask_b32_e64 v3, 0, 1, vcc
	v_add_u32_e32 v6, 0xfffffc10, v6
	v_or_b32_e32 v3, v8, v3
	v_lshl_or_b32 v7, v6, 12, v2
	v_cmp_gt_i32_e32 vcc, 1, v6
	v_cndmask_b32_e32 v3, v7, v3, vcc
	v_and_b32_e32 v7, 7, v3
	v_cmp_lt_i32_e32 vcc, 5, v7
	v_cndmask_b32_e64 v8, 0, 1, vcc
	v_cmp_eq_u32_e32 vcc, 3, v7
	v_cndmask_b32_e64 v7, 0, 1, vcc
	v_or_b32_e32 v7, v7, v8
	v_lshrrev_b32_e32 v3, 2, v3
	v_add_u32_e32 v3, v3, v7
	v_mov_b32_e32 v7, 0x7c00
	v_cmp_gt_i32_e32 vcc, 31, v6
	v_cndmask_b32_e32 v3, v7, v3, vcc
	v_mov_b32_e32 v8, 0x7e00
	v_cmp_ne_u32_e32 vcc, 0, v2
	s_movk_i32 s8, 0x40f
	v_cndmask_b32_e32 v2, v7, v8, vcc
	v_cmp_eq_u32_e32 vcc, s8, v6
	v_cndmask_b32_e32 v2, v3, v2, vcc
	v_lshrrev_b32_e32 v3, 16, v1
	s_mov_b32 s8, 0x8000
	v_and_or_b32 v2, v3, s8, v2
	v_and_b32_e32 v2, 0xffff, v2
	global_store_dword v[4:5], v2, off
.LBB134_542:
	s_mov_b64 s[8:9], 0
.LBB134_543:
	s_andn2_b64 vcc, exec, s[8:9]
	s_cbranch_vccnz .LBB134_552
; %bb.544:
	s_sext_i32_i16 s10, s14
	s_cmp_lt_i32 s10, 6
	s_mov_b64 s[8:9], -1
	s_cbranch_scc1 .LBB134_550
; %bb.545:
	s_cmp_gt_i32 s10, 6
	s_cbranch_scc0 .LBB134_547
; %bb.546:
	s_mov_b64 s[8:9], 0
	global_store_dwordx2 v[4:5], v[0:1], off
.LBB134_547:
	s_andn2_b64 vcc, exec, s[8:9]
	s_cbranch_vccnz .LBB134_549
; %bb.548:
	v_cvt_f32_f64_e32 v2, v[0:1]
	global_store_dword v[4:5], v2, off
.LBB134_549:
	s_mov_b64 s[8:9], 0
.LBB134_550:
	s_andn2_b64 vcc, exec, s[8:9]
	s_cbranch_vccnz .LBB134_552
; %bb.551:
	s_movk_i32 s8, 0x1ff
	v_and_or_b32 v2, v1, s8, v0
	v_cmp_ne_u32_e32 vcc, 0, v2
	v_cndmask_b32_e64 v2, 0, 1, vcc
	v_lshrrev_b32_e32 v3, 8, v1
	s_movk_i32 s8, 0xffe
	v_bfe_u32 v6, v1, 20, 11
	v_and_or_b32 v2, v3, s8, v2
	v_sub_u32_e32 v7, 0x3f1, v6
	v_or_b32_e32 v3, 0x1000, v2
	v_med3_i32 v7, v7, 0, 13
	v_lshrrev_b32_e32 v8, v7, v3
	v_lshlrev_b32_e32 v7, v7, v8
	v_cmp_ne_u32_e32 vcc, v7, v3
	v_cndmask_b32_e64 v3, 0, 1, vcc
	v_add_u32_e32 v6, 0xfffffc10, v6
	v_or_b32_e32 v3, v8, v3
	v_lshl_or_b32 v7, v6, 12, v2
	v_cmp_gt_i32_e32 vcc, 1, v6
	v_cndmask_b32_e32 v3, v7, v3, vcc
	v_and_b32_e32 v7, 7, v3
	v_cmp_lt_i32_e32 vcc, 5, v7
	v_cndmask_b32_e64 v8, 0, 1, vcc
	v_cmp_eq_u32_e32 vcc, 3, v7
	v_cndmask_b32_e64 v7, 0, 1, vcc
	v_or_b32_e32 v7, v7, v8
	v_lshrrev_b32_e32 v3, 2, v3
	v_add_u32_e32 v3, v3, v7
	v_mov_b32_e32 v7, 0x7c00
	v_cmp_gt_i32_e32 vcc, 31, v6
	v_cndmask_b32_e32 v3, v7, v3, vcc
	v_mov_b32_e32 v8, 0x7e00
	v_cmp_ne_u32_e32 vcc, 0, v2
	s_movk_i32 s8, 0x40f
	v_cndmask_b32_e32 v2, v7, v8, vcc
	v_cmp_eq_u32_e32 vcc, s8, v6
	v_cndmask_b32_e32 v2, v3, v2, vcc
	v_lshrrev_b32_e32 v3, 16, v1
	s_mov_b32 s8, 0x8000
	v_and_or_b32 v2, v3, s8, v2
	global_store_short v[4:5], v2, off
.LBB134_552:
	s_mov_b64 s[8:9], 0
.LBB134_553:
	s_andn2_b64 vcc, exec, s[8:9]
	s_cbranch_vccnz .LBB134_569
; %bb.554:
	s_sext_i32_i16 s10, s14
	s_cmp_lt_i32 s10, 2
	s_mov_b64 s[8:9], -1
	s_cbranch_scc1 .LBB134_564
; %bb.555:
	s_cmp_lt_i32 s10, 3
	s_cbranch_scc1 .LBB134_561
; %bb.556:
	s_cmp_gt_i32 s10, 3
	s_cbranch_scc0 .LBB134_558
; %bb.557:
	v_trunc_f64_e32 v[2:3], v[0:1]
	s_movk_i32 s8, 0xffe0
	v_ldexp_f64 v[6:7], v[2:3], s8
	s_mov_b32 s8, 0
	s_mov_b32 s9, 0xc1f00000
	v_floor_f64_e32 v[6:7], v[6:7]
	v_fma_f64 v[2:3], v[6:7], s[8:9], v[2:3]
	v_cvt_i32_f64_e32 v7, v[6:7]
	s_mov_b64 s[8:9], 0
	v_cvt_u32_f64_e32 v6, v[2:3]
	global_store_dwordx2 v[4:5], v[6:7], off
.LBB134_558:
	s_andn2_b64 vcc, exec, s[8:9]
	s_cbranch_vccnz .LBB134_560
; %bb.559:
	v_cvt_i32_f64_e32 v2, v[0:1]
	global_store_dword v[4:5], v2, off
.LBB134_560:
	s_mov_b64 s[8:9], 0
.LBB134_561:
	s_andn2_b64 vcc, exec, s[8:9]
	s_cbranch_vccnz .LBB134_563
; %bb.562:
	v_cvt_i32_f64_e32 v2, v[0:1]
	global_store_short v[4:5], v2, off
.LBB134_563:
	s_mov_b64 s[8:9], 0
.LBB134_564:
	s_andn2_b64 vcc, exec, s[8:9]
	s_cbranch_vccnz .LBB134_569
; %bb.565:
	s_sext_i32_i16 s8, s14
	s_cmp_gt_i32 s8, 0
	s_mov_b64 s[8:9], -1
	s_cbranch_scc0 .LBB134_567
; %bb.566:
	v_cvt_i32_f64_e32 v2, v[0:1]
	s_mov_b64 s[8:9], 0
	global_store_byte v[4:5], v2, off
.LBB134_567:
	s_andn2_b64 vcc, exec, s[8:9]
	s_cbranch_vccnz .LBB134_569
; %bb.568:
	v_trunc_f64_e32 v[0:1], v[0:1]
	s_movk_i32 s8, 0xffe0
	v_ldexp_f64 v[2:3], v[0:1], s8
	s_mov_b32 s8, 0
	s_mov_b32 s9, 0xc1f00000
	v_floor_f64_e32 v[2:3], v[2:3]
	v_fma_f64 v[0:1], v[2:3], s[8:9], v[0:1]
	v_cvt_u32_f64_e32 v0, v[0:1]
	global_store_byte v[4:5], v0, off
.LBB134_569:
	s_or_b64 exec, exec, s[6:7]
	s_waitcnt lgkmcnt(0)
	s_and_b64 s[40:41], s[4:5], exec
                                        ; implicit-def: $vgpr6
                                        ; implicit-def: $vgpr33
.LBB134_570:
	s_or_saveexec_b64 s[42:43], s[52:53]
	s_mov_b64 s[4:5], 0
                                        ; implicit-def: $sgpr16
                                        ; implicit-def: $vgpr4_vgpr5
                                        ; implicit-def: $vgpr0_vgpr1
	s_xor_b64 exec, exec, s[42:43]
	s_cbranch_execz .LBB134_1059
; %bb.571:
	v_cndmask_b32_e64 v0, 0, 1, s[50:51]
	v_cmp_ne_u32_e64 s[4:5], 1, v0
	s_andn2_b64 vcc, exec, s[50:51]
	s_cbranch_vccnz .LBB134_577
; %bb.572:
	s_cmp_lg_u32 s33, 0
	s_mov_b32 s36, 0
	s_cbranch_scc0 .LBB134_578
; %bb.573:
	s_min_u32 s37, s76, 15
	s_add_i32 s37, s37, 1
	s_cmp_eq_u32 s76, 2
	s_cbranch_scc1 .LBB134_579
; %bb.574:
	s_and_b32 s36, s37, 28
	s_add_u32 s6, s34, 0xc4
	s_addc_u32 s7, s35, 0
	v_mov_b32_e32 v2, 0
	s_mov_b32 s38, 0
	s_mov_b64 s[30:31], s[34:35]
	v_mov_b32_e32 v44, 0
	v_mov_b32_e32 v0, v33
.LBB134_575:                            ; =>This Inner Loop Header: Depth=1
	s_load_dwordx8 s[16:23], s[30:31], 0x4
	s_load_dwordx4 s[24:27], s[30:31], 0x24
	s_load_dwordx8 s[8:15], s[6:7], 0x0
	s_add_u32 s30, s30, 48
	s_addc_u32 s31, s31, 0
	s_waitcnt lgkmcnt(0)
	v_mul_hi_u32 v1, s17, v0
	s_add_i32 s38, s38, 4
	s_add_u32 s6, s6, 32
	s_addc_u32 s7, s7, 0
	v_add_u32_e32 v1, v0, v1
	v_lshrrev_b32_e32 v1, s18, v1
	v_mul_lo_u32 v3, v1, s16
	v_mul_hi_u32 v4, s20, v1
	s_cmp_lg_u32 s36, s38
	v_sub_u32_e32 v0, v0, v3
	v_add_u32_e32 v3, v1, v4
	v_mul_lo_u32 v4, v0, s8
	v_mul_lo_u32 v5, v0, s9
	v_lshrrev_b32_e32 v0, s21, v3
	v_mul_lo_u32 v3, v0, s19
	v_mul_hi_u32 v7, s23, v0
	v_sub_u32_e32 v1, v1, v3
	v_add_u32_e32 v3, v0, v7
	v_lshrrev_b32_e32 v3, s24, v3
	v_mul_hi_u32 v8, s26, v3
	v_mul_lo_u32 v9, v3, s22
	v_mul_lo_u32 v7, v1, s10
	;; [unrolled: 1-line block ×3, first 2 shown]
	v_sub_u32_e32 v9, v0, v9
	v_add_u32_e32 v0, v3, v8
	v_lshrrev_b32_e32 v0, s27, v0
	v_mul_lo_u32 v8, v0, s25
	v_mul_lo_u32 v10, v9, s12
	;; [unrolled: 1-line block ×3, first 2 shown]
	v_add3_u32 v4, v4, v44, v7
	v_sub_u32_e32 v3, v3, v8
	v_mul_lo_u32 v8, v3, s14
	v_mul_lo_u32 v3, v3, s15
	v_add3_u32 v1, v5, v2, v1
	v_add3_u32 v44, v10, v4, v8
	;; [unrolled: 1-line block ×3, first 2 shown]
	s_cbranch_scc1 .LBB134_575
; %bb.576:
	s_and_b32 s10, s37, 3
	s_cmp_eq_u32 s10, 0
	s_cbranch_scc0 .LBB134_580
	s_branch .LBB134_582
.LBB134_577:
                                        ; implicit-def: $vgpr44
                                        ; implicit-def: $vgpr2
	s_branch .LBB134_583
.LBB134_578:
	v_mov_b32_e32 v44, 0
	v_mov_b32_e32 v2, 0
	s_branch .LBB134_582
.LBB134_579:
	v_mov_b32_e32 v44, 0
	v_mov_b32_e32 v2, 0
	;; [unrolled: 1-line block ×3, first 2 shown]
	s_and_b32 s10, s37, 3
	s_cmp_eq_u32 s10, 0
	s_cbranch_scc1 .LBB134_582
.LBB134_580:
	s_lshl_b32 s6, s36, 3
	s_add_u32 s6, s34, s6
	s_addc_u32 s7, s35, 0
	s_add_u32 s6, s6, 0xc4
	s_addc_u32 s7, s7, 0
	s_mul_i32 s8, s36, 12
	s_add_u32 s8, s34, s8
	s_addc_u32 s9, s35, 0
.LBB134_581:                            ; =>This Inner Loop Header: Depth=1
	s_load_dwordx2 s[12:13], s[8:9], 0x4
	s_load_dword s11, s[8:9], 0xc
	s_load_dwordx2 s[14:15], s[6:7], 0x0
	s_add_u32 s8, s8, 12
	s_addc_u32 s9, s9, 0
	s_waitcnt lgkmcnt(0)
	v_mul_hi_u32 v1, s13, v0
	s_add_u32 s6, s6, 8
	s_addc_u32 s7, s7, 0
	s_add_i32 s10, s10, -1
	v_add_u32_e32 v1, v0, v1
	v_lshrrev_b32_e32 v1, s11, v1
	v_mul_lo_u32 v3, v1, s12
	s_cmp_lg_u32 s10, 0
	v_sub_u32_e32 v0, v0, v3
	v_mad_u64_u32 v[44:45], s[12:13], v0, s14, v[44:45]
	v_mad_u64_u32 v[2:3], s[12:13], v0, s15, v[2:3]
	v_mov_b32_e32 v0, v1
	s_cbranch_scc1 .LBB134_581
.LBB134_582:
	s_cbranch_execnz .LBB134_585
.LBB134_583:
	s_load_dwordx4 s[8:11], s[34:35], 0x4
	s_load_dwordx2 s[6:7], s[34:35], 0xc4
	s_cmp_lt_u32 s33, 2
	s_waitcnt lgkmcnt(0)
	v_mul_hi_u32 v0, s9, v33
	v_add_u32_e32 v0, v33, v0
	v_lshrrev_b32_e32 v0, s10, v0
	v_mul_lo_u32 v1, v0, s8
	v_sub_u32_e32 v1, v33, v1
	v_mul_lo_u32 v44, v1, s6
	v_mul_lo_u32 v2, v1, s7
	s_cbranch_scc1 .LBB134_585
; %bb.584:
	s_load_dwordx4 s[8:11], s[34:35], 0x10
	s_load_dwordx2 s[6:7], s[34:35], 0xcc
	s_waitcnt lgkmcnt(0)
	v_mul_hi_u32 v1, s9, v0
	v_add_u32_e32 v1, v0, v1
	v_lshrrev_b32_e32 v1, s10, v1
	v_mul_lo_u32 v1, v1, s8
	v_sub_u32_e32 v0, v0, v1
	v_mad_u64_u32 v[44:45], s[8:9], v0, s6, v[44:45]
	v_mad_u64_u32 v[2:3], s[6:7], v0, s7, v[2:3]
.LBB134_585:
	s_and_b64 vcc, exec, s[4:5]
	v_add_u32_e32 v0, 0x80, v33
	s_cbranch_vccnz .LBB134_591
; %bb.586:
	s_cmp_lg_u32 s33, 0
	s_mov_b32 s36, 0
	s_cbranch_scc0 .LBB134_592
; %bb.587:
	s_min_u32 s37, s76, 15
	s_add_i32 s37, s37, 1
	s_cmp_eq_u32 s76, 2
	s_cbranch_scc1 .LBB134_593
; %bb.588:
	s_and_b32 s36, s37, 28
	s_add_u32 s6, s34, 0xc4
	s_addc_u32 s7, s35, 0
	v_mov_b32_e32 v30, 0
	s_mov_b32 s38, 0
	s_mov_b64 s[30:31], s[34:35]
	v_mov_b32_e32 v42, 0
	v_mov_b32_e32 v1, v0
.LBB134_589:                            ; =>This Inner Loop Header: Depth=1
	s_load_dwordx8 s[16:23], s[30:31], 0x4
	s_load_dwordx4 s[24:27], s[30:31], 0x24
	s_load_dwordx8 s[8:15], s[6:7], 0x0
	s_add_u32 s30, s30, 48
	s_addc_u32 s31, s31, 0
	s_waitcnt lgkmcnt(0)
	v_mul_hi_u32 v3, s17, v1
	s_add_i32 s38, s38, 4
	s_add_u32 s6, s6, 32
	s_addc_u32 s7, s7, 0
	v_add_u32_e32 v3, v1, v3
	v_lshrrev_b32_e32 v3, s18, v3
	v_mul_lo_u32 v4, v3, s16
	v_mul_hi_u32 v5, s20, v3
	s_cmp_lg_u32 s36, s38
	v_sub_u32_e32 v1, v1, v4
	v_add_u32_e32 v4, v3, v5
	v_mul_lo_u32 v5, v1, s8
	v_mul_lo_u32 v7, v1, s9
	v_lshrrev_b32_e32 v1, s21, v4
	v_mul_lo_u32 v4, v1, s19
	v_mul_hi_u32 v8, s23, v1
	v_sub_u32_e32 v3, v3, v4
	v_add_u32_e32 v4, v1, v8
	v_lshrrev_b32_e32 v4, s24, v4
	v_mul_hi_u32 v9, s26, v4
	v_mul_lo_u32 v10, v4, s22
	v_mul_lo_u32 v8, v3, s10
	;; [unrolled: 1-line block ×3, first 2 shown]
	v_sub_u32_e32 v10, v1, v10
	v_add_u32_e32 v1, v4, v9
	v_lshrrev_b32_e32 v1, s27, v1
	v_mul_lo_u32 v9, v1, s25
	v_mul_lo_u32 v11, v10, s12
	;; [unrolled: 1-line block ×3, first 2 shown]
	v_add3_u32 v5, v5, v42, v8
	v_sub_u32_e32 v4, v4, v9
	v_mul_lo_u32 v9, v4, s14
	v_mul_lo_u32 v4, v4, s15
	v_add3_u32 v3, v7, v30, v3
	v_add3_u32 v42, v11, v5, v9
	;; [unrolled: 1-line block ×3, first 2 shown]
	s_cbranch_scc1 .LBB134_589
; %bb.590:
	s_and_b32 s10, s37, 3
	s_cmp_eq_u32 s10, 0
	s_cbranch_scc0 .LBB134_594
	s_branch .LBB134_596
.LBB134_591:
                                        ; implicit-def: $vgpr42
                                        ; implicit-def: $vgpr30
	s_branch .LBB134_597
.LBB134_592:
	v_mov_b32_e32 v42, 0
	v_mov_b32_e32 v30, 0
	s_branch .LBB134_596
.LBB134_593:
	v_mov_b32_e32 v42, 0
	v_mov_b32_e32 v30, 0
	;; [unrolled: 1-line block ×3, first 2 shown]
	s_and_b32 s10, s37, 3
	s_cmp_eq_u32 s10, 0
	s_cbranch_scc1 .LBB134_596
.LBB134_594:
	s_lshl_b32 s6, s36, 3
	s_add_u32 s6, s34, s6
	s_addc_u32 s7, s35, 0
	s_add_u32 s6, s6, 0xc4
	s_addc_u32 s7, s7, 0
	s_mul_i32 s8, s36, 12
	s_add_u32 s8, s34, s8
	s_addc_u32 s9, s35, 0
.LBB134_595:                            ; =>This Inner Loop Header: Depth=1
	s_load_dwordx2 s[12:13], s[8:9], 0x4
	s_load_dword s11, s[8:9], 0xc
	s_load_dwordx2 s[14:15], s[6:7], 0x0
	s_add_u32 s8, s8, 12
	s_addc_u32 s9, s9, 0
	s_waitcnt lgkmcnt(0)
	v_mul_hi_u32 v3, s13, v1
	s_add_u32 s6, s6, 8
	s_addc_u32 s7, s7, 0
	s_add_i32 s10, s10, -1
	v_add_u32_e32 v3, v1, v3
	v_lshrrev_b32_e32 v3, s11, v3
	v_mul_lo_u32 v4, v3, s12
	s_cmp_lg_u32 s10, 0
	v_sub_u32_e32 v1, v1, v4
	v_mad_u64_u32 v[42:43], s[12:13], v1, s14, v[42:43]
	v_mad_u64_u32 v[30:31], s[12:13], v1, s15, v[30:31]
	v_mov_b32_e32 v1, v3
	s_cbranch_scc1 .LBB134_595
.LBB134_596:
	s_cbranch_execnz .LBB134_599
.LBB134_597:
	s_load_dwordx4 s[8:11], s[34:35], 0x4
	s_load_dwordx2 s[6:7], s[34:35], 0xc4
	s_cmp_lt_u32 s33, 2
	s_waitcnt lgkmcnt(0)
	v_mul_hi_u32 v1, s9, v0
	v_add_u32_e32 v1, v0, v1
	v_lshrrev_b32_e32 v1, s10, v1
	v_mul_lo_u32 v3, v1, s8
	v_sub_u32_e32 v0, v0, v3
	v_mul_lo_u32 v42, v0, s6
	v_mul_lo_u32 v30, v0, s7
	s_cbranch_scc1 .LBB134_599
; %bb.598:
	s_load_dwordx4 s[8:11], s[34:35], 0x10
	s_load_dwordx2 s[6:7], s[34:35], 0xcc
	s_waitcnt lgkmcnt(0)
	v_mul_hi_u32 v0, s9, v1
	v_add_u32_e32 v0, v1, v0
	v_lshrrev_b32_e32 v0, s10, v0
	v_mul_lo_u32 v0, v0, s8
	v_sub_u32_e32 v0, v1, v0
	v_mad_u64_u32 v[42:43], s[8:9], v0, s6, v[42:43]
	v_mad_u64_u32 v[30:31], s[6:7], v0, s7, v[30:31]
.LBB134_599:
	s_and_b64 vcc, exec, s[4:5]
	v_add_u32_e32 v0, 0x100, v33
	s_cbranch_vccnz .LBB134_605
; %bb.600:
	s_cmp_lg_u32 s33, 0
	s_mov_b32 s36, 0
	s_cbranch_scc0 .LBB134_606
; %bb.601:
	s_min_u32 s37, s76, 15
	s_add_i32 s37, s37, 1
	s_cmp_eq_u32 s76, 2
	s_cbranch_scc1 .LBB134_607
; %bb.602:
	s_and_b32 s36, s37, 28
	s_add_u32 s6, s34, 0xc4
	s_addc_u32 s7, s35, 0
	v_mov_b32_e32 v31, 0
	s_mov_b32 s38, 0
	s_mov_b64 s[30:31], s[34:35]
	v_mov_b32_e32 v40, 0
	v_mov_b32_e32 v1, v0
.LBB134_603:                            ; =>This Inner Loop Header: Depth=1
	s_load_dwordx8 s[16:23], s[30:31], 0x4
	s_load_dwordx4 s[24:27], s[30:31], 0x24
	s_load_dwordx8 s[8:15], s[6:7], 0x0
	s_add_u32 s30, s30, 48
	s_addc_u32 s31, s31, 0
	s_waitcnt lgkmcnt(0)
	v_mul_hi_u32 v3, s17, v1
	s_add_i32 s38, s38, 4
	s_add_u32 s6, s6, 32
	s_addc_u32 s7, s7, 0
	v_add_u32_e32 v3, v1, v3
	v_lshrrev_b32_e32 v3, s18, v3
	v_mul_lo_u32 v4, v3, s16
	v_mul_hi_u32 v5, s20, v3
	s_cmp_lg_u32 s36, s38
	v_sub_u32_e32 v1, v1, v4
	v_add_u32_e32 v4, v3, v5
	v_mul_lo_u32 v5, v1, s8
	v_mul_lo_u32 v7, v1, s9
	v_lshrrev_b32_e32 v1, s21, v4
	v_mul_lo_u32 v4, v1, s19
	v_mul_hi_u32 v8, s23, v1
	v_sub_u32_e32 v3, v3, v4
	v_add_u32_e32 v4, v1, v8
	v_lshrrev_b32_e32 v4, s24, v4
	v_mul_hi_u32 v9, s26, v4
	v_mul_lo_u32 v10, v4, s22
	v_mul_lo_u32 v8, v3, s10
	v_mul_lo_u32 v3, v3, s11
	v_sub_u32_e32 v10, v1, v10
	v_add_u32_e32 v1, v4, v9
	v_lshrrev_b32_e32 v1, s27, v1
	v_mul_lo_u32 v9, v1, s25
	v_mul_lo_u32 v11, v10, s12
	;; [unrolled: 1-line block ×3, first 2 shown]
	v_add3_u32 v5, v5, v40, v8
	v_sub_u32_e32 v4, v4, v9
	v_mul_lo_u32 v9, v4, s14
	v_mul_lo_u32 v4, v4, s15
	v_add3_u32 v3, v7, v31, v3
	v_add3_u32 v40, v11, v5, v9
	;; [unrolled: 1-line block ×3, first 2 shown]
	s_cbranch_scc1 .LBB134_603
; %bb.604:
	s_and_b32 s10, s37, 3
	s_cmp_eq_u32 s10, 0
	s_cbranch_scc0 .LBB134_608
	s_branch .LBB134_610
.LBB134_605:
                                        ; implicit-def: $vgpr40
                                        ; implicit-def: $vgpr31
	s_branch .LBB134_611
.LBB134_606:
	v_mov_b32_e32 v40, 0
	v_mov_b32_e32 v31, 0
	s_branch .LBB134_610
.LBB134_607:
	v_mov_b32_e32 v40, 0
	v_mov_b32_e32 v31, 0
	;; [unrolled: 1-line block ×3, first 2 shown]
	s_and_b32 s10, s37, 3
	s_cmp_eq_u32 s10, 0
	s_cbranch_scc1 .LBB134_610
.LBB134_608:
	s_lshl_b32 s6, s36, 3
	s_add_u32 s6, s34, s6
	s_addc_u32 s7, s35, 0
	s_add_u32 s6, s6, 0xc4
	s_addc_u32 s7, s7, 0
	s_mul_i32 s8, s36, 12
	s_add_u32 s8, s34, s8
	s_addc_u32 s9, s35, 0
.LBB134_609:                            ; =>This Inner Loop Header: Depth=1
	s_load_dwordx2 s[12:13], s[8:9], 0x4
	s_load_dword s11, s[8:9], 0xc
	s_load_dwordx2 s[14:15], s[6:7], 0x0
	s_add_u32 s8, s8, 12
	s_addc_u32 s9, s9, 0
	s_waitcnt lgkmcnt(0)
	v_mul_hi_u32 v3, s13, v1
	s_add_u32 s6, s6, 8
	s_addc_u32 s7, s7, 0
	s_add_i32 s10, s10, -1
	v_add_u32_e32 v3, v1, v3
	v_lshrrev_b32_e32 v3, s11, v3
	v_mul_lo_u32 v4, v3, s12
	s_cmp_lg_u32 s10, 0
	v_sub_u32_e32 v1, v1, v4
	v_mad_u64_u32 v[40:41], s[12:13], v1, s14, v[40:41]
	v_mad_u64_u32 v[31:32], s[12:13], v1, s15, v[31:32]
	v_mov_b32_e32 v1, v3
	s_cbranch_scc1 .LBB134_609
.LBB134_610:
	s_cbranch_execnz .LBB134_613
.LBB134_611:
	s_load_dwordx4 s[8:11], s[34:35], 0x4
	s_load_dwordx2 s[6:7], s[34:35], 0xc4
	s_cmp_lt_u32 s33, 2
	s_waitcnt lgkmcnt(0)
	v_mul_hi_u32 v1, s9, v0
	v_add_u32_e32 v1, v0, v1
	v_lshrrev_b32_e32 v1, s10, v1
	v_mul_lo_u32 v3, v1, s8
	v_sub_u32_e32 v0, v0, v3
	v_mul_lo_u32 v40, v0, s6
	v_mul_lo_u32 v31, v0, s7
	s_cbranch_scc1 .LBB134_613
; %bb.612:
	s_load_dwordx4 s[8:11], s[34:35], 0x10
	s_load_dwordx2 s[6:7], s[34:35], 0xcc
	s_waitcnt lgkmcnt(0)
	v_mul_hi_u32 v0, s9, v1
	v_add_u32_e32 v0, v1, v0
	v_lshrrev_b32_e32 v0, s10, v0
	v_mul_lo_u32 v0, v0, s8
	v_sub_u32_e32 v0, v1, v0
	v_mad_u64_u32 v[40:41], s[8:9], v0, s6, v[40:41]
	v_mad_u64_u32 v[31:32], s[6:7], v0, s7, v[31:32]
.LBB134_613:
	s_and_b64 vcc, exec, s[4:5]
	s_cbranch_vccnz .LBB134_619
; %bb.614:
	s_cmp_lg_u32 s33, 0
	s_mov_b32 s30, 0
	s_cbranch_scc0 .LBB134_620
; %bb.615:
	s_min_u32 s31, s76, 15
	s_add_i32 s31, s31, 1
	s_cmp_eq_u32 s76, 2
	s_cbranch_scc1 .LBB134_621
; %bb.616:
	s_and_b32 s30, s31, 28
	s_add_u32 s24, s34, 0xc4
	s_addc_u32 s25, s35, 0
	v_mov_b32_e32 v36, 0
	s_mov_b32 s36, 0
	s_mov_b64 s[26:27], s[34:35]
	v_mov_b32_e32 v38, 0
	v_mov_b32_e32 v0, v6
.LBB134_617:                            ; =>This Inner Loop Header: Depth=1
	s_load_dwordx8 s[12:19], s[26:27], 0x4
	s_load_dwordx4 s[20:23], s[26:27], 0x24
	s_load_dwordx8 s[4:11], s[24:25], 0x0
	s_add_u32 s26, s26, 48
	s_addc_u32 s27, s27, 0
	s_waitcnt lgkmcnt(0)
	v_mul_hi_u32 v1, s13, v0
	s_add_i32 s36, s36, 4
	s_add_u32 s24, s24, 32
	s_addc_u32 s25, s25, 0
	v_add_u32_e32 v1, v0, v1
	v_lshrrev_b32_e32 v1, s14, v1
	v_mul_lo_u32 v3, v1, s12
	v_mul_hi_u32 v4, s16, v1
	s_cmp_lg_u32 s30, s36
	v_sub_u32_e32 v0, v0, v3
	v_add_u32_e32 v3, v1, v4
	v_mul_lo_u32 v4, v0, s4
	v_mul_lo_u32 v5, v0, s5
	v_lshrrev_b32_e32 v0, s17, v3
	v_mul_lo_u32 v3, v0, s15
	v_mul_hi_u32 v7, s19, v0
	v_sub_u32_e32 v1, v1, v3
	v_add_u32_e32 v3, v0, v7
	v_lshrrev_b32_e32 v3, s20, v3
	v_mul_hi_u32 v8, s22, v3
	v_mul_lo_u32 v9, v3, s18
	v_mul_lo_u32 v7, v1, s6
	;; [unrolled: 1-line block ×3, first 2 shown]
	v_sub_u32_e32 v9, v0, v9
	v_add_u32_e32 v0, v3, v8
	v_lshrrev_b32_e32 v0, s23, v0
	v_mul_lo_u32 v8, v0, s21
	v_mul_lo_u32 v10, v9, s8
	v_mul_lo_u32 v9, v9, s9
	v_add3_u32 v4, v4, v38, v7
	v_sub_u32_e32 v3, v3, v8
	v_mul_lo_u32 v8, v3, s10
	v_mul_lo_u32 v3, v3, s11
	v_add3_u32 v1, v5, v36, v1
	v_add3_u32 v38, v10, v4, v8
	v_add3_u32 v36, v9, v1, v3
	s_cbranch_scc1 .LBB134_617
; %bb.618:
	s_and_b32 s8, s31, 3
	s_cmp_eq_u32 s8, 0
	s_cbranch_scc0 .LBB134_622
	s_branch .LBB134_624
.LBB134_619:
                                        ; implicit-def: $vgpr38
                                        ; implicit-def: $vgpr36
	s_branch .LBB134_625
.LBB134_620:
	v_mov_b32_e32 v38, 0
	v_mov_b32_e32 v36, 0
	s_branch .LBB134_624
.LBB134_621:
	v_mov_b32_e32 v38, 0
	v_mov_b32_e32 v36, 0
	;; [unrolled: 1-line block ×3, first 2 shown]
	s_and_b32 s8, s31, 3
	s_cmp_eq_u32 s8, 0
	s_cbranch_scc1 .LBB134_624
.LBB134_622:
	s_lshl_b32 s4, s30, 3
	s_add_u32 s4, s34, s4
	s_addc_u32 s5, s35, 0
	s_add_u32 s4, s4, 0xc4
	s_addc_u32 s5, s5, 0
	s_mul_i32 s6, s30, 12
	s_add_u32 s6, s34, s6
	s_addc_u32 s7, s35, 0
.LBB134_623:                            ; =>This Inner Loop Header: Depth=1
	s_load_dwordx2 s[10:11], s[6:7], 0x4
	s_load_dword s9, s[6:7], 0xc
	s_load_dwordx2 s[12:13], s[4:5], 0x0
	s_add_u32 s6, s6, 12
	s_addc_u32 s7, s7, 0
	s_waitcnt lgkmcnt(0)
	v_mul_hi_u32 v1, s11, v0
	s_add_u32 s4, s4, 8
	s_addc_u32 s5, s5, 0
	s_add_i32 s8, s8, -1
	v_add_u32_e32 v1, v0, v1
	v_lshrrev_b32_e32 v1, s9, v1
	v_mul_lo_u32 v3, v1, s10
	s_cmp_lg_u32 s8, 0
	v_sub_u32_e32 v0, v0, v3
	v_mad_u64_u32 v[38:39], s[10:11], v0, s12, v[38:39]
	v_mad_u64_u32 v[36:37], s[10:11], v0, s13, v[36:37]
	v_mov_b32_e32 v0, v1
	s_cbranch_scc1 .LBB134_623
.LBB134_624:
	s_cbranch_execnz .LBB134_627
.LBB134_625:
	s_load_dwordx4 s[4:7], s[34:35], 0x4
	s_load_dwordx2 s[8:9], s[34:35], 0xc4
	s_cmp_lt_u32 s33, 2
	s_waitcnt lgkmcnt(0)
	v_mul_hi_u32 v0, s5, v6
	v_add_u32_e32 v0, v6, v0
	v_lshrrev_b32_e32 v0, s6, v0
	v_mul_lo_u32 v1, v0, s4
	v_sub_u32_e32 v1, v6, v1
	v_mul_lo_u32 v38, v1, s8
	v_mul_lo_u32 v36, v1, s9
	s_cbranch_scc1 .LBB134_627
; %bb.626:
	s_load_dwordx4 s[4:7], s[34:35], 0x10
	s_load_dwordx2 s[8:9], s[34:35], 0xcc
	s_waitcnt lgkmcnt(0)
	v_mul_hi_u32 v1, s5, v0
	v_add_u32_e32 v1, v0, v1
	v_lshrrev_b32_e32 v1, s6, v1
	v_mul_lo_u32 v1, v1, s4
	v_sub_u32_e32 v0, v0, v1
	v_mad_u64_u32 v[38:39], s[4:5], v0, s8, v[38:39]
	v_mad_u64_u32 v[36:37], s[4:5], v0, s9, v[36:37]
.LBB134_627:
	s_load_dword s33, s[28:29], 0x160
	s_load_dwordx4 s[36:39], s[34:35], 0x148
	s_getpc_b64 s[28:29]
	s_add_u32 s28, s28, _ZN2at6native6invokeIZZZNS0_18lgamma_kernel_cudaERNS_18TensorIteratorBaseEENKUlvE_clEvENKUlvE_clEvEUldE_j15function_traitsIS6_EEENT1_11result_typeERKT_PrKPcPKT0_PKN3c1010ScalarTypeEi@rel32@lo+4
	s_addc_u32 s29, s29, _ZN2at6native6invokeIZZZNS0_18lgamma_kernel_cudaERNS_18TensorIteratorBaseEENKUlvE_clEvENKUlvE_clEvEUldE_j15function_traitsIS6_EEENT1_11result_typeERKT_PrKPcPKT0_PKN3c1010ScalarTypeEi@rel32@hi+12
	s_waitcnt lgkmcnt(0)
	s_lshr_b32 s34, s33, 16
	v_mov_b32_e32 v0, s38
	v_mov_b32_e32 v1, s39
	v_mov_b32_e32 v3, s34
	s_swappc_b64 s[30:31], s[28:29]
	v_mov_b32_e32 v34, v0
	v_mov_b32_e32 v35, v1
	v_mov_b32_e32 v0, s38
	v_mov_b32_e32 v1, s39
	v_mov_b32_e32 v2, v30
	v_mov_b32_e32 v3, s34
	s_swappc_b64 s[30:31], s[28:29]
	v_mov_b32_e32 v32, v0
	v_mov_b32_e32 v33, v1
	v_mov_b32_e32 v0, s38
	;; [unrolled: 7-line block ×3, first 2 shown]
	v_mov_b32_e32 v1, s39
	v_mov_b32_e32 v2, v36
	;; [unrolled: 1-line block ×3, first 2 shown]
	s_swappc_b64 s[30:31], s[28:29]
	v_mov_b32_e32 v3, s37
	s_bfe_u32 s14, s33, 0x80008
	v_add_co_u32_e32 v2, vcc, s36, v44
	s_cmp_lt_i32 s14, 11
	v_addc_co_u32_e32 v3, vcc, 0, v3, vcc
	s_cbranch_scc1 .LBB134_706
; %bb.628:
	s_and_b32 s15, 0xffff, s14
	s_mov_b64 s[6:7], -1
	s_mov_b64 s[8:9], 0
	s_cmp_gt_i32 s15, 25
	s_mov_b64 s[10:11], 0
	s_mov_b64 s[4:5], 0
	s_cbranch_scc0 .LBB134_661
; %bb.629:
	s_cmp_gt_i32 s15, 28
	s_cbranch_scc0 .LBB134_644
; %bb.630:
	s_cmp_gt_i32 s15, 43
	;; [unrolled: 3-line block ×3, first 2 shown]
	s_cbranch_scc0 .LBB134_634
; %bb.632:
	s_mov_b64 s[4:5], -1
	s_mov_b64 s[6:7], 0
	s_cmp_eq_u32 s15, 46
	s_cbranch_scc0 .LBB134_634
; %bb.633:
	v_cvt_f32_f64_e32 v4, v[34:35]
	s_movk_i32 s4, 0x7fff
	v_mov_b32_e32 v5, 0x7fc0
	s_mov_b64 s[10:11], -1
	v_bfe_u32 v6, v4, 16, 1
	v_cmp_o_f32_e32 vcc, v4, v4
	v_add3_u32 v4, v4, v6, s4
	v_cndmask_b32_sdwa v4, v5, v4, vcc dst_sel:DWORD dst_unused:UNUSED_PAD src0_sel:DWORD src1_sel:WORD_1
	global_store_dword v[2:3], v4, off
	s_mov_b64 s[4:5], 0
.LBB134_634:
	s_and_b64 vcc, exec, s[6:7]
	s_cbranch_vccz .LBB134_639
; %bb.635:
	s_cmp_eq_u32 s15, 44
	s_mov_b64 s[4:5], -1
	s_cbranch_scc0 .LBB134_639
; %bb.636:
	v_cvt_f32_f64_e32 v4, v[34:35]
	s_movk_i32 s4, 0xff
	v_mov_b32_e32 v6, 0xff
	v_bfe_u32 v5, v4, 23, 8
	v_cmp_ne_u32_e32 vcc, s4, v5
	s_and_saveexec_b64 s[6:7], vcc
; %bb.637:
	s_mov_b32 s4, 0x3fffff
	v_lshrrev_b32_e32 v6, 23, v4
	v_and_b32_e32 v7, 0x400000, v4
	v_and_or_b32 v4, v4, s4, v5
	v_cmp_ne_u32_e32 vcc, 0, v7
	v_cmp_ne_u32_e64 s[4:5], 0, v4
	s_and_b64 s[4:5], vcc, s[4:5]
	v_cndmask_b32_e64 v4, 0, 1, s[4:5]
	v_add_u32_e32 v6, v6, v4
; %bb.638:
	s_or_b64 exec, exec, s[6:7]
	s_mov_b64 s[4:5], 0
	s_mov_b64 s[10:11], -1
	global_store_byte v[2:3], v6, off
.LBB134_639:
	s_mov_b64 s[6:7], 0
.LBB134_640:
	s_and_b64 vcc, exec, s[6:7]
	s_cbranch_vccz .LBB134_643
; %bb.641:
	s_cmp_eq_u32 s15, 29
	s_mov_b64 s[4:5], -1
	s_cbranch_scc0 .LBB134_643
; %bb.642:
	v_trunc_f64_e32 v[4:5], v[34:35]
	s_movk_i32 s4, 0xffe0
	s_mov_b64 s[10:11], -1
	v_ldexp_f64 v[6:7], v[4:5], s4
	s_mov_b32 s4, 0
	s_mov_b32 s5, 0xc1f00000
	v_floor_f64_e32 v[6:7], v[6:7]
	v_fma_f64 v[4:5], v[6:7], s[4:5], v[4:5]
	v_cvt_u32_f64_e32 v6, v[6:7]
	s_mov_b64 s[4:5], 0
	v_cvt_u32_f64_e32 v5, v[4:5]
	global_store_dwordx2 v[2:3], v[5:6], off
.LBB134_643:
	s_mov_b64 s[6:7], 0
.LBB134_644:
	s_and_b64 vcc, exec, s[6:7]
	s_cbranch_vccz .LBB134_660
; %bb.645:
	s_cmp_lt_i32 s15, 27
	s_mov_b64 s[6:7], -1
	s_cbranch_scc1 .LBB134_651
; %bb.646:
	s_cmp_gt_i32 s15, 27
	s_cbranch_scc0 .LBB134_648
; %bb.647:
	v_cvt_u32_f64_e32 v4, v[34:35]
	s_mov_b64 s[6:7], 0
	global_store_dword v[2:3], v4, off
.LBB134_648:
	s_andn2_b64 vcc, exec, s[6:7]
	s_cbranch_vccnz .LBB134_650
; %bb.649:
	v_cvt_u32_f64_e32 v4, v[34:35]
	global_store_short v[2:3], v4, off
.LBB134_650:
	s_mov_b64 s[6:7], 0
.LBB134_651:
	s_andn2_b64 vcc, exec, s[6:7]
	s_cbranch_vccnz .LBB134_659
; %bb.652:
	v_cvt_f32_f64_e32 v4, v[34:35]
	s_mov_b32 s6, 0x43800000
	v_mov_b32_e32 v6, 0x80
	v_and_b32_e32 v5, 0x7fffffff, v4
	v_cmp_gt_u32_e32 vcc, s6, v5
	s_and_saveexec_b64 s[6:7], vcc
	s_cbranch_execz .LBB134_658
; %bb.653:
	s_mov_b32 s10, 0x3bffffff
	v_cmp_lt_u32_e32 vcc, s10, v5
	s_mov_b64 s[10:11], 0
                                        ; implicit-def: $vgpr5
	s_and_saveexec_b64 s[12:13], vcc
	s_xor_b64 s[12:13], exec, s[12:13]
	s_cbranch_execz .LBB134_1103
; %bb.654:
	v_bfe_u32 v5, v4, 20, 1
	s_mov_b32 s16, 0x487ffff
	v_add3_u32 v5, v4, v5, s16
	s_mov_b64 s[10:11], exec
	v_lshrrev_b32_e32 v5, 20, v5
	s_andn2_saveexec_b64 s[12:13], s[12:13]
	s_cbranch_execnz .LBB134_1104
.LBB134_655:
	s_or_b64 exec, exec, s[12:13]
	v_mov_b32_e32 v6, 0
	s_and_saveexec_b64 s[12:13], s[10:11]
.LBB134_656:
	v_lshrrev_b32_e32 v4, 24, v4
	s_movk_i32 s10, 0x80
	v_and_or_b32 v6, v4, s10, v5
.LBB134_657:
	s_or_b64 exec, exec, s[12:13]
.LBB134_658:
	s_or_b64 exec, exec, s[6:7]
	global_store_byte v[2:3], v6, off
.LBB134_659:
	s_mov_b64 s[10:11], -1
.LBB134_660:
	s_mov_b64 s[6:7], 0
.LBB134_661:
	s_and_b64 vcc, exec, s[6:7]
	s_cbranch_vccz .LBB134_701
; %bb.662:
	s_cmp_gt_i32 s15, 22
	s_mov_b64 s[6:7], -1
	s_cbranch_scc0 .LBB134_694
; %bb.663:
	s_cmp_lt_i32 s15, 24
	s_cbranch_scc1 .LBB134_683
; %bb.664:
	s_cmp_gt_i32 s15, 24
	s_cbranch_scc0 .LBB134_672
; %bb.665:
	v_cvt_f32_f64_e32 v4, v[34:35]
	s_mov_b32 s6, 0x47800000
	v_mov_b32_e32 v6, 0x80
	v_and_b32_e32 v5, 0x7fffffff, v4
	v_cmp_gt_u32_e32 vcc, s6, v5
	s_and_saveexec_b64 s[6:7], vcc
	s_cbranch_execz .LBB134_671
; %bb.666:
	s_mov_b32 s8, 0x37ffffff
	v_cmp_lt_u32_e32 vcc, s8, v5
	s_mov_b64 s[8:9], 0
                                        ; implicit-def: $vgpr5
	s_and_saveexec_b64 s[10:11], vcc
	s_xor_b64 s[10:11], exec, s[10:11]
	s_cbranch_execz .LBB134_1106
; %bb.667:
	v_bfe_u32 v5, v4, 21, 1
	s_mov_b32 s12, 0x88fffff
	v_add3_u32 v5, v4, v5, s12
	s_mov_b64 s[8:9], exec
	v_lshrrev_b32_e32 v5, 21, v5
	s_andn2_saveexec_b64 s[10:11], s[10:11]
	s_cbranch_execnz .LBB134_1107
.LBB134_668:
	s_or_b64 exec, exec, s[10:11]
	v_mov_b32_e32 v6, 0
	s_and_saveexec_b64 s[10:11], s[8:9]
.LBB134_669:
	v_lshrrev_b32_e32 v4, 24, v4
	s_movk_i32 s8, 0x80
	v_and_or_b32 v6, v4, s8, v5
.LBB134_670:
	s_or_b64 exec, exec, s[10:11]
.LBB134_671:
	s_or_b64 exec, exec, s[6:7]
	s_mov_b64 s[6:7], 0
	global_store_byte v[2:3], v6, off
.LBB134_672:
	s_and_b64 vcc, exec, s[6:7]
	s_cbranch_vccz .LBB134_682
; %bb.673:
	v_cvt_f32_f64_e32 v4, v[34:35]
	s_mov_b32 s6, 0x43f00000
                                        ; implicit-def: $vgpr5
	v_and_b32_e32 v6, 0x7fffffff, v4
	v_cmp_gt_u32_e32 vcc, s6, v6
	s_and_saveexec_b64 s[6:7], vcc
	s_xor_b64 s[6:7], exec, s[6:7]
	s_cbranch_execz .LBB134_679
; %bb.674:
	s_mov_b32 s8, 0x3c7fffff
	v_cmp_lt_u32_e32 vcc, s8, v6
                                        ; implicit-def: $vgpr5
	s_and_saveexec_b64 s[8:9], vcc
	s_xor_b64 s[8:9], exec, s[8:9]
; %bb.675:
	v_bfe_u32 v5, v4, 20, 1
	s_mov_b32 s10, 0x407ffff
	v_add3_u32 v5, v4, v5, s10
	v_lshrrev_b32_e32 v6, 20, v5
	v_and_b32_e32 v5, 0xff00000, v5
	s_mov_b32 s10, 0x7f00000
	v_mov_b32_e32 v7, 0x7e
	v_cmp_ne_u32_e32 vcc, s10, v5
	v_cndmask_b32_e32 v5, v7, v6, vcc
; %bb.676:
	s_andn2_saveexec_b64 s[8:9], s[8:9]
; %bb.677:
	s_mov_b32 s10, 0x46800000
	v_add_f32_e64 v5, |v4|, s10
; %bb.678:
	s_or_b64 exec, exec, s[8:9]
                                        ; implicit-def: $vgpr6
.LBB134_679:
	s_andn2_saveexec_b64 s[6:7], s[6:7]
; %bb.680:
	s_mov_b32 s8, 0x7f800000
	v_mov_b32_e32 v5, 0x7e
	v_mov_b32_e32 v7, 0x7f
	v_cmp_lt_u32_e32 vcc, s8, v6
	v_cndmask_b32_e32 v5, v5, v7, vcc
; %bb.681:
	s_or_b64 exec, exec, s[6:7]
	v_lshrrev_b32_e32 v4, 24, v4
	s_movk_i32 s6, 0x80
	v_and_or_b32 v4, v4, s6, v5
	global_store_byte v[2:3], v4, off
.LBB134_682:
	s_mov_b64 s[6:7], 0
.LBB134_683:
	s_andn2_b64 vcc, exec, s[6:7]
	s_cbranch_vccnz .LBB134_693
; %bb.684:
	v_cvt_f32_f64_e32 v4, v[34:35]
	s_mov_b32 s6, 0x47800000
                                        ; implicit-def: $vgpr5
	v_and_b32_e32 v6, 0x7fffffff, v4
	v_cmp_gt_u32_e32 vcc, s6, v6
	s_and_saveexec_b64 s[6:7], vcc
	s_xor_b64 s[6:7], exec, s[6:7]
	s_cbranch_execz .LBB134_690
; %bb.685:
	s_mov_b32 s8, 0x387fffff
	v_cmp_lt_u32_e32 vcc, s8, v6
                                        ; implicit-def: $vgpr5
	s_and_saveexec_b64 s[8:9], vcc
	s_xor_b64 s[8:9], exec, s[8:9]
; %bb.686:
	v_bfe_u32 v5, v4, 21, 1
	s_mov_b32 s10, 0x80fffff
	v_add3_u32 v5, v4, v5, s10
	v_lshrrev_b32_e32 v5, 21, v5
; %bb.687:
	s_andn2_saveexec_b64 s[8:9], s[8:9]
; %bb.688:
	s_mov_b32 s10, 0x43000000
	v_add_f32_e64 v5, |v4|, s10
; %bb.689:
	s_or_b64 exec, exec, s[8:9]
                                        ; implicit-def: $vgpr6
.LBB134_690:
	s_andn2_saveexec_b64 s[6:7], s[6:7]
; %bb.691:
	s_mov_b32 s8, 0x7f800000
	v_mov_b32_e32 v5, 0x7c
	v_mov_b32_e32 v7, 0x7f
	v_cmp_lt_u32_e32 vcc, s8, v6
	v_cndmask_b32_e32 v5, v5, v7, vcc
; %bb.692:
	s_or_b64 exec, exec, s[6:7]
	v_lshrrev_b32_e32 v4, 24, v4
	s_movk_i32 s6, 0x80
	v_and_or_b32 v4, v4, s6, v5
	global_store_byte v[2:3], v4, off
.LBB134_693:
	s_mov_b64 s[6:7], 0
	s_mov_b64 s[10:11], -1
.LBB134_694:
	s_andn2_b64 vcc, exec, s[6:7]
	s_mov_b64 s[8:9], 0
	s_cbranch_vccnz .LBB134_701
; %bb.695:
	s_cmp_gt_i32 s15, 14
	s_mov_b64 s[6:7], -1
	s_cbranch_scc0 .LBB134_699
; %bb.696:
	s_cmp_eq_u32 s15, 15
	s_mov_b64 s[4:5], -1
	s_cbranch_scc0 .LBB134_698
; %bb.697:
	v_cvt_f32_f64_e32 v4, v[34:35]
	s_movk_i32 s4, 0x7fff
	v_mov_b32_e32 v5, 0x7fc0
	s_mov_b64 s[10:11], -1
	v_bfe_u32 v6, v4, 16, 1
	v_cmp_o_f32_e32 vcc, v4, v4
	v_add3_u32 v4, v4, v6, s4
	v_cndmask_b32_sdwa v4, v5, v4, vcc dst_sel:DWORD dst_unused:UNUSED_PAD src0_sel:DWORD src1_sel:WORD_1
	global_store_short v[2:3], v4, off
	s_mov_b64 s[4:5], 0
.LBB134_698:
	s_mov_b64 s[6:7], 0
.LBB134_699:
	s_and_b64 vcc, exec, s[6:7]
	s_cbranch_vccz .LBB134_701
; %bb.700:
	s_cmp_lg_u32 s15, 11
	s_mov_b64 s[8:9], -1
	s_cselect_b64 s[4:5], -1, 0
.LBB134_701:
	s_and_b64 vcc, exec, s[4:5]
	s_mov_b64 s[6:7], s[40:41]
	s_cbranch_vccnz .LBB134_1105
; %bb.702:
	s_andn2_b64 vcc, exec, s[8:9]
	s_cbranch_vccnz .LBB134_704
.LBB134_703:
	v_cmp_neq_f64_e32 vcc, 0, v[34:35]
	s_mov_b64 s[10:11], -1
	v_cndmask_b32_e64 v4, 0, 1, vcc
	global_store_byte v[2:3], v4, off
.LBB134_704:
.LBB134_705:
	s_andn2_b64 vcc, exec, s[10:11]
	s_cbranch_vccz .LBB134_745
	s_branch .LBB134_1057
.LBB134_706:
	s_mov_b64 s[10:11], 0
	s_mov_b64 s[6:7], s[40:41]
	s_cbranch_execz .LBB134_705
; %bb.707:
	s_and_b32 s8, 0xffff, s14
	s_cmp_lt_i32 s8, 5
	s_mov_b64 s[4:5], -1
	s_cbranch_scc1 .LBB134_728
; %bb.708:
	s_cmp_lt_i32 s8, 8
	s_cbranch_scc1 .LBB134_718
; %bb.709:
	s_cmp_lt_i32 s8, 9
	s_cbranch_scc1 .LBB134_715
; %bb.710:
	s_cmp_gt_i32 s8, 9
	s_cbranch_scc0 .LBB134_712
; %bb.711:
	v_mov_b32_e32 v36, 0
	v_mov_b32_e32 v37, v36
	global_store_dwordx4 v[2:3], v[34:37], off
	s_mov_b64 s[4:5], 0
.LBB134_712:
	s_andn2_b64 vcc, exec, s[4:5]
	s_cbranch_vccnz .LBB134_714
; %bb.713:
	v_cvt_f32_f64_e32 v4, v[34:35]
	v_mov_b32_e32 v5, 0
	global_store_dwordx2 v[2:3], v[4:5], off
.LBB134_714:
	s_mov_b64 s[4:5], 0
.LBB134_715:
	s_andn2_b64 vcc, exec, s[4:5]
	s_cbranch_vccnz .LBB134_717
; %bb.716:
	s_movk_i32 s4, 0x1ff
	v_and_or_b32 v4, v35, s4, v34
	v_cmp_ne_u32_e32 vcc, 0, v4
	v_cndmask_b32_e64 v4, 0, 1, vcc
	v_lshrrev_b32_e32 v5, 8, v35
	s_movk_i32 s4, 0xffe
	v_bfe_u32 v6, v35, 20, 11
	v_and_or_b32 v4, v5, s4, v4
	v_sub_u32_e32 v7, 0x3f1, v6
	v_or_b32_e32 v5, 0x1000, v4
	v_med3_i32 v7, v7, 0, 13
	v_lshrrev_b32_e32 v8, v7, v5
	v_lshlrev_b32_e32 v7, v7, v8
	v_cmp_ne_u32_e32 vcc, v7, v5
	v_cndmask_b32_e64 v5, 0, 1, vcc
	v_add_u32_e32 v6, 0xfffffc10, v6
	v_or_b32_e32 v5, v8, v5
	v_lshl_or_b32 v7, v6, 12, v4
	v_cmp_gt_i32_e32 vcc, 1, v6
	v_cndmask_b32_e32 v5, v7, v5, vcc
	v_and_b32_e32 v7, 7, v5
	v_cmp_lt_i32_e32 vcc, 5, v7
	v_cndmask_b32_e64 v8, 0, 1, vcc
	v_cmp_eq_u32_e32 vcc, 3, v7
	v_cndmask_b32_e64 v7, 0, 1, vcc
	v_or_b32_e32 v7, v7, v8
	v_lshrrev_b32_e32 v5, 2, v5
	v_add_u32_e32 v5, v5, v7
	v_mov_b32_e32 v7, 0x7c00
	v_cmp_gt_i32_e32 vcc, 31, v6
	v_cndmask_b32_e32 v5, v7, v5, vcc
	v_mov_b32_e32 v8, 0x7e00
	v_cmp_ne_u32_e32 vcc, 0, v4
	s_movk_i32 s4, 0x40f
	v_cndmask_b32_e32 v4, v7, v8, vcc
	v_cmp_eq_u32_e32 vcc, s4, v6
	v_cndmask_b32_e32 v4, v5, v4, vcc
	v_lshrrev_b32_e32 v5, 16, v35
	s_mov_b32 s4, 0x8000
	v_and_or_b32 v4, v5, s4, v4
	v_and_b32_e32 v4, 0xffff, v4
	global_store_dword v[2:3], v4, off
.LBB134_717:
	s_mov_b64 s[4:5], 0
.LBB134_718:
	s_andn2_b64 vcc, exec, s[4:5]
	s_cbranch_vccnz .LBB134_727
; %bb.719:
	s_cmp_lt_i32 s8, 6
	s_mov_b64 s[4:5], -1
	s_cbranch_scc1 .LBB134_725
; %bb.720:
	s_cmp_gt_i32 s8, 6
	s_cbranch_scc0 .LBB134_722
; %bb.721:
	global_store_dwordx2 v[2:3], v[34:35], off
	s_mov_b64 s[4:5], 0
.LBB134_722:
	s_andn2_b64 vcc, exec, s[4:5]
	s_cbranch_vccnz .LBB134_724
; %bb.723:
	v_cvt_f32_f64_e32 v4, v[34:35]
	global_store_dword v[2:3], v4, off
.LBB134_724:
	s_mov_b64 s[4:5], 0
.LBB134_725:
	s_andn2_b64 vcc, exec, s[4:5]
	s_cbranch_vccnz .LBB134_727
; %bb.726:
	s_movk_i32 s4, 0x1ff
	v_and_or_b32 v4, v35, s4, v34
	v_cmp_ne_u32_e32 vcc, 0, v4
	v_cndmask_b32_e64 v4, 0, 1, vcc
	v_lshrrev_b32_e32 v5, 8, v35
	s_movk_i32 s4, 0xffe
	v_bfe_u32 v6, v35, 20, 11
	v_and_or_b32 v4, v5, s4, v4
	v_sub_u32_e32 v7, 0x3f1, v6
	v_or_b32_e32 v5, 0x1000, v4
	v_med3_i32 v7, v7, 0, 13
	v_lshrrev_b32_e32 v8, v7, v5
	v_lshlrev_b32_e32 v7, v7, v8
	v_cmp_ne_u32_e32 vcc, v7, v5
	v_cndmask_b32_e64 v5, 0, 1, vcc
	v_add_u32_e32 v6, 0xfffffc10, v6
	v_or_b32_e32 v5, v8, v5
	v_lshl_or_b32 v7, v6, 12, v4
	v_cmp_gt_i32_e32 vcc, 1, v6
	v_cndmask_b32_e32 v5, v7, v5, vcc
	v_and_b32_e32 v7, 7, v5
	v_cmp_lt_i32_e32 vcc, 5, v7
	v_cndmask_b32_e64 v8, 0, 1, vcc
	v_cmp_eq_u32_e32 vcc, 3, v7
	v_cndmask_b32_e64 v7, 0, 1, vcc
	v_or_b32_e32 v7, v7, v8
	v_lshrrev_b32_e32 v5, 2, v5
	v_add_u32_e32 v5, v5, v7
	v_mov_b32_e32 v7, 0x7c00
	v_cmp_gt_i32_e32 vcc, 31, v6
	v_cndmask_b32_e32 v5, v7, v5, vcc
	v_mov_b32_e32 v8, 0x7e00
	v_cmp_ne_u32_e32 vcc, 0, v4
	s_movk_i32 s4, 0x40f
	v_cndmask_b32_e32 v4, v7, v8, vcc
	v_cmp_eq_u32_e32 vcc, s4, v6
	v_cndmask_b32_e32 v4, v5, v4, vcc
	v_lshrrev_b32_e32 v5, 16, v35
	s_mov_b32 s4, 0x8000
	v_and_or_b32 v4, v5, s4, v4
	global_store_short v[2:3], v4, off
.LBB134_727:
	s_mov_b64 s[4:5], 0
.LBB134_728:
	s_andn2_b64 vcc, exec, s[4:5]
	s_cbranch_vccnz .LBB134_744
; %bb.729:
	s_cmp_lt_i32 s8, 2
	s_mov_b64 s[4:5], -1
	s_cbranch_scc1 .LBB134_739
; %bb.730:
	s_cmp_lt_i32 s8, 3
	s_cbranch_scc1 .LBB134_736
; %bb.731:
	s_cmp_gt_i32 s8, 3
	s_cbranch_scc0 .LBB134_733
; %bb.732:
	v_trunc_f64_e32 v[4:5], v[34:35]
	s_movk_i32 s4, 0xffe0
	v_ldexp_f64 v[6:7], v[4:5], s4
	s_mov_b32 s4, 0
	s_mov_b32 s5, 0xc1f00000
	v_floor_f64_e32 v[6:7], v[6:7]
	v_fma_f64 v[4:5], v[6:7], s[4:5], v[4:5]
	v_cvt_i32_f64_e32 v6, v[6:7]
	s_mov_b64 s[4:5], 0
	v_cvt_u32_f64_e32 v5, v[4:5]
	global_store_dwordx2 v[2:3], v[5:6], off
.LBB134_733:
	s_andn2_b64 vcc, exec, s[4:5]
	s_cbranch_vccnz .LBB134_735
; %bb.734:
	v_cvt_i32_f64_e32 v4, v[34:35]
	global_store_dword v[2:3], v4, off
.LBB134_735:
	s_mov_b64 s[4:5], 0
.LBB134_736:
	s_andn2_b64 vcc, exec, s[4:5]
	s_cbranch_vccnz .LBB134_738
; %bb.737:
	v_cvt_i32_f64_e32 v4, v[34:35]
	global_store_short v[2:3], v4, off
.LBB134_738:
	s_mov_b64 s[4:5], 0
.LBB134_739:
	s_andn2_b64 vcc, exec, s[4:5]
	s_cbranch_vccnz .LBB134_744
; %bb.740:
	s_cmp_gt_i32 s8, 0
	s_mov_b64 s[4:5], -1
	s_cbranch_scc0 .LBB134_742
; %bb.741:
	v_cvt_i32_f64_e32 v4, v[34:35]
	s_mov_b64 s[4:5], 0
	global_store_byte v[2:3], v4, off
.LBB134_742:
	s_andn2_b64 vcc, exec, s[4:5]
	s_cbranch_vccnz .LBB134_744
; %bb.743:
	v_trunc_f64_e32 v[4:5], v[34:35]
	s_movk_i32 s4, 0xffe0
	v_ldexp_f64 v[6:7], v[4:5], s4
	s_mov_b32 s4, 0
	s_mov_b32 s5, 0xc1f00000
	v_floor_f64_e32 v[6:7], v[6:7]
	v_fma_f64 v[4:5], v[6:7], s[4:5], v[4:5]
	v_cvt_u32_f64_e32 v4, v[4:5]
	global_store_byte v[2:3], v4, off
.LBB134_744:
.LBB134_745:
	s_lshr_b32 s4, s33, 8
	v_mov_b32_e32 v3, s37
	s_and_b32 s16, s4, 0xff
	v_add_co_u32_e32 v2, vcc, s36, v42
	s_cmp_lt_i32 s16, 11
	v_addc_co_u32_e32 v3, vcc, 0, v3, vcc
	s_cbranch_scc1 .LBB134_824
; %bb.746:
	s_and_b32 s17, 0xffff, s16
	s_mov_b64 s[12:13], -1
	s_mov_b64 s[8:9], 0
	s_cmp_gt_i32 s17, 25
	s_mov_b64 s[10:11], 0
	s_mov_b64 s[4:5], 0
	s_cbranch_scc0 .LBB134_779
; %bb.747:
	s_cmp_gt_i32 s17, 28
	s_cbranch_scc0 .LBB134_762
; %bb.748:
	s_cmp_gt_i32 s17, 43
	;; [unrolled: 3-line block ×3, first 2 shown]
	s_cbranch_scc0 .LBB134_752
; %bb.750:
	s_mov_b64 s[4:5], -1
	s_mov_b64 s[12:13], 0
	s_cmp_eq_u32 s17, 46
	s_cbranch_scc0 .LBB134_752
; %bb.751:
	v_cvt_f32_f64_e32 v4, v[32:33]
	s_movk_i32 s4, 0x7fff
	v_mov_b32_e32 v5, 0x7fc0
	s_mov_b64 s[10:11], -1
	v_bfe_u32 v6, v4, 16, 1
	v_cmp_o_f32_e32 vcc, v4, v4
	v_add3_u32 v4, v4, v6, s4
	v_cndmask_b32_sdwa v4, v5, v4, vcc dst_sel:DWORD dst_unused:UNUSED_PAD src0_sel:DWORD src1_sel:WORD_1
	global_store_dword v[2:3], v4, off
	s_mov_b64 s[4:5], 0
.LBB134_752:
	s_and_b64 vcc, exec, s[12:13]
	s_cbranch_vccz .LBB134_757
; %bb.753:
	s_cmp_eq_u32 s17, 44
	s_mov_b64 s[4:5], -1
	s_cbranch_scc0 .LBB134_757
; %bb.754:
	v_cvt_f32_f64_e32 v4, v[32:33]
	s_movk_i32 s4, 0xff
	v_mov_b32_e32 v6, 0xff
	v_bfe_u32 v5, v4, 23, 8
	v_cmp_ne_u32_e32 vcc, s4, v5
	s_and_saveexec_b64 s[10:11], vcc
; %bb.755:
	s_mov_b32 s4, 0x3fffff
	v_lshrrev_b32_e32 v6, 23, v4
	v_and_b32_e32 v7, 0x400000, v4
	v_and_or_b32 v4, v4, s4, v5
	v_cmp_ne_u32_e32 vcc, 0, v7
	v_cmp_ne_u32_e64 s[4:5], 0, v4
	s_and_b64 s[4:5], vcc, s[4:5]
	v_cndmask_b32_e64 v4, 0, 1, s[4:5]
	v_add_u32_e32 v6, v6, v4
; %bb.756:
	s_or_b64 exec, exec, s[10:11]
	s_mov_b64 s[4:5], 0
	s_mov_b64 s[10:11], -1
	global_store_byte v[2:3], v6, off
.LBB134_757:
	s_mov_b64 s[12:13], 0
.LBB134_758:
	s_and_b64 vcc, exec, s[12:13]
	s_cbranch_vccz .LBB134_761
; %bb.759:
	s_cmp_eq_u32 s17, 29
	s_mov_b64 s[4:5], -1
	s_cbranch_scc0 .LBB134_761
; %bb.760:
	v_trunc_f64_e32 v[4:5], v[32:33]
	s_movk_i32 s4, 0xffe0
	s_mov_b64 s[10:11], -1
	v_ldexp_f64 v[6:7], v[4:5], s4
	s_mov_b32 s4, 0
	s_mov_b32 s5, 0xc1f00000
	v_floor_f64_e32 v[6:7], v[6:7]
	v_fma_f64 v[4:5], v[6:7], s[4:5], v[4:5]
	v_cvt_u32_f64_e32 v6, v[6:7]
	s_mov_b64 s[4:5], 0
	v_cvt_u32_f64_e32 v5, v[4:5]
	global_store_dwordx2 v[2:3], v[5:6], off
.LBB134_761:
	s_mov_b64 s[12:13], 0
.LBB134_762:
	s_and_b64 vcc, exec, s[12:13]
	s_cbranch_vccz .LBB134_778
; %bb.763:
	s_cmp_lt_i32 s17, 27
	s_mov_b64 s[10:11], -1
	s_cbranch_scc1 .LBB134_769
; %bb.764:
	s_cmp_gt_i32 s17, 27
	s_cbranch_scc0 .LBB134_766
; %bb.765:
	v_cvt_u32_f64_e32 v4, v[32:33]
	s_mov_b64 s[10:11], 0
	global_store_dword v[2:3], v4, off
.LBB134_766:
	s_andn2_b64 vcc, exec, s[10:11]
	s_cbranch_vccnz .LBB134_768
; %bb.767:
	v_cvt_u32_f64_e32 v4, v[32:33]
	global_store_short v[2:3], v4, off
.LBB134_768:
	s_mov_b64 s[10:11], 0
.LBB134_769:
	s_andn2_b64 vcc, exec, s[10:11]
	s_cbranch_vccnz .LBB134_777
; %bb.770:
	v_cvt_f32_f64_e32 v4, v[32:33]
	s_mov_b32 s10, 0x43800000
	v_mov_b32_e32 v6, 0x80
	v_and_b32_e32 v5, 0x7fffffff, v4
	v_cmp_gt_u32_e32 vcc, s10, v5
	s_and_saveexec_b64 s[10:11], vcc
	s_cbranch_execz .LBB134_776
; %bb.771:
	s_mov_b32 s12, 0x3bffffff
	v_cmp_lt_u32_e32 vcc, s12, v5
	s_mov_b64 s[12:13], 0
                                        ; implicit-def: $vgpr5
	s_and_saveexec_b64 s[14:15], vcc
	s_xor_b64 s[14:15], exec, s[14:15]
	s_cbranch_execz .LBB134_1108
; %bb.772:
	v_bfe_u32 v5, v4, 20, 1
	s_mov_b32 s18, 0x487ffff
	v_add3_u32 v5, v4, v5, s18
	s_mov_b64 s[12:13], exec
	v_lshrrev_b32_e32 v5, 20, v5
	s_andn2_saveexec_b64 s[14:15], s[14:15]
	s_cbranch_execnz .LBB134_1109
.LBB134_773:
	s_or_b64 exec, exec, s[14:15]
	v_mov_b32_e32 v6, 0
	s_and_saveexec_b64 s[14:15], s[12:13]
.LBB134_774:
	v_lshrrev_b32_e32 v4, 24, v4
	s_movk_i32 s12, 0x80
	v_and_or_b32 v6, v4, s12, v5
.LBB134_775:
	s_or_b64 exec, exec, s[14:15]
.LBB134_776:
	s_or_b64 exec, exec, s[10:11]
	global_store_byte v[2:3], v6, off
.LBB134_777:
	s_mov_b64 s[10:11], -1
.LBB134_778:
	s_mov_b64 s[12:13], 0
.LBB134_779:
	s_and_b64 vcc, exec, s[12:13]
	s_cbranch_vccz .LBB134_819
; %bb.780:
	s_cmp_gt_i32 s17, 22
	s_mov_b64 s[8:9], -1
	s_cbranch_scc0 .LBB134_812
; %bb.781:
	s_cmp_lt_i32 s17, 24
	s_cbranch_scc1 .LBB134_801
; %bb.782:
	s_cmp_gt_i32 s17, 24
	s_cbranch_scc0 .LBB134_790
; %bb.783:
	v_cvt_f32_f64_e32 v4, v[32:33]
	s_mov_b32 s8, 0x47800000
	v_mov_b32_e32 v6, 0x80
	v_and_b32_e32 v5, 0x7fffffff, v4
	v_cmp_gt_u32_e32 vcc, s8, v5
	s_and_saveexec_b64 s[8:9], vcc
	s_cbranch_execz .LBB134_789
; %bb.784:
	s_mov_b32 s10, 0x37ffffff
	v_cmp_lt_u32_e32 vcc, s10, v5
	s_mov_b64 s[10:11], 0
                                        ; implicit-def: $vgpr5
	s_and_saveexec_b64 s[12:13], vcc
	s_xor_b64 s[12:13], exec, s[12:13]
	s_cbranch_execz .LBB134_1111
; %bb.785:
	v_bfe_u32 v5, v4, 21, 1
	s_mov_b32 s14, 0x88fffff
	v_add3_u32 v5, v4, v5, s14
	s_mov_b64 s[10:11], exec
	v_lshrrev_b32_e32 v5, 21, v5
	s_andn2_saveexec_b64 s[12:13], s[12:13]
	s_cbranch_execnz .LBB134_1112
.LBB134_786:
	s_or_b64 exec, exec, s[12:13]
	v_mov_b32_e32 v6, 0
	s_and_saveexec_b64 s[12:13], s[10:11]
.LBB134_787:
	v_lshrrev_b32_e32 v4, 24, v4
	s_movk_i32 s10, 0x80
	v_and_or_b32 v6, v4, s10, v5
.LBB134_788:
	s_or_b64 exec, exec, s[12:13]
.LBB134_789:
	s_or_b64 exec, exec, s[8:9]
	s_mov_b64 s[8:9], 0
	global_store_byte v[2:3], v6, off
.LBB134_790:
	s_and_b64 vcc, exec, s[8:9]
	s_cbranch_vccz .LBB134_800
; %bb.791:
	v_cvt_f32_f64_e32 v4, v[32:33]
	s_mov_b32 s8, 0x43f00000
                                        ; implicit-def: $vgpr5
	v_and_b32_e32 v6, 0x7fffffff, v4
	v_cmp_gt_u32_e32 vcc, s8, v6
	s_and_saveexec_b64 s[8:9], vcc
	s_xor_b64 s[8:9], exec, s[8:9]
	s_cbranch_execz .LBB134_797
; %bb.792:
	s_mov_b32 s10, 0x3c7fffff
	v_cmp_lt_u32_e32 vcc, s10, v6
                                        ; implicit-def: $vgpr5
	s_and_saveexec_b64 s[10:11], vcc
	s_xor_b64 s[10:11], exec, s[10:11]
; %bb.793:
	v_bfe_u32 v5, v4, 20, 1
	s_mov_b32 s12, 0x407ffff
	v_add3_u32 v5, v4, v5, s12
	v_lshrrev_b32_e32 v6, 20, v5
	v_and_b32_e32 v5, 0xff00000, v5
	s_mov_b32 s12, 0x7f00000
	v_mov_b32_e32 v7, 0x7e
	v_cmp_ne_u32_e32 vcc, s12, v5
	v_cndmask_b32_e32 v5, v7, v6, vcc
; %bb.794:
	s_andn2_saveexec_b64 s[10:11], s[10:11]
; %bb.795:
	s_mov_b32 s12, 0x46800000
	v_add_f32_e64 v5, |v4|, s12
; %bb.796:
	s_or_b64 exec, exec, s[10:11]
                                        ; implicit-def: $vgpr6
.LBB134_797:
	s_andn2_saveexec_b64 s[8:9], s[8:9]
; %bb.798:
	s_mov_b32 s10, 0x7f800000
	v_mov_b32_e32 v5, 0x7e
	v_mov_b32_e32 v7, 0x7f
	v_cmp_lt_u32_e32 vcc, s10, v6
	v_cndmask_b32_e32 v5, v5, v7, vcc
; %bb.799:
	s_or_b64 exec, exec, s[8:9]
	v_lshrrev_b32_e32 v4, 24, v4
	s_movk_i32 s8, 0x80
	v_and_or_b32 v4, v4, s8, v5
	global_store_byte v[2:3], v4, off
.LBB134_800:
	s_mov_b64 s[8:9], 0
.LBB134_801:
	s_andn2_b64 vcc, exec, s[8:9]
	s_cbranch_vccnz .LBB134_811
; %bb.802:
	v_cvt_f32_f64_e32 v4, v[32:33]
	s_mov_b32 s8, 0x47800000
                                        ; implicit-def: $vgpr5
	v_and_b32_e32 v6, 0x7fffffff, v4
	v_cmp_gt_u32_e32 vcc, s8, v6
	s_and_saveexec_b64 s[8:9], vcc
	s_xor_b64 s[8:9], exec, s[8:9]
	s_cbranch_execz .LBB134_808
; %bb.803:
	s_mov_b32 s10, 0x387fffff
	v_cmp_lt_u32_e32 vcc, s10, v6
                                        ; implicit-def: $vgpr5
	s_and_saveexec_b64 s[10:11], vcc
	s_xor_b64 s[10:11], exec, s[10:11]
; %bb.804:
	v_bfe_u32 v5, v4, 21, 1
	s_mov_b32 s12, 0x80fffff
	v_add3_u32 v5, v4, v5, s12
	v_lshrrev_b32_e32 v5, 21, v5
; %bb.805:
	s_andn2_saveexec_b64 s[10:11], s[10:11]
; %bb.806:
	s_mov_b32 s12, 0x43000000
	v_add_f32_e64 v5, |v4|, s12
; %bb.807:
	s_or_b64 exec, exec, s[10:11]
                                        ; implicit-def: $vgpr6
.LBB134_808:
	s_andn2_saveexec_b64 s[8:9], s[8:9]
; %bb.809:
	s_mov_b32 s10, 0x7f800000
	v_mov_b32_e32 v5, 0x7c
	v_mov_b32_e32 v7, 0x7f
	v_cmp_lt_u32_e32 vcc, s10, v6
	v_cndmask_b32_e32 v5, v5, v7, vcc
; %bb.810:
	s_or_b64 exec, exec, s[8:9]
	v_lshrrev_b32_e32 v4, 24, v4
	s_movk_i32 s8, 0x80
	v_and_or_b32 v4, v4, s8, v5
	global_store_byte v[2:3], v4, off
.LBB134_811:
	s_mov_b64 s[8:9], 0
	s_mov_b64 s[10:11], -1
.LBB134_812:
	s_andn2_b64 vcc, exec, s[8:9]
	s_mov_b64 s[8:9], 0
	s_cbranch_vccnz .LBB134_819
; %bb.813:
	s_cmp_gt_i32 s17, 14
	s_mov_b64 s[12:13], -1
	s_cbranch_scc0 .LBB134_817
; %bb.814:
	s_cmp_eq_u32 s17, 15
	s_mov_b64 s[4:5], -1
	s_cbranch_scc0 .LBB134_816
; %bb.815:
	v_cvt_f32_f64_e32 v4, v[32:33]
	s_movk_i32 s4, 0x7fff
	v_mov_b32_e32 v5, 0x7fc0
	s_mov_b64 s[10:11], -1
	v_bfe_u32 v6, v4, 16, 1
	v_cmp_o_f32_e32 vcc, v4, v4
	v_add3_u32 v4, v4, v6, s4
	v_cndmask_b32_sdwa v4, v5, v4, vcc dst_sel:DWORD dst_unused:UNUSED_PAD src0_sel:DWORD src1_sel:WORD_1
	global_store_short v[2:3], v4, off
	s_mov_b64 s[4:5], 0
.LBB134_816:
	s_mov_b64 s[12:13], 0
.LBB134_817:
	s_and_b64 vcc, exec, s[12:13]
	s_cbranch_vccz .LBB134_819
; %bb.818:
	s_cmp_lg_u32 s17, 11
	s_mov_b64 s[8:9], -1
	s_cselect_b64 s[4:5], -1, 0
.LBB134_819:
	s_and_b64 vcc, exec, s[4:5]
	s_cbranch_vccnz .LBB134_1110
; %bb.820:
	s_andn2_b64 vcc, exec, s[8:9]
	s_cbranch_vccnz .LBB134_822
.LBB134_821:
	v_cmp_neq_f64_e32 vcc, 0, v[32:33]
	s_mov_b64 s[10:11], -1
	v_cndmask_b32_e64 v4, 0, 1, vcc
	global_store_byte v[2:3], v4, off
.LBB134_822:
.LBB134_823:
	s_andn2_b64 vcc, exec, s[10:11]
	s_cbranch_vccz .LBB134_863
	s_branch .LBB134_1057
.LBB134_824:
	s_mov_b64 s[10:11], 0
	s_cbranch_execz .LBB134_823
; %bb.825:
	s_and_b32 s8, 0xffff, s16
	s_cmp_lt_i32 s8, 5
	s_mov_b64 s[4:5], -1
	s_cbranch_scc1 .LBB134_846
; %bb.826:
	s_cmp_lt_i32 s8, 8
	s_cbranch_scc1 .LBB134_836
; %bb.827:
	s_cmp_lt_i32 s8, 9
	s_cbranch_scc1 .LBB134_833
; %bb.828:
	s_cmp_gt_i32 s8, 9
	s_cbranch_scc0 .LBB134_830
; %bb.829:
	v_mov_b32_e32 v34, 0
	v_mov_b32_e32 v35, v34
	global_store_dwordx4 v[2:3], v[32:35], off
	s_mov_b64 s[4:5], 0
.LBB134_830:
	s_andn2_b64 vcc, exec, s[4:5]
	s_cbranch_vccnz .LBB134_832
; %bb.831:
	v_cvt_f32_f64_e32 v4, v[32:33]
	v_mov_b32_e32 v5, 0
	global_store_dwordx2 v[2:3], v[4:5], off
.LBB134_832:
	s_mov_b64 s[4:5], 0
.LBB134_833:
	s_andn2_b64 vcc, exec, s[4:5]
	s_cbranch_vccnz .LBB134_835
; %bb.834:
	s_movk_i32 s4, 0x1ff
	v_and_or_b32 v4, v33, s4, v32
	v_cmp_ne_u32_e32 vcc, 0, v4
	v_cndmask_b32_e64 v4, 0, 1, vcc
	v_lshrrev_b32_e32 v5, 8, v33
	s_movk_i32 s4, 0xffe
	v_bfe_u32 v6, v33, 20, 11
	v_and_or_b32 v4, v5, s4, v4
	v_sub_u32_e32 v7, 0x3f1, v6
	v_or_b32_e32 v5, 0x1000, v4
	v_med3_i32 v7, v7, 0, 13
	v_lshrrev_b32_e32 v8, v7, v5
	v_lshlrev_b32_e32 v7, v7, v8
	v_cmp_ne_u32_e32 vcc, v7, v5
	v_cndmask_b32_e64 v5, 0, 1, vcc
	v_add_u32_e32 v6, 0xfffffc10, v6
	v_or_b32_e32 v5, v8, v5
	v_lshl_or_b32 v7, v6, 12, v4
	v_cmp_gt_i32_e32 vcc, 1, v6
	v_cndmask_b32_e32 v5, v7, v5, vcc
	v_and_b32_e32 v7, 7, v5
	v_cmp_lt_i32_e32 vcc, 5, v7
	v_cndmask_b32_e64 v8, 0, 1, vcc
	v_cmp_eq_u32_e32 vcc, 3, v7
	v_cndmask_b32_e64 v7, 0, 1, vcc
	v_or_b32_e32 v7, v7, v8
	v_lshrrev_b32_e32 v5, 2, v5
	v_add_u32_e32 v5, v5, v7
	v_mov_b32_e32 v7, 0x7c00
	v_cmp_gt_i32_e32 vcc, 31, v6
	v_cndmask_b32_e32 v5, v7, v5, vcc
	v_mov_b32_e32 v8, 0x7e00
	v_cmp_ne_u32_e32 vcc, 0, v4
	s_movk_i32 s4, 0x40f
	v_cndmask_b32_e32 v4, v7, v8, vcc
	v_cmp_eq_u32_e32 vcc, s4, v6
	v_cndmask_b32_e32 v4, v5, v4, vcc
	v_lshrrev_b32_e32 v5, 16, v33
	s_mov_b32 s4, 0x8000
	v_and_or_b32 v4, v5, s4, v4
	v_and_b32_e32 v4, 0xffff, v4
	global_store_dword v[2:3], v4, off
.LBB134_835:
	s_mov_b64 s[4:5], 0
.LBB134_836:
	s_andn2_b64 vcc, exec, s[4:5]
	s_cbranch_vccnz .LBB134_845
; %bb.837:
	s_cmp_lt_i32 s8, 6
	s_mov_b64 s[4:5], -1
	s_cbranch_scc1 .LBB134_843
; %bb.838:
	s_cmp_gt_i32 s8, 6
	s_cbranch_scc0 .LBB134_840
; %bb.839:
	global_store_dwordx2 v[2:3], v[32:33], off
	s_mov_b64 s[4:5], 0
.LBB134_840:
	s_andn2_b64 vcc, exec, s[4:5]
	s_cbranch_vccnz .LBB134_842
; %bb.841:
	v_cvt_f32_f64_e32 v4, v[32:33]
	global_store_dword v[2:3], v4, off
.LBB134_842:
	s_mov_b64 s[4:5], 0
.LBB134_843:
	s_andn2_b64 vcc, exec, s[4:5]
	s_cbranch_vccnz .LBB134_845
; %bb.844:
	s_movk_i32 s4, 0x1ff
	v_and_or_b32 v4, v33, s4, v32
	v_cmp_ne_u32_e32 vcc, 0, v4
	v_cndmask_b32_e64 v4, 0, 1, vcc
	v_lshrrev_b32_e32 v5, 8, v33
	s_movk_i32 s4, 0xffe
	v_bfe_u32 v6, v33, 20, 11
	v_and_or_b32 v4, v5, s4, v4
	v_sub_u32_e32 v7, 0x3f1, v6
	v_or_b32_e32 v5, 0x1000, v4
	v_med3_i32 v7, v7, 0, 13
	v_lshrrev_b32_e32 v8, v7, v5
	v_lshlrev_b32_e32 v7, v7, v8
	v_cmp_ne_u32_e32 vcc, v7, v5
	v_cndmask_b32_e64 v5, 0, 1, vcc
	v_add_u32_e32 v6, 0xfffffc10, v6
	v_or_b32_e32 v5, v8, v5
	v_lshl_or_b32 v7, v6, 12, v4
	v_cmp_gt_i32_e32 vcc, 1, v6
	v_cndmask_b32_e32 v5, v7, v5, vcc
	v_and_b32_e32 v7, 7, v5
	v_cmp_lt_i32_e32 vcc, 5, v7
	v_cndmask_b32_e64 v8, 0, 1, vcc
	v_cmp_eq_u32_e32 vcc, 3, v7
	v_cndmask_b32_e64 v7, 0, 1, vcc
	v_or_b32_e32 v7, v7, v8
	v_lshrrev_b32_e32 v5, 2, v5
	v_add_u32_e32 v5, v5, v7
	v_mov_b32_e32 v7, 0x7c00
	v_cmp_gt_i32_e32 vcc, 31, v6
	v_cndmask_b32_e32 v5, v7, v5, vcc
	v_mov_b32_e32 v8, 0x7e00
	v_cmp_ne_u32_e32 vcc, 0, v4
	s_movk_i32 s4, 0x40f
	v_cndmask_b32_e32 v4, v7, v8, vcc
	v_cmp_eq_u32_e32 vcc, s4, v6
	v_cndmask_b32_e32 v4, v5, v4, vcc
	v_lshrrev_b32_e32 v5, 16, v33
	s_mov_b32 s4, 0x8000
	v_and_or_b32 v4, v5, s4, v4
	global_store_short v[2:3], v4, off
.LBB134_845:
	s_mov_b64 s[4:5], 0
.LBB134_846:
	s_andn2_b64 vcc, exec, s[4:5]
	s_cbranch_vccnz .LBB134_862
; %bb.847:
	s_cmp_lt_i32 s8, 2
	s_mov_b64 s[4:5], -1
	s_cbranch_scc1 .LBB134_857
; %bb.848:
	s_cmp_lt_i32 s8, 3
	s_cbranch_scc1 .LBB134_854
; %bb.849:
	s_cmp_gt_i32 s8, 3
	s_cbranch_scc0 .LBB134_851
; %bb.850:
	v_trunc_f64_e32 v[4:5], v[32:33]
	s_movk_i32 s4, 0xffe0
	v_ldexp_f64 v[6:7], v[4:5], s4
	s_mov_b32 s4, 0
	s_mov_b32 s5, 0xc1f00000
	v_floor_f64_e32 v[6:7], v[6:7]
	v_fma_f64 v[4:5], v[6:7], s[4:5], v[4:5]
	v_cvt_i32_f64_e32 v6, v[6:7]
	s_mov_b64 s[4:5], 0
	v_cvt_u32_f64_e32 v5, v[4:5]
	global_store_dwordx2 v[2:3], v[5:6], off
.LBB134_851:
	s_andn2_b64 vcc, exec, s[4:5]
	s_cbranch_vccnz .LBB134_853
; %bb.852:
	v_cvt_i32_f64_e32 v4, v[32:33]
	global_store_dword v[2:3], v4, off
.LBB134_853:
	s_mov_b64 s[4:5], 0
.LBB134_854:
	s_andn2_b64 vcc, exec, s[4:5]
	s_cbranch_vccnz .LBB134_856
; %bb.855:
	v_cvt_i32_f64_e32 v4, v[32:33]
	global_store_short v[2:3], v4, off
.LBB134_856:
	s_mov_b64 s[4:5], 0
.LBB134_857:
	s_andn2_b64 vcc, exec, s[4:5]
	s_cbranch_vccnz .LBB134_862
; %bb.858:
	s_cmp_gt_i32 s8, 0
	s_mov_b64 s[4:5], -1
	s_cbranch_scc0 .LBB134_860
; %bb.859:
	v_cvt_i32_f64_e32 v4, v[32:33]
	s_mov_b64 s[4:5], 0
	global_store_byte v[2:3], v4, off
.LBB134_860:
	s_andn2_b64 vcc, exec, s[4:5]
	s_cbranch_vccnz .LBB134_862
; %bb.861:
	v_trunc_f64_e32 v[4:5], v[32:33]
	s_movk_i32 s4, 0xffe0
	v_ldexp_f64 v[6:7], v[4:5], s4
	s_mov_b32 s4, 0
	s_mov_b32 s5, 0xc1f00000
	v_floor_f64_e32 v[6:7], v[6:7]
	v_fma_f64 v[4:5], v[6:7], s[4:5], v[4:5]
	v_cvt_u32_f64_e32 v4, v[4:5]
	global_store_byte v[2:3], v4, off
.LBB134_862:
.LBB134_863:
	v_mov_b32_e32 v3, s37
	v_add_co_u32_e32 v2, vcc, s36, v40
	s_cmp_lt_i32 s16, 11
	v_addc_co_u32_e32 v3, vcc, 0, v3, vcc
	s_cbranch_scc1 .LBB134_1018
; %bb.864:
	s_and_b32 s17, 0xffff, s16
	s_mov_b64 s[12:13], -1
	s_mov_b64 s[8:9], 0
	s_cmp_gt_i32 s17, 25
	s_mov_b64 s[10:11], 0
	s_mov_b64 s[4:5], 0
	s_cbranch_scc0 .LBB134_897
; %bb.865:
	s_cmp_gt_i32 s17, 28
	s_cbranch_scc0 .LBB134_880
; %bb.866:
	s_cmp_gt_i32 s17, 43
	;; [unrolled: 3-line block ×3, first 2 shown]
	s_cbranch_scc0 .LBB134_870
; %bb.868:
	s_mov_b64 s[4:5], -1
	s_mov_b64 s[12:13], 0
	s_cmp_eq_u32 s17, 46
	s_cbranch_scc0 .LBB134_870
; %bb.869:
	v_cvt_f32_f64_e32 v4, v[30:31]
	s_movk_i32 s4, 0x7fff
	v_mov_b32_e32 v5, 0x7fc0
	s_mov_b64 s[10:11], -1
	v_bfe_u32 v6, v4, 16, 1
	v_cmp_o_f32_e32 vcc, v4, v4
	v_add3_u32 v4, v4, v6, s4
	v_cndmask_b32_sdwa v4, v5, v4, vcc dst_sel:DWORD dst_unused:UNUSED_PAD src0_sel:DWORD src1_sel:WORD_1
	global_store_dword v[2:3], v4, off
	s_mov_b64 s[4:5], 0
.LBB134_870:
	s_and_b64 vcc, exec, s[12:13]
	s_cbranch_vccz .LBB134_875
; %bb.871:
	s_cmp_eq_u32 s17, 44
	s_mov_b64 s[4:5], -1
	s_cbranch_scc0 .LBB134_875
; %bb.872:
	v_cvt_f32_f64_e32 v4, v[30:31]
	s_movk_i32 s4, 0xff
	v_mov_b32_e32 v6, 0xff
	v_bfe_u32 v5, v4, 23, 8
	v_cmp_ne_u32_e32 vcc, s4, v5
	s_and_saveexec_b64 s[10:11], vcc
; %bb.873:
	s_mov_b32 s4, 0x3fffff
	v_lshrrev_b32_e32 v6, 23, v4
	v_and_b32_e32 v7, 0x400000, v4
	v_and_or_b32 v4, v4, s4, v5
	v_cmp_ne_u32_e32 vcc, 0, v7
	v_cmp_ne_u32_e64 s[4:5], 0, v4
	s_and_b64 s[4:5], vcc, s[4:5]
	v_cndmask_b32_e64 v4, 0, 1, s[4:5]
	v_add_u32_e32 v6, v6, v4
; %bb.874:
	s_or_b64 exec, exec, s[10:11]
	s_mov_b64 s[4:5], 0
	s_mov_b64 s[10:11], -1
	global_store_byte v[2:3], v6, off
.LBB134_875:
	s_mov_b64 s[12:13], 0
.LBB134_876:
	s_and_b64 vcc, exec, s[12:13]
	s_cbranch_vccz .LBB134_879
; %bb.877:
	s_cmp_eq_u32 s17, 29
	s_mov_b64 s[4:5], -1
	s_cbranch_scc0 .LBB134_879
; %bb.878:
	v_trunc_f64_e32 v[4:5], v[30:31]
	s_movk_i32 s4, 0xffe0
	s_mov_b64 s[10:11], -1
	v_ldexp_f64 v[6:7], v[4:5], s4
	s_mov_b32 s4, 0
	s_mov_b32 s5, 0xc1f00000
	v_floor_f64_e32 v[6:7], v[6:7]
	v_fma_f64 v[4:5], v[6:7], s[4:5], v[4:5]
	v_cvt_u32_f64_e32 v6, v[6:7]
	s_mov_b64 s[4:5], 0
	v_cvt_u32_f64_e32 v5, v[4:5]
	global_store_dwordx2 v[2:3], v[5:6], off
.LBB134_879:
	s_mov_b64 s[12:13], 0
.LBB134_880:
	s_and_b64 vcc, exec, s[12:13]
	s_cbranch_vccz .LBB134_896
; %bb.881:
	s_cmp_lt_i32 s17, 27
	s_mov_b64 s[10:11], -1
	s_cbranch_scc1 .LBB134_887
; %bb.882:
	v_cvt_u32_f64_e32 v4, v[30:31]
	s_cmp_gt_i32 s17, 27
	s_cbranch_scc0 .LBB134_884
; %bb.883:
	s_mov_b64 s[10:11], 0
	global_store_dword v[2:3], v4, off
.LBB134_884:
	s_andn2_b64 vcc, exec, s[10:11]
	s_cbranch_vccnz .LBB134_886
; %bb.885:
	global_store_short v[2:3], v4, off
.LBB134_886:
	s_mov_b64 s[10:11], 0
.LBB134_887:
	s_andn2_b64 vcc, exec, s[10:11]
	s_cbranch_vccnz .LBB134_895
; %bb.888:
	v_cvt_f32_f64_e32 v4, v[30:31]
	s_mov_b32 s10, 0x43800000
	v_mov_b32_e32 v6, 0x80
	v_and_b32_e32 v5, 0x7fffffff, v4
	v_cmp_gt_u32_e32 vcc, s10, v5
	s_and_saveexec_b64 s[10:11], vcc
	s_cbranch_execz .LBB134_894
; %bb.889:
	s_mov_b32 s12, 0x3bffffff
	v_cmp_lt_u32_e32 vcc, s12, v5
	s_mov_b64 s[12:13], 0
                                        ; implicit-def: $vgpr5
	s_and_saveexec_b64 s[14:15], vcc
	s_xor_b64 s[14:15], exec, s[14:15]
	s_cbranch_execz .LBB134_1113
; %bb.890:
	v_bfe_u32 v5, v4, 20, 1
	s_mov_b32 s18, 0x487ffff
	v_add3_u32 v5, v4, v5, s18
	s_mov_b64 s[12:13], exec
	v_lshrrev_b32_e32 v5, 20, v5
	s_andn2_saveexec_b64 s[14:15], s[14:15]
	s_cbranch_execnz .LBB134_1114
.LBB134_891:
	s_or_b64 exec, exec, s[14:15]
	v_mov_b32_e32 v6, 0
	s_and_saveexec_b64 s[14:15], s[12:13]
.LBB134_892:
	v_lshrrev_b32_e32 v4, 24, v4
	s_movk_i32 s12, 0x80
	v_and_or_b32 v6, v4, s12, v5
.LBB134_893:
	s_or_b64 exec, exec, s[14:15]
.LBB134_894:
	s_or_b64 exec, exec, s[10:11]
	global_store_byte v[2:3], v6, off
.LBB134_895:
	s_mov_b64 s[10:11], -1
.LBB134_896:
	s_mov_b64 s[12:13], 0
.LBB134_897:
	s_and_b64 vcc, exec, s[12:13]
	s_cbranch_vccz .LBB134_937
; %bb.898:
	s_cmp_gt_i32 s17, 22
	s_mov_b64 s[8:9], -1
	s_cbranch_scc0 .LBB134_930
; %bb.899:
	s_cmp_lt_i32 s17, 24
	s_cbranch_scc1 .LBB134_919
; %bb.900:
	s_cmp_gt_i32 s17, 24
	s_cbranch_scc0 .LBB134_908
; %bb.901:
	v_cvt_f32_f64_e32 v4, v[30:31]
	s_mov_b32 s8, 0x47800000
	v_mov_b32_e32 v6, 0x80
	v_and_b32_e32 v5, 0x7fffffff, v4
	v_cmp_gt_u32_e32 vcc, s8, v5
	s_and_saveexec_b64 s[8:9], vcc
	s_cbranch_execz .LBB134_907
; %bb.902:
	s_mov_b32 s10, 0x37ffffff
	v_cmp_lt_u32_e32 vcc, s10, v5
	s_mov_b64 s[10:11], 0
                                        ; implicit-def: $vgpr5
	s_and_saveexec_b64 s[12:13], vcc
	s_xor_b64 s[12:13], exec, s[12:13]
	s_cbranch_execz .LBB134_1116
; %bb.903:
	v_bfe_u32 v5, v4, 21, 1
	s_mov_b32 s14, 0x88fffff
	v_add3_u32 v5, v4, v5, s14
	s_mov_b64 s[10:11], exec
	v_lshrrev_b32_e32 v5, 21, v5
	s_andn2_saveexec_b64 s[12:13], s[12:13]
	s_cbranch_execnz .LBB134_1117
.LBB134_904:
	s_or_b64 exec, exec, s[12:13]
	v_mov_b32_e32 v6, 0
	s_and_saveexec_b64 s[12:13], s[10:11]
.LBB134_905:
	v_lshrrev_b32_e32 v4, 24, v4
	s_movk_i32 s10, 0x80
	v_and_or_b32 v6, v4, s10, v5
.LBB134_906:
	s_or_b64 exec, exec, s[12:13]
.LBB134_907:
	s_or_b64 exec, exec, s[8:9]
	s_mov_b64 s[8:9], 0
	global_store_byte v[2:3], v6, off
.LBB134_908:
	s_and_b64 vcc, exec, s[8:9]
	s_cbranch_vccz .LBB134_918
; %bb.909:
	v_cvt_f32_f64_e32 v4, v[30:31]
	s_mov_b32 s8, 0x43f00000
                                        ; implicit-def: $vgpr5
	v_and_b32_e32 v6, 0x7fffffff, v4
	v_cmp_gt_u32_e32 vcc, s8, v6
	s_and_saveexec_b64 s[8:9], vcc
	s_xor_b64 s[8:9], exec, s[8:9]
	s_cbranch_execz .LBB134_915
; %bb.910:
	s_mov_b32 s10, 0x3c7fffff
	v_cmp_lt_u32_e32 vcc, s10, v6
                                        ; implicit-def: $vgpr5
	s_and_saveexec_b64 s[10:11], vcc
	s_xor_b64 s[10:11], exec, s[10:11]
; %bb.911:
	v_bfe_u32 v5, v4, 20, 1
	s_mov_b32 s12, 0x407ffff
	v_add3_u32 v5, v4, v5, s12
	v_lshrrev_b32_e32 v6, 20, v5
	v_and_b32_e32 v5, 0xff00000, v5
	s_mov_b32 s12, 0x7f00000
	v_mov_b32_e32 v7, 0x7e
	v_cmp_ne_u32_e32 vcc, s12, v5
	v_cndmask_b32_e32 v5, v7, v6, vcc
; %bb.912:
	s_andn2_saveexec_b64 s[10:11], s[10:11]
; %bb.913:
	s_mov_b32 s12, 0x46800000
	v_add_f32_e64 v5, |v4|, s12
; %bb.914:
	s_or_b64 exec, exec, s[10:11]
                                        ; implicit-def: $vgpr6
.LBB134_915:
	s_andn2_saveexec_b64 s[8:9], s[8:9]
; %bb.916:
	s_mov_b32 s10, 0x7f800000
	v_mov_b32_e32 v5, 0x7e
	v_mov_b32_e32 v7, 0x7f
	v_cmp_lt_u32_e32 vcc, s10, v6
	v_cndmask_b32_e32 v5, v5, v7, vcc
; %bb.917:
	s_or_b64 exec, exec, s[8:9]
	v_lshrrev_b32_e32 v4, 24, v4
	s_movk_i32 s8, 0x80
	v_and_or_b32 v4, v4, s8, v5
	global_store_byte v[2:3], v4, off
.LBB134_918:
	s_mov_b64 s[8:9], 0
.LBB134_919:
	s_andn2_b64 vcc, exec, s[8:9]
	s_cbranch_vccnz .LBB134_929
; %bb.920:
	v_cvt_f32_f64_e32 v4, v[30:31]
	s_mov_b32 s8, 0x47800000
                                        ; implicit-def: $vgpr5
	v_and_b32_e32 v6, 0x7fffffff, v4
	v_cmp_gt_u32_e32 vcc, s8, v6
	s_and_saveexec_b64 s[8:9], vcc
	s_xor_b64 s[8:9], exec, s[8:9]
	s_cbranch_execz .LBB134_926
; %bb.921:
	s_mov_b32 s10, 0x387fffff
	v_cmp_lt_u32_e32 vcc, s10, v6
                                        ; implicit-def: $vgpr5
	s_and_saveexec_b64 s[10:11], vcc
	s_xor_b64 s[10:11], exec, s[10:11]
; %bb.922:
	v_bfe_u32 v5, v4, 21, 1
	s_mov_b32 s12, 0x80fffff
	v_add3_u32 v5, v4, v5, s12
	v_lshrrev_b32_e32 v5, 21, v5
; %bb.923:
	s_andn2_saveexec_b64 s[10:11], s[10:11]
; %bb.924:
	s_mov_b32 s12, 0x43000000
	v_add_f32_e64 v5, |v4|, s12
; %bb.925:
	s_or_b64 exec, exec, s[10:11]
                                        ; implicit-def: $vgpr6
.LBB134_926:
	s_andn2_saveexec_b64 s[8:9], s[8:9]
; %bb.927:
	s_mov_b32 s10, 0x7f800000
	v_mov_b32_e32 v5, 0x7c
	v_mov_b32_e32 v7, 0x7f
	v_cmp_lt_u32_e32 vcc, s10, v6
	v_cndmask_b32_e32 v5, v5, v7, vcc
; %bb.928:
	s_or_b64 exec, exec, s[8:9]
	v_lshrrev_b32_e32 v4, 24, v4
	s_movk_i32 s8, 0x80
	v_and_or_b32 v4, v4, s8, v5
	global_store_byte v[2:3], v4, off
.LBB134_929:
	s_mov_b64 s[8:9], 0
	s_mov_b64 s[10:11], -1
.LBB134_930:
	s_andn2_b64 vcc, exec, s[8:9]
	s_mov_b64 s[8:9], 0
	s_cbranch_vccnz .LBB134_937
; %bb.931:
	s_cmp_gt_i32 s17, 14
	s_mov_b64 s[12:13], -1
	s_cbranch_scc0 .LBB134_935
; %bb.932:
	s_cmp_eq_u32 s17, 15
	s_mov_b64 s[4:5], -1
	s_cbranch_scc0 .LBB134_934
; %bb.933:
	v_cvt_f32_f64_e32 v4, v[30:31]
	s_movk_i32 s4, 0x7fff
	v_mov_b32_e32 v5, 0x7fc0
	s_mov_b64 s[10:11], -1
	v_bfe_u32 v6, v4, 16, 1
	v_cmp_o_f32_e32 vcc, v4, v4
	v_add3_u32 v4, v4, v6, s4
	v_cndmask_b32_sdwa v4, v5, v4, vcc dst_sel:DWORD dst_unused:UNUSED_PAD src0_sel:DWORD src1_sel:WORD_1
	global_store_short v[2:3], v4, off
	s_mov_b64 s[4:5], 0
.LBB134_934:
	s_mov_b64 s[12:13], 0
.LBB134_935:
	s_and_b64 vcc, exec, s[12:13]
	s_cbranch_vccz .LBB134_937
; %bb.936:
	s_cmp_lg_u32 s17, 11
	s_mov_b64 s[8:9], -1
	s_cselect_b64 s[4:5], -1, 0
.LBB134_937:
	s_and_b64 vcc, exec, s[4:5]
	s_cbranch_vccnz .LBB134_1115
; %bb.938:
	s_andn2_b64 vcc, exec, s[8:9]
	s_cbranch_vccnz .LBB134_940
.LBB134_939:
	v_cmp_neq_f64_e32 vcc, 0, v[30:31]
	s_mov_b64 s[10:11], -1
	v_cndmask_b32_e64 v4, 0, 1, vcc
	global_store_byte v[2:3], v4, off
.LBB134_940:
.LBB134_941:
	s_andn2_b64 vcc, exec, s[10:11]
	s_cbranch_vccnz .LBB134_1057
.LBB134_942:
	v_mov_b32_e32 v2, s37
	v_add_co_u32_e32 v4, vcc, s36, v38
	s_cmp_lt_i32 s16, 11
	v_addc_co_u32_e32 v5, vcc, 0, v2, vcc
	s_cbranch_scc1 .LBB134_1102
; %bb.943:
	s_and_b32 s17, 0xffff, s16
	s_mov_b64 s[10:11], -1
	s_mov_b64 s[8:9], 0
	s_cmp_gt_i32 s17, 25
	s_mov_b64 s[4:5], 0
	s_cbranch_scc0 .LBB134_976
; %bb.944:
	s_cmp_gt_i32 s17, 28
	s_cbranch_scc0 .LBB134_960
; %bb.945:
	s_cmp_gt_i32 s17, 43
	s_cbranch_scc0 .LBB134_956
; %bb.946:
	s_cmp_gt_i32 s17, 45
	s_cbranch_scc0 .LBB134_950
; %bb.947:
	s_cmp_eq_u32 s17, 46
	s_mov_b64 s[4:5], -1
	s_cbranch_scc0 .LBB134_949
; %bb.948:
	v_cvt_f32_f64_e32 v2, v[0:1]
	s_movk_i32 s4, 0x7fff
	v_mov_b32_e32 v3, 0x7fc0
	v_bfe_u32 v6, v2, 16, 1
	v_cmp_o_f32_e32 vcc, v2, v2
	v_add3_u32 v2, v2, v6, s4
	v_cndmask_b32_sdwa v2, v3, v2, vcc dst_sel:DWORD dst_unused:UNUSED_PAD src0_sel:DWORD src1_sel:WORD_1
	global_store_dword v[4:5], v2, off
	s_mov_b64 s[4:5], 0
.LBB134_949:
	s_mov_b64 s[10:11], 0
.LBB134_950:
	s_and_b64 vcc, exec, s[10:11]
	s_cbranch_vccz .LBB134_955
; %bb.951:
	s_cmp_eq_u32 s17, 44
	s_mov_b64 s[4:5], -1
	s_cbranch_scc0 .LBB134_955
; %bb.952:
	v_cvt_f32_f64_e32 v2, v[0:1]
	s_movk_i32 s4, 0xff
	v_mov_b32_e32 v6, 0xff
	v_bfe_u32 v3, v2, 23, 8
	v_cmp_ne_u32_e32 vcc, s4, v3
	s_and_saveexec_b64 s[10:11], vcc
; %bb.953:
	s_mov_b32 s4, 0x3fffff
	v_lshrrev_b32_e32 v6, 23, v2
	v_and_b32_e32 v7, 0x400000, v2
	v_and_or_b32 v2, v2, s4, v3
	v_cmp_ne_u32_e32 vcc, 0, v7
	v_cmp_ne_u32_e64 s[4:5], 0, v2
	s_and_b64 s[4:5], vcc, s[4:5]
	v_cndmask_b32_e64 v2, 0, 1, s[4:5]
	v_add_u32_e32 v6, v6, v2
; %bb.954:
	s_or_b64 exec, exec, s[10:11]
	s_mov_b64 s[4:5], 0
	global_store_byte v[4:5], v6, off
.LBB134_955:
	s_mov_b64 s[10:11], 0
.LBB134_956:
	s_and_b64 vcc, exec, s[10:11]
	s_cbranch_vccz .LBB134_959
; %bb.957:
	s_cmp_eq_u32 s17, 29
	s_mov_b64 s[4:5], -1
	s_cbranch_scc0 .LBB134_959
; %bb.958:
	v_trunc_f64_e32 v[2:3], v[0:1]
	s_movk_i32 s4, 0xffe0
	v_ldexp_f64 v[6:7], v[2:3], s4
	s_mov_b32 s4, 0
	s_mov_b32 s5, 0xc1f00000
	v_floor_f64_e32 v[6:7], v[6:7]
	v_fma_f64 v[2:3], v[6:7], s[4:5], v[2:3]
	v_cvt_u32_f64_e32 v7, v[6:7]
	s_mov_b64 s[4:5], 0
	v_cvt_u32_f64_e32 v6, v[2:3]
	global_store_dwordx2 v[4:5], v[6:7], off
.LBB134_959:
	s_mov_b64 s[10:11], 0
.LBB134_960:
	s_and_b64 vcc, exec, s[10:11]
	s_cbranch_vccz .LBB134_975
; %bb.961:
	s_cmp_lt_i32 s17, 27
	s_mov_b64 s[10:11], -1
	s_cbranch_scc1 .LBB134_967
; %bb.962:
	v_cvt_u32_f64_e32 v2, v[0:1]
	s_cmp_gt_i32 s17, 27
	s_cbranch_scc0 .LBB134_964
; %bb.963:
	global_store_dword v[4:5], v2, off
	s_mov_b64 s[10:11], 0
.LBB134_964:
	s_andn2_b64 vcc, exec, s[10:11]
	s_cbranch_vccnz .LBB134_966
; %bb.965:
	global_store_short v[4:5], v2, off
.LBB134_966:
	s_mov_b64 s[10:11], 0
.LBB134_967:
	s_andn2_b64 vcc, exec, s[10:11]
	s_cbranch_vccnz .LBB134_975
; %bb.968:
	v_cvt_f32_f64_e32 v2, v[0:1]
	s_mov_b32 s10, 0x43800000
	v_mov_b32_e32 v6, 0x80
	v_and_b32_e32 v3, 0x7fffffff, v2
	v_cmp_gt_u32_e32 vcc, s10, v3
	s_and_saveexec_b64 s[10:11], vcc
	s_cbranch_execz .LBB134_974
; %bb.969:
	s_mov_b32 s12, 0x3bffffff
	v_cmp_lt_u32_e32 vcc, s12, v3
	s_mov_b64 s[12:13], 0
                                        ; implicit-def: $vgpr3
	s_and_saveexec_b64 s[14:15], vcc
	s_xor_b64 s[14:15], exec, s[14:15]
	s_cbranch_execz .LBB134_1118
; %bb.970:
	v_bfe_u32 v3, v2, 20, 1
	s_mov_b32 s18, 0x487ffff
	v_add3_u32 v3, v2, v3, s18
	s_mov_b64 s[12:13], exec
	v_lshrrev_b32_e32 v3, 20, v3
	s_andn2_saveexec_b64 s[14:15], s[14:15]
	s_cbranch_execnz .LBB134_1119
.LBB134_971:
	s_or_b64 exec, exec, s[14:15]
	v_mov_b32_e32 v6, 0
	s_and_saveexec_b64 s[14:15], s[12:13]
.LBB134_972:
	v_lshrrev_b32_e32 v2, 24, v2
	s_movk_i32 s12, 0x80
	v_and_or_b32 v6, v2, s12, v3
.LBB134_973:
	s_or_b64 exec, exec, s[14:15]
.LBB134_974:
	s_or_b64 exec, exec, s[10:11]
	global_store_byte v[4:5], v6, off
.LBB134_975:
	s_mov_b64 s[10:11], 0
.LBB134_976:
	s_and_b64 vcc, exec, s[10:11]
	s_cbranch_vccz .LBB134_1016
; %bb.977:
	s_cmp_gt_i32 s17, 22
	s_mov_b64 s[8:9], -1
	s_cbranch_scc0 .LBB134_1009
; %bb.978:
	s_cmp_lt_i32 s17, 24
	s_cbranch_scc1 .LBB134_998
; %bb.979:
	s_cmp_gt_i32 s17, 24
	s_cbranch_scc0 .LBB134_987
; %bb.980:
	v_cvt_f32_f64_e32 v2, v[0:1]
	s_mov_b32 s8, 0x47800000
	v_mov_b32_e32 v6, 0x80
	v_and_b32_e32 v3, 0x7fffffff, v2
	v_cmp_gt_u32_e32 vcc, s8, v3
	s_and_saveexec_b64 s[8:9], vcc
	s_cbranch_execz .LBB134_986
; %bb.981:
	s_mov_b32 s10, 0x37ffffff
	v_cmp_lt_u32_e32 vcc, s10, v3
	s_mov_b64 s[10:11], 0
                                        ; implicit-def: $vgpr3
	s_and_saveexec_b64 s[12:13], vcc
	s_xor_b64 s[12:13], exec, s[12:13]
	s_cbranch_execz .LBB134_1123
; %bb.982:
	v_bfe_u32 v3, v2, 21, 1
	s_mov_b32 s14, 0x88fffff
	v_add3_u32 v3, v2, v3, s14
	s_mov_b64 s[10:11], exec
	v_lshrrev_b32_e32 v3, 21, v3
	s_andn2_saveexec_b64 s[12:13], s[12:13]
	s_cbranch_execnz .LBB134_1124
.LBB134_983:
	s_or_b64 exec, exec, s[12:13]
	v_mov_b32_e32 v6, 0
	s_and_saveexec_b64 s[12:13], s[10:11]
.LBB134_984:
	v_lshrrev_b32_e32 v2, 24, v2
	s_movk_i32 s10, 0x80
	v_and_or_b32 v6, v2, s10, v3
.LBB134_985:
	s_or_b64 exec, exec, s[12:13]
.LBB134_986:
	s_or_b64 exec, exec, s[8:9]
	s_mov_b64 s[8:9], 0
	global_store_byte v[4:5], v6, off
.LBB134_987:
	s_and_b64 vcc, exec, s[8:9]
	s_cbranch_vccz .LBB134_997
; %bb.988:
	v_cvt_f32_f64_e32 v2, v[0:1]
	s_mov_b32 s8, 0x43f00000
                                        ; implicit-def: $vgpr3
	v_and_b32_e32 v6, 0x7fffffff, v2
	v_cmp_gt_u32_e32 vcc, s8, v6
	s_and_saveexec_b64 s[8:9], vcc
	s_xor_b64 s[8:9], exec, s[8:9]
	s_cbranch_execz .LBB134_994
; %bb.989:
	s_mov_b32 s10, 0x3c7fffff
	v_cmp_lt_u32_e32 vcc, s10, v6
                                        ; implicit-def: $vgpr3
	s_and_saveexec_b64 s[10:11], vcc
	s_xor_b64 s[10:11], exec, s[10:11]
; %bb.990:
	v_bfe_u32 v3, v2, 20, 1
	s_mov_b32 s12, 0x407ffff
	v_add3_u32 v3, v2, v3, s12
	v_lshrrev_b32_e32 v6, 20, v3
	v_and_b32_e32 v3, 0xff00000, v3
	s_mov_b32 s12, 0x7f00000
	v_mov_b32_e32 v7, 0x7e
	v_cmp_ne_u32_e32 vcc, s12, v3
	v_cndmask_b32_e32 v3, v7, v6, vcc
; %bb.991:
	s_andn2_saveexec_b64 s[10:11], s[10:11]
; %bb.992:
	s_mov_b32 s12, 0x46800000
	v_add_f32_e64 v3, |v2|, s12
; %bb.993:
	s_or_b64 exec, exec, s[10:11]
                                        ; implicit-def: $vgpr6
.LBB134_994:
	s_andn2_saveexec_b64 s[8:9], s[8:9]
; %bb.995:
	s_mov_b32 s10, 0x7f800000
	v_mov_b32_e32 v3, 0x7e
	v_mov_b32_e32 v7, 0x7f
	v_cmp_lt_u32_e32 vcc, s10, v6
	v_cndmask_b32_e32 v3, v3, v7, vcc
; %bb.996:
	s_or_b64 exec, exec, s[8:9]
	v_lshrrev_b32_e32 v2, 24, v2
	s_movk_i32 s8, 0x80
	v_and_or_b32 v2, v2, s8, v3
	global_store_byte v[4:5], v2, off
.LBB134_997:
	s_mov_b64 s[8:9], 0
.LBB134_998:
	s_andn2_b64 vcc, exec, s[8:9]
	s_cbranch_vccnz .LBB134_1008
; %bb.999:
	v_cvt_f32_f64_e32 v2, v[0:1]
	s_mov_b32 s8, 0x47800000
                                        ; implicit-def: $vgpr3
	v_and_b32_e32 v6, 0x7fffffff, v2
	v_cmp_gt_u32_e32 vcc, s8, v6
	s_and_saveexec_b64 s[8:9], vcc
	s_xor_b64 s[8:9], exec, s[8:9]
	s_cbranch_execz .LBB134_1005
; %bb.1000:
	s_mov_b32 s10, 0x387fffff
	v_cmp_lt_u32_e32 vcc, s10, v6
                                        ; implicit-def: $vgpr3
	s_and_saveexec_b64 s[10:11], vcc
	s_xor_b64 s[10:11], exec, s[10:11]
; %bb.1001:
	v_bfe_u32 v3, v2, 21, 1
	s_mov_b32 s12, 0x80fffff
	v_add3_u32 v3, v2, v3, s12
	v_lshrrev_b32_e32 v3, 21, v3
; %bb.1002:
	s_andn2_saveexec_b64 s[10:11], s[10:11]
; %bb.1003:
	s_mov_b32 s12, 0x43000000
	v_add_f32_e64 v3, |v2|, s12
; %bb.1004:
	s_or_b64 exec, exec, s[10:11]
                                        ; implicit-def: $vgpr6
.LBB134_1005:
	s_andn2_saveexec_b64 s[8:9], s[8:9]
; %bb.1006:
	s_mov_b32 s10, 0x7f800000
	v_mov_b32_e32 v3, 0x7c
	v_mov_b32_e32 v7, 0x7f
	v_cmp_lt_u32_e32 vcc, s10, v6
	v_cndmask_b32_e32 v3, v3, v7, vcc
; %bb.1007:
	s_or_b64 exec, exec, s[8:9]
	v_lshrrev_b32_e32 v2, 24, v2
	s_movk_i32 s8, 0x80
	v_and_or_b32 v2, v2, s8, v3
	global_store_byte v[4:5], v2, off
.LBB134_1008:
	s_mov_b64 s[8:9], 0
.LBB134_1009:
	s_andn2_b64 vcc, exec, s[8:9]
	s_mov_b64 s[8:9], 0
	s_cbranch_vccnz .LBB134_1016
; %bb.1010:
	s_cmp_gt_i32 s17, 14
	s_mov_b64 s[10:11], -1
	s_cbranch_scc0 .LBB134_1014
; %bb.1011:
	s_cmp_eq_u32 s17, 15
	s_mov_b64 s[4:5], -1
	s_cbranch_scc0 .LBB134_1013
; %bb.1012:
	v_cvt_f32_f64_e32 v2, v[0:1]
	s_movk_i32 s4, 0x7fff
	v_mov_b32_e32 v3, 0x7fc0
	v_bfe_u32 v6, v2, 16, 1
	v_cmp_o_f32_e32 vcc, v2, v2
	v_add3_u32 v2, v2, v6, s4
	v_cndmask_b32_sdwa v2, v3, v2, vcc dst_sel:DWORD dst_unused:UNUSED_PAD src0_sel:DWORD src1_sel:WORD_1
	global_store_short v[4:5], v2, off
	s_mov_b64 s[4:5], 0
.LBB134_1013:
	s_mov_b64 s[10:11], 0
.LBB134_1014:
	s_and_b64 vcc, exec, s[10:11]
	s_cbranch_vccz .LBB134_1016
; %bb.1015:
	s_cmp_lg_u32 s17, 11
	s_mov_b64 s[8:9], -1
	s_cselect_b64 s[4:5], -1, 0
.LBB134_1016:
	s_and_b64 vcc, exec, s[4:5]
	s_cbranch_vccnz .LBB134_1120
.LBB134_1017:
	s_mov_b64 s[4:5], 0
	s_branch .LBB134_1058
.LBB134_1018:
	s_mov_b64 s[10:11], 0
	s_cbranch_execz .LBB134_941
; %bb.1019:
	s_and_b32 s8, 0xffff, s16
	s_cmp_lt_i32 s8, 5
	s_mov_b64 s[4:5], -1
	s_cbranch_scc1 .LBB134_1040
; %bb.1020:
	s_cmp_lt_i32 s8, 8
	s_cbranch_scc1 .LBB134_1030
; %bb.1021:
	s_cmp_lt_i32 s8, 9
	s_cbranch_scc1 .LBB134_1027
; %bb.1022:
	s_cmp_gt_i32 s8, 9
	s_cbranch_scc0 .LBB134_1024
; %bb.1023:
	v_mov_b32_e32 v32, 0
	v_mov_b32_e32 v33, v32
	global_store_dwordx4 v[2:3], v[30:33], off
	s_mov_b64 s[4:5], 0
.LBB134_1024:
	s_andn2_b64 vcc, exec, s[4:5]
	s_cbranch_vccnz .LBB134_1026
; %bb.1025:
	v_cvt_f32_f64_e32 v4, v[30:31]
	v_mov_b32_e32 v5, 0
	global_store_dwordx2 v[2:3], v[4:5], off
.LBB134_1026:
	s_mov_b64 s[4:5], 0
.LBB134_1027:
	s_andn2_b64 vcc, exec, s[4:5]
	s_cbranch_vccnz .LBB134_1029
; %bb.1028:
	s_movk_i32 s4, 0x1ff
	v_and_or_b32 v4, v31, s4, v30
	v_cmp_ne_u32_e32 vcc, 0, v4
	v_cndmask_b32_e64 v4, 0, 1, vcc
	v_lshrrev_b32_e32 v5, 8, v31
	s_movk_i32 s4, 0xffe
	v_bfe_u32 v6, v31, 20, 11
	v_and_or_b32 v4, v5, s4, v4
	v_sub_u32_e32 v7, 0x3f1, v6
	v_or_b32_e32 v5, 0x1000, v4
	v_med3_i32 v7, v7, 0, 13
	v_lshrrev_b32_e32 v8, v7, v5
	v_lshlrev_b32_e32 v7, v7, v8
	v_cmp_ne_u32_e32 vcc, v7, v5
	v_cndmask_b32_e64 v5, 0, 1, vcc
	v_add_u32_e32 v6, 0xfffffc10, v6
	v_or_b32_e32 v5, v8, v5
	v_lshl_or_b32 v7, v6, 12, v4
	v_cmp_gt_i32_e32 vcc, 1, v6
	v_cndmask_b32_e32 v5, v7, v5, vcc
	v_and_b32_e32 v7, 7, v5
	v_cmp_lt_i32_e32 vcc, 5, v7
	v_cndmask_b32_e64 v8, 0, 1, vcc
	v_cmp_eq_u32_e32 vcc, 3, v7
	v_cndmask_b32_e64 v7, 0, 1, vcc
	v_or_b32_e32 v7, v7, v8
	v_lshrrev_b32_e32 v5, 2, v5
	v_add_u32_e32 v5, v5, v7
	v_mov_b32_e32 v7, 0x7c00
	v_cmp_gt_i32_e32 vcc, 31, v6
	v_cndmask_b32_e32 v5, v7, v5, vcc
	v_mov_b32_e32 v8, 0x7e00
	v_cmp_ne_u32_e32 vcc, 0, v4
	s_movk_i32 s4, 0x40f
	v_cndmask_b32_e32 v4, v7, v8, vcc
	v_cmp_eq_u32_e32 vcc, s4, v6
	v_cndmask_b32_e32 v4, v5, v4, vcc
	v_lshrrev_b32_e32 v5, 16, v31
	s_mov_b32 s4, 0x8000
	v_and_or_b32 v4, v5, s4, v4
	v_and_b32_e32 v4, 0xffff, v4
	global_store_dword v[2:3], v4, off
.LBB134_1029:
	s_mov_b64 s[4:5], 0
.LBB134_1030:
	s_andn2_b64 vcc, exec, s[4:5]
	s_cbranch_vccnz .LBB134_1039
; %bb.1031:
	s_cmp_lt_i32 s8, 6
	s_mov_b64 s[4:5], -1
	s_cbranch_scc1 .LBB134_1037
; %bb.1032:
	s_cmp_gt_i32 s8, 6
	s_cbranch_scc0 .LBB134_1034
; %bb.1033:
	global_store_dwordx2 v[2:3], v[30:31], off
	s_mov_b64 s[4:5], 0
.LBB134_1034:
	s_andn2_b64 vcc, exec, s[4:5]
	s_cbranch_vccnz .LBB134_1036
; %bb.1035:
	v_cvt_f32_f64_e32 v4, v[30:31]
	global_store_dword v[2:3], v4, off
.LBB134_1036:
	s_mov_b64 s[4:5], 0
.LBB134_1037:
	s_andn2_b64 vcc, exec, s[4:5]
	s_cbranch_vccnz .LBB134_1039
; %bb.1038:
	s_movk_i32 s4, 0x1ff
	v_and_or_b32 v4, v31, s4, v30
	v_cmp_ne_u32_e32 vcc, 0, v4
	v_cndmask_b32_e64 v4, 0, 1, vcc
	v_lshrrev_b32_e32 v5, 8, v31
	s_movk_i32 s4, 0xffe
	v_bfe_u32 v6, v31, 20, 11
	v_and_or_b32 v4, v5, s4, v4
	v_sub_u32_e32 v7, 0x3f1, v6
	v_or_b32_e32 v5, 0x1000, v4
	v_med3_i32 v7, v7, 0, 13
	v_lshrrev_b32_e32 v8, v7, v5
	v_lshlrev_b32_e32 v7, v7, v8
	v_cmp_ne_u32_e32 vcc, v7, v5
	v_cndmask_b32_e64 v5, 0, 1, vcc
	v_add_u32_e32 v6, 0xfffffc10, v6
	v_or_b32_e32 v5, v8, v5
	v_lshl_or_b32 v7, v6, 12, v4
	v_cmp_gt_i32_e32 vcc, 1, v6
	v_cndmask_b32_e32 v5, v7, v5, vcc
	v_and_b32_e32 v7, 7, v5
	v_cmp_lt_i32_e32 vcc, 5, v7
	v_cndmask_b32_e64 v8, 0, 1, vcc
	v_cmp_eq_u32_e32 vcc, 3, v7
	v_cndmask_b32_e64 v7, 0, 1, vcc
	v_or_b32_e32 v7, v7, v8
	v_lshrrev_b32_e32 v5, 2, v5
	v_add_u32_e32 v5, v5, v7
	v_mov_b32_e32 v7, 0x7c00
	v_cmp_gt_i32_e32 vcc, 31, v6
	v_cndmask_b32_e32 v5, v7, v5, vcc
	v_mov_b32_e32 v8, 0x7e00
	v_cmp_ne_u32_e32 vcc, 0, v4
	s_movk_i32 s4, 0x40f
	v_cndmask_b32_e32 v4, v7, v8, vcc
	v_cmp_eq_u32_e32 vcc, s4, v6
	v_cndmask_b32_e32 v4, v5, v4, vcc
	v_lshrrev_b32_e32 v5, 16, v31
	s_mov_b32 s4, 0x8000
	v_and_or_b32 v4, v5, s4, v4
	global_store_short v[2:3], v4, off
.LBB134_1039:
	s_mov_b64 s[4:5], 0
.LBB134_1040:
	s_andn2_b64 vcc, exec, s[4:5]
	s_cbranch_vccnz .LBB134_1056
; %bb.1041:
	s_cmp_lt_i32 s8, 2
	s_mov_b64 s[4:5], -1
	s_cbranch_scc1 .LBB134_1051
; %bb.1042:
	s_cmp_lt_i32 s8, 3
	s_cbranch_scc1 .LBB134_1048
; %bb.1043:
	s_cmp_gt_i32 s8, 3
	s_cbranch_scc0 .LBB134_1045
; %bb.1044:
	v_trunc_f64_e32 v[4:5], v[30:31]
	s_movk_i32 s4, 0xffe0
	v_ldexp_f64 v[6:7], v[4:5], s4
	s_mov_b32 s4, 0
	s_mov_b32 s5, 0xc1f00000
	v_floor_f64_e32 v[6:7], v[6:7]
	v_fma_f64 v[4:5], v[6:7], s[4:5], v[4:5]
	v_cvt_i32_f64_e32 v6, v[6:7]
	s_mov_b64 s[4:5], 0
	v_cvt_u32_f64_e32 v5, v[4:5]
	global_store_dwordx2 v[2:3], v[5:6], off
.LBB134_1045:
	s_andn2_b64 vcc, exec, s[4:5]
	s_cbranch_vccnz .LBB134_1047
; %bb.1046:
	v_cvt_i32_f64_e32 v4, v[30:31]
	global_store_dword v[2:3], v4, off
.LBB134_1047:
	s_mov_b64 s[4:5], 0
.LBB134_1048:
	s_andn2_b64 vcc, exec, s[4:5]
	s_cbranch_vccnz .LBB134_1050
; %bb.1049:
	v_cvt_i32_f64_e32 v4, v[30:31]
	global_store_short v[2:3], v4, off
.LBB134_1050:
	s_mov_b64 s[4:5], 0
.LBB134_1051:
	s_andn2_b64 vcc, exec, s[4:5]
	s_cbranch_vccnz .LBB134_1056
; %bb.1052:
	s_cmp_gt_i32 s8, 0
	s_mov_b64 s[4:5], -1
	s_cbranch_scc0 .LBB134_1054
; %bb.1053:
	v_cvt_i32_f64_e32 v4, v[30:31]
	s_mov_b64 s[4:5], 0
	global_store_byte v[2:3], v4, off
.LBB134_1054:
	s_andn2_b64 vcc, exec, s[4:5]
	s_cbranch_vccnz .LBB134_1056
; %bb.1055:
	v_trunc_f64_e32 v[4:5], v[30:31]
	s_movk_i32 s4, 0xffe0
	v_ldexp_f64 v[6:7], v[4:5], s4
	s_mov_b32 s4, 0
	s_mov_b32 s5, 0xc1f00000
	v_floor_f64_e32 v[6:7], v[6:7]
	v_fma_f64 v[4:5], v[6:7], s[4:5], v[4:5]
	v_cvt_u32_f64_e32 v4, v[4:5]
	global_store_byte v[2:3], v4, off
.LBB134_1056:
	s_branch .LBB134_942
.LBB134_1057:
	s_mov_b64 s[4:5], 0
	s_mov_b64 s[8:9], 0
                                        ; implicit-def: $sgpr16
                                        ; implicit-def: $vgpr4_vgpr5
.LBB134_1058:
	s_and_b64 s[48:49], s[8:9], exec
	s_andn2_b64 s[8:9], s[40:41], exec
	s_and_b64 s[6:7], s[6:7], exec
	s_and_b64 s[4:5], s[4:5], exec
	s_or_b64 s[40:41], s[8:9], s[6:7]
.LBB134_1059:
	s_or_b64 exec, exec, s[42:43]
	s_and_saveexec_b64 s[6:7], s[40:41]
	s_cbranch_execz .LBB134_1062
; %bb.1060:
	; divergent unreachable
	s_or_b64 exec, exec, s[6:7]
	s_and_saveexec_b64 s[6:7], s[48:49]
	s_xor_b64 s[6:7], exec, s[6:7]
	s_cbranch_execnz .LBB134_1063
.LBB134_1061:
	s_or_b64 exec, exec, s[6:7]
	s_and_saveexec_b64 s[6:7], s[4:5]
	s_cbranch_execnz .LBB134_1064
	s_branch .LBB134_1101
.LBB134_1062:
	s_or_b64 exec, exec, s[6:7]
	s_and_saveexec_b64 s[6:7], s[48:49]
	s_xor_b64 s[6:7], exec, s[6:7]
	s_cbranch_execz .LBB134_1061
.LBB134_1063:
	v_cmp_neq_f64_e32 vcc, 0, v[0:1]
	v_cndmask_b32_e64 v2, 0, 1, vcc
	global_store_byte v[4:5], v2, off
	s_or_b64 exec, exec, s[6:7]
	s_and_saveexec_b64 s[6:7], s[4:5]
	s_cbranch_execz .LBB134_1101
.LBB134_1064:
	s_sext_i32_i16 s6, s16
	s_cmp_lt_i32 s6, 5
	s_mov_b64 s[4:5], -1
	s_cbranch_scc1 .LBB134_1085
; %bb.1065:
	s_cmp_lt_i32 s6, 8
	s_cbranch_scc1 .LBB134_1075
; %bb.1066:
	s_cmp_lt_i32 s6, 9
	s_cbranch_scc1 .LBB134_1072
; %bb.1067:
	s_cmp_gt_i32 s6, 9
	s_cbranch_scc0 .LBB134_1069
; %bb.1068:
	v_mov_b32_e32 v2, 0
	v_mov_b32_e32 v3, v2
	global_store_dwordx4 v[4:5], v[0:3], off
	s_mov_b64 s[4:5], 0
.LBB134_1069:
	s_andn2_b64 vcc, exec, s[4:5]
	s_cbranch_vccnz .LBB134_1071
; %bb.1070:
	v_cvt_f32_f64_e32 v2, v[0:1]
	v_mov_b32_e32 v3, 0
	global_store_dwordx2 v[4:5], v[2:3], off
.LBB134_1071:
	s_mov_b64 s[4:5], 0
.LBB134_1072:
	s_andn2_b64 vcc, exec, s[4:5]
	s_cbranch_vccnz .LBB134_1074
; %bb.1073:
	s_movk_i32 s4, 0x1ff
	v_and_or_b32 v2, v1, s4, v0
	v_cmp_ne_u32_e32 vcc, 0, v2
	v_cndmask_b32_e64 v2, 0, 1, vcc
	v_lshrrev_b32_e32 v3, 8, v1
	s_movk_i32 s4, 0xffe
	v_bfe_u32 v6, v1, 20, 11
	v_and_or_b32 v2, v3, s4, v2
	v_sub_u32_e32 v7, 0x3f1, v6
	v_or_b32_e32 v3, 0x1000, v2
	v_med3_i32 v7, v7, 0, 13
	v_lshrrev_b32_e32 v8, v7, v3
	v_lshlrev_b32_e32 v7, v7, v8
	v_cmp_ne_u32_e32 vcc, v7, v3
	v_cndmask_b32_e64 v3, 0, 1, vcc
	v_add_u32_e32 v6, 0xfffffc10, v6
	v_or_b32_e32 v3, v8, v3
	v_lshl_or_b32 v7, v6, 12, v2
	v_cmp_gt_i32_e32 vcc, 1, v6
	v_cndmask_b32_e32 v3, v7, v3, vcc
	v_and_b32_e32 v7, 7, v3
	v_cmp_lt_i32_e32 vcc, 5, v7
	v_cndmask_b32_e64 v8, 0, 1, vcc
	v_cmp_eq_u32_e32 vcc, 3, v7
	v_cndmask_b32_e64 v7, 0, 1, vcc
	v_or_b32_e32 v7, v7, v8
	v_lshrrev_b32_e32 v3, 2, v3
	v_add_u32_e32 v3, v3, v7
	v_mov_b32_e32 v7, 0x7c00
	v_cmp_gt_i32_e32 vcc, 31, v6
	v_cndmask_b32_e32 v3, v7, v3, vcc
	v_mov_b32_e32 v8, 0x7e00
	v_cmp_ne_u32_e32 vcc, 0, v2
	s_movk_i32 s4, 0x40f
	v_cndmask_b32_e32 v2, v7, v8, vcc
	v_cmp_eq_u32_e32 vcc, s4, v6
	v_cndmask_b32_e32 v2, v3, v2, vcc
	v_lshrrev_b32_e32 v3, 16, v1
	s_mov_b32 s4, 0x8000
	v_and_or_b32 v2, v3, s4, v2
	v_and_b32_e32 v2, 0xffff, v2
	global_store_dword v[4:5], v2, off
.LBB134_1074:
	s_mov_b64 s[4:5], 0
.LBB134_1075:
	s_andn2_b64 vcc, exec, s[4:5]
	s_cbranch_vccnz .LBB134_1084
; %bb.1076:
	s_sext_i32_i16 s6, s16
	s_cmp_lt_i32 s6, 6
	s_mov_b64 s[4:5], -1
	s_cbranch_scc1 .LBB134_1082
; %bb.1077:
	s_cmp_gt_i32 s6, 6
	s_cbranch_scc0 .LBB134_1079
; %bb.1078:
	global_store_dwordx2 v[4:5], v[0:1], off
	s_mov_b64 s[4:5], 0
.LBB134_1079:
	s_andn2_b64 vcc, exec, s[4:5]
	s_cbranch_vccnz .LBB134_1081
; %bb.1080:
	v_cvt_f32_f64_e32 v2, v[0:1]
	global_store_dword v[4:5], v2, off
.LBB134_1081:
	s_mov_b64 s[4:5], 0
.LBB134_1082:
	s_andn2_b64 vcc, exec, s[4:5]
	s_cbranch_vccnz .LBB134_1084
; %bb.1083:
	s_movk_i32 s4, 0x1ff
	v_and_or_b32 v2, v1, s4, v0
	v_cmp_ne_u32_e32 vcc, 0, v2
	v_cndmask_b32_e64 v2, 0, 1, vcc
	v_lshrrev_b32_e32 v3, 8, v1
	s_movk_i32 s4, 0xffe
	v_bfe_u32 v6, v1, 20, 11
	v_and_or_b32 v2, v3, s4, v2
	v_sub_u32_e32 v7, 0x3f1, v6
	v_or_b32_e32 v3, 0x1000, v2
	v_med3_i32 v7, v7, 0, 13
	v_lshrrev_b32_e32 v8, v7, v3
	v_lshlrev_b32_e32 v7, v7, v8
	v_cmp_ne_u32_e32 vcc, v7, v3
	v_cndmask_b32_e64 v3, 0, 1, vcc
	v_add_u32_e32 v6, 0xfffffc10, v6
	v_or_b32_e32 v3, v8, v3
	v_lshl_or_b32 v7, v6, 12, v2
	v_cmp_gt_i32_e32 vcc, 1, v6
	v_cndmask_b32_e32 v3, v7, v3, vcc
	v_and_b32_e32 v7, 7, v3
	v_cmp_lt_i32_e32 vcc, 5, v7
	v_cndmask_b32_e64 v8, 0, 1, vcc
	v_cmp_eq_u32_e32 vcc, 3, v7
	v_cndmask_b32_e64 v7, 0, 1, vcc
	v_or_b32_e32 v7, v7, v8
	v_lshrrev_b32_e32 v3, 2, v3
	v_add_u32_e32 v3, v3, v7
	v_mov_b32_e32 v7, 0x7c00
	v_cmp_gt_i32_e32 vcc, 31, v6
	v_cndmask_b32_e32 v3, v7, v3, vcc
	v_mov_b32_e32 v8, 0x7e00
	v_cmp_ne_u32_e32 vcc, 0, v2
	s_movk_i32 s4, 0x40f
	v_cndmask_b32_e32 v2, v7, v8, vcc
	v_cmp_eq_u32_e32 vcc, s4, v6
	v_cndmask_b32_e32 v2, v3, v2, vcc
	v_lshrrev_b32_e32 v3, 16, v1
	s_mov_b32 s4, 0x8000
	v_and_or_b32 v2, v3, s4, v2
	global_store_short v[4:5], v2, off
.LBB134_1084:
	s_mov_b64 s[4:5], 0
.LBB134_1085:
	s_andn2_b64 vcc, exec, s[4:5]
	s_cbranch_vccnz .LBB134_1101
; %bb.1086:
	s_sext_i32_i16 s6, s16
	s_cmp_lt_i32 s6, 2
	s_mov_b64 s[4:5], -1
	s_cbranch_scc1 .LBB134_1096
; %bb.1087:
	s_cmp_lt_i32 s6, 3
	s_cbranch_scc1 .LBB134_1093
; %bb.1088:
	s_cmp_gt_i32 s6, 3
	s_cbranch_scc0 .LBB134_1090
; %bb.1089:
	v_trunc_f64_e32 v[2:3], v[0:1]
	s_movk_i32 s4, 0xffe0
	v_ldexp_f64 v[6:7], v[2:3], s4
	s_mov_b32 s4, 0
	s_mov_b32 s5, 0xc1f00000
	v_floor_f64_e32 v[6:7], v[6:7]
	v_fma_f64 v[2:3], v[6:7], s[4:5], v[2:3]
	v_cvt_i32_f64_e32 v7, v[6:7]
	s_mov_b64 s[4:5], 0
	v_cvt_u32_f64_e32 v6, v[2:3]
	global_store_dwordx2 v[4:5], v[6:7], off
.LBB134_1090:
	s_andn2_b64 vcc, exec, s[4:5]
	s_cbranch_vccnz .LBB134_1092
; %bb.1091:
	v_cvt_i32_f64_e32 v2, v[0:1]
	global_store_dword v[4:5], v2, off
.LBB134_1092:
	s_mov_b64 s[4:5], 0
.LBB134_1093:
	s_andn2_b64 vcc, exec, s[4:5]
	s_cbranch_vccnz .LBB134_1095
; %bb.1094:
	v_cvt_i32_f64_e32 v2, v[0:1]
	global_store_short v[4:5], v2, off
.LBB134_1095:
	s_mov_b64 s[4:5], 0
.LBB134_1096:
	s_andn2_b64 vcc, exec, s[4:5]
	s_cbranch_vccnz .LBB134_1101
; %bb.1097:
	s_sext_i32_i16 s4, s16
	s_cmp_gt_i32 s4, 0
	s_mov_b64 s[4:5], -1
	s_cbranch_scc0 .LBB134_1099
; %bb.1098:
	v_cvt_i32_f64_e32 v2, v[0:1]
	s_mov_b64 s[4:5], 0
	global_store_byte v[4:5], v2, off
.LBB134_1099:
	s_andn2_b64 vcc, exec, s[4:5]
	s_cbranch_vccnz .LBB134_1101
; %bb.1100:
	v_trunc_f64_e32 v[0:1], v[0:1]
	s_movk_i32 s4, 0xffe0
	v_ldexp_f64 v[2:3], v[0:1], s4
	s_mov_b32 s4, 0
	s_mov_b32 s5, 0xc1f00000
	v_floor_f64_e32 v[2:3], v[2:3]
	v_fma_f64 v[0:1], v[2:3], s[4:5], v[0:1]
	v_cvt_u32_f64_e32 v0, v[0:1]
	global_store_byte v[4:5], v0, off
	s_endpgm
.LBB134_1101:
	s_endpgm
.LBB134_1102:
	s_mov_b64 s[8:9], 0
	s_mov_b64 s[4:5], -1
	s_branch .LBB134_1058
.LBB134_1103:
	s_andn2_saveexec_b64 s[12:13], s[12:13]
	s_cbranch_execz .LBB134_655
.LBB134_1104:
	s_mov_b32 s16, 0x46000000
	v_add_f32_e64 v5, |v4|, s16
	v_and_b32_e32 v5, 0xff, v5
	v_cmp_ne_u32_e32 vcc, 0, v5
	s_andn2_b64 s[10:11], s[10:11], exec
	s_and_b64 s[16:17], vcc, exec
	s_or_b64 s[10:11], s[10:11], s[16:17]
	s_or_b64 exec, exec, s[12:13]
	v_mov_b32_e32 v6, 0
	s_and_saveexec_b64 s[12:13], s[10:11]
	s_cbranch_execnz .LBB134_656
	s_branch .LBB134_657
.LBB134_1105:
	s_or_b64 s[6:7], s[40:41], exec
	s_trap 2
	s_cbranch_execz .LBB134_703
	s_branch .LBB134_704
.LBB134_1106:
	s_andn2_saveexec_b64 s[10:11], s[10:11]
	s_cbranch_execz .LBB134_668
.LBB134_1107:
	s_mov_b32 s12, 0x42800000
	v_add_f32_e64 v5, |v4|, s12
	v_and_b32_e32 v5, 0xff, v5
	v_cmp_ne_u32_e32 vcc, 0, v5
	s_andn2_b64 s[8:9], s[8:9], exec
	s_and_b64 s[12:13], vcc, exec
	s_or_b64 s[8:9], s[8:9], s[12:13]
	s_or_b64 exec, exec, s[10:11]
	v_mov_b32_e32 v6, 0
	s_and_saveexec_b64 s[10:11], s[8:9]
	s_cbranch_execnz .LBB134_669
	s_branch .LBB134_670
.LBB134_1108:
	s_andn2_saveexec_b64 s[14:15], s[14:15]
	s_cbranch_execz .LBB134_773
.LBB134_1109:
	s_mov_b32 s18, 0x46000000
	v_add_f32_e64 v5, |v4|, s18
	v_and_b32_e32 v5, 0xff, v5
	v_cmp_ne_u32_e32 vcc, 0, v5
	s_andn2_b64 s[12:13], s[12:13], exec
	s_and_b64 s[18:19], vcc, exec
	s_or_b64 s[12:13], s[12:13], s[18:19]
	s_or_b64 exec, exec, s[14:15]
	v_mov_b32_e32 v6, 0
	s_and_saveexec_b64 s[14:15], s[12:13]
	s_cbranch_execnz .LBB134_774
	s_branch .LBB134_775
.LBB134_1110:
	s_trap 2
	s_or_b64 s[6:7], s[6:7], exec
	s_cbranch_execz .LBB134_821
	s_branch .LBB134_822
.LBB134_1111:
	s_andn2_saveexec_b64 s[12:13], s[12:13]
	s_cbranch_execz .LBB134_786
.LBB134_1112:
	s_mov_b32 s14, 0x42800000
	v_add_f32_e64 v5, |v4|, s14
	v_and_b32_e32 v5, 0xff, v5
	v_cmp_ne_u32_e32 vcc, 0, v5
	s_andn2_b64 s[10:11], s[10:11], exec
	s_and_b64 s[14:15], vcc, exec
	s_or_b64 s[10:11], s[10:11], s[14:15]
	s_or_b64 exec, exec, s[12:13]
	v_mov_b32_e32 v6, 0
	s_and_saveexec_b64 s[12:13], s[10:11]
	s_cbranch_execnz .LBB134_787
	s_branch .LBB134_788
.LBB134_1113:
	s_andn2_saveexec_b64 s[14:15], s[14:15]
	s_cbranch_execz .LBB134_891
.LBB134_1114:
	s_mov_b32 s18, 0x46000000
	v_add_f32_e64 v5, |v4|, s18
	v_and_b32_e32 v5, 0xff, v5
	v_cmp_ne_u32_e32 vcc, 0, v5
	s_andn2_b64 s[12:13], s[12:13], exec
	s_and_b64 s[18:19], vcc, exec
	s_or_b64 s[12:13], s[12:13], s[18:19]
	s_or_b64 exec, exec, s[14:15]
	v_mov_b32_e32 v6, 0
	s_and_saveexec_b64 s[14:15], s[12:13]
	s_cbranch_execnz .LBB134_892
	s_branch .LBB134_893
.LBB134_1115:
	s_trap 2
	s_or_b64 s[6:7], s[6:7], exec
	s_cbranch_execz .LBB134_939
	s_branch .LBB134_940
.LBB134_1116:
	s_andn2_saveexec_b64 s[12:13], s[12:13]
	s_cbranch_execz .LBB134_904
.LBB134_1117:
	s_mov_b32 s14, 0x42800000
	v_add_f32_e64 v5, |v4|, s14
	v_and_b32_e32 v5, 0xff, v5
	v_cmp_ne_u32_e32 vcc, 0, v5
	s_andn2_b64 s[10:11], s[10:11], exec
	s_and_b64 s[14:15], vcc, exec
	s_or_b64 s[10:11], s[10:11], s[14:15]
	s_or_b64 exec, exec, s[12:13]
	v_mov_b32_e32 v6, 0
	s_and_saveexec_b64 s[12:13], s[10:11]
	s_cbranch_execnz .LBB134_905
	s_branch .LBB134_906
.LBB134_1118:
	s_andn2_saveexec_b64 s[14:15], s[14:15]
	s_cbranch_execz .LBB134_971
.LBB134_1119:
	s_mov_b32 s18, 0x46000000
	v_add_f32_e64 v3, |v2|, s18
	v_and_b32_e32 v3, 0xff, v3
	v_cmp_ne_u32_e32 vcc, 0, v3
	s_andn2_b64 s[12:13], s[12:13], exec
	s_and_b64 s[18:19], vcc, exec
	s_or_b64 s[12:13], s[12:13], s[18:19]
	s_or_b64 exec, exec, s[14:15]
	v_mov_b32_e32 v6, 0
	s_and_saveexec_b64 s[14:15], s[12:13]
	s_cbranch_execnz .LBB134_972
	s_branch .LBB134_973
.LBB134_1120:
	s_mov_b64 s[8:9], 0
	s_or_b64 s[6:7], s[6:7], exec
	s_trap 2
	s_branch .LBB134_1017
.LBB134_1121:
	s_andn2_saveexec_b64 s[10:11], s[10:11]
	s_cbranch_execz .LBB134_480
.LBB134_1122:
	s_mov_b32 s12, 0x46000000
	v_add_f32_e64 v3, |v2|, s12
	v_and_b32_e32 v3, 0xff, v3
	v_cmp_ne_u32_e32 vcc, 0, v3
	s_andn2_b64 s[8:9], s[8:9], exec
	s_and_b64 s[12:13], vcc, exec
	s_or_b64 s[8:9], s[8:9], s[12:13]
	s_or_b64 exec, exec, s[10:11]
	v_mov_b32_e32 v6, 0
	s_and_saveexec_b64 s[10:11], s[8:9]
	s_cbranch_execnz .LBB134_481
	s_branch .LBB134_482
.LBB134_1123:
	s_andn2_saveexec_b64 s[12:13], s[12:13]
	s_cbranch_execz .LBB134_983
.LBB134_1124:
	s_mov_b32 s14, 0x42800000
	v_add_f32_e64 v3, |v2|, s14
	v_and_b32_e32 v3, 0xff, v3
	v_cmp_ne_u32_e32 vcc, 0, v3
	s_andn2_b64 s[10:11], s[10:11], exec
	s_and_b64 s[14:15], vcc, exec
	s_or_b64 s[10:11], s[10:11], s[14:15]
	s_or_b64 exec, exec, s[12:13]
	v_mov_b32_e32 v6, 0
	s_and_saveexec_b64 s[12:13], s[10:11]
	s_cbranch_execnz .LBB134_984
	s_branch .LBB134_985
.LBB134_1125:
	s_andn2_saveexec_b64 s[12:13], s[12:13]
	s_cbranch_execz .LBB134_492
.LBB134_1126:
	s_mov_b32 s16, 0x42800000
	v_add_f32_e64 v3, |v2|, s16
	v_and_b32_e32 v3, 0xff, v3
	v_cmp_ne_u32_e32 vcc, 0, v3
	s_andn2_b64 s[10:11], s[10:11], exec
	s_and_b64 s[16:17], vcc, exec
	s_or_b64 s[10:11], s[10:11], s[16:17]
	s_or_b64 exec, exec, s[12:13]
	v_mov_b32_e32 v6, 0
	s_and_saveexec_b64 s[12:13], s[10:11]
	s_cbranch_execnz .LBB134_493
	s_branch .LBB134_494
	.section	.rodata,"a",@progbits
	.p2align	6, 0x0
	.amdhsa_kernel _ZN2at6native32elementwise_kernel_manual_unrollILi128ELi4EZNS0_15gpu_kernel_implIZZZNS0_18lgamma_kernel_cudaERNS_18TensorIteratorBaseEENKUlvE_clEvENKUlvE_clEvEUldE_EEvS4_RKT_EUlibE0_EEviT1_
		.amdhsa_group_segment_fixed_size 0
		.amdhsa_private_segment_fixed_size 0
		.amdhsa_kernarg_size 360
		.amdhsa_user_sgpr_count 6
		.amdhsa_user_sgpr_private_segment_buffer 1
		.amdhsa_user_sgpr_dispatch_ptr 0
		.amdhsa_user_sgpr_queue_ptr 0
		.amdhsa_user_sgpr_kernarg_segment_ptr 1
		.amdhsa_user_sgpr_dispatch_id 0
		.amdhsa_user_sgpr_flat_scratch_init 0
		.amdhsa_user_sgpr_private_segment_size 0
		.amdhsa_uses_dynamic_stack 0
		.amdhsa_system_sgpr_private_segment_wavefront_offset 0
		.amdhsa_system_sgpr_workgroup_id_x 1
		.amdhsa_system_sgpr_workgroup_id_y 0
		.amdhsa_system_sgpr_workgroup_id_z 0
		.amdhsa_system_sgpr_workgroup_info 0
		.amdhsa_system_vgpr_workitem_id 0
		.amdhsa_next_free_vgpr 46
		.amdhsa_next_free_sgpr 79
		.amdhsa_reserve_vcc 1
		.amdhsa_reserve_flat_scratch 0
		.amdhsa_float_round_mode_32 0
		.amdhsa_float_round_mode_16_64 0
		.amdhsa_float_denorm_mode_32 3
		.amdhsa_float_denorm_mode_16_64 3
		.amdhsa_dx10_clamp 1
		.amdhsa_ieee_mode 1
		.amdhsa_fp16_overflow 0
		.amdhsa_exception_fp_ieee_invalid_op 0
		.amdhsa_exception_fp_denorm_src 0
		.amdhsa_exception_fp_ieee_div_zero 0
		.amdhsa_exception_fp_ieee_overflow 0
		.amdhsa_exception_fp_ieee_underflow 0
		.amdhsa_exception_fp_ieee_inexact 0
		.amdhsa_exception_int_div_zero 0
	.end_amdhsa_kernel
	.section	.text._ZN2at6native32elementwise_kernel_manual_unrollILi128ELi4EZNS0_15gpu_kernel_implIZZZNS0_18lgamma_kernel_cudaERNS_18TensorIteratorBaseEENKUlvE_clEvENKUlvE_clEvEUldE_EEvS4_RKT_EUlibE0_EEviT1_,"axG",@progbits,_ZN2at6native32elementwise_kernel_manual_unrollILi128ELi4EZNS0_15gpu_kernel_implIZZZNS0_18lgamma_kernel_cudaERNS_18TensorIteratorBaseEENKUlvE_clEvENKUlvE_clEvEUldE_EEvS4_RKT_EUlibE0_EEviT1_,comdat
.Lfunc_end134:
	.size	_ZN2at6native32elementwise_kernel_manual_unrollILi128ELi4EZNS0_15gpu_kernel_implIZZZNS0_18lgamma_kernel_cudaERNS_18TensorIteratorBaseEENKUlvE_clEvENKUlvE_clEvEUldE_EEvS4_RKT_EUlibE0_EEviT1_, .Lfunc_end134-_ZN2at6native32elementwise_kernel_manual_unrollILi128ELi4EZNS0_15gpu_kernel_implIZZZNS0_18lgamma_kernel_cudaERNS_18TensorIteratorBaseEENKUlvE_clEvENKUlvE_clEvEUldE_EEvS4_RKT_EUlibE0_EEviT1_
                                        ; -- End function
	.set _ZN2at6native32elementwise_kernel_manual_unrollILi128ELi4EZNS0_15gpu_kernel_implIZZZNS0_18lgamma_kernel_cudaERNS_18TensorIteratorBaseEENKUlvE_clEvENKUlvE_clEvEUldE_EEvS4_RKT_EUlibE0_EEviT1_.num_vgpr, max(46, .L_ZN2at6native6invokeIZZZNS0_18lgamma_kernel_cudaERNS_18TensorIteratorBaseEENKUlvE_clEvENKUlvE_clEvEUldE_j15function_traitsIS6_EEENT1_11result_typeERKT_PrKPcPKT0_PKN3c1010ScalarTypeEi.num_vgpr)
	.set _ZN2at6native32elementwise_kernel_manual_unrollILi128ELi4EZNS0_15gpu_kernel_implIZZZNS0_18lgamma_kernel_cudaERNS_18TensorIteratorBaseEENKUlvE_clEvENKUlvE_clEvEUldE_EEvS4_RKT_EUlibE0_EEviT1_.num_agpr, max(0, .L_ZN2at6native6invokeIZZZNS0_18lgamma_kernel_cudaERNS_18TensorIteratorBaseEENKUlvE_clEvENKUlvE_clEvEUldE_j15function_traitsIS6_EEENT1_11result_typeERKT_PrKPcPKT0_PKN3c1010ScalarTypeEi.num_agpr)
	.set _ZN2at6native32elementwise_kernel_manual_unrollILi128ELi4EZNS0_15gpu_kernel_implIZZZNS0_18lgamma_kernel_cudaERNS_18TensorIteratorBaseEENKUlvE_clEvENKUlvE_clEvEUldE_EEvS4_RKT_EUlibE0_EEviT1_.numbered_sgpr, max(79, .L_ZN2at6native6invokeIZZZNS0_18lgamma_kernel_cudaERNS_18TensorIteratorBaseEENKUlvE_clEvENKUlvE_clEvEUldE_j15function_traitsIS6_EEENT1_11result_typeERKT_PrKPcPKT0_PKN3c1010ScalarTypeEi.numbered_sgpr)
	.set _ZN2at6native32elementwise_kernel_manual_unrollILi128ELi4EZNS0_15gpu_kernel_implIZZZNS0_18lgamma_kernel_cudaERNS_18TensorIteratorBaseEENKUlvE_clEvENKUlvE_clEvEUldE_EEvS4_RKT_EUlibE0_EEviT1_.num_named_barrier, max(0, .L_ZN2at6native6invokeIZZZNS0_18lgamma_kernel_cudaERNS_18TensorIteratorBaseEENKUlvE_clEvENKUlvE_clEvEUldE_j15function_traitsIS6_EEENT1_11result_typeERKT_PrKPcPKT0_PKN3c1010ScalarTypeEi.num_named_barrier)
	.set _ZN2at6native32elementwise_kernel_manual_unrollILi128ELi4EZNS0_15gpu_kernel_implIZZZNS0_18lgamma_kernel_cudaERNS_18TensorIteratorBaseEENKUlvE_clEvENKUlvE_clEvEUldE_EEvS4_RKT_EUlibE0_EEviT1_.private_seg_size, 0+max(.L_ZN2at6native6invokeIZZZNS0_18lgamma_kernel_cudaERNS_18TensorIteratorBaseEENKUlvE_clEvENKUlvE_clEvEUldE_j15function_traitsIS6_EEENT1_11result_typeERKT_PrKPcPKT0_PKN3c1010ScalarTypeEi.private_seg_size)
	.set _ZN2at6native32elementwise_kernel_manual_unrollILi128ELi4EZNS0_15gpu_kernel_implIZZZNS0_18lgamma_kernel_cudaERNS_18TensorIteratorBaseEENKUlvE_clEvENKUlvE_clEvEUldE_EEvS4_RKT_EUlibE0_EEviT1_.uses_vcc, or(1, .L_ZN2at6native6invokeIZZZNS0_18lgamma_kernel_cudaERNS_18TensorIteratorBaseEENKUlvE_clEvENKUlvE_clEvEUldE_j15function_traitsIS6_EEENT1_11result_typeERKT_PrKPcPKT0_PKN3c1010ScalarTypeEi.uses_vcc)
	.set _ZN2at6native32elementwise_kernel_manual_unrollILi128ELi4EZNS0_15gpu_kernel_implIZZZNS0_18lgamma_kernel_cudaERNS_18TensorIteratorBaseEENKUlvE_clEvENKUlvE_clEvEUldE_EEvS4_RKT_EUlibE0_EEviT1_.uses_flat_scratch, or(0, .L_ZN2at6native6invokeIZZZNS0_18lgamma_kernel_cudaERNS_18TensorIteratorBaseEENKUlvE_clEvENKUlvE_clEvEUldE_j15function_traitsIS6_EEENT1_11result_typeERKT_PrKPcPKT0_PKN3c1010ScalarTypeEi.uses_flat_scratch)
	.set _ZN2at6native32elementwise_kernel_manual_unrollILi128ELi4EZNS0_15gpu_kernel_implIZZZNS0_18lgamma_kernel_cudaERNS_18TensorIteratorBaseEENKUlvE_clEvENKUlvE_clEvEUldE_EEvS4_RKT_EUlibE0_EEviT1_.has_dyn_sized_stack, or(0, .L_ZN2at6native6invokeIZZZNS0_18lgamma_kernel_cudaERNS_18TensorIteratorBaseEENKUlvE_clEvENKUlvE_clEvEUldE_j15function_traitsIS6_EEENT1_11result_typeERKT_PrKPcPKT0_PKN3c1010ScalarTypeEi.has_dyn_sized_stack)
	.set _ZN2at6native32elementwise_kernel_manual_unrollILi128ELi4EZNS0_15gpu_kernel_implIZZZNS0_18lgamma_kernel_cudaERNS_18TensorIteratorBaseEENKUlvE_clEvENKUlvE_clEvEUldE_EEvS4_RKT_EUlibE0_EEviT1_.has_recursion, or(0, .L_ZN2at6native6invokeIZZZNS0_18lgamma_kernel_cudaERNS_18TensorIteratorBaseEENKUlvE_clEvENKUlvE_clEvEUldE_j15function_traitsIS6_EEENT1_11result_typeERKT_PrKPcPKT0_PKN3c1010ScalarTypeEi.has_recursion)
	.set _ZN2at6native32elementwise_kernel_manual_unrollILi128ELi4EZNS0_15gpu_kernel_implIZZZNS0_18lgamma_kernel_cudaERNS_18TensorIteratorBaseEENKUlvE_clEvENKUlvE_clEvEUldE_EEvS4_RKT_EUlibE0_EEviT1_.has_indirect_call, or(0, .L_ZN2at6native6invokeIZZZNS0_18lgamma_kernel_cudaERNS_18TensorIteratorBaseEENKUlvE_clEvENKUlvE_clEvEUldE_j15function_traitsIS6_EEENT1_11result_typeERKT_PrKPcPKT0_PKN3c1010ScalarTypeEi.has_indirect_call)
	.section	.AMDGPU.csdata,"",@progbits
; Kernel info:
; codeLenInByte = 25820
; TotalNumSgprs: 83
; NumVgprs: 46
; ScratchSize: 0
; MemoryBound: 0
; FloatMode: 240
; IeeeMode: 1
; LDSByteSize: 0 bytes/workgroup (compile time only)
; SGPRBlocks: 10
; VGPRBlocks: 11
; NumSGPRsForWavesPerEU: 83
; NumVGPRsForWavesPerEU: 46
; Occupancy: 5
; WaveLimiterHint : 1
; COMPUTE_PGM_RSRC2:SCRATCH_EN: 0
; COMPUTE_PGM_RSRC2:USER_SGPR: 6
; COMPUTE_PGM_RSRC2:TRAP_HANDLER: 0
; COMPUTE_PGM_RSRC2:TGID_X_EN: 1
; COMPUTE_PGM_RSRC2:TGID_Y_EN: 0
; COMPUTE_PGM_RSRC2:TGID_Z_EN: 0
; COMPUTE_PGM_RSRC2:TIDIG_COMP_CNT: 0
	.text
	.p2align	2                               ; -- Begin function _ZN2at6native25elementwise_kernel_helperILb0EZZZNS0_18lgamma_kernel_cudaERNS_18TensorIteratorBaseEENKUlvE_clEvENKUlvE0_clEvEUlfE_NS0_6memory8policies11unroll_baseILi256ESt5arrayIPcLm2EE23TrivialOffsetCalculatorILi1EjESE_NS7_15LoadWithoutCastENS7_16StoreWithoutCastELi4ELi1EEEEEvT0_T1_
	.type	_ZN2at6native25elementwise_kernel_helperILb0EZZZNS0_18lgamma_kernel_cudaERNS_18TensorIteratorBaseEENKUlvE_clEvENKUlvE0_clEvEUlfE_NS0_6memory8policies11unroll_baseILi256ESt5arrayIPcLm2EE23TrivialOffsetCalculatorILi1EjESE_NS7_15LoadWithoutCastENS7_16StoreWithoutCastELi4ELi1EEEEEvT0_T1_,@function
_ZN2at6native25elementwise_kernel_helperILb0EZZZNS0_18lgamma_kernel_cudaERNS_18TensorIteratorBaseEENKUlvE_clEvENKUlvE0_clEvEUlfE_NS0_6memory8policies11unroll_baseILi256ESt5arrayIPcLm2EE23TrivialOffsetCalculatorILi1EjESE_NS7_15LoadWithoutCastENS7_16StoreWithoutCastELi4ELi1EEEEEvT0_T1_: ; @_ZN2at6native25elementwise_kernel_helperILb0EZZZNS0_18lgamma_kernel_cudaERNS_18TensorIteratorBaseEENKUlvE_clEvENKUlvE0_clEvEUlfE_NS0_6memory8policies11unroll_baseILi256ESt5arrayIPcLm2EE23TrivialOffsetCalculatorILi1EjESE_NS7_15LoadWithoutCastENS7_16StoreWithoutCastELi4ELi1EEEEEvT0_T1_
; %bb.0:
	s_waitcnt vmcnt(0) expcnt(0) lgkmcnt(0)
	v_and_b32_e32 v7, 0x3ff, v31
	s_lshl_b32 s18, s12, 10
	v_cmp_lt_i32_e32 vcc, v7, v4
	v_mov_b32_e32 v11, 0
	v_or_b32_e32 v5, s18, v7
	v_mov_b32_e32 v13, 0
	v_mov_b32_e32 v9, v7
	s_and_saveexec_b64 s[6:7], vcc
	s_cbranch_execz .LBB135_2
; %bb.1:
	v_mov_b32_e32 v6, 0
	v_lshlrev_b64 v[8:9], 2, v[5:6]
	v_add_co_u32_e64 v8, s[4:5], v2, v8
	v_addc_co_u32_e64 v9, s[4:5], v3, v9, s[4:5]
	flat_load_dword v13, v[8:9]
	v_add_u32_e32 v9, 0x100, v7
.LBB135_2:
	s_or_b64 exec, exec, s[6:7]
	v_cmp_lt_i32_e64 s[4:5], v9, v4
	s_and_saveexec_b64 s[6:7], s[4:5]
	s_cbranch_execz .LBB135_4
; %bb.3:
	v_add_u32_e32 v10, s18, v9
	v_mov_b32_e32 v11, 0
	v_lshlrev_b64 v[10:11], 2, v[10:11]
	v_add_u32_e32 v9, 0x100, v9
	v_add_co_u32_e64 v10, s[4:5], v2, v10
	v_addc_co_u32_e64 v11, s[4:5], v3, v11, s[4:5]
	flat_load_dword v11, v[10:11]
.LBB135_4:
	s_or_b64 exec, exec, s[6:7]
	v_cmp_lt_i32_e64 s[4:5], v9, v4
	v_mov_b32_e32 v6, 0
	v_mov_b32_e32 v8, 0
	s_and_saveexec_b64 s[6:7], s[4:5]
	s_cbranch_execz .LBB135_6
; %bb.5:
	v_add_u32_e32 v14, s18, v9
	v_mov_b32_e32 v15, 0
	v_lshlrev_b64 v[14:15], 2, v[14:15]
	v_add_u32_e32 v9, 0x100, v9
	v_add_co_u32_e64 v14, s[4:5], v2, v14
	v_addc_co_u32_e64 v15, s[4:5], v3, v15, s[4:5]
	flat_load_dword v8, v[14:15]
.LBB135_6:
	s_or_b64 exec, exec, s[6:7]
	v_cmp_lt_i32_e64 s[4:5], v9, v4
	s_and_saveexec_b64 s[6:7], s[4:5]
	s_cbranch_execz .LBB135_8
; %bb.7:
	v_add_u32_e32 v9, s18, v9
	v_mov_b32_e32 v10, 0
	v_lshlrev_b64 v[9:10], 2, v[9:10]
	v_add_co_u32_e64 v2, s[4:5], v2, v9
	v_addc_co_u32_e64 v3, s[4:5], v3, v10, s[4:5]
	flat_load_dword v6, v[2:3]
.LBB135_8:
	s_or_b64 exec, exec, s[6:7]
	v_mov_b32_e32 v2, 0
	v_mov_b32_e32 v12, v2
	;; [unrolled: 1-line block ×4, first 2 shown]
	s_and_saveexec_b64 s[10:11], vcc
	s_cbranch_execz .LBB135_48
; %bb.9:
	s_mov_b32 s4, 0x3c800000
	s_waitcnt vmcnt(0) lgkmcnt(0)
	v_and_b32_e32 v2, 0x7fffffff, v13
	v_cmp_nlt_f32_e64 s[4:5], |v13|, s4
                                        ; implicit-def: $vgpr3
	s_and_saveexec_b64 s[6:7], s[4:5]
	s_xor_b64 s[8:9], exec, s[6:7]
	s_cbranch_execz .LBB135_39
; %bb.10:
	v_cmp_nlt_f32_e64 s[4:5], |v13|, 2.0
                                        ; implicit-def: $vgpr3
	s_and_saveexec_b64 s[6:7], s[4:5]
	s_xor_b64 s[12:13], exec, s[6:7]
	s_cbranch_execz .LBB135_20
; %bb.11:
	s_mov_b32 s4, 0x41000000
	v_cmp_nlt_f32_e64 s[4:5], |v13|, s4
                                        ; implicit-def: $vgpr3
	s_and_saveexec_b64 s[6:7], s[4:5]
	s_xor_b64 s[14:15], exec, s[6:7]
	s_cbranch_execz .LBB135_17
; %bb.12:
	s_mov_b32 s4, 0x5c800000
	v_cmp_nlt_f32_e64 s[4:5], |v13|, s4
                                        ; implicit-def: $vgpr3
	s_and_saveexec_b64 s[6:7], s[4:5]
	s_xor_b64 s[16:17], exec, s[6:7]
	s_cbranch_execz .LBB135_14
; %bb.13:
	s_mov_b32 s4, 0x800000
	v_cmp_lt_f32_e64 s[4:5], |v13|, s4
	v_cndmask_b32_e64 v3, 0, 32, s[4:5]
	v_ldexp_f32 v3, |v13|, v3
	v_log_f32_e32 v3, v3
	s_mov_b32 s6, 0x3f317217
	s_mov_b32 s7, 0x7f800000
	v_mul_f32_e32 v9, 0x3f317217, v3
	v_fma_f32 v10, v3, s6, -v9
	v_fmac_f32_e32 v10, 0x3377d1cf, v3
	v_add_f32_e32 v9, v9, v10
	v_cmp_lt_f32_e64 s[6:7], |v3|, s7
	v_cndmask_b32_e64 v3, v3, v9, s[6:7]
	v_mov_b32_e32 v9, 0x41b17218
	v_cndmask_b32_e64 v9, 0, v9, s[4:5]
	v_sub_f32_e32 v3, v3, v9
	v_fma_f32 v3, |v13|, v3, -|v13|
.LBB135_14:
	s_andn2_saveexec_b64 s[16:17], s[16:17]
	s_cbranch_execz .LBB135_16
; %bb.15:
	v_rcp_f32_e64 v9, |v13|
	v_mov_b32_e32 v3, 0x3a5b3dd2
	v_mov_b32_e32 v10, 0xba1c065c
	;; [unrolled: 1-line block ×3, first 2 shown]
	v_mul_f32_e32 v14, v9, v9
	v_fmac_f32_e32 v3, 0xbad5c4e8, v14
	v_fmac_f32_e32 v10, v14, v3
	s_mov_b32 s4, 0x800000
	v_fmac_f32_e32 v12, v14, v10
	v_mov_b32_e32 v3, 0xbb360b61
	v_cmp_lt_f32_e64 s[4:5], |v13|, s4
	v_fmac_f32_e32 v3, v14, v12
	v_cndmask_b32_e64 v12, 0, 32, s[4:5]
	v_ldexp_f32 v12, |v13|, v12
	v_log_f32_e32 v12, v12
	v_mov_b32_e32 v10, 0x3daaaaab
	v_fmac_f32_e32 v10, v14, v3
	v_mov_b32_e32 v3, 0x3ed67f1d
	v_fmac_f32_e32 v3, v9, v10
	s_mov_b32 s6, 0x3f317217
	v_mul_f32_e32 v10, 0x3f317217, v12
	v_fma_f32 v14, v12, s6, -v10
	v_fmac_f32_e32 v14, 0x3377d1cf, v12
	s_mov_b32 s6, 0x7f800000
	v_add_f32_e32 v10, v10, v14
	v_cmp_lt_f32_e64 s[6:7], |v12|, s6
	v_cndmask_b32_e64 v10, v12, v10, s[6:7]
	v_mov_b32_e32 v12, 0x41b17218
	v_cndmask_b32_e64 v12, 0, v12, s[4:5]
	v_sub_f32_e32 v10, v10, v12
	v_add_f32_e64 v9, |v13|, -0.5
	v_add_f32_e32 v10, -1.0, v10
	v_fmac_f32_e32 v3, v9, v10
.LBB135_16:
	s_or_b64 exec, exec, s[16:17]
.LBB135_17:
	s_andn2_saveexec_b64 s[14:15], s[14:15]
	s_cbranch_execz .LBB135_19
; %bb.18:
	v_cvt_i32_f32_e32 v3, v2
	v_mov_b32_e32 v9, 0x3af135b4
	v_mov_b32_e32 v10, 0x3cda40e4
	;; [unrolled: 1-line block ×3, first 2 shown]
	v_cvt_f32_i32_e32 v14, v3
	v_mov_b32_e32 v15, 0x3ea6cc7a
	v_mov_b32_e32 v16, 0x3e5c245a
	v_cmp_lt_i32_e64 s[4:5], 2, v3
	v_sub_f32_e64 v14, |v13|, v14
	v_fmac_f32_e32 v9, 0x3805ff67, v14
	v_fmac_f32_e32 v10, v14, v9
	;; [unrolled: 1-line block ×3, first 2 shown]
	v_mov_b32_e32 v10, 0x3a4beed6
	v_fmac_f32_e32 v15, v14, v12
	v_fmac_f32_e32 v10, 0x36f5d7bd, v14
	v_mov_b32_e32 v12, 0x3c98bf54
	v_fmac_f32_e32 v12, v14, v10
	v_mov_b32_e32 v10, 0x3e300f6e
	;; [unrolled: 2-line block ×4, first 2 shown]
	v_fmac_f32_e32 v10, v14, v12
	v_add_f32_e32 v12, 2.0, v14
	v_mov_b32_e32 v17, 0xbd9e233f
	v_fmac_f32_e32 v16, v14, v15
	v_add_f32_e32 v15, 0x40400000, v14
	v_cndmask_b32_e64 v12, 1.0, v12, s[4:5]
	v_cmp_lt_i32_e64 s[4:5], 3, v3
	v_fmac_f32_e32 v17, v14, v16
	v_add_f32_e32 v16, 4.0, v14
	v_cndmask_b32_e64 v15, 1.0, v15, s[4:5]
	v_cmp_lt_i32_e64 s[4:5], 4, v3
	v_mul_f32_e32 v9, v14, v17
	v_add_f32_e32 v17, 0x40a00000, v14
	v_mul_f32_e32 v12, v12, v15
	v_cndmask_b32_e64 v15, 1.0, v16, s[4:5]
	v_cmp_lt_i32_e64 s[4:5], 5, v3
	v_add_f32_e32 v18, 0x40c00000, v14
	v_mul_f32_e32 v12, v15, v12
	v_cndmask_b32_e64 v15, 1.0, v17, s[4:5]
	v_cmp_lt_i32_e64 s[4:5], 6, v3
	v_mul_f32_e32 v12, v15, v12
	v_cndmask_b32_e64 v3, 1.0, v18, s[4:5]
	v_mul_f32_e32 v3, v3, v12
	s_mov_b32 s4, 0x800000
	v_cmp_gt_f32_e64 s[4:5], s4, v3
	v_cndmask_b32_e64 v12, 0, 32, s[4:5]
	v_fma_f32 v10, v14, v10, 1.0
	v_ldexp_f32 v3, v3, v12
	v_rcp_f32_e32 v10, v10
	v_log_f32_e32 v3, v3
	s_mov_b32 s6, 0x3f317217
	v_mul_f32_e32 v9, v9, v10
	v_mul_f32_e32 v10, 0x3f317217, v3
	v_fma_f32 v12, v3, s6, -v10
	v_fmac_f32_e32 v12, 0x3377d1cf, v3
	s_mov_b32 s6, 0x7f800000
	v_add_f32_e32 v10, v10, v12
	v_cmp_lt_f32_e64 s[6:7], |v3|, s6
	v_cndmask_b32_e64 v3, v3, v10, s[6:7]
	v_mov_b32_e32 v10, 0x41b17218
	v_cndmask_b32_e64 v10, 0, v10, s[4:5]
	v_fmac_f32_e32 v9, 0.5, v14
	v_sub_f32_e32 v3, v3, v10
	v_add_f32_e32 v3, v3, v9
.LBB135_19:
	s_or_b64 exec, exec, s[14:15]
.LBB135_20:
	s_andn2_saveexec_b64 s[12:13], s[12:13]
	s_cbranch_execz .LBB135_38
; %bb.21:
	s_mov_b32 s4, 0x3f666666
	v_cmp_le_f32_e64 s[4:5], |v13|, s4
                                        ; implicit-def: $vgpr3
                                        ; implicit-def: $vgpr10
                                        ; implicit-def: $vgpr9
	s_and_saveexec_b64 s[6:7], s[4:5]
	s_xor_b64 s[14:15], exec, s[6:7]
	s_cbranch_execz .LBB135_23
; %bb.22:
	s_mov_b32 s4, 0x800000
	v_cmp_lt_f32_e64 s[4:5], |v13|, s4
	v_cndmask_b32_e64 v3, 0, 32, s[4:5]
	v_ldexp_f32 v3, |v13|, v3
	v_log_f32_e32 v3, v3
	s_mov_b32 s6, 0x3f317217
	s_mov_b32 s7, 0x7f800000
	v_mul_f32_e32 v9, 0x3f317217, v3
	v_fma_f32 v10, v3, s6, -v9
	v_fmac_f32_e32 v10, 0x3377d1cf, v3
	v_add_f32_e32 v9, v9, v10
	v_cmp_lt_f32_e64 s[6:7], |v3|, s7
	v_cndmask_b32_e64 v3, v3, v9, s[6:7]
	v_mov_b32_e32 v9, 0x41b17218
	v_cndmask_b32_e64 v9, 0, v9, s[4:5]
	s_mov_b32 s4, 0x3f3b4a23
	s_mov_b32 s5, 0xbeec5b0c
	v_sub_f32_e32 v3, v3, v9
	v_sub_f32_e64 v9, 1.0, |v13|
	v_add_f32_e64 v10, |v13|, s5
	v_cmp_lt_f32_e64 s[4:5], |v13|, s4
	v_cndmask_b32_e64 v9, v9, v10, s[4:5]
	v_cndmask_b32_e64 v10, 0, 1, s[4:5]
	s_mov_b32 s4, 0x3e6d3309
	v_cmp_lt_f32_e64 s[4:5], |v13|, s4
	v_xor_b32_e32 v3, 0x80000000, v3
	v_cndmask_b32_e64 v9, v9, |v13|, s[4:5]
	v_cndmask_b32_e64 v10, v10, 2, s[4:5]
.LBB135_23:
	s_andn2_saveexec_b64 s[6:7], s[14:15]
	s_cbranch_execz .LBB135_25
; %bb.24:
	s_mov_b32 s4, 0x3fdda512
	s_mov_b32 s5, 0xbfbb16c3
	v_sub_f32_e64 v3, 2.0, |v13|
	v_add_f32_e64 v9, |v13|, s5
	v_cmp_lt_f32_e64 s[4:5], |v13|, s4
	v_cndmask_b32_e64 v9, v3, v9, s[4:5]
	v_cndmask_b32_e64 v3, v3, 1.0, s[4:5]
	v_cvt_i32_f32_e32 v3, v3
	s_mov_b32 s4, 0x3f9d70a4
	v_add_f32_e64 v10, |v13|, -1.0
	v_cmp_lt_f32_e64 s[4:5], |v13|, s4
	v_cndmask_b32_e64 v9, v9, v10, s[4:5]
	v_cndmask_b32_e64 v10, v3, 2, s[4:5]
	v_mov_b32_e32 v3, 0
.LBB135_25:
	s_or_b64 exec, exec, s[6:7]
	v_cmp_lt_i32_e64 s[4:5], 0, v10
	s_and_saveexec_b64 s[6:7], s[4:5]
	s_xor_b64 s[6:7], exec, s[6:7]
	s_cbranch_execz .LBB135_33
; %bb.26:
	v_cmp_lt_i32_e64 s[4:5], 1, v10
	s_and_saveexec_b64 s[14:15], s[4:5]
	s_xor_b64 s[14:15], exec, s[14:15]
	s_cbranch_execz .LBB135_30
; %bb.27:
	v_cmp_eq_u32_e64 s[4:5], 2, v10
	s_and_saveexec_b64 s[16:17], s[4:5]
	s_cbranch_execz .LBB135_29
; %bb.28:
	v_mov_b32_e32 v10, 0x3e6a7578
	v_fmac_f32_e32 v10, 0x3c5b3c5e, v9
	v_mov_b32_e32 v12, 0x3f7a4bb2
	v_fmac_f32_e32 v12, v9, v10
	;; [unrolled: 2-line block ×8, first 2 shown]
	v_fma_f32 v10, v9, v14, 1.0
	v_rcp_f32_e32 v10, v10
	v_mov_b32_e32 v14, 0xbd9e233f
	v_fmac_f32_e32 v14, v9, v12
	v_mul_f32_e32 v12, v9, v14
	v_mul_f32_e32 v10, v12, v10
	v_fmac_f32_e32 v10, -0.5, v9
	v_add_f32_e32 v3, v3, v10
.LBB135_29:
	s_or_b64 exec, exec, s[16:17]
                                        ; implicit-def: $vgpr9
.LBB135_30:
	s_andn2_saveexec_b64 s[4:5], s[14:15]
	s_cbranch_execz .LBB135_32
; %bb.31:
	v_mul_f32_e32 v10, v9, v9
	v_mul_f32_e32 v12, v9, v10
	v_mov_b32_e32 v14, 0xbab7f476
	v_fmac_f32_e32 v14, 0x39a57b6b, v12
	v_mov_b32_e32 v15, 0x3bc7e707
	v_fmac_f32_e32 v15, v12, v14
	;; [unrolled: 2-line block ×12, first 2 shown]
	v_fmac_f32_e32 v16, v9, v17
	s_mov_b32 s14, 0xa2863e55
	v_fma_f32 v9, v12, -v16, s14
	v_fma_f32 v9, v10, v15, -v9
	v_add_f32_e32 v9, 0xbdf8cdce, v9
	v_add_f32_e32 v3, v3, v9
.LBB135_32:
	s_or_b64 exec, exec, s[4:5]
                                        ; implicit-def: $vgpr10
                                        ; implicit-def: $vgpr9
.LBB135_33:
	s_andn2_saveexec_b64 s[6:7], s[6:7]
	s_cbranch_execz .LBB135_37
; %bb.34:
	v_cmp_eq_u32_e64 s[4:5], 0, v10
	s_and_saveexec_b64 s[14:15], s[4:5]
	s_cbranch_execz .LBB135_36
; %bb.35:
	v_mul_f32_e32 v10, v9, v9
	v_mov_b32_e32 v12, 0x39679767
	v_fmac_f32_e32 v12, 0x37d383a2, v10
	v_mov_b32_e32 v14, 0x3a9c54a1
	v_fmac_f32_e32 v14, v10, v12
	;; [unrolled: 2-line block ×10, first 2 shown]
	v_mul_f32_e32 v10, v10, v14
	v_fmac_f32_e32 v10, v9, v12
	v_fmac_f32_e32 v10, -0.5, v9
	v_add_f32_e32 v3, v3, v10
.LBB135_36:
	s_or_b64 exec, exec, s[14:15]
.LBB135_37:
	s_or_b64 exec, exec, s[6:7]
.LBB135_38:
	s_or_b64 exec, exec, s[12:13]
.LBB135_39:
	s_andn2_saveexec_b64 s[8:9], s[8:9]
	s_cbranch_execz .LBB135_41
; %bb.40:
	s_mov_b32 s4, 0x3e8a8991
	v_mov_b32_e32 v3, 0xbecd26ab
	v_fma_f32 v3, |v13|, s4, v3
	s_mov_b32 s4, 0x3f528d33
	v_fma_f32 v3, |v13|, v3, s4
	s_mov_b32 s4, 0x800000
	v_cmp_lt_f32_e64 s[4:5], |v13|, s4
	v_cndmask_b32_e64 v9, 0, 32, s[4:5]
	v_ldexp_f32 v9, |v13|, v9
	v_log_f32_e32 v9, v9
	s_mov_b32 s6, 0xbf13c468
	v_fma_f32 v3, |v13|, v3, s6
	s_mov_b32 s6, 0x3f317217
	v_mul_f32_e32 v10, 0x3f317217, v9
	v_fma_f32 v12, v9, s6, -v10
	v_fmac_f32_e32 v12, 0x3377d1cf, v9
	s_mov_b32 s6, 0x7f800000
	v_add_f32_e32 v10, v10, v12
	v_cmp_lt_f32_e64 s[6:7], |v9|, s6
	v_cndmask_b32_e64 v9, v9, v10, s[6:7]
	v_mov_b32_e32 v10, 0x41b17218
	v_cndmask_b32_e64 v10, 0, v10, s[4:5]
	v_sub_f32_e32 v9, v9, v10
	v_fma_f32 v3, |v13|, v3, -v9
.LBB135_41:
	s_or_b64 exec, exec, s[8:9]
	v_cmp_le_f32_e64 s[4:5], 0, v13
	v_cmp_nle_f32_e64 s[6:7], 0, v13
	s_and_saveexec_b64 s[8:9], s[6:7]
	s_xor_b64 s[12:13], exec, s[8:9]
	s_cbranch_execz .LBB135_45
; %bb.42:
	s_mov_b32 s6, 0x4b000000
	s_mov_b32 s8, 0x35000000
	v_cmp_lt_f32_e64 s[6:7], |v13|, s6
	v_cmp_gt_f32_e64 s[8:9], |v13|, s8
	s_and_b64 s[6:7], s[6:7], s[8:9]
	s_and_saveexec_b64 s[14:15], s[6:7]
	s_cbranch_execz .LBB135_44
; %bb.43:
	v_mul_f32_e64 v9, |v13|, 0.5
	v_floor_f32_e32 v10, v9
	v_sub_f32_e32 v10, v9, v10
	v_min_f32_e32 v10, 0x3f7fffff, v10
	s_mov_b32 s8, 0x7f800000
	v_add_f32_e32 v10, v10, v10
	v_cmp_neq_f32_e64 s[6:7], s8, v9
	v_cndmask_b32_e64 v9, 0, v10, s[6:7]
	v_cmp_gt_f32_e64 s[6:7], |v13|, 1.0
	v_cndmask_b32_e64 v9, |v13|, v9, s[6:7]
	v_add_f32_e32 v10, v9, v9
	v_rndne_f32_e32 v10, v10
	v_fmac_f32_e32 v9, -0.5, v10
	v_mul_f32_e32 v12, v9, v9
	v_mov_b32_e32 v14, 0xbf1f24be
	v_fmac_f32_e32 v14, 0x3e75aa41, v12
	v_mov_b32_e32 v15, 0x40234736
	v_fmac_f32_e32 v15, v12, v14
	;; [unrolled: 2-line block ×3, first 2 shown]
	v_mul_f32_e32 v15, v9, v12
	v_mul_f32_e32 v14, v15, v14
	v_fmac_f32_e32 v14, 0x40490fdb, v9
	v_mov_b32_e32 v9, 0x3e642e9d
	v_cvt_i32_f32_e32 v10, v10
	v_fmac_f32_e32 v9, 0x3d4be544, v12
	v_mov_b32_e32 v15, 0xbfaad1da
	v_fmac_f32_e32 v15, v12, v9
	v_mov_b32_e32 v9, 0x4081e0d3
	;; [unrolled: 2-line block ×3, first 2 shown]
	v_fmac_f32_e32 v15, v12, v9
	v_fma_f32 v9, v12, v15, 1.0
	v_and_b32_e32 v12, 1, v10
	v_lshlrev_b32_e32 v10, 30, v10
	v_cmp_eq_u32_e64 s[6:7], 0, v12
	v_and_b32_e32 v10, 0x80000000, v10
	v_xor_b32_e32 v2, v2, v13
	v_cndmask_b32_e64 v9, v9, v14, s[6:7]
	v_xor_b32_e32 v2, v2, v10
	v_xor_b32_e32 v2, v2, v9
	v_mul_f32_e32 v2, v13, v2
	v_frexp_mant_f32_e64 v9, |v2|
	v_rcp_f32_e32 v9, v9
	v_frexp_exp_i32_f32_e32 v2, v2
	v_sub_u32_e32 v2, 2, v2
	s_mov_b32 s6, 0x800000
	v_mul_f32_e32 v9, 0x3f490fdb, v9
	v_ldexp_f32 v2, v9, v2
	v_cmp_gt_f32_e64 s[6:7], s6, v2
	v_cndmask_b32_e64 v9, 0, 32, s[6:7]
	v_ldexp_f32 v2, v2, v9
	v_log_f32_e32 v2, v2
	s_mov_b32 s9, 0x3f317217
	v_mul_f32_e32 v9, 0x3f317217, v2
	v_fma_f32 v10, v2, s9, -v9
	v_fmac_f32_e32 v10, 0x3377d1cf, v2
	v_add_f32_e32 v9, v9, v10
	v_cmp_lt_f32_e64 s[8:9], |v2|, s8
	v_cndmask_b32_e64 v2, v2, v9, s[8:9]
	v_mov_b32_e32 v9, 0x41b17218
	v_cndmask_b32_e64 v9, 0, v9, s[6:7]
	v_sub_f32_e32 v2, v2, v9
	v_sub_f32_e32 v2, v2, v3
	v_floor_f32_e32 v3, v13
	v_sub_f32_e32 v3, v13, v3
	v_min_f32_e32 v3, 0x3f7fffff, v3
	v_mov_b32_e32 v9, 0x7f800000
	v_cmp_neq_f32_e64 s[6:7], 0, v3
	v_cndmask_b32_e64 v3, v9, v2, s[6:7]
.LBB135_44:
	s_or_b64 exec, exec, s[14:15]
.LBB135_45:
	s_andn2_saveexec_b64 s[12:13], s[12:13]
; %bb.46:
	v_cmp_eq_f32_e64 s[6:7], 1.0, v13
	v_cmp_eq_f32_e64 s[8:9], 2.0, v13
	s_or_b64 s[6:7], s[6:7], s[8:9]
	v_cndmask_b32_e64 v3, v3, 0, s[6:7]
; %bb.47:
	s_or_b64 exec, exec, s[12:13]
	s_mov_b32 s6, 0x4b000000
	v_cmp_lt_f32_e64 s[6:7], |v13|, s6
	v_mov_b32_e32 v2, 0x264
	v_mov_b32_e32 v9, 0x7f800000
	s_or_b64 s[4:5], s[4:5], s[6:7]
	v_cndmask_b32_e64 v3, v9, v3, s[4:5]
	v_cmp_class_f32_e64 s[4:5], v13, v2
	v_cndmask_b32_e64 v2, v3, v9, s[4:5]
	v_cmp_u_f32_e64 s[4:5], v13, v13
	v_mov_b32_e32 v12, 0
	v_cndmask_b32_e64 v2, v2, v13, s[4:5]
	v_mov_b32_e32 v10, v12
	v_mov_b32_e32 v9, v12
.LBB135_48:
	s_or_b64 exec, exec, s[10:11]
	v_add_u32_e32 v3, 0x100, v7
	v_cmp_lt_i32_e64 s[4:5], v3, v4
	s_and_saveexec_b64 s[10:11], s[4:5]
	s_cbranch_execz .LBB135_88
; %bb.49:
	s_mov_b32 s4, 0x3c800000
	s_waitcnt vmcnt(0) lgkmcnt(0)
	v_and_b32_e32 v12, 0x7fffffff, v11
	v_cmp_nlt_f32_e64 s[4:5], |v11|, s4
                                        ; implicit-def: $vgpr13
	s_and_saveexec_b64 s[6:7], s[4:5]
	s_xor_b64 s[8:9], exec, s[6:7]
	s_cbranch_execz .LBB135_79
; %bb.50:
	v_cmp_nlt_f32_e64 s[4:5], |v11|, 2.0
                                        ; implicit-def: $vgpr13
	s_and_saveexec_b64 s[6:7], s[4:5]
	s_xor_b64 s[12:13], exec, s[6:7]
	s_cbranch_execz .LBB135_60
; %bb.51:
	s_mov_b32 s4, 0x41000000
	v_cmp_nlt_f32_e64 s[4:5], |v11|, s4
                                        ; implicit-def: $vgpr13
	s_and_saveexec_b64 s[6:7], s[4:5]
	s_xor_b64 s[14:15], exec, s[6:7]
	s_cbranch_execz .LBB135_57
; %bb.52:
	s_mov_b32 s4, 0x5c800000
	v_cmp_nlt_f32_e64 s[4:5], |v11|, s4
                                        ; implicit-def: $vgpr13
	s_and_saveexec_b64 s[6:7], s[4:5]
	s_xor_b64 s[16:17], exec, s[6:7]
	s_cbranch_execz .LBB135_54
; %bb.53:
	s_mov_b32 s4, 0x800000
	v_cmp_lt_f32_e64 s[4:5], |v11|, s4
	v_cndmask_b32_e64 v13, 0, 32, s[4:5]
	v_ldexp_f32 v13, |v11|, v13
	v_log_f32_e32 v13, v13
	s_mov_b32 s6, 0x3f317217
	s_mov_b32 s7, 0x7f800000
	v_mul_f32_e32 v14, 0x3f317217, v13
	v_fma_f32 v15, v13, s6, -v14
	v_fmac_f32_e32 v15, 0x3377d1cf, v13
	v_add_f32_e32 v14, v14, v15
	v_cmp_lt_f32_e64 s[6:7], |v13|, s7
	v_cndmask_b32_e64 v13, v13, v14, s[6:7]
	v_mov_b32_e32 v14, 0x41b17218
	v_cndmask_b32_e64 v14, 0, v14, s[4:5]
	v_sub_f32_e32 v13, v13, v14
	v_fma_f32 v13, |v11|, v13, -|v11|
.LBB135_54:
	s_andn2_saveexec_b64 s[16:17], s[16:17]
	s_cbranch_execz .LBB135_56
; %bb.55:
	v_rcp_f32_e64 v14, |v11|
	v_mov_b32_e32 v13, 0x3a5b3dd2
	v_mov_b32_e32 v15, 0xba1c065c
	;; [unrolled: 1-line block ×3, first 2 shown]
	v_mul_f32_e32 v17, v14, v14
	v_fmac_f32_e32 v13, 0xbad5c4e8, v17
	v_fmac_f32_e32 v15, v17, v13
	s_mov_b32 s4, 0x800000
	v_fmac_f32_e32 v16, v17, v15
	v_mov_b32_e32 v13, 0xbb360b61
	v_cmp_lt_f32_e64 s[4:5], |v11|, s4
	v_fmac_f32_e32 v13, v17, v16
	v_cndmask_b32_e64 v16, 0, 32, s[4:5]
	v_ldexp_f32 v16, |v11|, v16
	v_log_f32_e32 v16, v16
	v_mov_b32_e32 v15, 0x3daaaaab
	v_fmac_f32_e32 v15, v17, v13
	v_mov_b32_e32 v13, 0x3ed67f1d
	v_fmac_f32_e32 v13, v14, v15
	s_mov_b32 s6, 0x3f317217
	v_mul_f32_e32 v15, 0x3f317217, v16
	v_fma_f32 v17, v16, s6, -v15
	v_fmac_f32_e32 v17, 0x3377d1cf, v16
	s_mov_b32 s6, 0x7f800000
	v_add_f32_e32 v15, v15, v17
	v_cmp_lt_f32_e64 s[6:7], |v16|, s6
	v_cndmask_b32_e64 v15, v16, v15, s[6:7]
	v_mov_b32_e32 v16, 0x41b17218
	v_cndmask_b32_e64 v16, 0, v16, s[4:5]
	v_sub_f32_e32 v15, v15, v16
	v_add_f32_e64 v14, |v11|, -0.5
	v_add_f32_e32 v15, -1.0, v15
	v_fmac_f32_e32 v13, v14, v15
.LBB135_56:
	s_or_b64 exec, exec, s[16:17]
.LBB135_57:
	s_andn2_saveexec_b64 s[14:15], s[14:15]
	s_cbranch_execz .LBB135_59
; %bb.58:
	v_cvt_i32_f32_e32 v13, v12
	v_mov_b32_e32 v14, 0x3af135b4
	v_mov_b32_e32 v15, 0x3cda40e4
	;; [unrolled: 1-line block ×3, first 2 shown]
	v_cvt_f32_i32_e32 v17, v13
	v_mov_b32_e32 v18, 0x3ea6cc7a
	v_mov_b32_e32 v19, 0x3e5c245a
	v_cmp_lt_i32_e64 s[4:5], 2, v13
	v_sub_f32_e64 v17, |v11|, v17
	v_fmac_f32_e32 v14, 0x3805ff67, v17
	v_fmac_f32_e32 v15, v17, v14
	;; [unrolled: 1-line block ×3, first 2 shown]
	v_mov_b32_e32 v15, 0x3a4beed6
	v_fmac_f32_e32 v18, v17, v16
	v_fmac_f32_e32 v15, 0x36f5d7bd, v17
	v_mov_b32_e32 v16, 0x3c98bf54
	v_fmac_f32_e32 v16, v17, v15
	v_mov_b32_e32 v15, 0x3e300f6e
	;; [unrolled: 2-line block ×4, first 2 shown]
	v_fmac_f32_e32 v15, v17, v16
	v_add_f32_e32 v16, 2.0, v17
	v_mov_b32_e32 v20, 0xbd9e233f
	v_fmac_f32_e32 v19, v17, v18
	v_add_f32_e32 v18, 0x40400000, v17
	v_cndmask_b32_e64 v16, 1.0, v16, s[4:5]
	v_cmp_lt_i32_e64 s[4:5], 3, v13
	v_fmac_f32_e32 v20, v17, v19
	v_add_f32_e32 v19, 4.0, v17
	v_cndmask_b32_e64 v18, 1.0, v18, s[4:5]
	v_cmp_lt_i32_e64 s[4:5], 4, v13
	v_mul_f32_e32 v14, v17, v20
	v_add_f32_e32 v20, 0x40a00000, v17
	v_mul_f32_e32 v16, v16, v18
	v_cndmask_b32_e64 v18, 1.0, v19, s[4:5]
	v_cmp_lt_i32_e64 s[4:5], 5, v13
	v_add_f32_e32 v21, 0x40c00000, v17
	v_mul_f32_e32 v16, v18, v16
	v_cndmask_b32_e64 v18, 1.0, v20, s[4:5]
	v_cmp_lt_i32_e64 s[4:5], 6, v13
	v_mul_f32_e32 v16, v18, v16
	v_cndmask_b32_e64 v13, 1.0, v21, s[4:5]
	v_mul_f32_e32 v13, v13, v16
	s_mov_b32 s4, 0x800000
	v_cmp_gt_f32_e64 s[4:5], s4, v13
	v_cndmask_b32_e64 v16, 0, 32, s[4:5]
	v_fma_f32 v15, v17, v15, 1.0
	v_ldexp_f32 v13, v13, v16
	v_rcp_f32_e32 v15, v15
	v_log_f32_e32 v13, v13
	s_mov_b32 s6, 0x3f317217
	v_mul_f32_e32 v14, v14, v15
	v_mul_f32_e32 v15, 0x3f317217, v13
	v_fma_f32 v16, v13, s6, -v15
	v_fmac_f32_e32 v16, 0x3377d1cf, v13
	s_mov_b32 s6, 0x7f800000
	v_add_f32_e32 v15, v15, v16
	v_cmp_lt_f32_e64 s[6:7], |v13|, s6
	v_cndmask_b32_e64 v13, v13, v15, s[6:7]
	v_mov_b32_e32 v15, 0x41b17218
	v_cndmask_b32_e64 v15, 0, v15, s[4:5]
	v_fmac_f32_e32 v14, 0.5, v17
	v_sub_f32_e32 v13, v13, v15
	v_add_f32_e32 v13, v13, v14
.LBB135_59:
	s_or_b64 exec, exec, s[14:15]
.LBB135_60:
	s_andn2_saveexec_b64 s[12:13], s[12:13]
	s_cbranch_execz .LBB135_78
; %bb.61:
	s_mov_b32 s4, 0x3f666666
	v_cmp_le_f32_e64 s[4:5], |v11|, s4
                                        ; implicit-def: $vgpr13
                                        ; implicit-def: $vgpr15
                                        ; implicit-def: $vgpr14
	s_and_saveexec_b64 s[6:7], s[4:5]
	s_xor_b64 s[14:15], exec, s[6:7]
	s_cbranch_execz .LBB135_63
; %bb.62:
	s_mov_b32 s4, 0x800000
	v_cmp_lt_f32_e64 s[4:5], |v11|, s4
	v_cndmask_b32_e64 v13, 0, 32, s[4:5]
	v_ldexp_f32 v13, |v11|, v13
	v_log_f32_e32 v13, v13
	s_mov_b32 s6, 0x3f317217
	s_mov_b32 s7, 0x7f800000
	v_mul_f32_e32 v14, 0x3f317217, v13
	v_fma_f32 v15, v13, s6, -v14
	v_fmac_f32_e32 v15, 0x3377d1cf, v13
	v_add_f32_e32 v14, v14, v15
	v_cmp_lt_f32_e64 s[6:7], |v13|, s7
	v_cndmask_b32_e64 v13, v13, v14, s[6:7]
	v_mov_b32_e32 v14, 0x41b17218
	v_cndmask_b32_e64 v14, 0, v14, s[4:5]
	s_mov_b32 s4, 0x3f3b4a23
	s_mov_b32 s5, 0xbeec5b0c
	v_sub_f32_e32 v13, v13, v14
	v_sub_f32_e64 v14, 1.0, |v11|
	v_add_f32_e64 v15, |v11|, s5
	v_cmp_lt_f32_e64 s[4:5], |v11|, s4
	v_cndmask_b32_e64 v14, v14, v15, s[4:5]
	v_cndmask_b32_e64 v15, 0, 1, s[4:5]
	s_mov_b32 s4, 0x3e6d3309
	v_cmp_lt_f32_e64 s[4:5], |v11|, s4
	v_xor_b32_e32 v13, 0x80000000, v13
	v_cndmask_b32_e64 v14, v14, |v11|, s[4:5]
	v_cndmask_b32_e64 v15, v15, 2, s[4:5]
.LBB135_63:
	s_andn2_saveexec_b64 s[6:7], s[14:15]
	s_cbranch_execz .LBB135_65
; %bb.64:
	s_mov_b32 s4, 0x3fdda512
	s_mov_b32 s5, 0xbfbb16c3
	v_sub_f32_e64 v13, 2.0, |v11|
	v_add_f32_e64 v14, |v11|, s5
	v_cmp_lt_f32_e64 s[4:5], |v11|, s4
	v_cndmask_b32_e64 v14, v13, v14, s[4:5]
	v_cndmask_b32_e64 v13, v13, 1.0, s[4:5]
	v_cvt_i32_f32_e32 v13, v13
	s_mov_b32 s4, 0x3f9d70a4
	v_add_f32_e64 v15, |v11|, -1.0
	v_cmp_lt_f32_e64 s[4:5], |v11|, s4
	v_cndmask_b32_e64 v14, v14, v15, s[4:5]
	v_cndmask_b32_e64 v15, v13, 2, s[4:5]
	v_mov_b32_e32 v13, 0
.LBB135_65:
	s_or_b64 exec, exec, s[6:7]
	v_cmp_lt_i32_e64 s[4:5], 0, v15
	s_and_saveexec_b64 s[6:7], s[4:5]
	s_xor_b64 s[6:7], exec, s[6:7]
	s_cbranch_execz .LBB135_73
; %bb.66:
	v_cmp_lt_i32_e64 s[4:5], 1, v15
	s_and_saveexec_b64 s[14:15], s[4:5]
	s_xor_b64 s[14:15], exec, s[14:15]
	s_cbranch_execz .LBB135_70
; %bb.67:
	v_cmp_eq_u32_e64 s[4:5], 2, v15
	s_and_saveexec_b64 s[16:17], s[4:5]
	s_cbranch_execz .LBB135_69
; %bb.68:
	v_mov_b32_e32 v15, 0x3e6a7578
	v_fmac_f32_e32 v15, 0x3c5b3c5e, v14
	v_mov_b32_e32 v16, 0x3f7a4bb2
	v_fmac_f32_e32 v16, v14, v15
	v_mov_b32_e32 v15, 0x3fba3ae7
	v_fmac_f32_e32 v15, v14, v16
	v_mov_b32_e32 v16, 0x3f2200f4
	v_fmac_f32_e32 v16, v14, v15
	v_mov_b32_e32 v15, 0x3dd572af
	v_fmac_f32_e32 v15, 0x3b52d5db, v14
	v_mov_b32_e32 v17, 0x3f44efdf
	v_fmac_f32_e32 v17, v14, v15
	v_mov_b32_e32 v15, 0x4008392d
	v_fmac_f32_e32 v15, v14, v17
	v_mov_b32_e32 v17, 0x401d2ebe
	v_fmac_f32_e32 v17, v14, v15
	v_fma_f32 v15, v14, v17, 1.0
	v_rcp_f32_e32 v15, v15
	v_mov_b32_e32 v17, 0xbd9e233f
	v_fmac_f32_e32 v17, v14, v16
	v_mul_f32_e32 v16, v14, v17
	v_mul_f32_e32 v15, v16, v15
	v_fmac_f32_e32 v15, -0.5, v14
	v_add_f32_e32 v13, v13, v15
.LBB135_69:
	s_or_b64 exec, exec, s[16:17]
                                        ; implicit-def: $vgpr14
.LBB135_70:
	s_andn2_saveexec_b64 s[4:5], s[14:15]
	s_cbranch_execz .LBB135_72
; %bb.71:
	v_mul_f32_e32 v15, v14, v14
	v_mul_f32_e32 v16, v14, v15
	v_mov_b32_e32 v17, 0xbab7f476
	v_fmac_f32_e32 v17, 0x39a57b6b, v16
	v_mov_b32_e32 v18, 0x3bc7e707
	v_fmac_f32_e32 v18, v16, v17
	v_mov_b32_e32 v17, 0xbd064d47
	v_fmac_f32_e32 v17, v16, v18
	v_mov_b32_e32 v18, 0x3ef7b95e
	v_fmac_f32_e32 v18, v16, v17
	v_mov_b32_e32 v17, 0x3a66f867
	v_fmac_f32_e32 v17, 0xb9a3f927, v16
	v_mov_b32_e32 v19, 0xbb7177fe
	v_fmac_f32_e32 v19, v16, v17
	v_mov_b32_e32 v17, 0x3c93373d
	v_fmac_f32_e32 v17, v16, v19
	v_mov_b32_e32 v19, 0xbe17213c
	v_fmac_f32_e32 v19, v16, v17
	v_mov_b32_e32 v17, 0xba0d3085
	v_fmac_f32_e32 v17, 0x39afe9f7, v16
	v_mov_b32_e32 v20, 0x3b141699
	v_fmac_f32_e32 v20, v16, v17
	v_mov_b32_e32 v17, 0xbc28fcfe
	v_fmac_f32_e32 v17, v16, v20
	v_mov_b32_e32 v20, 0x3d845a15
	v_fmac_f32_e32 v20, v16, v17
	v_fmac_f32_e32 v19, v14, v20
	s_mov_b32 s14, 0xa2863e55
	v_fma_f32 v14, v16, -v19, s14
	v_fma_f32 v14, v15, v18, -v14
	v_add_f32_e32 v14, 0xbdf8cdce, v14
	v_add_f32_e32 v13, v13, v14
.LBB135_72:
	s_or_b64 exec, exec, s[4:5]
                                        ; implicit-def: $vgpr15
                                        ; implicit-def: $vgpr14
.LBB135_73:
	s_andn2_saveexec_b64 s[6:7], s[6:7]
	s_cbranch_execz .LBB135_77
; %bb.74:
	v_cmp_eq_u32_e64 s[4:5], 0, v15
	s_and_saveexec_b64 s[14:15], s[4:5]
	s_cbranch_execz .LBB135_76
; %bb.75:
	v_mul_f32_e32 v15, v14, v14
	v_mov_b32_e32 v16, 0x39679767
	v_fmac_f32_e32 v16, 0x37d383a2, v15
	v_mov_b32_e32 v17, 0x3a9c54a1
	v_fmac_f32_e32 v17, v15, v16
	;; [unrolled: 2-line block ×10, first 2 shown]
	v_mul_f32_e32 v15, v15, v17
	v_fmac_f32_e32 v15, v14, v16
	v_fmac_f32_e32 v15, -0.5, v14
	v_add_f32_e32 v13, v13, v15
.LBB135_76:
	s_or_b64 exec, exec, s[14:15]
.LBB135_77:
	s_or_b64 exec, exec, s[6:7]
.LBB135_78:
	s_or_b64 exec, exec, s[12:13]
.LBB135_79:
	s_andn2_saveexec_b64 s[8:9], s[8:9]
	s_cbranch_execz .LBB135_81
; %bb.80:
	s_mov_b32 s4, 0x3e8a8991
	v_mov_b32_e32 v13, 0xbecd26ab
	v_fma_f32 v13, |v11|, s4, v13
	s_mov_b32 s4, 0x3f528d33
	v_fma_f32 v13, |v11|, v13, s4
	s_mov_b32 s4, 0x800000
	v_cmp_lt_f32_e64 s[4:5], |v11|, s4
	v_cndmask_b32_e64 v14, 0, 32, s[4:5]
	v_ldexp_f32 v14, |v11|, v14
	v_log_f32_e32 v14, v14
	s_mov_b32 s6, 0xbf13c468
	v_fma_f32 v13, |v11|, v13, s6
	s_mov_b32 s6, 0x3f317217
	v_mul_f32_e32 v15, 0x3f317217, v14
	v_fma_f32 v16, v14, s6, -v15
	v_fmac_f32_e32 v16, 0x3377d1cf, v14
	s_mov_b32 s6, 0x7f800000
	v_add_f32_e32 v15, v15, v16
	v_cmp_lt_f32_e64 s[6:7], |v14|, s6
	v_cndmask_b32_e64 v14, v14, v15, s[6:7]
	v_mov_b32_e32 v15, 0x41b17218
	v_cndmask_b32_e64 v15, 0, v15, s[4:5]
	v_sub_f32_e32 v14, v14, v15
	v_fma_f32 v13, |v11|, v13, -v14
.LBB135_81:
	s_or_b64 exec, exec, s[8:9]
	v_cmp_le_f32_e64 s[4:5], 0, v11
	v_cmp_nle_f32_e64 s[6:7], 0, v11
	s_and_saveexec_b64 s[8:9], s[6:7]
	s_xor_b64 s[12:13], exec, s[8:9]
	s_cbranch_execz .LBB135_85
; %bb.82:
	s_mov_b32 s6, 0x4b000000
	s_mov_b32 s8, 0x35000000
	v_cmp_lt_f32_e64 s[6:7], |v11|, s6
	v_cmp_gt_f32_e64 s[8:9], |v11|, s8
	s_and_b64 s[6:7], s[6:7], s[8:9]
	s_and_saveexec_b64 s[14:15], s[6:7]
	s_cbranch_execz .LBB135_84
; %bb.83:
	v_mul_f32_e64 v14, |v11|, 0.5
	v_floor_f32_e32 v15, v14
	v_sub_f32_e32 v15, v14, v15
	v_min_f32_e32 v15, 0x3f7fffff, v15
	s_mov_b32 s8, 0x7f800000
	v_add_f32_e32 v15, v15, v15
	v_cmp_neq_f32_e64 s[6:7], s8, v14
	v_cndmask_b32_e64 v14, 0, v15, s[6:7]
	v_cmp_gt_f32_e64 s[6:7], |v11|, 1.0
	v_cndmask_b32_e64 v14, |v11|, v14, s[6:7]
	v_add_f32_e32 v15, v14, v14
	v_rndne_f32_e32 v15, v15
	v_fmac_f32_e32 v14, -0.5, v15
	v_mul_f32_e32 v16, v14, v14
	v_mov_b32_e32 v17, 0xbf1f24be
	v_fmac_f32_e32 v17, 0x3e75aa41, v16
	v_mov_b32_e32 v18, 0x40234736
	v_fmac_f32_e32 v18, v16, v17
	;; [unrolled: 2-line block ×3, first 2 shown]
	v_mul_f32_e32 v18, v14, v16
	v_mul_f32_e32 v17, v18, v17
	v_fmac_f32_e32 v17, 0x40490fdb, v14
	v_mov_b32_e32 v14, 0x3e642e9d
	v_cvt_i32_f32_e32 v15, v15
	v_fmac_f32_e32 v14, 0x3d4be544, v16
	v_mov_b32_e32 v18, 0xbfaad1da
	v_fmac_f32_e32 v18, v16, v14
	v_mov_b32_e32 v14, 0x4081e0d3
	;; [unrolled: 2-line block ×3, first 2 shown]
	v_fmac_f32_e32 v18, v16, v14
	v_fma_f32 v14, v16, v18, 1.0
	v_and_b32_e32 v16, 1, v15
	v_lshlrev_b32_e32 v15, 30, v15
	v_cmp_eq_u32_e64 s[6:7], 0, v16
	v_and_b32_e32 v15, 0x80000000, v15
	v_xor_b32_e32 v12, v12, v11
	v_cndmask_b32_e64 v14, v14, v17, s[6:7]
	v_xor_b32_e32 v12, v12, v15
	v_xor_b32_e32 v12, v12, v14
	v_mul_f32_e32 v12, v11, v12
	v_frexp_mant_f32_e64 v14, |v12|
	v_rcp_f32_e32 v14, v14
	v_frexp_exp_i32_f32_e32 v12, v12
	v_sub_u32_e32 v12, 2, v12
	s_mov_b32 s6, 0x800000
	v_mul_f32_e32 v14, 0x3f490fdb, v14
	v_ldexp_f32 v12, v14, v12
	v_cmp_gt_f32_e64 s[6:7], s6, v12
	v_cndmask_b32_e64 v14, 0, 32, s[6:7]
	v_ldexp_f32 v12, v12, v14
	v_log_f32_e32 v12, v12
	s_mov_b32 s9, 0x3f317217
	v_mul_f32_e32 v14, 0x3f317217, v12
	v_fma_f32 v15, v12, s9, -v14
	v_fmac_f32_e32 v15, 0x3377d1cf, v12
	v_add_f32_e32 v14, v14, v15
	v_cmp_lt_f32_e64 s[8:9], |v12|, s8
	v_cndmask_b32_e64 v12, v12, v14, s[8:9]
	v_mov_b32_e32 v14, 0x41b17218
	v_cndmask_b32_e64 v14, 0, v14, s[6:7]
	v_sub_f32_e32 v12, v12, v14
	v_sub_f32_e32 v12, v12, v13
	v_floor_f32_e32 v13, v11
	v_sub_f32_e32 v13, v11, v13
	v_min_f32_e32 v13, 0x3f7fffff, v13
	v_mov_b32_e32 v14, 0x7f800000
	v_cmp_neq_f32_e64 s[6:7], 0, v13
	v_cndmask_b32_e64 v13, v14, v12, s[6:7]
.LBB135_84:
	s_or_b64 exec, exec, s[14:15]
.LBB135_85:
	s_andn2_saveexec_b64 s[12:13], s[12:13]
; %bb.86:
	v_cmp_eq_f32_e64 s[6:7], 1.0, v11
	v_cmp_eq_f32_e64 s[8:9], 2.0, v11
	s_or_b64 s[6:7], s[6:7], s[8:9]
	v_cndmask_b32_e64 v13, v13, 0, s[6:7]
; %bb.87:
	s_or_b64 exec, exec, s[12:13]
	s_mov_b32 s6, 0x4b000000
	v_cmp_lt_f32_e64 s[6:7], |v11|, s6
	v_mov_b32_e32 v12, 0x264
	v_mov_b32_e32 v14, 0x7f800000
	s_or_b64 s[4:5], s[4:5], s[6:7]
	v_cndmask_b32_e64 v13, v14, v13, s[4:5]
	v_cmp_class_f32_e64 s[4:5], v11, v12
	v_cndmask_b32_e64 v12, v13, v14, s[4:5]
	v_cmp_u_f32_e64 s[4:5], v11, v11
	v_cndmask_b32_e64 v12, v12, v11, s[4:5]
.LBB135_88:
	s_or_b64 exec, exec, s[10:11]
	s_waitcnt vmcnt(0) lgkmcnt(0)
	v_add_u32_e32 v11, 0x200, v7
	v_cmp_lt_i32_e64 s[4:5], v11, v4
	s_and_saveexec_b64 s[10:11], s[4:5]
	s_cbranch_execz .LBB135_128
; %bb.89:
	s_mov_b32 s4, 0x3c800000
	v_and_b32_e32 v10, 0x7fffffff, v8
	v_cmp_nlt_f32_e64 s[4:5], |v8|, s4
                                        ; implicit-def: $vgpr11
	s_and_saveexec_b64 s[6:7], s[4:5]
	s_xor_b64 s[8:9], exec, s[6:7]
	s_cbranch_execz .LBB135_119
; %bb.90:
	v_cmp_nlt_f32_e64 s[4:5], |v8|, 2.0
                                        ; implicit-def: $vgpr11
	s_and_saveexec_b64 s[6:7], s[4:5]
	s_xor_b64 s[12:13], exec, s[6:7]
	s_cbranch_execz .LBB135_100
; %bb.91:
	s_mov_b32 s4, 0x41000000
	v_cmp_nlt_f32_e64 s[4:5], |v8|, s4
                                        ; implicit-def: $vgpr11
	s_and_saveexec_b64 s[6:7], s[4:5]
	s_xor_b64 s[14:15], exec, s[6:7]
	s_cbranch_execz .LBB135_97
; %bb.92:
	s_mov_b32 s4, 0x5c800000
	v_cmp_nlt_f32_e64 s[4:5], |v8|, s4
                                        ; implicit-def: $vgpr11
	s_and_saveexec_b64 s[6:7], s[4:5]
	s_xor_b64 s[16:17], exec, s[6:7]
	s_cbranch_execz .LBB135_94
; %bb.93:
	s_mov_b32 s4, 0x800000
	v_cmp_lt_f32_e64 s[4:5], |v8|, s4
	v_cndmask_b32_e64 v11, 0, 32, s[4:5]
	v_ldexp_f32 v11, |v8|, v11
	v_log_f32_e32 v11, v11
	s_mov_b32 s6, 0x3f317217
	s_mov_b32 s7, 0x7f800000
	v_mul_f32_e32 v13, 0x3f317217, v11
	v_fma_f32 v14, v11, s6, -v13
	v_fmac_f32_e32 v14, 0x3377d1cf, v11
	v_add_f32_e32 v13, v13, v14
	v_cmp_lt_f32_e64 s[6:7], |v11|, s7
	v_cndmask_b32_e64 v11, v11, v13, s[6:7]
	v_mov_b32_e32 v13, 0x41b17218
	v_cndmask_b32_e64 v13, 0, v13, s[4:5]
	v_sub_f32_e32 v11, v11, v13
	v_fma_f32 v11, |v8|, v11, -|v8|
.LBB135_94:
	s_andn2_saveexec_b64 s[16:17], s[16:17]
	s_cbranch_execz .LBB135_96
; %bb.95:
	v_rcp_f32_e64 v13, |v8|
	v_mov_b32_e32 v11, 0x3a5b3dd2
	v_mov_b32_e32 v14, 0xba1c065c
	;; [unrolled: 1-line block ×3, first 2 shown]
	v_mul_f32_e32 v16, v13, v13
	v_fmac_f32_e32 v11, 0xbad5c4e8, v16
	v_fmac_f32_e32 v14, v16, v11
	s_mov_b32 s4, 0x800000
	v_fmac_f32_e32 v15, v16, v14
	v_mov_b32_e32 v11, 0xbb360b61
	v_cmp_lt_f32_e64 s[4:5], |v8|, s4
	v_fmac_f32_e32 v11, v16, v15
	v_cndmask_b32_e64 v15, 0, 32, s[4:5]
	v_ldexp_f32 v15, |v8|, v15
	v_log_f32_e32 v15, v15
	v_mov_b32_e32 v14, 0x3daaaaab
	v_fmac_f32_e32 v14, v16, v11
	v_mov_b32_e32 v11, 0x3ed67f1d
	v_fmac_f32_e32 v11, v13, v14
	s_mov_b32 s6, 0x3f317217
	v_mul_f32_e32 v14, 0x3f317217, v15
	v_fma_f32 v16, v15, s6, -v14
	v_fmac_f32_e32 v16, 0x3377d1cf, v15
	s_mov_b32 s6, 0x7f800000
	v_add_f32_e32 v14, v14, v16
	v_cmp_lt_f32_e64 s[6:7], |v15|, s6
	v_cndmask_b32_e64 v14, v15, v14, s[6:7]
	v_mov_b32_e32 v15, 0x41b17218
	v_cndmask_b32_e64 v15, 0, v15, s[4:5]
	v_sub_f32_e32 v14, v14, v15
	v_add_f32_e64 v13, |v8|, -0.5
	v_add_f32_e32 v14, -1.0, v14
	v_fmac_f32_e32 v11, v13, v14
.LBB135_96:
	s_or_b64 exec, exec, s[16:17]
.LBB135_97:
	s_andn2_saveexec_b64 s[14:15], s[14:15]
	s_cbranch_execz .LBB135_99
; %bb.98:
	v_cvt_i32_f32_e32 v11, v10
	v_mov_b32_e32 v13, 0x3af135b4
	v_mov_b32_e32 v14, 0x3cda40e4
	;; [unrolled: 1-line block ×3, first 2 shown]
	v_cvt_f32_i32_e32 v16, v11
	v_mov_b32_e32 v17, 0x3ea6cc7a
	v_mov_b32_e32 v18, 0x3e5c245a
	v_cmp_lt_i32_e64 s[4:5], 2, v11
	v_sub_f32_e64 v16, |v8|, v16
	v_fmac_f32_e32 v13, 0x3805ff67, v16
	v_fmac_f32_e32 v14, v16, v13
	;; [unrolled: 1-line block ×3, first 2 shown]
	v_mov_b32_e32 v14, 0x3a4beed6
	v_fmac_f32_e32 v17, v16, v15
	v_fmac_f32_e32 v14, 0x36f5d7bd, v16
	v_mov_b32_e32 v15, 0x3c98bf54
	v_fmac_f32_e32 v15, v16, v14
	v_mov_b32_e32 v14, 0x3e300f6e
	;; [unrolled: 2-line block ×4, first 2 shown]
	v_fmac_f32_e32 v14, v16, v15
	v_add_f32_e32 v15, 2.0, v16
	v_mov_b32_e32 v19, 0xbd9e233f
	v_fmac_f32_e32 v18, v16, v17
	v_add_f32_e32 v17, 0x40400000, v16
	v_cndmask_b32_e64 v15, 1.0, v15, s[4:5]
	v_cmp_lt_i32_e64 s[4:5], 3, v11
	v_fmac_f32_e32 v19, v16, v18
	v_add_f32_e32 v18, 4.0, v16
	v_cndmask_b32_e64 v17, 1.0, v17, s[4:5]
	v_cmp_lt_i32_e64 s[4:5], 4, v11
	v_mul_f32_e32 v13, v16, v19
	v_add_f32_e32 v19, 0x40a00000, v16
	v_mul_f32_e32 v15, v15, v17
	v_cndmask_b32_e64 v17, 1.0, v18, s[4:5]
	v_cmp_lt_i32_e64 s[4:5], 5, v11
	v_add_f32_e32 v20, 0x40c00000, v16
	v_mul_f32_e32 v15, v17, v15
	v_cndmask_b32_e64 v17, 1.0, v19, s[4:5]
	v_cmp_lt_i32_e64 s[4:5], 6, v11
	v_mul_f32_e32 v15, v17, v15
	v_cndmask_b32_e64 v11, 1.0, v20, s[4:5]
	v_mul_f32_e32 v11, v11, v15
	s_mov_b32 s4, 0x800000
	v_cmp_gt_f32_e64 s[4:5], s4, v11
	v_cndmask_b32_e64 v15, 0, 32, s[4:5]
	v_fma_f32 v14, v16, v14, 1.0
	v_ldexp_f32 v11, v11, v15
	v_rcp_f32_e32 v14, v14
	v_log_f32_e32 v11, v11
	s_mov_b32 s6, 0x3f317217
	v_mul_f32_e32 v13, v13, v14
	v_mul_f32_e32 v14, 0x3f317217, v11
	v_fma_f32 v15, v11, s6, -v14
	v_fmac_f32_e32 v15, 0x3377d1cf, v11
	s_mov_b32 s6, 0x7f800000
	v_add_f32_e32 v14, v14, v15
	v_cmp_lt_f32_e64 s[6:7], |v11|, s6
	v_cndmask_b32_e64 v11, v11, v14, s[6:7]
	v_mov_b32_e32 v14, 0x41b17218
	v_cndmask_b32_e64 v14, 0, v14, s[4:5]
	v_fmac_f32_e32 v13, 0.5, v16
	v_sub_f32_e32 v11, v11, v14
	v_add_f32_e32 v11, v11, v13
.LBB135_99:
	s_or_b64 exec, exec, s[14:15]
.LBB135_100:
	s_andn2_saveexec_b64 s[12:13], s[12:13]
	s_cbranch_execz .LBB135_118
; %bb.101:
	s_mov_b32 s4, 0x3f666666
	v_cmp_le_f32_e64 s[4:5], |v8|, s4
                                        ; implicit-def: $vgpr11
                                        ; implicit-def: $vgpr14
                                        ; implicit-def: $vgpr13
	s_and_saveexec_b64 s[6:7], s[4:5]
	s_xor_b64 s[14:15], exec, s[6:7]
	s_cbranch_execz .LBB135_103
; %bb.102:
	s_mov_b32 s4, 0x800000
	v_cmp_lt_f32_e64 s[4:5], |v8|, s4
	v_cndmask_b32_e64 v11, 0, 32, s[4:5]
	v_ldexp_f32 v11, |v8|, v11
	v_log_f32_e32 v11, v11
	s_mov_b32 s6, 0x3f317217
	s_mov_b32 s7, 0x7f800000
	v_mul_f32_e32 v13, 0x3f317217, v11
	v_fma_f32 v14, v11, s6, -v13
	v_fmac_f32_e32 v14, 0x3377d1cf, v11
	v_add_f32_e32 v13, v13, v14
	v_cmp_lt_f32_e64 s[6:7], |v11|, s7
	v_cndmask_b32_e64 v11, v11, v13, s[6:7]
	v_mov_b32_e32 v13, 0x41b17218
	v_cndmask_b32_e64 v13, 0, v13, s[4:5]
	s_mov_b32 s4, 0x3f3b4a23
	s_mov_b32 s5, 0xbeec5b0c
	v_sub_f32_e32 v11, v11, v13
	v_sub_f32_e64 v13, 1.0, |v8|
	v_add_f32_e64 v14, |v8|, s5
	v_cmp_lt_f32_e64 s[4:5], |v8|, s4
	v_cndmask_b32_e64 v13, v13, v14, s[4:5]
	v_cndmask_b32_e64 v14, 0, 1, s[4:5]
	s_mov_b32 s4, 0x3e6d3309
	v_cmp_lt_f32_e64 s[4:5], |v8|, s4
	v_xor_b32_e32 v11, 0x80000000, v11
	v_cndmask_b32_e64 v13, v13, |v8|, s[4:5]
	v_cndmask_b32_e64 v14, v14, 2, s[4:5]
.LBB135_103:
	s_andn2_saveexec_b64 s[6:7], s[14:15]
	s_cbranch_execz .LBB135_105
; %bb.104:
	s_mov_b32 s4, 0x3fdda512
	s_mov_b32 s5, 0xbfbb16c3
	v_sub_f32_e64 v11, 2.0, |v8|
	v_add_f32_e64 v13, |v8|, s5
	v_cmp_lt_f32_e64 s[4:5], |v8|, s4
	v_cndmask_b32_e64 v13, v11, v13, s[4:5]
	v_cndmask_b32_e64 v11, v11, 1.0, s[4:5]
	v_cvt_i32_f32_e32 v11, v11
	s_mov_b32 s4, 0x3f9d70a4
	v_add_f32_e64 v14, |v8|, -1.0
	v_cmp_lt_f32_e64 s[4:5], |v8|, s4
	v_cndmask_b32_e64 v13, v13, v14, s[4:5]
	v_cndmask_b32_e64 v14, v11, 2, s[4:5]
	v_mov_b32_e32 v11, 0
.LBB135_105:
	s_or_b64 exec, exec, s[6:7]
	v_cmp_lt_i32_e64 s[4:5], 0, v14
	s_and_saveexec_b64 s[6:7], s[4:5]
	s_xor_b64 s[6:7], exec, s[6:7]
	s_cbranch_execz .LBB135_113
; %bb.106:
	v_cmp_lt_i32_e64 s[4:5], 1, v14
	s_and_saveexec_b64 s[14:15], s[4:5]
	s_xor_b64 s[14:15], exec, s[14:15]
	s_cbranch_execz .LBB135_110
; %bb.107:
	v_cmp_eq_u32_e64 s[4:5], 2, v14
	s_and_saveexec_b64 s[16:17], s[4:5]
	s_cbranch_execz .LBB135_109
; %bb.108:
	v_mov_b32_e32 v14, 0x3e6a7578
	v_fmac_f32_e32 v14, 0x3c5b3c5e, v13
	v_mov_b32_e32 v15, 0x3f7a4bb2
	v_fmac_f32_e32 v15, v13, v14
	;; [unrolled: 2-line block ×8, first 2 shown]
	v_fma_f32 v14, v13, v16, 1.0
	v_rcp_f32_e32 v14, v14
	v_mov_b32_e32 v16, 0xbd9e233f
	v_fmac_f32_e32 v16, v13, v15
	v_mul_f32_e32 v15, v13, v16
	v_mul_f32_e32 v14, v15, v14
	v_fmac_f32_e32 v14, -0.5, v13
	v_add_f32_e32 v11, v11, v14
.LBB135_109:
	s_or_b64 exec, exec, s[16:17]
                                        ; implicit-def: $vgpr13
.LBB135_110:
	s_andn2_saveexec_b64 s[4:5], s[14:15]
	s_cbranch_execz .LBB135_112
; %bb.111:
	v_mul_f32_e32 v14, v13, v13
	v_mul_f32_e32 v15, v13, v14
	v_mov_b32_e32 v16, 0xbab7f476
	v_fmac_f32_e32 v16, 0x39a57b6b, v15
	v_mov_b32_e32 v17, 0x3bc7e707
	v_fmac_f32_e32 v17, v15, v16
	v_mov_b32_e32 v16, 0xbd064d47
	v_fmac_f32_e32 v16, v15, v17
	v_mov_b32_e32 v17, 0x3ef7b95e
	v_fmac_f32_e32 v17, v15, v16
	v_mov_b32_e32 v16, 0x3a66f867
	v_fmac_f32_e32 v16, 0xb9a3f927, v15
	v_mov_b32_e32 v18, 0xbb7177fe
	v_fmac_f32_e32 v18, v15, v16
	v_mov_b32_e32 v16, 0x3c93373d
	v_fmac_f32_e32 v16, v15, v18
	v_mov_b32_e32 v18, 0xbe17213c
	v_fmac_f32_e32 v18, v15, v16
	v_mov_b32_e32 v16, 0xba0d3085
	v_fmac_f32_e32 v16, 0x39afe9f7, v15
	v_mov_b32_e32 v19, 0x3b141699
	v_fmac_f32_e32 v19, v15, v16
	v_mov_b32_e32 v16, 0xbc28fcfe
	v_fmac_f32_e32 v16, v15, v19
	v_mov_b32_e32 v19, 0x3d845a15
	v_fmac_f32_e32 v19, v15, v16
	v_fmac_f32_e32 v18, v13, v19
	s_mov_b32 s14, 0xa2863e55
	v_fma_f32 v13, v15, -v18, s14
	v_fma_f32 v13, v14, v17, -v13
	v_add_f32_e32 v13, 0xbdf8cdce, v13
	v_add_f32_e32 v11, v11, v13
.LBB135_112:
	s_or_b64 exec, exec, s[4:5]
                                        ; implicit-def: $vgpr14
                                        ; implicit-def: $vgpr13
.LBB135_113:
	s_andn2_saveexec_b64 s[6:7], s[6:7]
	s_cbranch_execz .LBB135_117
; %bb.114:
	v_cmp_eq_u32_e64 s[4:5], 0, v14
	s_and_saveexec_b64 s[14:15], s[4:5]
	s_cbranch_execz .LBB135_116
; %bb.115:
	v_mul_f32_e32 v14, v13, v13
	v_mov_b32_e32 v15, 0x39679767
	v_fmac_f32_e32 v15, 0x37d383a2, v14
	v_mov_b32_e32 v16, 0x3a9c54a1
	v_fmac_f32_e32 v16, v14, v15
	;; [unrolled: 2-line block ×10, first 2 shown]
	v_mul_f32_e32 v14, v14, v16
	v_fmac_f32_e32 v14, v13, v15
	v_fmac_f32_e32 v14, -0.5, v13
	v_add_f32_e32 v11, v11, v14
.LBB135_116:
	s_or_b64 exec, exec, s[14:15]
.LBB135_117:
	s_or_b64 exec, exec, s[6:7]
.LBB135_118:
	s_or_b64 exec, exec, s[12:13]
.LBB135_119:
	s_andn2_saveexec_b64 s[8:9], s[8:9]
	s_cbranch_execz .LBB135_121
; %bb.120:
	s_mov_b32 s4, 0x3e8a8991
	v_mov_b32_e32 v11, 0xbecd26ab
	v_fma_f32 v11, |v8|, s4, v11
	s_mov_b32 s4, 0x3f528d33
	v_fma_f32 v11, |v8|, v11, s4
	s_mov_b32 s4, 0x800000
	v_cmp_lt_f32_e64 s[4:5], |v8|, s4
	v_cndmask_b32_e64 v13, 0, 32, s[4:5]
	v_ldexp_f32 v13, |v8|, v13
	v_log_f32_e32 v13, v13
	s_mov_b32 s6, 0xbf13c468
	v_fma_f32 v11, |v8|, v11, s6
	s_mov_b32 s6, 0x3f317217
	v_mul_f32_e32 v14, 0x3f317217, v13
	v_fma_f32 v15, v13, s6, -v14
	v_fmac_f32_e32 v15, 0x3377d1cf, v13
	s_mov_b32 s6, 0x7f800000
	v_add_f32_e32 v14, v14, v15
	v_cmp_lt_f32_e64 s[6:7], |v13|, s6
	v_cndmask_b32_e64 v13, v13, v14, s[6:7]
	v_mov_b32_e32 v14, 0x41b17218
	v_cndmask_b32_e64 v14, 0, v14, s[4:5]
	v_sub_f32_e32 v13, v13, v14
	v_fma_f32 v11, |v8|, v11, -v13
.LBB135_121:
	s_or_b64 exec, exec, s[8:9]
	v_cmp_le_f32_e64 s[4:5], 0, v8
	v_cmp_nle_f32_e64 s[6:7], 0, v8
	s_and_saveexec_b64 s[8:9], s[6:7]
	s_xor_b64 s[12:13], exec, s[8:9]
	s_cbranch_execz .LBB135_125
; %bb.122:
	s_mov_b32 s6, 0x4b000000
	s_mov_b32 s8, 0x35000000
	v_cmp_lt_f32_e64 s[6:7], |v8|, s6
	v_cmp_gt_f32_e64 s[8:9], |v8|, s8
	s_and_b64 s[6:7], s[6:7], s[8:9]
	s_and_saveexec_b64 s[14:15], s[6:7]
	s_cbranch_execz .LBB135_124
; %bb.123:
	v_mul_f32_e64 v13, |v8|, 0.5
	v_floor_f32_e32 v14, v13
	v_sub_f32_e32 v14, v13, v14
	v_min_f32_e32 v14, 0x3f7fffff, v14
	s_mov_b32 s8, 0x7f800000
	v_add_f32_e32 v14, v14, v14
	v_cmp_neq_f32_e64 s[6:7], s8, v13
	v_cndmask_b32_e64 v13, 0, v14, s[6:7]
	v_cmp_gt_f32_e64 s[6:7], |v8|, 1.0
	v_cndmask_b32_e64 v13, |v8|, v13, s[6:7]
	v_add_f32_e32 v14, v13, v13
	v_rndne_f32_e32 v14, v14
	v_fmac_f32_e32 v13, -0.5, v14
	v_mul_f32_e32 v15, v13, v13
	v_mov_b32_e32 v16, 0xbf1f24be
	v_fmac_f32_e32 v16, 0x3e75aa41, v15
	v_mov_b32_e32 v17, 0x40234736
	v_fmac_f32_e32 v17, v15, v16
	;; [unrolled: 2-line block ×3, first 2 shown]
	v_mul_f32_e32 v17, v13, v15
	v_mul_f32_e32 v16, v17, v16
	v_fmac_f32_e32 v16, 0x40490fdb, v13
	v_mov_b32_e32 v13, 0x3e642e9d
	v_cvt_i32_f32_e32 v14, v14
	v_fmac_f32_e32 v13, 0x3d4be544, v15
	v_mov_b32_e32 v17, 0xbfaad1da
	v_fmac_f32_e32 v17, v15, v13
	v_mov_b32_e32 v13, 0x4081e0d3
	;; [unrolled: 2-line block ×3, first 2 shown]
	v_fmac_f32_e32 v17, v15, v13
	v_fma_f32 v13, v15, v17, 1.0
	v_and_b32_e32 v15, 1, v14
	v_lshlrev_b32_e32 v14, 30, v14
	v_cmp_eq_u32_e64 s[6:7], 0, v15
	v_and_b32_e32 v14, 0x80000000, v14
	v_xor_b32_e32 v10, v10, v8
	v_cndmask_b32_e64 v13, v13, v16, s[6:7]
	v_xor_b32_e32 v10, v10, v14
	v_xor_b32_e32 v10, v10, v13
	v_mul_f32_e32 v10, v8, v10
	v_frexp_mant_f32_e64 v13, |v10|
	v_rcp_f32_e32 v13, v13
	v_frexp_exp_i32_f32_e32 v10, v10
	v_sub_u32_e32 v10, 2, v10
	s_mov_b32 s6, 0x800000
	v_mul_f32_e32 v13, 0x3f490fdb, v13
	v_ldexp_f32 v10, v13, v10
	v_cmp_gt_f32_e64 s[6:7], s6, v10
	v_cndmask_b32_e64 v13, 0, 32, s[6:7]
	v_ldexp_f32 v10, v10, v13
	v_log_f32_e32 v10, v10
	s_mov_b32 s9, 0x3f317217
	v_mul_f32_e32 v13, 0x3f317217, v10
	v_fma_f32 v14, v10, s9, -v13
	v_fmac_f32_e32 v14, 0x3377d1cf, v10
	v_add_f32_e32 v13, v13, v14
	v_cmp_lt_f32_e64 s[8:9], |v10|, s8
	v_cndmask_b32_e64 v10, v10, v13, s[8:9]
	v_mov_b32_e32 v13, 0x41b17218
	v_cndmask_b32_e64 v13, 0, v13, s[6:7]
	v_sub_f32_e32 v10, v10, v13
	v_sub_f32_e32 v10, v10, v11
	v_floor_f32_e32 v11, v8
	v_sub_f32_e32 v11, v8, v11
	v_min_f32_e32 v11, 0x3f7fffff, v11
	v_mov_b32_e32 v13, 0x7f800000
	v_cmp_neq_f32_e64 s[6:7], 0, v11
	v_cndmask_b32_e64 v11, v13, v10, s[6:7]
.LBB135_124:
	s_or_b64 exec, exec, s[14:15]
.LBB135_125:
	s_andn2_saveexec_b64 s[12:13], s[12:13]
; %bb.126:
	v_cmp_eq_f32_e64 s[6:7], 1.0, v8
	v_cmp_eq_f32_e64 s[8:9], 2.0, v8
	s_or_b64 s[6:7], s[6:7], s[8:9]
	v_cndmask_b32_e64 v11, v11, 0, s[6:7]
; %bb.127:
	s_or_b64 exec, exec, s[12:13]
	s_mov_b32 s6, 0x4b000000
	v_cmp_lt_f32_e64 s[6:7], |v8|, s6
	v_mov_b32_e32 v10, 0x264
	v_mov_b32_e32 v13, 0x7f800000
	s_or_b64 s[4:5], s[4:5], s[6:7]
	v_cndmask_b32_e64 v11, v13, v11, s[4:5]
	v_cmp_class_f32_e64 s[4:5], v8, v10
	v_cndmask_b32_e64 v10, v11, v13, s[4:5]
	v_cmp_u_f32_e64 s[4:5], v8, v8
	v_cndmask_b32_e64 v10, v10, v8, s[4:5]
.LBB135_128:
	s_or_b64 exec, exec, s[10:11]
	v_add_u32_e32 v8, 0x300, v7
	v_cmp_lt_i32_e64 s[4:5], v8, v4
	s_and_saveexec_b64 s[10:11], s[4:5]
	s_cbranch_execnz .LBB135_134
; %bb.129:
	s_or_b64 exec, exec, s[10:11]
	s_and_saveexec_b64 s[4:5], vcc
	s_xor_b64 s[4:5], exec, s[4:5]
	s_cbranch_execnz .LBB135_173
.LBB135_130:
	s_or_b64 exec, exec, s[4:5]
	v_cmp_lt_i32_e32 vcc, v7, v4
	s_and_saveexec_b64 s[4:5], vcc
	s_cbranch_execnz .LBB135_174
.LBB135_131:
	s_or_b64 exec, exec, s[4:5]
	v_cmp_lt_i32_e32 vcc, v7, v4
	s_and_saveexec_b64 s[4:5], vcc
	s_cbranch_execnz .LBB135_175
.LBB135_132:
	s_or_b64 exec, exec, s[4:5]
	v_cmp_lt_i32_e32 vcc, v7, v4
	s_and_saveexec_b64 s[4:5], vcc
	s_cbranch_execnz .LBB135_176
.LBB135_133:
	s_or_b64 exec, exec, s[4:5]
	s_waitcnt vmcnt(0) lgkmcnt(0)
	s_setpc_b64 s[30:31]
.LBB135_134:
	s_mov_b32 s4, 0x3c800000
	v_and_b32_e32 v8, 0x7fffffff, v6
	v_cmp_nlt_f32_e64 s[4:5], |v6|, s4
                                        ; implicit-def: $vgpr9
	s_and_saveexec_b64 s[6:7], s[4:5]
	s_xor_b64 s[8:9], exec, s[6:7]
	s_cbranch_execz .LBB135_164
; %bb.135:
	v_cmp_nlt_f32_e64 s[4:5], |v6|, 2.0
                                        ; implicit-def: $vgpr9
	s_and_saveexec_b64 s[6:7], s[4:5]
	s_xor_b64 s[12:13], exec, s[6:7]
	s_cbranch_execz .LBB135_145
; %bb.136:
	s_mov_b32 s4, 0x41000000
	v_cmp_nlt_f32_e64 s[4:5], |v6|, s4
                                        ; implicit-def: $vgpr9
	s_and_saveexec_b64 s[6:7], s[4:5]
	s_xor_b64 s[14:15], exec, s[6:7]
	s_cbranch_execz .LBB135_142
; %bb.137:
	s_mov_b32 s4, 0x5c800000
	v_cmp_nlt_f32_e64 s[4:5], |v6|, s4
                                        ; implicit-def: $vgpr9
	s_and_saveexec_b64 s[6:7], s[4:5]
	s_xor_b64 s[16:17], exec, s[6:7]
	s_cbranch_execz .LBB135_139
; %bb.138:
	s_mov_b32 s4, 0x800000
	v_cmp_lt_f32_e64 s[4:5], |v6|, s4
	v_cndmask_b32_e64 v9, 0, 32, s[4:5]
	v_ldexp_f32 v9, |v6|, v9
	v_log_f32_e32 v9, v9
	s_mov_b32 s6, 0x3f317217
	s_mov_b32 s7, 0x7f800000
	v_mul_f32_e32 v11, 0x3f317217, v9
	v_fma_f32 v13, v9, s6, -v11
	v_fmac_f32_e32 v13, 0x3377d1cf, v9
	v_add_f32_e32 v11, v11, v13
	v_cmp_lt_f32_e64 s[6:7], |v9|, s7
	v_cndmask_b32_e64 v9, v9, v11, s[6:7]
	v_mov_b32_e32 v11, 0x41b17218
	v_cndmask_b32_e64 v11, 0, v11, s[4:5]
	v_sub_f32_e32 v9, v9, v11
	v_fma_f32 v9, |v6|, v9, -|v6|
.LBB135_139:
	s_andn2_saveexec_b64 s[16:17], s[16:17]
	s_cbranch_execz .LBB135_141
; %bb.140:
	v_rcp_f32_e64 v11, |v6|
	v_mov_b32_e32 v9, 0x3a5b3dd2
	v_mov_b32_e32 v13, 0xba1c065c
	;; [unrolled: 1-line block ×3, first 2 shown]
	v_mul_f32_e32 v15, v11, v11
	v_fmac_f32_e32 v9, 0xbad5c4e8, v15
	v_fmac_f32_e32 v13, v15, v9
	s_mov_b32 s4, 0x800000
	v_fmac_f32_e32 v14, v15, v13
	v_mov_b32_e32 v9, 0xbb360b61
	v_cmp_lt_f32_e64 s[4:5], |v6|, s4
	v_fmac_f32_e32 v9, v15, v14
	v_cndmask_b32_e64 v14, 0, 32, s[4:5]
	v_ldexp_f32 v14, |v6|, v14
	v_log_f32_e32 v14, v14
	v_mov_b32_e32 v13, 0x3daaaaab
	v_fmac_f32_e32 v13, v15, v9
	v_mov_b32_e32 v9, 0x3ed67f1d
	v_fmac_f32_e32 v9, v11, v13
	s_mov_b32 s6, 0x3f317217
	v_mul_f32_e32 v13, 0x3f317217, v14
	v_fma_f32 v15, v14, s6, -v13
	v_fmac_f32_e32 v15, 0x3377d1cf, v14
	s_mov_b32 s6, 0x7f800000
	v_add_f32_e32 v13, v13, v15
	v_cmp_lt_f32_e64 s[6:7], |v14|, s6
	v_cndmask_b32_e64 v13, v14, v13, s[6:7]
	v_mov_b32_e32 v14, 0x41b17218
	v_cndmask_b32_e64 v14, 0, v14, s[4:5]
	v_sub_f32_e32 v13, v13, v14
	v_add_f32_e64 v11, |v6|, -0.5
	v_add_f32_e32 v13, -1.0, v13
	v_fmac_f32_e32 v9, v11, v13
.LBB135_141:
	s_or_b64 exec, exec, s[16:17]
.LBB135_142:
	s_andn2_saveexec_b64 s[14:15], s[14:15]
	s_cbranch_execz .LBB135_144
; %bb.143:
	v_cvt_i32_f32_e32 v9, v8
	v_mov_b32_e32 v11, 0x3af135b4
	v_mov_b32_e32 v13, 0x3cda40e4
	v_mov_b32_e32 v14, 0x3e15dce6
	v_cvt_f32_i32_e32 v15, v9
	v_mov_b32_e32 v16, 0x3ea6cc7a
	v_mov_b32_e32 v17, 0x3e5c245a
	v_cmp_lt_i32_e64 s[4:5], 2, v9
	v_sub_f32_e64 v15, |v6|, v15
	v_fmac_f32_e32 v11, 0x3805ff67, v15
	v_fmac_f32_e32 v13, v15, v11
	;; [unrolled: 1-line block ×3, first 2 shown]
	v_mov_b32_e32 v13, 0x3a4beed6
	v_fmac_f32_e32 v16, v15, v14
	v_fmac_f32_e32 v13, 0x36f5d7bd, v15
	v_mov_b32_e32 v14, 0x3c98bf54
	v_fmac_f32_e32 v14, v15, v13
	v_mov_b32_e32 v13, 0x3e300f6e
	v_fmac_f32_e32 v13, v15, v14
	v_mov_b32_e32 v14, 0x3f38d0c5
	v_fmac_f32_e32 v14, v15, v13
	v_mov_b32_e32 v13, 0x3fb22d3b
	v_fmac_f32_e32 v13, v15, v14
	v_add_f32_e32 v14, 2.0, v15
	v_mov_b32_e32 v18, 0xbd9e233f
	v_fmac_f32_e32 v17, v15, v16
	v_add_f32_e32 v16, 0x40400000, v15
	v_cndmask_b32_e64 v14, 1.0, v14, s[4:5]
	v_cmp_lt_i32_e64 s[4:5], 3, v9
	v_fmac_f32_e32 v18, v15, v17
	v_add_f32_e32 v17, 4.0, v15
	v_cndmask_b32_e64 v16, 1.0, v16, s[4:5]
	v_cmp_lt_i32_e64 s[4:5], 4, v9
	v_mul_f32_e32 v11, v15, v18
	v_add_f32_e32 v18, 0x40a00000, v15
	v_mul_f32_e32 v14, v14, v16
	v_cndmask_b32_e64 v16, 1.0, v17, s[4:5]
	v_cmp_lt_i32_e64 s[4:5], 5, v9
	v_add_f32_e32 v19, 0x40c00000, v15
	v_mul_f32_e32 v14, v16, v14
	v_cndmask_b32_e64 v16, 1.0, v18, s[4:5]
	v_cmp_lt_i32_e64 s[4:5], 6, v9
	v_mul_f32_e32 v14, v16, v14
	v_cndmask_b32_e64 v9, 1.0, v19, s[4:5]
	v_mul_f32_e32 v9, v9, v14
	s_mov_b32 s4, 0x800000
	v_cmp_gt_f32_e64 s[4:5], s4, v9
	v_cndmask_b32_e64 v14, 0, 32, s[4:5]
	v_fma_f32 v13, v15, v13, 1.0
	v_ldexp_f32 v9, v9, v14
	v_rcp_f32_e32 v13, v13
	v_log_f32_e32 v9, v9
	s_mov_b32 s6, 0x3f317217
	v_mul_f32_e32 v11, v11, v13
	v_mul_f32_e32 v13, 0x3f317217, v9
	v_fma_f32 v14, v9, s6, -v13
	v_fmac_f32_e32 v14, 0x3377d1cf, v9
	s_mov_b32 s6, 0x7f800000
	v_add_f32_e32 v13, v13, v14
	v_cmp_lt_f32_e64 s[6:7], |v9|, s6
	v_cndmask_b32_e64 v9, v9, v13, s[6:7]
	v_mov_b32_e32 v13, 0x41b17218
	v_cndmask_b32_e64 v13, 0, v13, s[4:5]
	v_fmac_f32_e32 v11, 0.5, v15
	v_sub_f32_e32 v9, v9, v13
	v_add_f32_e32 v9, v9, v11
.LBB135_144:
	s_or_b64 exec, exec, s[14:15]
.LBB135_145:
	s_andn2_saveexec_b64 s[12:13], s[12:13]
	s_cbranch_execz .LBB135_163
; %bb.146:
	s_mov_b32 s4, 0x3f666666
	v_cmp_le_f32_e64 s[4:5], |v6|, s4
                                        ; implicit-def: $vgpr9
                                        ; implicit-def: $vgpr13
                                        ; implicit-def: $vgpr11
	s_and_saveexec_b64 s[6:7], s[4:5]
	s_xor_b64 s[14:15], exec, s[6:7]
	s_cbranch_execz .LBB135_148
; %bb.147:
	s_mov_b32 s4, 0x800000
	v_cmp_lt_f32_e64 s[4:5], |v6|, s4
	v_cndmask_b32_e64 v9, 0, 32, s[4:5]
	v_ldexp_f32 v9, |v6|, v9
	v_log_f32_e32 v9, v9
	s_mov_b32 s6, 0x3f317217
	s_mov_b32 s7, 0x7f800000
	v_mul_f32_e32 v11, 0x3f317217, v9
	v_fma_f32 v13, v9, s6, -v11
	v_fmac_f32_e32 v13, 0x3377d1cf, v9
	v_add_f32_e32 v11, v11, v13
	v_cmp_lt_f32_e64 s[6:7], |v9|, s7
	v_cndmask_b32_e64 v9, v9, v11, s[6:7]
	v_mov_b32_e32 v11, 0x41b17218
	v_cndmask_b32_e64 v11, 0, v11, s[4:5]
	s_mov_b32 s4, 0x3f3b4a23
	s_mov_b32 s5, 0xbeec5b0c
	v_sub_f32_e32 v9, v9, v11
	v_sub_f32_e64 v11, 1.0, |v6|
	v_add_f32_e64 v13, |v6|, s5
	v_cmp_lt_f32_e64 s[4:5], |v6|, s4
	v_cndmask_b32_e64 v11, v11, v13, s[4:5]
	v_cndmask_b32_e64 v13, 0, 1, s[4:5]
	s_mov_b32 s4, 0x3e6d3309
	v_cmp_lt_f32_e64 s[4:5], |v6|, s4
	v_xor_b32_e32 v9, 0x80000000, v9
	v_cndmask_b32_e64 v11, v11, |v6|, s[4:5]
	v_cndmask_b32_e64 v13, v13, 2, s[4:5]
.LBB135_148:
	s_andn2_saveexec_b64 s[6:7], s[14:15]
	s_cbranch_execz .LBB135_150
; %bb.149:
	s_mov_b32 s4, 0x3fdda512
	s_mov_b32 s5, 0xbfbb16c3
	v_sub_f32_e64 v9, 2.0, |v6|
	v_add_f32_e64 v11, |v6|, s5
	v_cmp_lt_f32_e64 s[4:5], |v6|, s4
	v_cndmask_b32_e64 v11, v9, v11, s[4:5]
	v_cndmask_b32_e64 v9, v9, 1.0, s[4:5]
	v_cvt_i32_f32_e32 v9, v9
	s_mov_b32 s4, 0x3f9d70a4
	v_add_f32_e64 v13, |v6|, -1.0
	v_cmp_lt_f32_e64 s[4:5], |v6|, s4
	v_cndmask_b32_e64 v11, v11, v13, s[4:5]
	v_cndmask_b32_e64 v13, v9, 2, s[4:5]
	v_mov_b32_e32 v9, 0
.LBB135_150:
	s_or_b64 exec, exec, s[6:7]
	v_cmp_lt_i32_e64 s[4:5], 0, v13
	s_and_saveexec_b64 s[6:7], s[4:5]
	s_xor_b64 s[6:7], exec, s[6:7]
	s_cbranch_execz .LBB135_158
; %bb.151:
	v_cmp_lt_i32_e64 s[4:5], 1, v13
	s_and_saveexec_b64 s[14:15], s[4:5]
	s_xor_b64 s[14:15], exec, s[14:15]
	s_cbranch_execz .LBB135_155
; %bb.152:
	v_cmp_eq_u32_e64 s[4:5], 2, v13
	s_and_saveexec_b64 s[16:17], s[4:5]
	s_cbranch_execz .LBB135_154
; %bb.153:
	v_mov_b32_e32 v13, 0x3e6a7578
	v_fmac_f32_e32 v13, 0x3c5b3c5e, v11
	v_mov_b32_e32 v14, 0x3f7a4bb2
	v_fmac_f32_e32 v14, v11, v13
	v_mov_b32_e32 v13, 0x3fba3ae7
	v_fmac_f32_e32 v13, v11, v14
	v_mov_b32_e32 v14, 0x3f2200f4
	v_fmac_f32_e32 v14, v11, v13
	v_mov_b32_e32 v13, 0x3dd572af
	v_fmac_f32_e32 v13, 0x3b52d5db, v11
	v_mov_b32_e32 v15, 0x3f44efdf
	v_fmac_f32_e32 v15, v11, v13
	v_mov_b32_e32 v13, 0x4008392d
	v_fmac_f32_e32 v13, v11, v15
	v_mov_b32_e32 v15, 0x401d2ebe
	v_fmac_f32_e32 v15, v11, v13
	v_fma_f32 v13, v11, v15, 1.0
	v_rcp_f32_e32 v13, v13
	v_mov_b32_e32 v15, 0xbd9e233f
	v_fmac_f32_e32 v15, v11, v14
	v_mul_f32_e32 v14, v11, v15
	v_mul_f32_e32 v13, v14, v13
	v_fmac_f32_e32 v13, -0.5, v11
	v_add_f32_e32 v9, v9, v13
.LBB135_154:
	s_or_b64 exec, exec, s[16:17]
                                        ; implicit-def: $vgpr11
.LBB135_155:
	s_andn2_saveexec_b64 s[4:5], s[14:15]
	s_cbranch_execz .LBB135_157
; %bb.156:
	v_mul_f32_e32 v13, v11, v11
	v_mul_f32_e32 v14, v11, v13
	v_mov_b32_e32 v15, 0xbab7f476
	v_fmac_f32_e32 v15, 0x39a57b6b, v14
	v_mov_b32_e32 v16, 0x3bc7e707
	v_fmac_f32_e32 v16, v14, v15
	;; [unrolled: 2-line block ×12, first 2 shown]
	v_fmac_f32_e32 v17, v11, v18
	s_mov_b32 s14, 0xa2863e55
	v_fma_f32 v11, v14, -v17, s14
	v_fma_f32 v11, v13, v16, -v11
	v_add_f32_e32 v11, 0xbdf8cdce, v11
	v_add_f32_e32 v9, v9, v11
.LBB135_157:
	s_or_b64 exec, exec, s[4:5]
                                        ; implicit-def: $vgpr13
                                        ; implicit-def: $vgpr11
.LBB135_158:
	s_andn2_saveexec_b64 s[6:7], s[6:7]
	s_cbranch_execz .LBB135_162
; %bb.159:
	v_cmp_eq_u32_e64 s[4:5], 0, v13
	s_and_saveexec_b64 s[14:15], s[4:5]
	s_cbranch_execz .LBB135_161
; %bb.160:
	v_mul_f32_e32 v13, v11, v11
	v_mov_b32_e32 v14, 0x39679767
	v_fmac_f32_e32 v14, 0x37d383a2, v13
	v_mov_b32_e32 v15, 0x3a9c54a1
	v_fmac_f32_e32 v15, v13, v14
	;; [unrolled: 2-line block ×10, first 2 shown]
	v_mul_f32_e32 v13, v13, v15
	v_fmac_f32_e32 v13, v11, v14
	v_fmac_f32_e32 v13, -0.5, v11
	v_add_f32_e32 v9, v9, v13
.LBB135_161:
	s_or_b64 exec, exec, s[14:15]
.LBB135_162:
	s_or_b64 exec, exec, s[6:7]
.LBB135_163:
	s_or_b64 exec, exec, s[12:13]
.LBB135_164:
	s_andn2_saveexec_b64 s[8:9], s[8:9]
	s_cbranch_execz .LBB135_166
; %bb.165:
	s_mov_b32 s4, 0x3e8a8991
	v_mov_b32_e32 v9, 0xbecd26ab
	v_fma_f32 v9, |v6|, s4, v9
	s_mov_b32 s4, 0x3f528d33
	v_fma_f32 v9, |v6|, v9, s4
	s_mov_b32 s4, 0x800000
	v_cmp_lt_f32_e64 s[4:5], |v6|, s4
	v_cndmask_b32_e64 v11, 0, 32, s[4:5]
	v_ldexp_f32 v11, |v6|, v11
	v_log_f32_e32 v11, v11
	s_mov_b32 s6, 0xbf13c468
	v_fma_f32 v9, |v6|, v9, s6
	s_mov_b32 s6, 0x3f317217
	v_mul_f32_e32 v13, 0x3f317217, v11
	v_fma_f32 v14, v11, s6, -v13
	v_fmac_f32_e32 v14, 0x3377d1cf, v11
	s_mov_b32 s6, 0x7f800000
	v_add_f32_e32 v13, v13, v14
	v_cmp_lt_f32_e64 s[6:7], |v11|, s6
	v_cndmask_b32_e64 v11, v11, v13, s[6:7]
	v_mov_b32_e32 v13, 0x41b17218
	v_cndmask_b32_e64 v13, 0, v13, s[4:5]
	v_sub_f32_e32 v11, v11, v13
	v_fma_f32 v9, |v6|, v9, -v11
.LBB135_166:
	s_or_b64 exec, exec, s[8:9]
	v_cmp_le_f32_e64 s[4:5], 0, v6
	v_cmp_nle_f32_e64 s[6:7], 0, v6
	s_and_saveexec_b64 s[8:9], s[6:7]
	s_xor_b64 s[12:13], exec, s[8:9]
	s_cbranch_execz .LBB135_170
; %bb.167:
	s_mov_b32 s6, 0x4b000000
	s_mov_b32 s8, 0x35000000
	v_cmp_lt_f32_e64 s[6:7], |v6|, s6
	v_cmp_gt_f32_e64 s[8:9], |v6|, s8
	s_and_b64 s[6:7], s[6:7], s[8:9]
	s_and_saveexec_b64 s[14:15], s[6:7]
	s_cbranch_execz .LBB135_169
; %bb.168:
	v_mul_f32_e64 v11, |v6|, 0.5
	v_floor_f32_e32 v13, v11
	v_sub_f32_e32 v13, v11, v13
	v_min_f32_e32 v13, 0x3f7fffff, v13
	s_mov_b32 s8, 0x7f800000
	v_add_f32_e32 v13, v13, v13
	v_cmp_neq_f32_e64 s[6:7], s8, v11
	v_cndmask_b32_e64 v11, 0, v13, s[6:7]
	v_cmp_gt_f32_e64 s[6:7], |v6|, 1.0
	v_cndmask_b32_e64 v11, |v6|, v11, s[6:7]
	v_add_f32_e32 v13, v11, v11
	v_rndne_f32_e32 v13, v13
	v_fmac_f32_e32 v11, -0.5, v13
	v_mul_f32_e32 v14, v11, v11
	v_mov_b32_e32 v15, 0xbf1f24be
	v_fmac_f32_e32 v15, 0x3e75aa41, v14
	v_mov_b32_e32 v16, 0x40234736
	v_fmac_f32_e32 v16, v14, v15
	;; [unrolled: 2-line block ×3, first 2 shown]
	v_mul_f32_e32 v16, v11, v14
	v_mul_f32_e32 v15, v16, v15
	v_fmac_f32_e32 v15, 0x40490fdb, v11
	v_mov_b32_e32 v11, 0x3e642e9d
	v_cvt_i32_f32_e32 v13, v13
	v_fmac_f32_e32 v11, 0x3d4be544, v14
	v_mov_b32_e32 v16, 0xbfaad1da
	v_fmac_f32_e32 v16, v14, v11
	v_mov_b32_e32 v11, 0x4081e0d3
	;; [unrolled: 2-line block ×3, first 2 shown]
	v_fmac_f32_e32 v16, v14, v11
	v_fma_f32 v11, v14, v16, 1.0
	v_and_b32_e32 v14, 1, v13
	v_lshlrev_b32_e32 v13, 30, v13
	v_cmp_eq_u32_e64 s[6:7], 0, v14
	v_and_b32_e32 v13, 0x80000000, v13
	v_xor_b32_e32 v8, v8, v6
	v_cndmask_b32_e64 v11, v11, v15, s[6:7]
	v_xor_b32_e32 v8, v8, v13
	v_xor_b32_e32 v8, v8, v11
	v_mul_f32_e32 v8, v6, v8
	v_frexp_mant_f32_e64 v11, |v8|
	v_rcp_f32_e32 v11, v11
	v_frexp_exp_i32_f32_e32 v8, v8
	v_sub_u32_e32 v8, 2, v8
	s_mov_b32 s6, 0x800000
	v_mul_f32_e32 v11, 0x3f490fdb, v11
	v_ldexp_f32 v8, v11, v8
	v_cmp_gt_f32_e64 s[6:7], s6, v8
	v_cndmask_b32_e64 v11, 0, 32, s[6:7]
	v_ldexp_f32 v8, v8, v11
	v_log_f32_e32 v8, v8
	s_mov_b32 s9, 0x3f317217
	v_mul_f32_e32 v11, 0x3f317217, v8
	v_fma_f32 v13, v8, s9, -v11
	v_fmac_f32_e32 v13, 0x3377d1cf, v8
	v_add_f32_e32 v11, v11, v13
	v_cmp_lt_f32_e64 s[8:9], |v8|, s8
	v_cndmask_b32_e64 v8, v8, v11, s[8:9]
	v_mov_b32_e32 v11, 0x41b17218
	v_cndmask_b32_e64 v11, 0, v11, s[6:7]
	v_sub_f32_e32 v8, v8, v11
	v_sub_f32_e32 v8, v8, v9
	v_floor_f32_e32 v9, v6
	v_sub_f32_e32 v9, v6, v9
	v_min_f32_e32 v9, 0x3f7fffff, v9
	v_mov_b32_e32 v11, 0x7f800000
	v_cmp_neq_f32_e64 s[6:7], 0, v9
	v_cndmask_b32_e64 v9, v11, v8, s[6:7]
.LBB135_169:
	s_or_b64 exec, exec, s[14:15]
.LBB135_170:
	s_andn2_saveexec_b64 s[12:13], s[12:13]
; %bb.171:
	v_cmp_eq_f32_e64 s[6:7], 1.0, v6
	v_cmp_eq_f32_e64 s[8:9], 2.0, v6
	s_or_b64 s[6:7], s[6:7], s[8:9]
	v_cndmask_b32_e64 v9, v9, 0, s[6:7]
; %bb.172:
	s_or_b64 exec, exec, s[12:13]
	s_mov_b32 s6, 0x4b000000
	v_cmp_lt_f32_e64 s[6:7], |v6|, s6
	v_mov_b32_e32 v8, 0x264
	v_mov_b32_e32 v11, 0x7f800000
	s_or_b64 s[4:5], s[4:5], s[6:7]
	v_cndmask_b32_e64 v9, v11, v9, s[4:5]
	v_cmp_class_f32_e64 s[4:5], v6, v8
	v_cndmask_b32_e64 v8, v9, v11, s[4:5]
	v_cmp_u_f32_e64 s[4:5], v6, v6
	v_cndmask_b32_e64 v9, v8, v6, s[4:5]
	s_or_b64 exec, exec, s[10:11]
	s_and_saveexec_b64 s[4:5], vcc
	s_xor_b64 s[4:5], exec, s[4:5]
	s_cbranch_execz .LBB135_130
.LBB135_173:
	v_mov_b32_e32 v6, 0
	v_lshlrev_b64 v[5:6], 2, v[5:6]
	v_mov_b32_e32 v7, v3
	v_add_co_u32_e32 v5, vcc, v0, v5
	v_addc_co_u32_e32 v6, vcc, v1, v6, vcc
	flat_store_dword v[5:6], v2
	s_or_b64 exec, exec, s[4:5]
	v_cmp_lt_i32_e32 vcc, v7, v4
	s_and_saveexec_b64 s[4:5], vcc
	s_cbranch_execz .LBB135_131
.LBB135_174:
	v_add_u32_e32 v2, s18, v7
	v_mov_b32_e32 v3, 0
	v_lshlrev_b64 v[2:3], 2, v[2:3]
	v_add_u32_e32 v7, 0x100, v7
	v_add_co_u32_e32 v2, vcc, v0, v2
	v_addc_co_u32_e32 v3, vcc, v1, v3, vcc
	flat_store_dword v[2:3], v12
	s_or_b64 exec, exec, s[4:5]
	v_cmp_lt_i32_e32 vcc, v7, v4
	s_and_saveexec_b64 s[4:5], vcc
	s_cbranch_execz .LBB135_132
.LBB135_175:
	v_add_u32_e32 v2, s18, v7
	v_mov_b32_e32 v3, 0
	v_lshlrev_b64 v[2:3], 2, v[2:3]
	v_add_u32_e32 v7, 0x100, v7
	v_add_co_u32_e32 v2, vcc, v0, v2
	v_addc_co_u32_e32 v3, vcc, v1, v3, vcc
	flat_store_dword v[2:3], v10
	s_or_b64 exec, exec, s[4:5]
	v_cmp_lt_i32_e32 vcc, v7, v4
	s_and_saveexec_b64 s[4:5], vcc
	s_cbranch_execz .LBB135_133
.LBB135_176:
	v_add_u32_e32 v2, s18, v7
	v_mov_b32_e32 v3, 0
	v_lshlrev_b64 v[2:3], 2, v[2:3]
	v_add_co_u32_e32 v0, vcc, v0, v2
	v_addc_co_u32_e32 v1, vcc, v1, v3, vcc
	flat_store_dword v[0:1], v9
	s_or_b64 exec, exec, s[4:5]
	s_waitcnt vmcnt(0) lgkmcnt(0)
	s_setpc_b64 s[30:31]
.Lfunc_end135:
	.size	_ZN2at6native25elementwise_kernel_helperILb0EZZZNS0_18lgamma_kernel_cudaERNS_18TensorIteratorBaseEENKUlvE_clEvENKUlvE0_clEvEUlfE_NS0_6memory8policies11unroll_baseILi256ESt5arrayIPcLm2EE23TrivialOffsetCalculatorILi1EjESE_NS7_15LoadWithoutCastENS7_16StoreWithoutCastELi4ELi1EEEEEvT0_T1_, .Lfunc_end135-_ZN2at6native25elementwise_kernel_helperILb0EZZZNS0_18lgamma_kernel_cudaERNS_18TensorIteratorBaseEENKUlvE_clEvENKUlvE0_clEvEUlfE_NS0_6memory8policies11unroll_baseILi256ESt5arrayIPcLm2EE23TrivialOffsetCalculatorILi1EjESE_NS7_15LoadWithoutCastENS7_16StoreWithoutCastELi4ELi1EEEEEvT0_T1_
                                        ; -- End function
	.set .L_ZN2at6native25elementwise_kernel_helperILb0EZZZNS0_18lgamma_kernel_cudaERNS_18TensorIteratorBaseEENKUlvE_clEvENKUlvE0_clEvEUlfE_NS0_6memory8policies11unroll_baseILi256ESt5arrayIPcLm2EE23TrivialOffsetCalculatorILi1EjESE_NS7_15LoadWithoutCastENS7_16StoreWithoutCastELi4ELi1EEEEEvT0_T1_.num_vgpr, 32
	.set .L_ZN2at6native25elementwise_kernel_helperILb0EZZZNS0_18lgamma_kernel_cudaERNS_18TensorIteratorBaseEENKUlvE_clEvENKUlvE0_clEvEUlfE_NS0_6memory8policies11unroll_baseILi256ESt5arrayIPcLm2EE23TrivialOffsetCalculatorILi1EjESE_NS7_15LoadWithoutCastENS7_16StoreWithoutCastELi4ELi1EEEEEvT0_T1_.num_agpr, 0
	.set .L_ZN2at6native25elementwise_kernel_helperILb0EZZZNS0_18lgamma_kernel_cudaERNS_18TensorIteratorBaseEENKUlvE_clEvENKUlvE0_clEvEUlfE_NS0_6memory8policies11unroll_baseILi256ESt5arrayIPcLm2EE23TrivialOffsetCalculatorILi1EjESE_NS7_15LoadWithoutCastENS7_16StoreWithoutCastELi4ELi1EEEEEvT0_T1_.numbered_sgpr, 32
	.set .L_ZN2at6native25elementwise_kernel_helperILb0EZZZNS0_18lgamma_kernel_cudaERNS_18TensorIteratorBaseEENKUlvE_clEvENKUlvE0_clEvEUlfE_NS0_6memory8policies11unroll_baseILi256ESt5arrayIPcLm2EE23TrivialOffsetCalculatorILi1EjESE_NS7_15LoadWithoutCastENS7_16StoreWithoutCastELi4ELi1EEEEEvT0_T1_.num_named_barrier, 0
	.set .L_ZN2at6native25elementwise_kernel_helperILb0EZZZNS0_18lgamma_kernel_cudaERNS_18TensorIteratorBaseEENKUlvE_clEvENKUlvE0_clEvEUlfE_NS0_6memory8policies11unroll_baseILi256ESt5arrayIPcLm2EE23TrivialOffsetCalculatorILi1EjESE_NS7_15LoadWithoutCastENS7_16StoreWithoutCastELi4ELi1EEEEEvT0_T1_.private_seg_size, 0
	.set .L_ZN2at6native25elementwise_kernel_helperILb0EZZZNS0_18lgamma_kernel_cudaERNS_18TensorIteratorBaseEENKUlvE_clEvENKUlvE0_clEvEUlfE_NS0_6memory8policies11unroll_baseILi256ESt5arrayIPcLm2EE23TrivialOffsetCalculatorILi1EjESE_NS7_15LoadWithoutCastENS7_16StoreWithoutCastELi4ELi1EEEEEvT0_T1_.uses_vcc, 1
	.set .L_ZN2at6native25elementwise_kernel_helperILb0EZZZNS0_18lgamma_kernel_cudaERNS_18TensorIteratorBaseEENKUlvE_clEvENKUlvE0_clEvEUlfE_NS0_6memory8policies11unroll_baseILi256ESt5arrayIPcLm2EE23TrivialOffsetCalculatorILi1EjESE_NS7_15LoadWithoutCastENS7_16StoreWithoutCastELi4ELi1EEEEEvT0_T1_.uses_flat_scratch, 0
	.set .L_ZN2at6native25elementwise_kernel_helperILb0EZZZNS0_18lgamma_kernel_cudaERNS_18TensorIteratorBaseEENKUlvE_clEvENKUlvE0_clEvEUlfE_NS0_6memory8policies11unroll_baseILi256ESt5arrayIPcLm2EE23TrivialOffsetCalculatorILi1EjESE_NS7_15LoadWithoutCastENS7_16StoreWithoutCastELi4ELi1EEEEEvT0_T1_.has_dyn_sized_stack, 0
	.set .L_ZN2at6native25elementwise_kernel_helperILb0EZZZNS0_18lgamma_kernel_cudaERNS_18TensorIteratorBaseEENKUlvE_clEvENKUlvE0_clEvEUlfE_NS0_6memory8policies11unroll_baseILi256ESt5arrayIPcLm2EE23TrivialOffsetCalculatorILi1EjESE_NS7_15LoadWithoutCastENS7_16StoreWithoutCastELi4ELi1EEEEEvT0_T1_.has_recursion, 0
	.set .L_ZN2at6native25elementwise_kernel_helperILb0EZZZNS0_18lgamma_kernel_cudaERNS_18TensorIteratorBaseEENKUlvE_clEvENKUlvE0_clEvEUlfE_NS0_6memory8policies11unroll_baseILi256ESt5arrayIPcLm2EE23TrivialOffsetCalculatorILi1EjESE_NS7_15LoadWithoutCastENS7_16StoreWithoutCastELi4ELi1EEEEEvT0_T1_.has_indirect_call, 0
	.section	.AMDGPU.csdata,"",@progbits
; Function info:
; codeLenInByte = 11508
; TotalNumSgprs: 36
; NumVgprs: 32
; ScratchSize: 0
; MemoryBound: 0
	.text
	.p2align	2                               ; -- Begin function _ZN2at6native25elementwise_kernel_helperILb0EZZZNS0_18lgamma_kernel_cudaERNS_18TensorIteratorBaseEENKUlvE_clEvENKUlvE0_clEvEUlfE_NS0_6memory8policies10vectorizedILi4ESt5arrayIPcLm2EELi4EEEEEvT0_T1_
	.type	_ZN2at6native25elementwise_kernel_helperILb0EZZZNS0_18lgamma_kernel_cudaERNS_18TensorIteratorBaseEENKUlvE_clEvENKUlvE0_clEvEUlfE_NS0_6memory8policies10vectorizedILi4ESt5arrayIPcLm2EELi4EEEEEvT0_T1_,@function
_ZN2at6native25elementwise_kernel_helperILb0EZZZNS0_18lgamma_kernel_cudaERNS_18TensorIteratorBaseEENKUlvE_clEvENKUlvE0_clEvEUlfE_NS0_6memory8policies10vectorizedILi4ESt5arrayIPcLm2EELi4EEEEEvT0_T1_: ; @_ZN2at6native25elementwise_kernel_helperILb0EZZZNS0_18lgamma_kernel_cudaERNS_18TensorIteratorBaseEENKUlvE_clEvENKUlvE0_clEvEUlfE_NS0_6memory8policies10vectorizedILi4ESt5arrayIPcLm2EELi4EEEEEvT0_T1_
; %bb.0:
	s_waitcnt vmcnt(0) expcnt(0) lgkmcnt(0)
	s_lshl_b32 s4, s12, 10
	s_ashr_i32 s5, s4, 31
	s_lshl_b64 s[14:15], s[4:5], 2
	v_mov_b32_e32 v4, s15
	v_add_co_u32_e32 v2, vcc, s14, v2
	v_addc_co_u32_e32 v3, vcc, v3, v4, vcc
	v_and_b32_e32 v4, 0x3ff, v31
	v_lshlrev_b32_e32 v6, 4, v4
	v_add_co_u32_e32 v2, vcc, v2, v6
	v_addc_co_u32_e32 v3, vcc, 0, v3, vcc
	flat_load_dwordx4 v[2:5], v[2:3]
	s_mov_b32 s4, 0x3c800000
                                        ; implicit-def: $vgpr7
	s_waitcnt vmcnt(0) lgkmcnt(0)
	v_and_b32_e32 v8, 0x7fffffff, v2
	v_cmp_nlt_f32_e64 s[4:5], |v2|, s4
	s_and_saveexec_b64 s[6:7], s[4:5]
	s_xor_b64 s[6:7], exec, s[6:7]
	s_cbranch_execz .LBB136_30
; %bb.1:
	v_cmp_nlt_f32_e64 s[4:5], |v2|, 2.0
                                        ; implicit-def: $vgpr7
	s_and_saveexec_b64 s[8:9], s[4:5]
	s_xor_b64 s[8:9], exec, s[8:9]
	s_cbranch_execz .LBB136_11
; %bb.2:
	s_mov_b32 s4, 0x41000000
	v_cmp_nlt_f32_e64 s[4:5], |v2|, s4
                                        ; implicit-def: $vgpr7
	s_and_saveexec_b64 s[10:11], s[4:5]
	s_xor_b64 s[10:11], exec, s[10:11]
	s_cbranch_execz .LBB136_8
; %bb.3:
	s_mov_b32 s4, 0x5c800000
	v_cmp_nlt_f32_e64 s[4:5], |v2|, s4
                                        ; implicit-def: $vgpr7
	s_and_saveexec_b64 s[12:13], s[4:5]
	s_xor_b64 s[12:13], exec, s[12:13]
	s_cbranch_execz .LBB136_5
; %bb.4:
	s_mov_b32 s4, 0x800000
	v_cmp_lt_f32_e64 vcc, |v2|, s4
	v_cndmask_b32_e64 v7, 0, 32, vcc
	v_ldexp_f32 v7, |v2|, v7
	v_log_f32_e32 v7, v7
	s_mov_b32 s4, 0x3f317217
	s_mov_b32 s5, 0x7f800000
	v_mul_f32_e32 v9, 0x3f317217, v7
	v_fma_f32 v10, v7, s4, -v9
	v_fmac_f32_e32 v10, 0x3377d1cf, v7
	v_add_f32_e32 v9, v9, v10
	v_cmp_lt_f32_e64 s[4:5], |v7|, s5
	v_cndmask_b32_e64 v7, v7, v9, s[4:5]
	v_mov_b32_e32 v9, 0x41b17218
	v_cndmask_b32_e32 v9, 0, v9, vcc
	v_sub_f32_e32 v7, v7, v9
	v_fma_f32 v7, |v2|, v7, -|v2|
.LBB136_5:
	s_andn2_saveexec_b64 s[12:13], s[12:13]
	s_cbranch_execz .LBB136_7
; %bb.6:
	v_rcp_f32_e64 v9, |v2|
	v_mov_b32_e32 v7, 0x3a5b3dd2
	v_mov_b32_e32 v10, 0xba1c065c
	;; [unrolled: 1-line block ×3, first 2 shown]
	v_mul_f32_e32 v12, v9, v9
	v_fmac_f32_e32 v7, 0xbad5c4e8, v12
	v_fmac_f32_e32 v10, v12, v7
	s_mov_b32 s4, 0x800000
	v_fmac_f32_e32 v11, v12, v10
	v_mov_b32_e32 v7, 0xbb360b61
	v_cmp_lt_f32_e64 vcc, |v2|, s4
	v_fmac_f32_e32 v7, v12, v11
	v_cndmask_b32_e64 v11, 0, 32, vcc
	v_ldexp_f32 v11, |v2|, v11
	v_log_f32_e32 v11, v11
	v_mov_b32_e32 v10, 0x3daaaaab
	v_fmac_f32_e32 v10, v12, v7
	v_mov_b32_e32 v7, 0x3ed67f1d
	v_fmac_f32_e32 v7, v9, v10
	s_mov_b32 s4, 0x3f317217
	v_mul_f32_e32 v10, 0x3f317217, v11
	v_fma_f32 v12, v11, s4, -v10
	v_fmac_f32_e32 v12, 0x3377d1cf, v11
	s_mov_b32 s4, 0x7f800000
	v_add_f32_e32 v10, v10, v12
	v_cmp_lt_f32_e64 s[4:5], |v11|, s4
	v_cndmask_b32_e64 v10, v11, v10, s[4:5]
	v_mov_b32_e32 v11, 0x41b17218
	v_cndmask_b32_e32 v11, 0, v11, vcc
	v_sub_f32_e32 v10, v10, v11
	v_add_f32_e64 v9, |v2|, -0.5
	v_add_f32_e32 v10, -1.0, v10
	v_fmac_f32_e32 v7, v9, v10
.LBB136_7:
	s_or_b64 exec, exec, s[12:13]
.LBB136_8:
	s_andn2_saveexec_b64 s[10:11], s[10:11]
	s_cbranch_execz .LBB136_10
; %bb.9:
	v_cvt_i32_f32_e32 v7, v8
	v_mov_b32_e32 v9, 0x3af135b4
	v_mov_b32_e32 v10, 0x3cda40e4
	v_mov_b32_e32 v11, 0x3e15dce6
	v_cvt_f32_i32_e32 v12, v7
	v_mov_b32_e32 v13, 0x3ea6cc7a
	v_mov_b32_e32 v14, 0x3e5c245a
	v_cmp_lt_i32_e32 vcc, 2, v7
	v_sub_f32_e64 v12, |v2|, v12
	v_fmac_f32_e32 v9, 0x3805ff67, v12
	v_fmac_f32_e32 v10, v12, v9
	;; [unrolled: 1-line block ×3, first 2 shown]
	v_mov_b32_e32 v10, 0x3a4beed6
	v_fmac_f32_e32 v13, v12, v11
	v_fmac_f32_e32 v10, 0x36f5d7bd, v12
	v_mov_b32_e32 v11, 0x3c98bf54
	v_fmac_f32_e32 v11, v12, v10
	v_mov_b32_e32 v10, 0x3e300f6e
	;; [unrolled: 2-line block ×4, first 2 shown]
	v_fmac_f32_e32 v10, v12, v11
	v_add_f32_e32 v11, 2.0, v12
	v_mov_b32_e32 v15, 0xbd9e233f
	v_fmac_f32_e32 v14, v12, v13
	v_add_f32_e32 v13, 0x40400000, v12
	v_cndmask_b32_e32 v11, 1.0, v11, vcc
	v_cmp_lt_i32_e32 vcc, 3, v7
	v_fmac_f32_e32 v15, v12, v14
	v_add_f32_e32 v14, 4.0, v12
	v_cndmask_b32_e32 v13, 1.0, v13, vcc
	v_cmp_lt_i32_e32 vcc, 4, v7
	v_mul_f32_e32 v9, v12, v15
	v_add_f32_e32 v15, 0x40a00000, v12
	v_mul_f32_e32 v11, v11, v13
	v_cndmask_b32_e32 v13, 1.0, v14, vcc
	v_cmp_lt_i32_e32 vcc, 5, v7
	v_add_f32_e32 v16, 0x40c00000, v12
	v_mul_f32_e32 v11, v13, v11
	v_cndmask_b32_e32 v13, 1.0, v15, vcc
	v_cmp_lt_i32_e32 vcc, 6, v7
	v_mul_f32_e32 v11, v13, v11
	v_cndmask_b32_e32 v7, 1.0, v16, vcc
	v_mul_f32_e32 v7, v7, v11
	s_mov_b32 s4, 0x800000
	v_cmp_gt_f32_e32 vcc, s4, v7
	v_cndmask_b32_e64 v11, 0, 32, vcc
	v_fma_f32 v10, v12, v10, 1.0
	v_ldexp_f32 v7, v7, v11
	v_rcp_f32_e32 v10, v10
	v_log_f32_e32 v7, v7
	s_mov_b32 s4, 0x3f317217
	v_mul_f32_e32 v9, v9, v10
	v_mul_f32_e32 v10, 0x3f317217, v7
	v_fma_f32 v11, v7, s4, -v10
	v_fmac_f32_e32 v11, 0x3377d1cf, v7
	s_mov_b32 s4, 0x7f800000
	v_add_f32_e32 v10, v10, v11
	v_cmp_lt_f32_e64 s[4:5], |v7|, s4
	v_cndmask_b32_e64 v7, v7, v10, s[4:5]
	v_mov_b32_e32 v10, 0x41b17218
	v_cndmask_b32_e32 v10, 0, v10, vcc
	v_fmac_f32_e32 v9, 0.5, v12
	v_sub_f32_e32 v7, v7, v10
	v_add_f32_e32 v7, v7, v9
.LBB136_10:
	s_or_b64 exec, exec, s[10:11]
.LBB136_11:
	s_andn2_saveexec_b64 s[8:9], s[8:9]
	s_cbranch_execz .LBB136_29
; %bb.12:
	s_mov_b32 s4, 0x3f666666
	v_cmp_le_f32_e64 s[4:5], |v2|, s4
                                        ; implicit-def: $vgpr7
                                        ; implicit-def: $vgpr10
                                        ; implicit-def: $vgpr9
	s_and_saveexec_b64 s[10:11], s[4:5]
	s_xor_b64 s[10:11], exec, s[10:11]
	s_cbranch_execz .LBB136_14
; %bb.13:
	s_mov_b32 s4, 0x800000
	v_cmp_lt_f32_e64 vcc, |v2|, s4
	v_cndmask_b32_e64 v7, 0, 32, vcc
	v_ldexp_f32 v7, |v2|, v7
	v_log_f32_e32 v7, v7
	s_mov_b32 s4, 0x3f317217
	s_mov_b32 s5, 0x7f800000
	v_mul_f32_e32 v9, 0x3f317217, v7
	v_fma_f32 v10, v7, s4, -v9
	v_fmac_f32_e32 v10, 0x3377d1cf, v7
	v_add_f32_e32 v9, v9, v10
	v_cmp_lt_f32_e64 s[4:5], |v7|, s5
	v_cndmask_b32_e64 v7, v7, v9, s[4:5]
	v_mov_b32_e32 v9, 0x41b17218
	v_cndmask_b32_e32 v9, 0, v9, vcc
	s_mov_b32 s4, 0x3f3b4a23
	s_mov_b32 s5, 0xbeec5b0c
	v_sub_f32_e32 v7, v7, v9
	v_sub_f32_e64 v9, 1.0, |v2|
	v_add_f32_e64 v10, |v2|, s5
	v_cmp_lt_f32_e64 vcc, |v2|, s4
	s_mov_b32 s4, 0x3e6d3309
	v_cndmask_b32_e32 v9, v9, v10, vcc
	v_cndmask_b32_e64 v10, 0, 1, vcc
	v_cmp_lt_f32_e64 s[4:5], |v2|, s4
	v_xor_b32_e32 v7, 0x80000000, v7
	v_cndmask_b32_e64 v9, v9, |v2|, s[4:5]
	v_cndmask_b32_e64 v10, v10, 2, s[4:5]
.LBB136_14:
	s_andn2_saveexec_b64 s[4:5], s[10:11]
	s_cbranch_execz .LBB136_16
; %bb.15:
	s_mov_b32 s10, 0x3fdda512
	s_mov_b32 s11, 0xbfbb16c3
	v_sub_f32_e64 v7, 2.0, |v2|
	v_add_f32_e64 v9, |v2|, s11
	v_cmp_lt_f32_e64 vcc, |v2|, s10
	v_cndmask_b32_e32 v9, v7, v9, vcc
	v_cndmask_b32_e64 v7, v7, 1.0, vcc
	v_cvt_i32_f32_e32 v7, v7
	s_mov_b32 s10, 0x3f9d70a4
	v_add_f32_e64 v10, |v2|, -1.0
	v_cmp_lt_f32_e64 vcc, |v2|, s10
	v_cndmask_b32_e32 v9, v9, v10, vcc
	v_cndmask_b32_e64 v10, v7, 2, vcc
	v_mov_b32_e32 v7, 0
.LBB136_16:
	s_or_b64 exec, exec, s[4:5]
	v_cmp_lt_i32_e32 vcc, 0, v10
	s_and_saveexec_b64 s[4:5], vcc
	s_xor_b64 s[4:5], exec, s[4:5]
	s_cbranch_execz .LBB136_24
; %bb.17:
	v_cmp_lt_i32_e32 vcc, 1, v10
	s_and_saveexec_b64 s[10:11], vcc
	s_xor_b64 s[10:11], exec, s[10:11]
	s_cbranch_execz .LBB136_21
; %bb.18:
	v_cmp_eq_u32_e32 vcc, 2, v10
	s_and_saveexec_b64 s[12:13], vcc
	s_cbranch_execz .LBB136_20
; %bb.19:
	v_mov_b32_e32 v10, 0x3e6a7578
	v_fmac_f32_e32 v10, 0x3c5b3c5e, v9
	v_mov_b32_e32 v11, 0x3f7a4bb2
	v_fmac_f32_e32 v11, v9, v10
	;; [unrolled: 2-line block ×8, first 2 shown]
	v_fma_f32 v10, v9, v12, 1.0
	v_rcp_f32_e32 v10, v10
	v_mov_b32_e32 v12, 0xbd9e233f
	v_fmac_f32_e32 v12, v9, v11
	v_mul_f32_e32 v11, v9, v12
	v_mul_f32_e32 v10, v11, v10
	v_fmac_f32_e32 v10, -0.5, v9
	v_add_f32_e32 v7, v7, v10
.LBB136_20:
	s_or_b64 exec, exec, s[12:13]
                                        ; implicit-def: $vgpr9
.LBB136_21:
	s_andn2_saveexec_b64 s[10:11], s[10:11]
	s_cbranch_execz .LBB136_23
; %bb.22:
	v_mul_f32_e32 v10, v9, v9
	v_mul_f32_e32 v11, v9, v10
	v_mov_b32_e32 v12, 0xbab7f476
	v_fmac_f32_e32 v12, 0x39a57b6b, v11
	v_mov_b32_e32 v13, 0x3bc7e707
	v_fmac_f32_e32 v13, v11, v12
	;; [unrolled: 2-line block ×12, first 2 shown]
	v_fmac_f32_e32 v14, v9, v15
	s_mov_b32 s12, 0xa2863e55
	v_fma_f32 v9, v11, -v14, s12
	v_fma_f32 v9, v10, v13, -v9
	v_add_f32_e32 v9, 0xbdf8cdce, v9
	v_add_f32_e32 v7, v7, v9
.LBB136_23:
	s_or_b64 exec, exec, s[10:11]
                                        ; implicit-def: $vgpr10
                                        ; implicit-def: $vgpr9
.LBB136_24:
	s_andn2_saveexec_b64 s[4:5], s[4:5]
	s_cbranch_execz .LBB136_28
; %bb.25:
	v_cmp_eq_u32_e32 vcc, 0, v10
	s_and_saveexec_b64 s[10:11], vcc
	s_cbranch_execz .LBB136_27
; %bb.26:
	v_mul_f32_e32 v10, v9, v9
	v_mov_b32_e32 v11, 0x39679767
	v_fmac_f32_e32 v11, 0x37d383a2, v10
	v_mov_b32_e32 v12, 0x3a9c54a1
	v_fmac_f32_e32 v12, v10, v11
	;; [unrolled: 2-line block ×10, first 2 shown]
	v_mul_f32_e32 v10, v10, v12
	v_fmac_f32_e32 v10, v9, v11
	v_fmac_f32_e32 v10, -0.5, v9
	v_add_f32_e32 v7, v7, v10
.LBB136_27:
	s_or_b64 exec, exec, s[10:11]
.LBB136_28:
	s_or_b64 exec, exec, s[4:5]
.LBB136_29:
	s_or_b64 exec, exec, s[8:9]
.LBB136_30:
	s_andn2_saveexec_b64 s[6:7], s[6:7]
	s_cbranch_execz .LBB136_32
; %bb.31:
	s_mov_b32 s4, 0x3e8a8991
	v_mov_b32_e32 v7, 0xbecd26ab
	v_fma_f32 v7, |v2|, s4, v7
	s_mov_b32 s4, 0x3f528d33
	v_fma_f32 v7, |v2|, v7, s4
	s_mov_b32 s4, 0x800000
	v_cmp_lt_f32_e64 vcc, |v2|, s4
	v_cndmask_b32_e64 v9, 0, 32, vcc
	v_ldexp_f32 v9, |v2|, v9
	v_log_f32_e32 v9, v9
	s_mov_b32 s4, 0xbf13c468
	v_fma_f32 v7, |v2|, v7, s4
	s_mov_b32 s4, 0x3f317217
	v_mul_f32_e32 v10, 0x3f317217, v9
	v_fma_f32 v11, v9, s4, -v10
	v_fmac_f32_e32 v11, 0x3377d1cf, v9
	s_mov_b32 s4, 0x7f800000
	v_add_f32_e32 v10, v10, v11
	v_cmp_lt_f32_e64 s[4:5], |v9|, s4
	v_cndmask_b32_e64 v9, v9, v10, s[4:5]
	v_mov_b32_e32 v10, 0x41b17218
	v_cndmask_b32_e32 v10, 0, v10, vcc
	v_sub_f32_e32 v9, v9, v10
	v_fma_f32 v7, |v2|, v7, -v9
.LBB136_32:
	s_or_b64 exec, exec, s[6:7]
	v_cmp_le_f32_e32 vcc, 0, v2
	v_cmp_nle_f32_e64 s[4:5], 0, v2
	s_and_saveexec_b64 s[6:7], s[4:5]
	s_xor_b64 s[8:9], exec, s[6:7]
	s_cbranch_execz .LBB136_36
; %bb.33:
	s_mov_b32 s4, 0x4b000000
	s_mov_b32 s6, 0x35000000
	v_cmp_lt_f32_e64 s[4:5], |v2|, s4
	v_cmp_gt_f32_e64 s[6:7], |v2|, s6
	s_and_b64 s[4:5], s[4:5], s[6:7]
	s_and_saveexec_b64 s[10:11], s[4:5]
	s_cbranch_execz .LBB136_35
; %bb.34:
	v_mul_f32_e64 v9, |v2|, 0.5
	v_floor_f32_e32 v10, v9
	v_sub_f32_e32 v10, v9, v10
	v_min_f32_e32 v10, 0x3f7fffff, v10
	s_mov_b32 s6, 0x7f800000
	v_add_f32_e32 v10, v10, v10
	v_cmp_neq_f32_e64 s[4:5], s6, v9
	v_cndmask_b32_e64 v9, 0, v10, s[4:5]
	v_cmp_gt_f32_e64 s[4:5], |v2|, 1.0
	v_cndmask_b32_e64 v9, |v2|, v9, s[4:5]
	v_add_f32_e32 v10, v9, v9
	v_rndne_f32_e32 v10, v10
	v_fmac_f32_e32 v9, -0.5, v10
	v_mul_f32_e32 v11, v9, v9
	v_mov_b32_e32 v12, 0xbf1f24be
	v_fmac_f32_e32 v12, 0x3e75aa41, v11
	v_mov_b32_e32 v13, 0x40234736
	v_fmac_f32_e32 v13, v11, v12
	;; [unrolled: 2-line block ×3, first 2 shown]
	v_mul_f32_e32 v13, v9, v11
	v_mul_f32_e32 v12, v13, v12
	v_fmac_f32_e32 v12, 0x40490fdb, v9
	v_mov_b32_e32 v9, 0x3e642e9d
	v_cvt_i32_f32_e32 v10, v10
	v_fmac_f32_e32 v9, 0x3d4be544, v11
	v_mov_b32_e32 v13, 0xbfaad1da
	v_fmac_f32_e32 v13, v11, v9
	v_mov_b32_e32 v9, 0x4081e0d3
	;; [unrolled: 2-line block ×3, first 2 shown]
	v_fmac_f32_e32 v13, v11, v9
	v_fma_f32 v9, v11, v13, 1.0
	v_and_b32_e32 v11, 1, v10
	v_lshlrev_b32_e32 v10, 30, v10
	v_cmp_eq_u32_e64 s[4:5], 0, v11
	v_and_b32_e32 v10, 0x80000000, v10
	v_xor_b32_e32 v8, v8, v2
	v_cndmask_b32_e64 v9, v9, v12, s[4:5]
	v_xor_b32_e32 v8, v8, v10
	v_xor_b32_e32 v8, v8, v9
	v_mul_f32_e32 v8, v2, v8
	v_frexp_mant_f32_e64 v9, |v8|
	v_rcp_f32_e32 v9, v9
	v_frexp_exp_i32_f32_e32 v8, v8
	v_sub_u32_e32 v8, 2, v8
	s_mov_b32 s4, 0x800000
	v_mul_f32_e32 v9, 0x3f490fdb, v9
	v_ldexp_f32 v8, v9, v8
	v_cmp_gt_f32_e64 s[4:5], s4, v8
	v_cndmask_b32_e64 v9, 0, 32, s[4:5]
	v_ldexp_f32 v8, v8, v9
	v_log_f32_e32 v8, v8
	s_mov_b32 s7, 0x3f317217
	v_mul_f32_e32 v9, 0x3f317217, v8
	v_fma_f32 v10, v8, s7, -v9
	v_fmac_f32_e32 v10, 0x3377d1cf, v8
	v_add_f32_e32 v9, v9, v10
	v_cmp_lt_f32_e64 s[6:7], |v8|, s6
	v_cndmask_b32_e64 v8, v8, v9, s[6:7]
	v_mov_b32_e32 v9, 0x41b17218
	v_cndmask_b32_e64 v9, 0, v9, s[4:5]
	v_sub_f32_e32 v8, v8, v9
	v_sub_f32_e32 v7, v8, v7
	v_floor_f32_e32 v8, v2
	v_sub_f32_e32 v8, v2, v8
	v_min_f32_e32 v8, 0x3f7fffff, v8
	v_mov_b32_e32 v9, 0x7f800000
	v_cmp_neq_f32_e64 s[4:5], 0, v8
	v_cndmask_b32_e64 v7, v9, v7, s[4:5]
.LBB136_35:
	s_or_b64 exec, exec, s[10:11]
.LBB136_36:
	s_andn2_saveexec_b64 s[8:9], s[8:9]
; %bb.37:
	v_cmp_eq_f32_e64 s[4:5], 1.0, v2
	v_cmp_eq_f32_e64 s[6:7], 2.0, v2
	s_or_b64 s[4:5], s[4:5], s[6:7]
	v_cndmask_b32_e64 v7, v7, 0, s[4:5]
; %bb.38:
	s_or_b64 exec, exec, s[8:9]
	s_mov_b32 s4, 0x3c800000
	v_and_b32_e32 v9, 0x7fffffff, v3
	v_cmp_nlt_f32_e64 s[4:5], |v3|, s4
                                        ; implicit-def: $vgpr8
	s_and_saveexec_b64 s[6:7], s[4:5]
	s_xor_b64 s[8:9], exec, s[6:7]
	s_cbranch_execz .LBB136_68
; %bb.39:
	v_cmp_nlt_f32_e64 s[4:5], |v3|, 2.0
                                        ; implicit-def: $vgpr8
	s_and_saveexec_b64 s[6:7], s[4:5]
	s_xor_b64 s[10:11], exec, s[6:7]
	s_cbranch_execz .LBB136_49
; %bb.40:
	s_mov_b32 s4, 0x41000000
	v_cmp_nlt_f32_e64 s[4:5], |v3|, s4
                                        ; implicit-def: $vgpr8
	s_and_saveexec_b64 s[6:7], s[4:5]
	s_xor_b64 s[12:13], exec, s[6:7]
	s_cbranch_execz .LBB136_46
; %bb.41:
	s_mov_b32 s4, 0x5c800000
	v_cmp_nlt_f32_e64 s[4:5], |v3|, s4
                                        ; implicit-def: $vgpr8
	s_and_saveexec_b64 s[6:7], s[4:5]
	s_xor_b64 s[16:17], exec, s[6:7]
	s_cbranch_execz .LBB136_43
; %bb.42:
	s_mov_b32 s4, 0x800000
	v_cmp_lt_f32_e64 s[4:5], |v3|, s4
	v_cndmask_b32_e64 v8, 0, 32, s[4:5]
	v_ldexp_f32 v8, |v3|, v8
	v_log_f32_e32 v8, v8
	s_mov_b32 s6, 0x3f317217
	s_mov_b32 s7, 0x7f800000
	v_mul_f32_e32 v10, 0x3f317217, v8
	v_fma_f32 v11, v8, s6, -v10
	v_fmac_f32_e32 v11, 0x3377d1cf, v8
	v_add_f32_e32 v10, v10, v11
	v_cmp_lt_f32_e64 s[6:7], |v8|, s7
	v_cndmask_b32_e64 v8, v8, v10, s[6:7]
	v_mov_b32_e32 v10, 0x41b17218
	v_cndmask_b32_e64 v10, 0, v10, s[4:5]
	v_sub_f32_e32 v8, v8, v10
	v_fma_f32 v8, |v3|, v8, -|v3|
.LBB136_43:
	s_andn2_saveexec_b64 s[16:17], s[16:17]
	s_cbranch_execz .LBB136_45
; %bb.44:
	v_rcp_f32_e64 v10, |v3|
	v_mov_b32_e32 v8, 0x3a5b3dd2
	v_mov_b32_e32 v11, 0xba1c065c
	;; [unrolled: 1-line block ×3, first 2 shown]
	v_mul_f32_e32 v13, v10, v10
	v_fmac_f32_e32 v8, 0xbad5c4e8, v13
	v_fmac_f32_e32 v11, v13, v8
	s_mov_b32 s4, 0x800000
	v_fmac_f32_e32 v12, v13, v11
	v_mov_b32_e32 v8, 0xbb360b61
	v_cmp_lt_f32_e64 s[4:5], |v3|, s4
	v_fmac_f32_e32 v8, v13, v12
	v_cndmask_b32_e64 v12, 0, 32, s[4:5]
	v_ldexp_f32 v12, |v3|, v12
	v_log_f32_e32 v12, v12
	v_mov_b32_e32 v11, 0x3daaaaab
	v_fmac_f32_e32 v11, v13, v8
	v_mov_b32_e32 v8, 0x3ed67f1d
	v_fmac_f32_e32 v8, v10, v11
	s_mov_b32 s6, 0x3f317217
	v_mul_f32_e32 v11, 0x3f317217, v12
	v_fma_f32 v13, v12, s6, -v11
	v_fmac_f32_e32 v13, 0x3377d1cf, v12
	s_mov_b32 s6, 0x7f800000
	v_add_f32_e32 v11, v11, v13
	v_cmp_lt_f32_e64 s[6:7], |v12|, s6
	v_cndmask_b32_e64 v11, v12, v11, s[6:7]
	v_mov_b32_e32 v12, 0x41b17218
	v_cndmask_b32_e64 v12, 0, v12, s[4:5]
	v_sub_f32_e32 v11, v11, v12
	v_add_f32_e64 v10, |v3|, -0.5
	v_add_f32_e32 v11, -1.0, v11
	v_fmac_f32_e32 v8, v10, v11
.LBB136_45:
	s_or_b64 exec, exec, s[16:17]
.LBB136_46:
	s_andn2_saveexec_b64 s[12:13], s[12:13]
	s_cbranch_execz .LBB136_48
; %bb.47:
	v_cvt_i32_f32_e32 v8, v9
	v_mov_b32_e32 v10, 0x3af135b4
	v_mov_b32_e32 v11, 0x3cda40e4
	v_mov_b32_e32 v12, 0x3e15dce6
	v_cvt_f32_i32_e32 v13, v8
	v_mov_b32_e32 v14, 0x3ea6cc7a
	v_mov_b32_e32 v15, 0x3e5c245a
	v_cmp_lt_i32_e64 s[4:5], 2, v8
	v_sub_f32_e64 v13, |v3|, v13
	v_fmac_f32_e32 v10, 0x3805ff67, v13
	v_fmac_f32_e32 v11, v13, v10
	;; [unrolled: 1-line block ×3, first 2 shown]
	v_mov_b32_e32 v11, 0x3a4beed6
	v_fmac_f32_e32 v14, v13, v12
	v_fmac_f32_e32 v11, 0x36f5d7bd, v13
	v_mov_b32_e32 v12, 0x3c98bf54
	v_fmac_f32_e32 v12, v13, v11
	v_mov_b32_e32 v11, 0x3e300f6e
	v_fmac_f32_e32 v11, v13, v12
	v_mov_b32_e32 v12, 0x3f38d0c5
	v_fmac_f32_e32 v12, v13, v11
	v_mov_b32_e32 v11, 0x3fb22d3b
	v_fmac_f32_e32 v11, v13, v12
	v_add_f32_e32 v12, 2.0, v13
	v_mov_b32_e32 v16, 0xbd9e233f
	v_fmac_f32_e32 v15, v13, v14
	v_add_f32_e32 v14, 0x40400000, v13
	v_cndmask_b32_e64 v12, 1.0, v12, s[4:5]
	v_cmp_lt_i32_e64 s[4:5], 3, v8
	v_fmac_f32_e32 v16, v13, v15
	v_add_f32_e32 v15, 4.0, v13
	v_cndmask_b32_e64 v14, 1.0, v14, s[4:5]
	v_cmp_lt_i32_e64 s[4:5], 4, v8
	v_mul_f32_e32 v10, v13, v16
	v_add_f32_e32 v16, 0x40a00000, v13
	v_mul_f32_e32 v12, v12, v14
	v_cndmask_b32_e64 v14, 1.0, v15, s[4:5]
	v_cmp_lt_i32_e64 s[4:5], 5, v8
	v_add_f32_e32 v17, 0x40c00000, v13
	v_mul_f32_e32 v12, v14, v12
	v_cndmask_b32_e64 v14, 1.0, v16, s[4:5]
	v_cmp_lt_i32_e64 s[4:5], 6, v8
	v_mul_f32_e32 v12, v14, v12
	v_cndmask_b32_e64 v8, 1.0, v17, s[4:5]
	v_mul_f32_e32 v8, v8, v12
	s_mov_b32 s4, 0x800000
	v_cmp_gt_f32_e64 s[4:5], s4, v8
	v_cndmask_b32_e64 v12, 0, 32, s[4:5]
	v_fma_f32 v11, v13, v11, 1.0
	v_ldexp_f32 v8, v8, v12
	v_rcp_f32_e32 v11, v11
	v_log_f32_e32 v8, v8
	s_mov_b32 s6, 0x3f317217
	v_mul_f32_e32 v10, v10, v11
	v_mul_f32_e32 v11, 0x3f317217, v8
	v_fma_f32 v12, v8, s6, -v11
	v_fmac_f32_e32 v12, 0x3377d1cf, v8
	s_mov_b32 s6, 0x7f800000
	v_add_f32_e32 v11, v11, v12
	v_cmp_lt_f32_e64 s[6:7], |v8|, s6
	v_cndmask_b32_e64 v8, v8, v11, s[6:7]
	v_mov_b32_e32 v11, 0x41b17218
	v_cndmask_b32_e64 v11, 0, v11, s[4:5]
	v_fmac_f32_e32 v10, 0.5, v13
	v_sub_f32_e32 v8, v8, v11
	v_add_f32_e32 v8, v8, v10
.LBB136_48:
	s_or_b64 exec, exec, s[12:13]
.LBB136_49:
	s_andn2_saveexec_b64 s[10:11], s[10:11]
	s_cbranch_execz .LBB136_67
; %bb.50:
	s_mov_b32 s4, 0x3f666666
	v_cmp_le_f32_e64 s[4:5], |v3|, s4
                                        ; implicit-def: $vgpr8
                                        ; implicit-def: $vgpr11
                                        ; implicit-def: $vgpr10
	s_and_saveexec_b64 s[6:7], s[4:5]
	s_xor_b64 s[12:13], exec, s[6:7]
	s_cbranch_execz .LBB136_52
; %bb.51:
	s_mov_b32 s4, 0x800000
	v_cmp_lt_f32_e64 s[4:5], |v3|, s4
	v_cndmask_b32_e64 v8, 0, 32, s[4:5]
	v_ldexp_f32 v8, |v3|, v8
	v_log_f32_e32 v8, v8
	s_mov_b32 s6, 0x3f317217
	s_mov_b32 s7, 0x7f800000
	v_mul_f32_e32 v10, 0x3f317217, v8
	v_fma_f32 v11, v8, s6, -v10
	v_fmac_f32_e32 v11, 0x3377d1cf, v8
	v_add_f32_e32 v10, v10, v11
	v_cmp_lt_f32_e64 s[6:7], |v8|, s7
	v_cndmask_b32_e64 v8, v8, v10, s[6:7]
	v_mov_b32_e32 v10, 0x41b17218
	v_cndmask_b32_e64 v10, 0, v10, s[4:5]
	s_mov_b32 s4, 0x3f3b4a23
	s_mov_b32 s5, 0xbeec5b0c
	v_sub_f32_e32 v8, v8, v10
	v_sub_f32_e64 v10, 1.0, |v3|
	v_add_f32_e64 v11, |v3|, s5
	v_cmp_lt_f32_e64 s[4:5], |v3|, s4
	v_cndmask_b32_e64 v10, v10, v11, s[4:5]
	v_cndmask_b32_e64 v11, 0, 1, s[4:5]
	s_mov_b32 s4, 0x3e6d3309
	v_cmp_lt_f32_e64 s[4:5], |v3|, s4
	v_xor_b32_e32 v8, 0x80000000, v8
	v_cndmask_b32_e64 v10, v10, |v3|, s[4:5]
	v_cndmask_b32_e64 v11, v11, 2, s[4:5]
.LBB136_52:
	s_andn2_saveexec_b64 s[6:7], s[12:13]
	s_cbranch_execz .LBB136_54
; %bb.53:
	s_mov_b32 s4, 0x3fdda512
	s_mov_b32 s5, 0xbfbb16c3
	v_sub_f32_e64 v8, 2.0, |v3|
	v_add_f32_e64 v10, |v3|, s5
	v_cmp_lt_f32_e64 s[4:5], |v3|, s4
	v_cndmask_b32_e64 v10, v8, v10, s[4:5]
	v_cndmask_b32_e64 v8, v8, 1.0, s[4:5]
	v_cvt_i32_f32_e32 v8, v8
	s_mov_b32 s4, 0x3f9d70a4
	v_add_f32_e64 v11, |v3|, -1.0
	v_cmp_lt_f32_e64 s[4:5], |v3|, s4
	v_cndmask_b32_e64 v10, v10, v11, s[4:5]
	v_cndmask_b32_e64 v11, v8, 2, s[4:5]
	v_mov_b32_e32 v8, 0
.LBB136_54:
	s_or_b64 exec, exec, s[6:7]
	v_cmp_lt_i32_e64 s[4:5], 0, v11
	s_and_saveexec_b64 s[6:7], s[4:5]
	s_xor_b64 s[6:7], exec, s[6:7]
	s_cbranch_execz .LBB136_62
; %bb.55:
	v_cmp_lt_i32_e64 s[4:5], 1, v11
	s_and_saveexec_b64 s[12:13], s[4:5]
	s_xor_b64 s[12:13], exec, s[12:13]
	s_cbranch_execz .LBB136_59
; %bb.56:
	v_cmp_eq_u32_e64 s[4:5], 2, v11
	s_and_saveexec_b64 s[16:17], s[4:5]
	s_cbranch_execz .LBB136_58
; %bb.57:
	v_mov_b32_e32 v11, 0x3e6a7578
	v_fmac_f32_e32 v11, 0x3c5b3c5e, v10
	v_mov_b32_e32 v12, 0x3f7a4bb2
	v_fmac_f32_e32 v12, v10, v11
	;; [unrolled: 2-line block ×8, first 2 shown]
	v_fma_f32 v11, v10, v13, 1.0
	v_rcp_f32_e32 v11, v11
	v_mov_b32_e32 v13, 0xbd9e233f
	v_fmac_f32_e32 v13, v10, v12
	v_mul_f32_e32 v12, v10, v13
	v_mul_f32_e32 v11, v12, v11
	v_fmac_f32_e32 v11, -0.5, v10
	v_add_f32_e32 v8, v8, v11
.LBB136_58:
	s_or_b64 exec, exec, s[16:17]
                                        ; implicit-def: $vgpr10
.LBB136_59:
	s_andn2_saveexec_b64 s[4:5], s[12:13]
	s_cbranch_execz .LBB136_61
; %bb.60:
	v_mul_f32_e32 v11, v10, v10
	v_mul_f32_e32 v12, v10, v11
	v_mov_b32_e32 v13, 0xbab7f476
	v_fmac_f32_e32 v13, 0x39a57b6b, v12
	v_mov_b32_e32 v14, 0x3bc7e707
	v_fmac_f32_e32 v14, v12, v13
	;; [unrolled: 2-line block ×12, first 2 shown]
	v_fmac_f32_e32 v15, v10, v16
	s_mov_b32 s12, 0xa2863e55
	v_fma_f32 v10, v12, -v15, s12
	v_fma_f32 v10, v11, v14, -v10
	v_add_f32_e32 v10, 0xbdf8cdce, v10
	v_add_f32_e32 v8, v8, v10
.LBB136_61:
	s_or_b64 exec, exec, s[4:5]
                                        ; implicit-def: $vgpr11
                                        ; implicit-def: $vgpr10
.LBB136_62:
	s_andn2_saveexec_b64 s[6:7], s[6:7]
	s_cbranch_execz .LBB136_66
; %bb.63:
	v_cmp_eq_u32_e64 s[4:5], 0, v11
	s_and_saveexec_b64 s[12:13], s[4:5]
	s_cbranch_execz .LBB136_65
; %bb.64:
	v_mul_f32_e32 v11, v10, v10
	v_mov_b32_e32 v12, 0x39679767
	v_fmac_f32_e32 v12, 0x37d383a2, v11
	v_mov_b32_e32 v13, 0x3a9c54a1
	v_fmac_f32_e32 v13, v11, v12
	;; [unrolled: 2-line block ×10, first 2 shown]
	v_mul_f32_e32 v11, v11, v13
	v_fmac_f32_e32 v11, v10, v12
	v_fmac_f32_e32 v11, -0.5, v10
	v_add_f32_e32 v8, v8, v11
.LBB136_65:
	s_or_b64 exec, exec, s[12:13]
.LBB136_66:
	s_or_b64 exec, exec, s[6:7]
.LBB136_67:
	s_or_b64 exec, exec, s[10:11]
.LBB136_68:
	s_andn2_saveexec_b64 s[8:9], s[8:9]
	s_cbranch_execz .LBB136_70
; %bb.69:
	s_mov_b32 s4, 0x3e8a8991
	v_mov_b32_e32 v8, 0xbecd26ab
	v_fma_f32 v8, |v3|, s4, v8
	s_mov_b32 s4, 0x3f528d33
	v_fma_f32 v8, |v3|, v8, s4
	s_mov_b32 s4, 0x800000
	v_cmp_lt_f32_e64 s[4:5], |v3|, s4
	v_cndmask_b32_e64 v10, 0, 32, s[4:5]
	v_ldexp_f32 v10, |v3|, v10
	v_log_f32_e32 v10, v10
	s_mov_b32 s6, 0xbf13c468
	v_fma_f32 v8, |v3|, v8, s6
	s_mov_b32 s6, 0x3f317217
	v_mul_f32_e32 v11, 0x3f317217, v10
	v_fma_f32 v12, v10, s6, -v11
	v_fmac_f32_e32 v12, 0x3377d1cf, v10
	s_mov_b32 s6, 0x7f800000
	v_add_f32_e32 v11, v11, v12
	v_cmp_lt_f32_e64 s[6:7], |v10|, s6
	v_cndmask_b32_e64 v10, v10, v11, s[6:7]
	v_mov_b32_e32 v11, 0x41b17218
	v_cndmask_b32_e64 v11, 0, v11, s[4:5]
	v_sub_f32_e32 v10, v10, v11
	v_fma_f32 v8, |v3|, v8, -v10
.LBB136_70:
	s_or_b64 exec, exec, s[8:9]
	v_cmp_le_f32_e64 s[4:5], 0, v3
	v_cmp_nle_f32_e64 s[6:7], 0, v3
	s_and_saveexec_b64 s[8:9], s[6:7]
	s_xor_b64 s[10:11], exec, s[8:9]
	s_cbranch_execz .LBB136_74
; %bb.71:
	s_mov_b32 s6, 0x4b000000
	s_mov_b32 s8, 0x35000000
	v_cmp_lt_f32_e64 s[6:7], |v3|, s6
	v_cmp_gt_f32_e64 s[8:9], |v3|, s8
	s_and_b64 s[6:7], s[6:7], s[8:9]
	s_and_saveexec_b64 s[12:13], s[6:7]
	s_cbranch_execz .LBB136_73
; %bb.72:
	v_mul_f32_e64 v10, |v3|, 0.5
	v_floor_f32_e32 v11, v10
	v_sub_f32_e32 v11, v10, v11
	v_min_f32_e32 v11, 0x3f7fffff, v11
	s_mov_b32 s8, 0x7f800000
	v_add_f32_e32 v11, v11, v11
	v_cmp_neq_f32_e64 s[6:7], s8, v10
	v_cndmask_b32_e64 v10, 0, v11, s[6:7]
	v_cmp_gt_f32_e64 s[6:7], |v3|, 1.0
	v_cndmask_b32_e64 v10, |v3|, v10, s[6:7]
	v_add_f32_e32 v11, v10, v10
	v_rndne_f32_e32 v11, v11
	v_fmac_f32_e32 v10, -0.5, v11
	v_mul_f32_e32 v12, v10, v10
	v_mov_b32_e32 v13, 0xbf1f24be
	v_fmac_f32_e32 v13, 0x3e75aa41, v12
	v_mov_b32_e32 v14, 0x40234736
	v_fmac_f32_e32 v14, v12, v13
	v_mov_b32_e32 v13, 0xc0a55e0e
	v_fmac_f32_e32 v13, v12, v14
	v_mul_f32_e32 v14, v10, v12
	v_mul_f32_e32 v13, v14, v13
	v_fmac_f32_e32 v13, 0x40490fdb, v10
	v_mov_b32_e32 v10, 0x3e642e9d
	v_cvt_i32_f32_e32 v11, v11
	v_fmac_f32_e32 v10, 0x3d4be544, v12
	v_mov_b32_e32 v14, 0xbfaad1da
	v_fmac_f32_e32 v14, v12, v10
	v_mov_b32_e32 v10, 0x4081e0d3
	;; [unrolled: 2-line block ×3, first 2 shown]
	v_fmac_f32_e32 v14, v12, v10
	v_fma_f32 v10, v12, v14, 1.0
	v_and_b32_e32 v12, 1, v11
	v_lshlrev_b32_e32 v11, 30, v11
	v_cmp_eq_u32_e64 s[6:7], 0, v12
	v_and_b32_e32 v11, 0x80000000, v11
	v_xor_b32_e32 v9, v9, v3
	v_cndmask_b32_e64 v10, v10, v13, s[6:7]
	v_xor_b32_e32 v9, v9, v11
	v_xor_b32_e32 v9, v9, v10
	v_mul_f32_e32 v9, v3, v9
	v_frexp_mant_f32_e64 v10, |v9|
	v_rcp_f32_e32 v10, v10
	v_frexp_exp_i32_f32_e32 v9, v9
	v_sub_u32_e32 v9, 2, v9
	s_mov_b32 s6, 0x800000
	v_mul_f32_e32 v10, 0x3f490fdb, v10
	v_ldexp_f32 v9, v10, v9
	v_cmp_gt_f32_e64 s[6:7], s6, v9
	v_cndmask_b32_e64 v10, 0, 32, s[6:7]
	v_ldexp_f32 v9, v9, v10
	v_log_f32_e32 v9, v9
	s_mov_b32 s9, 0x3f317217
	v_mul_f32_e32 v10, 0x3f317217, v9
	v_fma_f32 v11, v9, s9, -v10
	v_fmac_f32_e32 v11, 0x3377d1cf, v9
	v_add_f32_e32 v10, v10, v11
	v_cmp_lt_f32_e64 s[8:9], |v9|, s8
	v_cndmask_b32_e64 v9, v9, v10, s[8:9]
	v_mov_b32_e32 v10, 0x41b17218
	v_cndmask_b32_e64 v10, 0, v10, s[6:7]
	v_sub_f32_e32 v9, v9, v10
	v_sub_f32_e32 v8, v9, v8
	v_floor_f32_e32 v9, v3
	v_sub_f32_e32 v9, v3, v9
	v_min_f32_e32 v9, 0x3f7fffff, v9
	v_mov_b32_e32 v10, 0x7f800000
	v_cmp_neq_f32_e64 s[6:7], 0, v9
	v_cndmask_b32_e64 v8, v10, v8, s[6:7]
.LBB136_73:
	s_or_b64 exec, exec, s[12:13]
.LBB136_74:
	s_andn2_saveexec_b64 s[10:11], s[10:11]
; %bb.75:
	v_cmp_eq_f32_e64 s[6:7], 1.0, v3
	v_cmp_eq_f32_e64 s[8:9], 2.0, v3
	s_or_b64 s[6:7], s[6:7], s[8:9]
	v_cndmask_b32_e64 v8, v8, 0, s[6:7]
; %bb.76:
	s_or_b64 exec, exec, s[10:11]
	s_mov_b32 s6, 0x3c800000
	v_and_b32_e32 v10, 0x7fffffff, v4
	v_cmp_nlt_f32_e64 s[6:7], |v4|, s6
                                        ; implicit-def: $vgpr9
	s_and_saveexec_b64 s[8:9], s[6:7]
	s_xor_b64 s[10:11], exec, s[8:9]
	s_cbranch_execz .LBB136_106
; %bb.77:
	v_cmp_nlt_f32_e64 s[6:7], |v4|, 2.0
                                        ; implicit-def: $vgpr9
	s_and_saveexec_b64 s[8:9], s[6:7]
	s_xor_b64 s[12:13], exec, s[8:9]
	s_cbranch_execz .LBB136_87
; %bb.78:
	s_mov_b32 s6, 0x41000000
	v_cmp_nlt_f32_e64 s[6:7], |v4|, s6
                                        ; implicit-def: $vgpr9
	s_and_saveexec_b64 s[8:9], s[6:7]
	s_xor_b64 s[16:17], exec, s[8:9]
	s_cbranch_execz .LBB136_84
; %bb.79:
	s_mov_b32 s6, 0x5c800000
	v_cmp_nlt_f32_e64 s[6:7], |v4|, s6
                                        ; implicit-def: $vgpr9
	s_and_saveexec_b64 s[8:9], s[6:7]
	s_xor_b64 s[18:19], exec, s[8:9]
	s_cbranch_execz .LBB136_81
; %bb.80:
	s_mov_b32 s6, 0x800000
	v_cmp_lt_f32_e64 s[6:7], |v4|, s6
	v_cndmask_b32_e64 v9, 0, 32, s[6:7]
	v_ldexp_f32 v9, |v4|, v9
	v_log_f32_e32 v9, v9
	s_mov_b32 s8, 0x3f317217
	s_mov_b32 s9, 0x7f800000
	v_mul_f32_e32 v11, 0x3f317217, v9
	v_fma_f32 v12, v9, s8, -v11
	v_fmac_f32_e32 v12, 0x3377d1cf, v9
	v_add_f32_e32 v11, v11, v12
	v_cmp_lt_f32_e64 s[8:9], |v9|, s9
	v_cndmask_b32_e64 v9, v9, v11, s[8:9]
	v_mov_b32_e32 v11, 0x41b17218
	v_cndmask_b32_e64 v11, 0, v11, s[6:7]
	v_sub_f32_e32 v9, v9, v11
	v_fma_f32 v9, |v4|, v9, -|v4|
.LBB136_81:
	s_andn2_saveexec_b64 s[18:19], s[18:19]
	s_cbranch_execz .LBB136_83
; %bb.82:
	v_rcp_f32_e64 v11, |v4|
	v_mov_b32_e32 v9, 0x3a5b3dd2
	v_mov_b32_e32 v12, 0xba1c065c
	;; [unrolled: 1-line block ×3, first 2 shown]
	v_mul_f32_e32 v14, v11, v11
	v_fmac_f32_e32 v9, 0xbad5c4e8, v14
	v_fmac_f32_e32 v12, v14, v9
	s_mov_b32 s6, 0x800000
	v_fmac_f32_e32 v13, v14, v12
	v_mov_b32_e32 v9, 0xbb360b61
	v_cmp_lt_f32_e64 s[6:7], |v4|, s6
	v_fmac_f32_e32 v9, v14, v13
	v_cndmask_b32_e64 v13, 0, 32, s[6:7]
	v_ldexp_f32 v13, |v4|, v13
	v_log_f32_e32 v13, v13
	v_mov_b32_e32 v12, 0x3daaaaab
	v_fmac_f32_e32 v12, v14, v9
	v_mov_b32_e32 v9, 0x3ed67f1d
	v_fmac_f32_e32 v9, v11, v12
	s_mov_b32 s8, 0x3f317217
	v_mul_f32_e32 v12, 0x3f317217, v13
	v_fma_f32 v14, v13, s8, -v12
	v_fmac_f32_e32 v14, 0x3377d1cf, v13
	s_mov_b32 s8, 0x7f800000
	v_add_f32_e32 v12, v12, v14
	v_cmp_lt_f32_e64 s[8:9], |v13|, s8
	v_cndmask_b32_e64 v12, v13, v12, s[8:9]
	v_mov_b32_e32 v13, 0x41b17218
	v_cndmask_b32_e64 v13, 0, v13, s[6:7]
	v_sub_f32_e32 v12, v12, v13
	v_add_f32_e64 v11, |v4|, -0.5
	v_add_f32_e32 v12, -1.0, v12
	v_fmac_f32_e32 v9, v11, v12
.LBB136_83:
	s_or_b64 exec, exec, s[18:19]
.LBB136_84:
	s_andn2_saveexec_b64 s[16:17], s[16:17]
	s_cbranch_execz .LBB136_86
; %bb.85:
	v_cvt_i32_f32_e32 v9, v10
	v_mov_b32_e32 v11, 0x3af135b4
	v_mov_b32_e32 v12, 0x3cda40e4
	;; [unrolled: 1-line block ×3, first 2 shown]
	v_cvt_f32_i32_e32 v14, v9
	v_mov_b32_e32 v15, 0x3ea6cc7a
	v_mov_b32_e32 v16, 0x3e5c245a
	v_cmp_lt_i32_e64 s[6:7], 2, v9
	v_sub_f32_e64 v14, |v4|, v14
	v_fmac_f32_e32 v11, 0x3805ff67, v14
	v_fmac_f32_e32 v12, v14, v11
	v_fmac_f32_e32 v13, v14, v12
	v_mov_b32_e32 v12, 0x3a4beed6
	v_fmac_f32_e32 v15, v14, v13
	v_fmac_f32_e32 v12, 0x36f5d7bd, v14
	v_mov_b32_e32 v13, 0x3c98bf54
	v_fmac_f32_e32 v13, v14, v12
	v_mov_b32_e32 v12, 0x3e300f6e
	;; [unrolled: 2-line block ×4, first 2 shown]
	v_fmac_f32_e32 v12, v14, v13
	v_add_f32_e32 v13, 2.0, v14
	v_mov_b32_e32 v17, 0xbd9e233f
	v_fmac_f32_e32 v16, v14, v15
	v_add_f32_e32 v15, 0x40400000, v14
	v_cndmask_b32_e64 v13, 1.0, v13, s[6:7]
	v_cmp_lt_i32_e64 s[6:7], 3, v9
	v_fmac_f32_e32 v17, v14, v16
	v_add_f32_e32 v16, 4.0, v14
	v_cndmask_b32_e64 v15, 1.0, v15, s[6:7]
	v_cmp_lt_i32_e64 s[6:7], 4, v9
	v_mul_f32_e32 v11, v14, v17
	v_add_f32_e32 v17, 0x40a00000, v14
	v_mul_f32_e32 v13, v13, v15
	v_cndmask_b32_e64 v15, 1.0, v16, s[6:7]
	v_cmp_lt_i32_e64 s[6:7], 5, v9
	v_add_f32_e32 v18, 0x40c00000, v14
	v_mul_f32_e32 v13, v15, v13
	v_cndmask_b32_e64 v15, 1.0, v17, s[6:7]
	v_cmp_lt_i32_e64 s[6:7], 6, v9
	v_mul_f32_e32 v13, v15, v13
	v_cndmask_b32_e64 v9, 1.0, v18, s[6:7]
	v_mul_f32_e32 v9, v9, v13
	s_mov_b32 s6, 0x800000
	v_cmp_gt_f32_e64 s[6:7], s6, v9
	v_cndmask_b32_e64 v13, 0, 32, s[6:7]
	v_fma_f32 v12, v14, v12, 1.0
	v_ldexp_f32 v9, v9, v13
	v_rcp_f32_e32 v12, v12
	v_log_f32_e32 v9, v9
	s_mov_b32 s8, 0x3f317217
	v_mul_f32_e32 v11, v11, v12
	v_mul_f32_e32 v12, 0x3f317217, v9
	v_fma_f32 v13, v9, s8, -v12
	v_fmac_f32_e32 v13, 0x3377d1cf, v9
	s_mov_b32 s8, 0x7f800000
	v_add_f32_e32 v12, v12, v13
	v_cmp_lt_f32_e64 s[8:9], |v9|, s8
	v_cndmask_b32_e64 v9, v9, v12, s[8:9]
	v_mov_b32_e32 v12, 0x41b17218
	v_cndmask_b32_e64 v12, 0, v12, s[6:7]
	v_fmac_f32_e32 v11, 0.5, v14
	v_sub_f32_e32 v9, v9, v12
	v_add_f32_e32 v9, v9, v11
.LBB136_86:
	s_or_b64 exec, exec, s[16:17]
.LBB136_87:
	s_andn2_saveexec_b64 s[12:13], s[12:13]
	s_cbranch_execz .LBB136_105
; %bb.88:
	s_mov_b32 s6, 0x3f666666
	v_cmp_le_f32_e64 s[6:7], |v4|, s6
                                        ; implicit-def: $vgpr9
                                        ; implicit-def: $vgpr12
                                        ; implicit-def: $vgpr11
	s_and_saveexec_b64 s[8:9], s[6:7]
	s_xor_b64 s[16:17], exec, s[8:9]
	s_cbranch_execz .LBB136_90
; %bb.89:
	s_mov_b32 s6, 0x800000
	v_cmp_lt_f32_e64 s[6:7], |v4|, s6
	v_cndmask_b32_e64 v9, 0, 32, s[6:7]
	v_ldexp_f32 v9, |v4|, v9
	v_log_f32_e32 v9, v9
	s_mov_b32 s8, 0x3f317217
	s_mov_b32 s9, 0x7f800000
	v_mul_f32_e32 v11, 0x3f317217, v9
	v_fma_f32 v12, v9, s8, -v11
	v_fmac_f32_e32 v12, 0x3377d1cf, v9
	v_add_f32_e32 v11, v11, v12
	v_cmp_lt_f32_e64 s[8:9], |v9|, s9
	v_cndmask_b32_e64 v9, v9, v11, s[8:9]
	v_mov_b32_e32 v11, 0x41b17218
	v_cndmask_b32_e64 v11, 0, v11, s[6:7]
	s_mov_b32 s6, 0x3f3b4a23
	s_mov_b32 s7, 0xbeec5b0c
	v_sub_f32_e32 v9, v9, v11
	v_sub_f32_e64 v11, 1.0, |v4|
	v_add_f32_e64 v12, |v4|, s7
	v_cmp_lt_f32_e64 s[6:7], |v4|, s6
	v_cndmask_b32_e64 v11, v11, v12, s[6:7]
	v_cndmask_b32_e64 v12, 0, 1, s[6:7]
	s_mov_b32 s6, 0x3e6d3309
	v_cmp_lt_f32_e64 s[6:7], |v4|, s6
	v_xor_b32_e32 v9, 0x80000000, v9
	v_cndmask_b32_e64 v11, v11, |v4|, s[6:7]
	v_cndmask_b32_e64 v12, v12, 2, s[6:7]
.LBB136_90:
	s_andn2_saveexec_b64 s[8:9], s[16:17]
	s_cbranch_execz .LBB136_92
; %bb.91:
	s_mov_b32 s6, 0x3fdda512
	s_mov_b32 s7, 0xbfbb16c3
	v_sub_f32_e64 v9, 2.0, |v4|
	v_add_f32_e64 v11, |v4|, s7
	v_cmp_lt_f32_e64 s[6:7], |v4|, s6
	v_cndmask_b32_e64 v11, v9, v11, s[6:7]
	v_cndmask_b32_e64 v9, v9, 1.0, s[6:7]
	v_cvt_i32_f32_e32 v9, v9
	s_mov_b32 s6, 0x3f9d70a4
	v_add_f32_e64 v12, |v4|, -1.0
	v_cmp_lt_f32_e64 s[6:7], |v4|, s6
	v_cndmask_b32_e64 v11, v11, v12, s[6:7]
	v_cndmask_b32_e64 v12, v9, 2, s[6:7]
	v_mov_b32_e32 v9, 0
.LBB136_92:
	s_or_b64 exec, exec, s[8:9]
	v_cmp_lt_i32_e64 s[6:7], 0, v12
	s_and_saveexec_b64 s[8:9], s[6:7]
	s_xor_b64 s[8:9], exec, s[8:9]
	s_cbranch_execz .LBB136_100
; %bb.93:
	v_cmp_lt_i32_e64 s[6:7], 1, v12
	s_and_saveexec_b64 s[16:17], s[6:7]
	s_xor_b64 s[16:17], exec, s[16:17]
	s_cbranch_execz .LBB136_97
; %bb.94:
	v_cmp_eq_u32_e64 s[6:7], 2, v12
	s_and_saveexec_b64 s[18:19], s[6:7]
	s_cbranch_execz .LBB136_96
; %bb.95:
	v_mov_b32_e32 v12, 0x3e6a7578
	v_fmac_f32_e32 v12, 0x3c5b3c5e, v11
	v_mov_b32_e32 v13, 0x3f7a4bb2
	v_fmac_f32_e32 v13, v11, v12
	;; [unrolled: 2-line block ×8, first 2 shown]
	v_fma_f32 v12, v11, v14, 1.0
	v_rcp_f32_e32 v12, v12
	v_mov_b32_e32 v14, 0xbd9e233f
	v_fmac_f32_e32 v14, v11, v13
	v_mul_f32_e32 v13, v11, v14
	v_mul_f32_e32 v12, v13, v12
	v_fmac_f32_e32 v12, -0.5, v11
	v_add_f32_e32 v9, v9, v12
.LBB136_96:
	s_or_b64 exec, exec, s[18:19]
                                        ; implicit-def: $vgpr11
.LBB136_97:
	s_andn2_saveexec_b64 s[6:7], s[16:17]
	s_cbranch_execz .LBB136_99
; %bb.98:
	v_mul_f32_e32 v12, v11, v11
	v_mul_f32_e32 v13, v11, v12
	v_mov_b32_e32 v14, 0xbab7f476
	v_fmac_f32_e32 v14, 0x39a57b6b, v13
	v_mov_b32_e32 v15, 0x3bc7e707
	v_fmac_f32_e32 v15, v13, v14
	v_mov_b32_e32 v14, 0xbd064d47
	v_fmac_f32_e32 v14, v13, v15
	v_mov_b32_e32 v15, 0x3ef7b95e
	v_fmac_f32_e32 v15, v13, v14
	v_mov_b32_e32 v14, 0x3a66f867
	v_fmac_f32_e32 v14, 0xb9a3f927, v13
	v_mov_b32_e32 v16, 0xbb7177fe
	v_fmac_f32_e32 v16, v13, v14
	v_mov_b32_e32 v14, 0x3c93373d
	v_fmac_f32_e32 v14, v13, v16
	v_mov_b32_e32 v16, 0xbe17213c
	v_fmac_f32_e32 v16, v13, v14
	v_mov_b32_e32 v14, 0xba0d3085
	v_fmac_f32_e32 v14, 0x39afe9f7, v13
	v_mov_b32_e32 v17, 0x3b141699
	v_fmac_f32_e32 v17, v13, v14
	v_mov_b32_e32 v14, 0xbc28fcfe
	v_fmac_f32_e32 v14, v13, v17
	v_mov_b32_e32 v17, 0x3d845a15
	v_fmac_f32_e32 v17, v13, v14
	v_fmac_f32_e32 v16, v11, v17
	s_mov_b32 s16, 0xa2863e55
	v_fma_f32 v11, v13, -v16, s16
	v_fma_f32 v11, v12, v15, -v11
	v_add_f32_e32 v11, 0xbdf8cdce, v11
	v_add_f32_e32 v9, v9, v11
.LBB136_99:
	s_or_b64 exec, exec, s[6:7]
                                        ; implicit-def: $vgpr12
                                        ; implicit-def: $vgpr11
.LBB136_100:
	s_andn2_saveexec_b64 s[8:9], s[8:9]
	s_cbranch_execz .LBB136_104
; %bb.101:
	v_cmp_eq_u32_e64 s[6:7], 0, v12
	s_and_saveexec_b64 s[16:17], s[6:7]
	s_cbranch_execz .LBB136_103
; %bb.102:
	v_mul_f32_e32 v12, v11, v11
	v_mov_b32_e32 v13, 0x39679767
	v_fmac_f32_e32 v13, 0x37d383a2, v12
	v_mov_b32_e32 v14, 0x3a9c54a1
	v_fmac_f32_e32 v14, v12, v13
	;; [unrolled: 2-line block ×10, first 2 shown]
	v_mul_f32_e32 v12, v12, v14
	v_fmac_f32_e32 v12, v11, v13
	v_fmac_f32_e32 v12, -0.5, v11
	v_add_f32_e32 v9, v9, v12
.LBB136_103:
	s_or_b64 exec, exec, s[16:17]
.LBB136_104:
	s_or_b64 exec, exec, s[8:9]
.LBB136_105:
	s_or_b64 exec, exec, s[12:13]
.LBB136_106:
	s_andn2_saveexec_b64 s[10:11], s[10:11]
	s_cbranch_execz .LBB136_108
; %bb.107:
	s_mov_b32 s6, 0x3e8a8991
	v_mov_b32_e32 v9, 0xbecd26ab
	v_fma_f32 v9, |v4|, s6, v9
	s_mov_b32 s6, 0x3f528d33
	v_fma_f32 v9, |v4|, v9, s6
	s_mov_b32 s6, 0x800000
	v_cmp_lt_f32_e64 s[6:7], |v4|, s6
	v_cndmask_b32_e64 v11, 0, 32, s[6:7]
	v_ldexp_f32 v11, |v4|, v11
	v_log_f32_e32 v11, v11
	s_mov_b32 s8, 0xbf13c468
	v_fma_f32 v9, |v4|, v9, s8
	s_mov_b32 s8, 0x3f317217
	v_mul_f32_e32 v12, 0x3f317217, v11
	v_fma_f32 v13, v11, s8, -v12
	v_fmac_f32_e32 v13, 0x3377d1cf, v11
	s_mov_b32 s8, 0x7f800000
	v_add_f32_e32 v12, v12, v13
	v_cmp_lt_f32_e64 s[8:9], |v11|, s8
	v_cndmask_b32_e64 v11, v11, v12, s[8:9]
	v_mov_b32_e32 v12, 0x41b17218
	v_cndmask_b32_e64 v12, 0, v12, s[6:7]
	v_sub_f32_e32 v11, v11, v12
	v_fma_f32 v9, |v4|, v9, -v11
.LBB136_108:
	s_or_b64 exec, exec, s[10:11]
	v_cmp_le_f32_e64 s[6:7], 0, v4
	v_cmp_nle_f32_e64 s[8:9], 0, v4
	s_and_saveexec_b64 s[10:11], s[8:9]
	s_xor_b64 s[12:13], exec, s[10:11]
	s_cbranch_execz .LBB136_112
; %bb.109:
	s_mov_b32 s8, 0x4b000000
	s_mov_b32 s10, 0x35000000
	v_cmp_lt_f32_e64 s[8:9], |v4|, s8
	v_cmp_gt_f32_e64 s[10:11], |v4|, s10
	s_and_b64 s[8:9], s[8:9], s[10:11]
	s_and_saveexec_b64 s[16:17], s[8:9]
	s_cbranch_execz .LBB136_111
; %bb.110:
	v_mul_f32_e64 v11, |v4|, 0.5
	v_floor_f32_e32 v12, v11
	v_sub_f32_e32 v12, v11, v12
	v_min_f32_e32 v12, 0x3f7fffff, v12
	s_mov_b32 s10, 0x7f800000
	v_add_f32_e32 v12, v12, v12
	v_cmp_neq_f32_e64 s[8:9], s10, v11
	v_cndmask_b32_e64 v11, 0, v12, s[8:9]
	v_cmp_gt_f32_e64 s[8:9], |v4|, 1.0
	v_cndmask_b32_e64 v11, |v4|, v11, s[8:9]
	v_add_f32_e32 v12, v11, v11
	v_rndne_f32_e32 v12, v12
	v_fmac_f32_e32 v11, -0.5, v12
	v_mul_f32_e32 v13, v11, v11
	v_mov_b32_e32 v14, 0xbf1f24be
	v_fmac_f32_e32 v14, 0x3e75aa41, v13
	v_mov_b32_e32 v15, 0x40234736
	v_fmac_f32_e32 v15, v13, v14
	;; [unrolled: 2-line block ×3, first 2 shown]
	v_mul_f32_e32 v15, v11, v13
	v_mul_f32_e32 v14, v15, v14
	v_fmac_f32_e32 v14, 0x40490fdb, v11
	v_mov_b32_e32 v11, 0x3e642e9d
	v_cvt_i32_f32_e32 v12, v12
	v_fmac_f32_e32 v11, 0x3d4be544, v13
	v_mov_b32_e32 v15, 0xbfaad1da
	v_fmac_f32_e32 v15, v13, v11
	v_mov_b32_e32 v11, 0x4081e0d3
	;; [unrolled: 2-line block ×3, first 2 shown]
	v_fmac_f32_e32 v15, v13, v11
	v_fma_f32 v11, v13, v15, 1.0
	v_and_b32_e32 v13, 1, v12
	v_lshlrev_b32_e32 v12, 30, v12
	v_cmp_eq_u32_e64 s[8:9], 0, v13
	v_and_b32_e32 v12, 0x80000000, v12
	v_xor_b32_e32 v10, v10, v4
	v_cndmask_b32_e64 v11, v11, v14, s[8:9]
	v_xor_b32_e32 v10, v10, v12
	v_xor_b32_e32 v10, v10, v11
	v_mul_f32_e32 v10, v4, v10
	v_frexp_mant_f32_e64 v11, |v10|
	v_rcp_f32_e32 v11, v11
	v_frexp_exp_i32_f32_e32 v10, v10
	v_sub_u32_e32 v10, 2, v10
	s_mov_b32 s8, 0x800000
	v_mul_f32_e32 v11, 0x3f490fdb, v11
	v_ldexp_f32 v10, v11, v10
	v_cmp_gt_f32_e64 s[8:9], s8, v10
	v_cndmask_b32_e64 v11, 0, 32, s[8:9]
	v_ldexp_f32 v10, v10, v11
	v_log_f32_e32 v10, v10
	s_mov_b32 s11, 0x3f317217
	v_mul_f32_e32 v11, 0x3f317217, v10
	v_fma_f32 v12, v10, s11, -v11
	v_fmac_f32_e32 v12, 0x3377d1cf, v10
	v_add_f32_e32 v11, v11, v12
	v_cmp_lt_f32_e64 s[10:11], |v10|, s10
	v_cndmask_b32_e64 v10, v10, v11, s[10:11]
	v_mov_b32_e32 v11, 0x41b17218
	v_cndmask_b32_e64 v11, 0, v11, s[8:9]
	v_sub_f32_e32 v10, v10, v11
	v_sub_f32_e32 v9, v10, v9
	v_floor_f32_e32 v10, v4
	v_sub_f32_e32 v10, v4, v10
	v_min_f32_e32 v10, 0x3f7fffff, v10
	v_mov_b32_e32 v11, 0x7f800000
	v_cmp_neq_f32_e64 s[8:9], 0, v10
	v_cndmask_b32_e64 v9, v11, v9, s[8:9]
.LBB136_111:
	s_or_b64 exec, exec, s[16:17]
.LBB136_112:
	s_andn2_saveexec_b64 s[12:13], s[12:13]
; %bb.113:
	v_cmp_eq_f32_e64 s[8:9], 1.0, v4
	v_cmp_eq_f32_e64 s[10:11], 2.0, v4
	s_or_b64 s[8:9], s[8:9], s[10:11]
	v_cndmask_b32_e64 v9, v9, 0, s[8:9]
; %bb.114:
	s_or_b64 exec, exec, s[12:13]
	s_mov_b32 s8, 0x3c800000
	v_and_b32_e32 v10, 0x7fffffff, v5
	v_cmp_nlt_f32_e64 s[8:9], |v5|, s8
                                        ; implicit-def: $vgpr11
	s_and_saveexec_b64 s[10:11], s[8:9]
	s_xor_b64 s[12:13], exec, s[10:11]
	s_cbranch_execz .LBB136_144
; %bb.115:
	v_cmp_nlt_f32_e64 s[8:9], |v5|, 2.0
                                        ; implicit-def: $vgpr11
	s_and_saveexec_b64 s[10:11], s[8:9]
	s_xor_b64 s[16:17], exec, s[10:11]
	s_cbranch_execz .LBB136_125
; %bb.116:
	s_mov_b32 s8, 0x41000000
	v_cmp_nlt_f32_e64 s[8:9], |v5|, s8
                                        ; implicit-def: $vgpr11
	s_and_saveexec_b64 s[10:11], s[8:9]
	s_xor_b64 s[18:19], exec, s[10:11]
	s_cbranch_execz .LBB136_122
; %bb.117:
	s_mov_b32 s8, 0x5c800000
	v_cmp_nlt_f32_e64 s[8:9], |v5|, s8
                                        ; implicit-def: $vgpr11
	s_and_saveexec_b64 s[10:11], s[8:9]
	s_xor_b64 s[20:21], exec, s[10:11]
	s_cbranch_execz .LBB136_119
; %bb.118:
	s_mov_b32 s8, 0x800000
	v_cmp_lt_f32_e64 s[8:9], |v5|, s8
	v_cndmask_b32_e64 v11, 0, 32, s[8:9]
	v_ldexp_f32 v11, |v5|, v11
	v_log_f32_e32 v11, v11
	s_mov_b32 s10, 0x3f317217
	s_mov_b32 s11, 0x7f800000
	v_mul_f32_e32 v12, 0x3f317217, v11
	v_fma_f32 v13, v11, s10, -v12
	v_fmac_f32_e32 v13, 0x3377d1cf, v11
	v_add_f32_e32 v12, v12, v13
	v_cmp_lt_f32_e64 s[10:11], |v11|, s11
	v_cndmask_b32_e64 v11, v11, v12, s[10:11]
	v_mov_b32_e32 v12, 0x41b17218
	v_cndmask_b32_e64 v12, 0, v12, s[8:9]
	v_sub_f32_e32 v11, v11, v12
	v_fma_f32 v11, |v5|, v11, -|v5|
.LBB136_119:
	s_andn2_saveexec_b64 s[20:21], s[20:21]
	s_cbranch_execz .LBB136_121
; %bb.120:
	v_rcp_f32_e64 v12, |v5|
	v_mov_b32_e32 v11, 0x3a5b3dd2
	v_mov_b32_e32 v13, 0xba1c065c
	;; [unrolled: 1-line block ×3, first 2 shown]
	v_mul_f32_e32 v15, v12, v12
	v_fmac_f32_e32 v11, 0xbad5c4e8, v15
	v_fmac_f32_e32 v13, v15, v11
	s_mov_b32 s8, 0x800000
	v_fmac_f32_e32 v14, v15, v13
	v_mov_b32_e32 v11, 0xbb360b61
	v_cmp_lt_f32_e64 s[8:9], |v5|, s8
	v_fmac_f32_e32 v11, v15, v14
	v_cndmask_b32_e64 v14, 0, 32, s[8:9]
	v_ldexp_f32 v14, |v5|, v14
	v_log_f32_e32 v14, v14
	v_mov_b32_e32 v13, 0x3daaaaab
	v_fmac_f32_e32 v13, v15, v11
	v_mov_b32_e32 v11, 0x3ed67f1d
	v_fmac_f32_e32 v11, v12, v13
	s_mov_b32 s10, 0x3f317217
	v_mul_f32_e32 v13, 0x3f317217, v14
	v_fma_f32 v15, v14, s10, -v13
	v_fmac_f32_e32 v15, 0x3377d1cf, v14
	s_mov_b32 s10, 0x7f800000
	v_add_f32_e32 v13, v13, v15
	v_cmp_lt_f32_e64 s[10:11], |v14|, s10
	v_cndmask_b32_e64 v13, v14, v13, s[10:11]
	v_mov_b32_e32 v14, 0x41b17218
	v_cndmask_b32_e64 v14, 0, v14, s[8:9]
	v_sub_f32_e32 v13, v13, v14
	v_add_f32_e64 v12, |v5|, -0.5
	v_add_f32_e32 v13, -1.0, v13
	v_fmac_f32_e32 v11, v12, v13
.LBB136_121:
	s_or_b64 exec, exec, s[20:21]
.LBB136_122:
	s_andn2_saveexec_b64 s[18:19], s[18:19]
	s_cbranch_execz .LBB136_124
; %bb.123:
	v_cvt_i32_f32_e32 v11, v10
	v_mov_b32_e32 v12, 0x3af135b4
	v_mov_b32_e32 v13, 0x3cda40e4
	;; [unrolled: 1-line block ×3, first 2 shown]
	v_cvt_f32_i32_e32 v15, v11
	v_mov_b32_e32 v16, 0x3ea6cc7a
	v_mov_b32_e32 v17, 0x3e5c245a
	v_cmp_lt_i32_e64 s[8:9], 2, v11
	v_sub_f32_e64 v15, |v5|, v15
	v_fmac_f32_e32 v12, 0x3805ff67, v15
	v_fmac_f32_e32 v13, v15, v12
	;; [unrolled: 1-line block ×3, first 2 shown]
	v_mov_b32_e32 v13, 0x3a4beed6
	v_fmac_f32_e32 v16, v15, v14
	v_fmac_f32_e32 v13, 0x36f5d7bd, v15
	v_mov_b32_e32 v14, 0x3c98bf54
	v_fmac_f32_e32 v14, v15, v13
	v_mov_b32_e32 v13, 0x3e300f6e
	;; [unrolled: 2-line block ×4, first 2 shown]
	v_fmac_f32_e32 v13, v15, v14
	v_add_f32_e32 v14, 2.0, v15
	v_mov_b32_e32 v18, 0xbd9e233f
	v_fmac_f32_e32 v17, v15, v16
	v_add_f32_e32 v16, 0x40400000, v15
	v_cndmask_b32_e64 v14, 1.0, v14, s[8:9]
	v_cmp_lt_i32_e64 s[8:9], 3, v11
	v_fmac_f32_e32 v18, v15, v17
	v_add_f32_e32 v17, 4.0, v15
	v_cndmask_b32_e64 v16, 1.0, v16, s[8:9]
	v_cmp_lt_i32_e64 s[8:9], 4, v11
	v_mul_f32_e32 v12, v15, v18
	v_add_f32_e32 v18, 0x40a00000, v15
	v_mul_f32_e32 v14, v14, v16
	v_cndmask_b32_e64 v16, 1.0, v17, s[8:9]
	v_cmp_lt_i32_e64 s[8:9], 5, v11
	v_add_f32_e32 v19, 0x40c00000, v15
	v_mul_f32_e32 v14, v16, v14
	v_cndmask_b32_e64 v16, 1.0, v18, s[8:9]
	v_cmp_lt_i32_e64 s[8:9], 6, v11
	v_mul_f32_e32 v14, v16, v14
	v_cndmask_b32_e64 v11, 1.0, v19, s[8:9]
	v_mul_f32_e32 v11, v11, v14
	s_mov_b32 s8, 0x800000
	v_cmp_gt_f32_e64 s[8:9], s8, v11
	v_cndmask_b32_e64 v14, 0, 32, s[8:9]
	v_fma_f32 v13, v15, v13, 1.0
	v_ldexp_f32 v11, v11, v14
	v_rcp_f32_e32 v13, v13
	v_log_f32_e32 v11, v11
	s_mov_b32 s10, 0x3f317217
	v_mul_f32_e32 v12, v12, v13
	v_mul_f32_e32 v13, 0x3f317217, v11
	v_fma_f32 v14, v11, s10, -v13
	v_fmac_f32_e32 v14, 0x3377d1cf, v11
	s_mov_b32 s10, 0x7f800000
	v_add_f32_e32 v13, v13, v14
	v_cmp_lt_f32_e64 s[10:11], |v11|, s10
	v_cndmask_b32_e64 v11, v11, v13, s[10:11]
	v_mov_b32_e32 v13, 0x41b17218
	v_cndmask_b32_e64 v13, 0, v13, s[8:9]
	v_fmac_f32_e32 v12, 0.5, v15
	v_sub_f32_e32 v11, v11, v13
	v_add_f32_e32 v11, v11, v12
.LBB136_124:
	s_or_b64 exec, exec, s[18:19]
.LBB136_125:
	s_andn2_saveexec_b64 s[16:17], s[16:17]
	s_cbranch_execz .LBB136_143
; %bb.126:
	s_mov_b32 s8, 0x3f666666
	v_cmp_le_f32_e64 s[8:9], |v5|, s8
                                        ; implicit-def: $vgpr11
                                        ; implicit-def: $vgpr13
                                        ; implicit-def: $vgpr12
	s_and_saveexec_b64 s[10:11], s[8:9]
	s_xor_b64 s[18:19], exec, s[10:11]
	s_cbranch_execz .LBB136_128
; %bb.127:
	s_mov_b32 s8, 0x800000
	v_cmp_lt_f32_e64 s[8:9], |v5|, s8
	v_cndmask_b32_e64 v11, 0, 32, s[8:9]
	v_ldexp_f32 v11, |v5|, v11
	v_log_f32_e32 v11, v11
	s_mov_b32 s10, 0x3f317217
	s_mov_b32 s11, 0x7f800000
	v_mul_f32_e32 v12, 0x3f317217, v11
	v_fma_f32 v13, v11, s10, -v12
	v_fmac_f32_e32 v13, 0x3377d1cf, v11
	v_add_f32_e32 v12, v12, v13
	v_cmp_lt_f32_e64 s[10:11], |v11|, s11
	v_cndmask_b32_e64 v11, v11, v12, s[10:11]
	v_mov_b32_e32 v12, 0x41b17218
	v_cndmask_b32_e64 v12, 0, v12, s[8:9]
	s_mov_b32 s8, 0x3f3b4a23
	s_mov_b32 s9, 0xbeec5b0c
	v_sub_f32_e32 v11, v11, v12
	v_sub_f32_e64 v12, 1.0, |v5|
	v_add_f32_e64 v13, |v5|, s9
	v_cmp_lt_f32_e64 s[8:9], |v5|, s8
	v_cndmask_b32_e64 v12, v12, v13, s[8:9]
	v_cndmask_b32_e64 v13, 0, 1, s[8:9]
	s_mov_b32 s8, 0x3e6d3309
	v_cmp_lt_f32_e64 s[8:9], |v5|, s8
	v_xor_b32_e32 v11, 0x80000000, v11
	v_cndmask_b32_e64 v12, v12, |v5|, s[8:9]
	v_cndmask_b32_e64 v13, v13, 2, s[8:9]
.LBB136_128:
	s_andn2_saveexec_b64 s[10:11], s[18:19]
	s_cbranch_execz .LBB136_130
; %bb.129:
	s_mov_b32 s8, 0x3fdda512
	s_mov_b32 s9, 0xbfbb16c3
	v_sub_f32_e64 v11, 2.0, |v5|
	v_add_f32_e64 v12, |v5|, s9
	v_cmp_lt_f32_e64 s[8:9], |v5|, s8
	v_cndmask_b32_e64 v12, v11, v12, s[8:9]
	v_cndmask_b32_e64 v11, v11, 1.0, s[8:9]
	v_cvt_i32_f32_e32 v11, v11
	s_mov_b32 s8, 0x3f9d70a4
	v_add_f32_e64 v13, |v5|, -1.0
	v_cmp_lt_f32_e64 s[8:9], |v5|, s8
	v_cndmask_b32_e64 v12, v12, v13, s[8:9]
	v_cndmask_b32_e64 v13, v11, 2, s[8:9]
	v_mov_b32_e32 v11, 0
.LBB136_130:
	s_or_b64 exec, exec, s[10:11]
	v_cmp_lt_i32_e64 s[8:9], 0, v13
	s_and_saveexec_b64 s[10:11], s[8:9]
	s_xor_b64 s[10:11], exec, s[10:11]
	s_cbranch_execz .LBB136_138
; %bb.131:
	v_cmp_lt_i32_e64 s[8:9], 1, v13
	s_and_saveexec_b64 s[18:19], s[8:9]
	s_xor_b64 s[18:19], exec, s[18:19]
	s_cbranch_execz .LBB136_135
; %bb.132:
	v_cmp_eq_u32_e64 s[8:9], 2, v13
	s_and_saveexec_b64 s[20:21], s[8:9]
	s_cbranch_execz .LBB136_134
; %bb.133:
	v_mov_b32_e32 v13, 0x3e6a7578
	v_fmac_f32_e32 v13, 0x3c5b3c5e, v12
	v_mov_b32_e32 v14, 0x3f7a4bb2
	v_fmac_f32_e32 v14, v12, v13
	v_mov_b32_e32 v13, 0x3fba3ae7
	v_fmac_f32_e32 v13, v12, v14
	v_mov_b32_e32 v14, 0x3f2200f4
	v_fmac_f32_e32 v14, v12, v13
	v_mov_b32_e32 v13, 0x3dd572af
	v_fmac_f32_e32 v13, 0x3b52d5db, v12
	v_mov_b32_e32 v15, 0x3f44efdf
	v_fmac_f32_e32 v15, v12, v13
	v_mov_b32_e32 v13, 0x4008392d
	v_fmac_f32_e32 v13, v12, v15
	v_mov_b32_e32 v15, 0x401d2ebe
	v_fmac_f32_e32 v15, v12, v13
	v_fma_f32 v13, v12, v15, 1.0
	v_rcp_f32_e32 v13, v13
	v_mov_b32_e32 v15, 0xbd9e233f
	v_fmac_f32_e32 v15, v12, v14
	v_mul_f32_e32 v14, v12, v15
	v_mul_f32_e32 v13, v14, v13
	v_fmac_f32_e32 v13, -0.5, v12
	v_add_f32_e32 v11, v11, v13
.LBB136_134:
	s_or_b64 exec, exec, s[20:21]
                                        ; implicit-def: $vgpr12
.LBB136_135:
	s_andn2_saveexec_b64 s[8:9], s[18:19]
	s_cbranch_execz .LBB136_137
; %bb.136:
	v_mul_f32_e32 v13, v12, v12
	v_mul_f32_e32 v14, v12, v13
	v_mov_b32_e32 v15, 0xbab7f476
	v_fmac_f32_e32 v15, 0x39a57b6b, v14
	v_mov_b32_e32 v16, 0x3bc7e707
	v_fmac_f32_e32 v16, v14, v15
	;; [unrolled: 2-line block ×12, first 2 shown]
	v_fmac_f32_e32 v17, v12, v18
	s_mov_b32 s18, 0xa2863e55
	v_fma_f32 v12, v14, -v17, s18
	v_fma_f32 v12, v13, v16, -v12
	v_add_f32_e32 v12, 0xbdf8cdce, v12
	v_add_f32_e32 v11, v11, v12
.LBB136_137:
	s_or_b64 exec, exec, s[8:9]
                                        ; implicit-def: $vgpr13
                                        ; implicit-def: $vgpr12
.LBB136_138:
	s_andn2_saveexec_b64 s[10:11], s[10:11]
	s_cbranch_execz .LBB136_142
; %bb.139:
	v_cmp_eq_u32_e64 s[8:9], 0, v13
	s_and_saveexec_b64 s[18:19], s[8:9]
	s_cbranch_execz .LBB136_141
; %bb.140:
	v_mul_f32_e32 v13, v12, v12
	v_mov_b32_e32 v14, 0x39679767
	v_fmac_f32_e32 v14, 0x37d383a2, v13
	v_mov_b32_e32 v15, 0x3a9c54a1
	v_fmac_f32_e32 v15, v13, v14
	;; [unrolled: 2-line block ×10, first 2 shown]
	v_mul_f32_e32 v13, v13, v15
	v_fmac_f32_e32 v13, v12, v14
	v_fmac_f32_e32 v13, -0.5, v12
	v_add_f32_e32 v11, v11, v13
.LBB136_141:
	s_or_b64 exec, exec, s[18:19]
.LBB136_142:
	s_or_b64 exec, exec, s[10:11]
.LBB136_143:
	s_or_b64 exec, exec, s[16:17]
.LBB136_144:
	s_andn2_saveexec_b64 s[12:13], s[12:13]
	s_cbranch_execz .LBB136_146
; %bb.145:
	s_mov_b32 s8, 0x3e8a8991
	v_mov_b32_e32 v11, 0xbecd26ab
	v_fma_f32 v11, |v5|, s8, v11
	s_mov_b32 s8, 0x3f528d33
	v_fma_f32 v11, |v5|, v11, s8
	s_mov_b32 s8, 0x800000
	v_cmp_lt_f32_e64 s[8:9], |v5|, s8
	v_cndmask_b32_e64 v12, 0, 32, s[8:9]
	v_ldexp_f32 v12, |v5|, v12
	v_log_f32_e32 v12, v12
	s_mov_b32 s10, 0xbf13c468
	v_fma_f32 v11, |v5|, v11, s10
	s_mov_b32 s10, 0x3f317217
	v_mul_f32_e32 v13, 0x3f317217, v12
	v_fma_f32 v14, v12, s10, -v13
	v_fmac_f32_e32 v14, 0x3377d1cf, v12
	s_mov_b32 s10, 0x7f800000
	v_add_f32_e32 v13, v13, v14
	v_cmp_lt_f32_e64 s[10:11], |v12|, s10
	v_cndmask_b32_e64 v12, v12, v13, s[10:11]
	v_mov_b32_e32 v13, 0x41b17218
	v_cndmask_b32_e64 v13, 0, v13, s[8:9]
	v_sub_f32_e32 v12, v12, v13
	v_fma_f32 v11, |v5|, v11, -v12
.LBB136_146:
	s_or_b64 exec, exec, s[12:13]
	v_cmp_le_f32_e64 s[8:9], 0, v5
	v_cmp_nle_f32_e64 s[10:11], 0, v5
	s_and_saveexec_b64 s[12:13], s[10:11]
	s_xor_b64 s[16:17], exec, s[12:13]
	s_cbranch_execz .LBB136_150
; %bb.147:
	s_mov_b32 s10, 0x4b000000
	s_mov_b32 s12, 0x35000000
	v_cmp_lt_f32_e64 s[10:11], |v5|, s10
	v_cmp_gt_f32_e64 s[12:13], |v5|, s12
	s_and_b64 s[10:11], s[10:11], s[12:13]
	s_and_saveexec_b64 s[18:19], s[10:11]
	s_cbranch_execz .LBB136_149
; %bb.148:
	v_mul_f32_e64 v12, |v5|, 0.5
	v_floor_f32_e32 v13, v12
	v_sub_f32_e32 v13, v12, v13
	v_min_f32_e32 v13, 0x3f7fffff, v13
	s_mov_b32 s12, 0x7f800000
	v_add_f32_e32 v13, v13, v13
	v_cmp_neq_f32_e64 s[10:11], s12, v12
	v_cndmask_b32_e64 v12, 0, v13, s[10:11]
	v_cmp_gt_f32_e64 s[10:11], |v5|, 1.0
	v_cndmask_b32_e64 v12, |v5|, v12, s[10:11]
	v_add_f32_e32 v13, v12, v12
	v_rndne_f32_e32 v13, v13
	v_fmac_f32_e32 v12, -0.5, v13
	v_mul_f32_e32 v14, v12, v12
	v_mov_b32_e32 v15, 0xbf1f24be
	v_fmac_f32_e32 v15, 0x3e75aa41, v14
	v_mov_b32_e32 v16, 0x40234736
	v_fmac_f32_e32 v16, v14, v15
	;; [unrolled: 2-line block ×3, first 2 shown]
	v_mul_f32_e32 v16, v12, v14
	v_mul_f32_e32 v15, v16, v15
	v_fmac_f32_e32 v15, 0x40490fdb, v12
	v_mov_b32_e32 v12, 0x3e642e9d
	v_cvt_i32_f32_e32 v13, v13
	v_fmac_f32_e32 v12, 0x3d4be544, v14
	v_mov_b32_e32 v16, 0xbfaad1da
	v_fmac_f32_e32 v16, v14, v12
	v_mov_b32_e32 v12, 0x4081e0d3
	;; [unrolled: 2-line block ×3, first 2 shown]
	v_fmac_f32_e32 v16, v14, v12
	v_fma_f32 v12, v14, v16, 1.0
	v_and_b32_e32 v14, 1, v13
	v_lshlrev_b32_e32 v13, 30, v13
	v_cmp_eq_u32_e64 s[10:11], 0, v14
	v_and_b32_e32 v13, 0x80000000, v13
	v_xor_b32_e32 v10, v10, v5
	v_cndmask_b32_e64 v12, v12, v15, s[10:11]
	v_xor_b32_e32 v10, v10, v13
	v_xor_b32_e32 v10, v10, v12
	v_mul_f32_e32 v10, v5, v10
	v_frexp_mant_f32_e64 v12, |v10|
	v_rcp_f32_e32 v12, v12
	v_frexp_exp_i32_f32_e32 v10, v10
	v_sub_u32_e32 v10, 2, v10
	s_mov_b32 s10, 0x800000
	v_mul_f32_e32 v12, 0x3f490fdb, v12
	v_ldexp_f32 v10, v12, v10
	v_cmp_gt_f32_e64 s[10:11], s10, v10
	v_cndmask_b32_e64 v12, 0, 32, s[10:11]
	v_ldexp_f32 v10, v10, v12
	v_log_f32_e32 v10, v10
	s_mov_b32 s13, 0x3f317217
	v_mul_f32_e32 v12, 0x3f317217, v10
	v_fma_f32 v13, v10, s13, -v12
	v_fmac_f32_e32 v13, 0x3377d1cf, v10
	v_add_f32_e32 v12, v12, v13
	v_cmp_lt_f32_e64 s[12:13], |v10|, s12
	v_cndmask_b32_e64 v10, v10, v12, s[12:13]
	v_mov_b32_e32 v12, 0x41b17218
	v_cndmask_b32_e64 v12, 0, v12, s[10:11]
	v_sub_f32_e32 v10, v10, v12
	v_sub_f32_e32 v10, v10, v11
	v_floor_f32_e32 v11, v5
	v_sub_f32_e32 v11, v5, v11
	v_min_f32_e32 v11, 0x3f7fffff, v11
	v_mov_b32_e32 v12, 0x7f800000
	v_cmp_neq_f32_e64 s[10:11], 0, v11
	v_cndmask_b32_e64 v11, v12, v10, s[10:11]
.LBB136_149:
	s_or_b64 exec, exec, s[18:19]
.LBB136_150:
	s_andn2_saveexec_b64 s[16:17], s[16:17]
; %bb.151:
	v_cmp_eq_f32_e64 s[10:11], 1.0, v5
	v_cmp_eq_f32_e64 s[12:13], 2.0, v5
	s_or_b64 s[10:11], s[10:11], s[12:13]
	v_cndmask_b32_e64 v11, v11, 0, s[10:11]
; %bb.152:
	s_or_b64 exec, exec, s[16:17]
	s_mov_b32 s12, 0x4b000000
	v_cmp_lt_f32_e64 s[10:11], |v4|, s12
	v_mov_b32_e32 v10, 0x264
	v_mov_b32_e32 v12, 0x7f800000
	s_or_b64 s[6:7], s[6:7], s[10:11]
	v_cndmask_b32_e64 v9, v12, v9, s[6:7]
	v_cmp_class_f32_e64 s[6:7], v4, v10
	v_cndmask_b32_e64 v9, v9, v12, s[6:7]
	v_cmp_u_f32_e64 s[6:7], v4, v4
	v_cndmask_b32_e64 v4, v9, v4, s[6:7]
	v_cmp_lt_f32_e64 s[6:7], |v3|, s12
	s_or_b64 s[4:5], s[4:5], s[6:7]
	v_cndmask_b32_e64 v8, v12, v8, s[4:5]
	v_cmp_class_f32_e64 s[4:5], v3, v10
	v_cndmask_b32_e64 v8, v8, v12, s[4:5]
	v_cmp_u_f32_e64 s[4:5], v3, v3
	v_cndmask_b32_e64 v3, v8, v3, s[4:5]
	v_cmp_lt_f32_e64 s[4:5], |v2|, s12
	s_or_b64 vcc, vcc, s[4:5]
	v_cndmask_b32_e32 v7, v12, v7, vcc
	v_cmp_class_f32_e32 vcc, v2, v10
	v_cndmask_b32_e32 v7, v7, v12, vcc
	v_cmp_u_f32_e32 vcc, v2, v2
	v_cmp_lt_f32_e64 s[4:5], |v5|, s12
	v_cndmask_b32_e32 v2, v7, v2, vcc
	s_or_b64 vcc, s[8:9], s[4:5]
	v_cndmask_b32_e32 v7, v12, v11, vcc
	v_cmp_class_f32_e32 vcc, v5, v10
	v_cndmask_b32_e32 v7, v7, v12, vcc
	v_cmp_u_f32_e32 vcc, v5, v5
	v_cndmask_b32_e32 v5, v7, v5, vcc
	v_mov_b32_e32 v7, s15
	v_add_co_u32_e32 v0, vcc, s14, v0
	v_addc_co_u32_e32 v1, vcc, v1, v7, vcc
	v_add_co_u32_e32 v0, vcc, v0, v6
	v_addc_co_u32_e32 v1, vcc, 0, v1, vcc
	flat_store_dwordx4 v[0:1], v[2:5]
	s_waitcnt vmcnt(0) lgkmcnt(0)
	s_setpc_b64 s[30:31]
.Lfunc_end136:
	.size	_ZN2at6native25elementwise_kernel_helperILb0EZZZNS0_18lgamma_kernel_cudaERNS_18TensorIteratorBaseEENKUlvE_clEvENKUlvE0_clEvEUlfE_NS0_6memory8policies10vectorizedILi4ESt5arrayIPcLm2EELi4EEEEEvT0_T1_, .Lfunc_end136-_ZN2at6native25elementwise_kernel_helperILb0EZZZNS0_18lgamma_kernel_cudaERNS_18TensorIteratorBaseEENKUlvE_clEvENKUlvE0_clEvEUlfE_NS0_6memory8policies10vectorizedILi4ESt5arrayIPcLm2EELi4EEEEEvT0_T1_
                                        ; -- End function
	.set .L_ZN2at6native25elementwise_kernel_helperILb0EZZZNS0_18lgamma_kernel_cudaERNS_18TensorIteratorBaseEENKUlvE_clEvENKUlvE0_clEvEUlfE_NS0_6memory8policies10vectorizedILi4ESt5arrayIPcLm2EELi4EEEEEvT0_T1_.num_vgpr, 32
	.set .L_ZN2at6native25elementwise_kernel_helperILb0EZZZNS0_18lgamma_kernel_cudaERNS_18TensorIteratorBaseEENKUlvE_clEvENKUlvE0_clEvEUlfE_NS0_6memory8policies10vectorizedILi4ESt5arrayIPcLm2EELi4EEEEEvT0_T1_.num_agpr, 0
	.set .L_ZN2at6native25elementwise_kernel_helperILb0EZZZNS0_18lgamma_kernel_cudaERNS_18TensorIteratorBaseEENKUlvE_clEvENKUlvE0_clEvEUlfE_NS0_6memory8policies10vectorizedILi4ESt5arrayIPcLm2EELi4EEEEEvT0_T1_.numbered_sgpr, 32
	.set .L_ZN2at6native25elementwise_kernel_helperILb0EZZZNS0_18lgamma_kernel_cudaERNS_18TensorIteratorBaseEENKUlvE_clEvENKUlvE0_clEvEUlfE_NS0_6memory8policies10vectorizedILi4ESt5arrayIPcLm2EELi4EEEEEvT0_T1_.num_named_barrier, 0
	.set .L_ZN2at6native25elementwise_kernel_helperILb0EZZZNS0_18lgamma_kernel_cudaERNS_18TensorIteratorBaseEENKUlvE_clEvENKUlvE0_clEvEUlfE_NS0_6memory8policies10vectorizedILi4ESt5arrayIPcLm2EELi4EEEEEvT0_T1_.private_seg_size, 0
	.set .L_ZN2at6native25elementwise_kernel_helperILb0EZZZNS0_18lgamma_kernel_cudaERNS_18TensorIteratorBaseEENKUlvE_clEvENKUlvE0_clEvEUlfE_NS0_6memory8policies10vectorizedILi4ESt5arrayIPcLm2EELi4EEEEEvT0_T1_.uses_vcc, 1
	.set .L_ZN2at6native25elementwise_kernel_helperILb0EZZZNS0_18lgamma_kernel_cudaERNS_18TensorIteratorBaseEENKUlvE_clEvENKUlvE0_clEvEUlfE_NS0_6memory8policies10vectorizedILi4ESt5arrayIPcLm2EELi4EEEEEvT0_T1_.uses_flat_scratch, 0
	.set .L_ZN2at6native25elementwise_kernel_helperILb0EZZZNS0_18lgamma_kernel_cudaERNS_18TensorIteratorBaseEENKUlvE_clEvENKUlvE0_clEvEUlfE_NS0_6memory8policies10vectorizedILi4ESt5arrayIPcLm2EELi4EEEEEvT0_T1_.has_dyn_sized_stack, 0
	.set .L_ZN2at6native25elementwise_kernel_helperILb0EZZZNS0_18lgamma_kernel_cudaERNS_18TensorIteratorBaseEENKUlvE_clEvENKUlvE0_clEvEUlfE_NS0_6memory8policies10vectorizedILi4ESt5arrayIPcLm2EELi4EEEEEvT0_T1_.has_recursion, 0
	.set .L_ZN2at6native25elementwise_kernel_helperILb0EZZZNS0_18lgamma_kernel_cudaERNS_18TensorIteratorBaseEENKUlvE_clEvENKUlvE0_clEvEUlfE_NS0_6memory8policies10vectorizedILi4ESt5arrayIPcLm2EELi4EEEEEvT0_T1_.has_indirect_call, 0
	.section	.AMDGPU.csdata,"",@progbits
; Function info:
; codeLenInByte = 10672
; TotalNumSgprs: 36
; NumVgprs: 32
; ScratchSize: 0
; MemoryBound: 0
	.section	.text._ZN2at6native29vectorized_elementwise_kernelILi16EZZZNS0_18lgamma_kernel_cudaERNS_18TensorIteratorBaseEENKUlvE_clEvENKUlvE0_clEvEUlfE_St5arrayIPcLm2EEEEviT0_T1_,"axG",@progbits,_ZN2at6native29vectorized_elementwise_kernelILi16EZZZNS0_18lgamma_kernel_cudaERNS_18TensorIteratorBaseEENKUlvE_clEvENKUlvE0_clEvEUlfE_St5arrayIPcLm2EEEEviT0_T1_,comdat
	.globl	_ZN2at6native29vectorized_elementwise_kernelILi16EZZZNS0_18lgamma_kernel_cudaERNS_18TensorIteratorBaseEENKUlvE_clEvENKUlvE0_clEvEUlfE_St5arrayIPcLm2EEEEviT0_T1_ ; -- Begin function _ZN2at6native29vectorized_elementwise_kernelILi16EZZZNS0_18lgamma_kernel_cudaERNS_18TensorIteratorBaseEENKUlvE_clEvENKUlvE0_clEvEUlfE_St5arrayIPcLm2EEEEviT0_T1_
	.p2align	8
	.type	_ZN2at6native29vectorized_elementwise_kernelILi16EZZZNS0_18lgamma_kernel_cudaERNS_18TensorIteratorBaseEENKUlvE_clEvENKUlvE0_clEvEUlfE_St5arrayIPcLm2EEEEviT0_T1_,@function
_ZN2at6native29vectorized_elementwise_kernelILi16EZZZNS0_18lgamma_kernel_cudaERNS_18TensorIteratorBaseEENKUlvE_clEvENKUlvE0_clEvEUlfE_St5arrayIPcLm2EEEEviT0_T1_: ; @_ZN2at6native29vectorized_elementwise_kernelILi16EZZZNS0_18lgamma_kernel_cudaERNS_18TensorIteratorBaseEENKUlvE_clEvENKUlvE0_clEvEUlfE_St5arrayIPcLm2EEEEviT0_T1_
; %bb.0:
	s_mov_b32 s22, s6
	s_load_dword s6, s[4:5], 0x0
	s_load_dwordx4 s[24:27], s[4:5], 0x8
	s_add_u32 s0, s0, s7
	s_addc_u32 s1, s1, 0
	s_lshl_b32 s4, s22, 10
	s_waitcnt lgkmcnt(0)
	s_sub_i32 s23, s6, s4
	v_mov_b32_e32 v31, v0
	s_cmpk_gt_i32 s23, 0x3ff
	s_mov_b64 s[4:5], -1
	s_mov_b32 s32, 0
	s_cbranch_scc1 .LBB137_3
; %bb.1:
	s_andn2_b64 vcc, exec, s[4:5]
	s_cbranch_vccz .LBB137_4
.LBB137_2:
	s_endpgm
.LBB137_3:
	s_getpc_b64 s[4:5]
	s_add_u32 s4, s4, _ZN2at6native25elementwise_kernel_helperILb0EZZZNS0_18lgamma_kernel_cudaERNS_18TensorIteratorBaseEENKUlvE_clEvENKUlvE0_clEvEUlfE_NS0_6memory8policies10vectorizedILi4ESt5arrayIPcLm2EELi4EEEEEvT0_T1_@rel32@lo+4
	s_addc_u32 s5, s5, _ZN2at6native25elementwise_kernel_helperILb0EZZZNS0_18lgamma_kernel_cudaERNS_18TensorIteratorBaseEENKUlvE_clEvENKUlvE0_clEvEUlfE_NS0_6memory8policies10vectorizedILi4ESt5arrayIPcLm2EELi4EEEEEvT0_T1_@rel32@hi+12
	s_mov_b32 s12, s22
	v_mov_b32_e32 v0, s24
	v_mov_b32_e32 v1, s25
	;; [unrolled: 1-line block ×4, first 2 shown]
	s_swappc_b64 s[30:31], s[4:5]
	s_cbranch_execnz .LBB137_2
.LBB137_4:
	s_getpc_b64 s[4:5]
	s_add_u32 s4, s4, _ZN2at6native25elementwise_kernel_helperILb0EZZZNS0_18lgamma_kernel_cudaERNS_18TensorIteratorBaseEENKUlvE_clEvENKUlvE0_clEvEUlfE_NS0_6memory8policies11unroll_baseILi256ESt5arrayIPcLm2EE23TrivialOffsetCalculatorILi1EjESE_NS7_15LoadWithoutCastENS7_16StoreWithoutCastELi4ELi1EEEEEvT0_T1_@rel32@lo+4
	s_addc_u32 s5, s5, _ZN2at6native25elementwise_kernel_helperILb0EZZZNS0_18lgamma_kernel_cudaERNS_18TensorIteratorBaseEENKUlvE_clEvENKUlvE0_clEvEUlfE_NS0_6memory8policies11unroll_baseILi256ESt5arrayIPcLm2EE23TrivialOffsetCalculatorILi1EjESE_NS7_15LoadWithoutCastENS7_16StoreWithoutCastELi4ELi1EEEEEvT0_T1_@rel32@hi+12
	s_mov_b32 s12, s22
	v_mov_b32_e32 v0, s24
	v_mov_b32_e32 v1, s25
	;; [unrolled: 1-line block ×5, first 2 shown]
	s_swappc_b64 s[30:31], s[4:5]
	s_endpgm
	.section	.rodata,"a",@progbits
	.p2align	6, 0x0
	.amdhsa_kernel _ZN2at6native29vectorized_elementwise_kernelILi16EZZZNS0_18lgamma_kernel_cudaERNS_18TensorIteratorBaseEENKUlvE_clEvENKUlvE0_clEvEUlfE_St5arrayIPcLm2EEEEviT0_T1_
		.amdhsa_group_segment_fixed_size 0
		.amdhsa_private_segment_fixed_size 0
		.amdhsa_kernarg_size 24
		.amdhsa_user_sgpr_count 6
		.amdhsa_user_sgpr_private_segment_buffer 1
		.amdhsa_user_sgpr_dispatch_ptr 0
		.amdhsa_user_sgpr_queue_ptr 0
		.amdhsa_user_sgpr_kernarg_segment_ptr 1
		.amdhsa_user_sgpr_dispatch_id 0
		.amdhsa_user_sgpr_flat_scratch_init 0
		.amdhsa_user_sgpr_private_segment_size 0
		.amdhsa_uses_dynamic_stack 0
		.amdhsa_system_sgpr_private_segment_wavefront_offset 0
		.amdhsa_system_sgpr_workgroup_id_x 1
		.amdhsa_system_sgpr_workgroup_id_y 0
		.amdhsa_system_sgpr_workgroup_id_z 0
		.amdhsa_system_sgpr_workgroup_info 0
		.amdhsa_system_vgpr_workitem_id 0
		.amdhsa_next_free_vgpr 32
		.amdhsa_next_free_sgpr 33
		.amdhsa_reserve_vcc 1
		.amdhsa_reserve_flat_scratch 0
		.amdhsa_float_round_mode_32 0
		.amdhsa_float_round_mode_16_64 0
		.amdhsa_float_denorm_mode_32 3
		.amdhsa_float_denorm_mode_16_64 3
		.amdhsa_dx10_clamp 1
		.amdhsa_ieee_mode 1
		.amdhsa_fp16_overflow 0
		.amdhsa_exception_fp_ieee_invalid_op 0
		.amdhsa_exception_fp_denorm_src 0
		.amdhsa_exception_fp_ieee_div_zero 0
		.amdhsa_exception_fp_ieee_overflow 0
		.amdhsa_exception_fp_ieee_underflow 0
		.amdhsa_exception_fp_ieee_inexact 0
		.amdhsa_exception_int_div_zero 0
	.end_amdhsa_kernel
	.section	.text._ZN2at6native29vectorized_elementwise_kernelILi16EZZZNS0_18lgamma_kernel_cudaERNS_18TensorIteratorBaseEENKUlvE_clEvENKUlvE0_clEvEUlfE_St5arrayIPcLm2EEEEviT0_T1_,"axG",@progbits,_ZN2at6native29vectorized_elementwise_kernelILi16EZZZNS0_18lgamma_kernel_cudaERNS_18TensorIteratorBaseEENKUlvE_clEvENKUlvE0_clEvEUlfE_St5arrayIPcLm2EEEEviT0_T1_,comdat
.Lfunc_end137:
	.size	_ZN2at6native29vectorized_elementwise_kernelILi16EZZZNS0_18lgamma_kernel_cudaERNS_18TensorIteratorBaseEENKUlvE_clEvENKUlvE0_clEvEUlfE_St5arrayIPcLm2EEEEviT0_T1_, .Lfunc_end137-_ZN2at6native29vectorized_elementwise_kernelILi16EZZZNS0_18lgamma_kernel_cudaERNS_18TensorIteratorBaseEENKUlvE_clEvENKUlvE0_clEvEUlfE_St5arrayIPcLm2EEEEviT0_T1_
                                        ; -- End function
	.set _ZN2at6native29vectorized_elementwise_kernelILi16EZZZNS0_18lgamma_kernel_cudaERNS_18TensorIteratorBaseEENKUlvE_clEvENKUlvE0_clEvEUlfE_St5arrayIPcLm2EEEEviT0_T1_.num_vgpr, max(32, .L_ZN2at6native25elementwise_kernel_helperILb0EZZZNS0_18lgamma_kernel_cudaERNS_18TensorIteratorBaseEENKUlvE_clEvENKUlvE0_clEvEUlfE_NS0_6memory8policies10vectorizedILi4ESt5arrayIPcLm2EELi4EEEEEvT0_T1_.num_vgpr, .L_ZN2at6native25elementwise_kernel_helperILb0EZZZNS0_18lgamma_kernel_cudaERNS_18TensorIteratorBaseEENKUlvE_clEvENKUlvE0_clEvEUlfE_NS0_6memory8policies11unroll_baseILi256ESt5arrayIPcLm2EE23TrivialOffsetCalculatorILi1EjESE_NS7_15LoadWithoutCastENS7_16StoreWithoutCastELi4ELi1EEEEEvT0_T1_.num_vgpr)
	.set _ZN2at6native29vectorized_elementwise_kernelILi16EZZZNS0_18lgamma_kernel_cudaERNS_18TensorIteratorBaseEENKUlvE_clEvENKUlvE0_clEvEUlfE_St5arrayIPcLm2EEEEviT0_T1_.num_agpr, max(0, .L_ZN2at6native25elementwise_kernel_helperILb0EZZZNS0_18lgamma_kernel_cudaERNS_18TensorIteratorBaseEENKUlvE_clEvENKUlvE0_clEvEUlfE_NS0_6memory8policies10vectorizedILi4ESt5arrayIPcLm2EELi4EEEEEvT0_T1_.num_agpr, .L_ZN2at6native25elementwise_kernel_helperILb0EZZZNS0_18lgamma_kernel_cudaERNS_18TensorIteratorBaseEENKUlvE_clEvENKUlvE0_clEvEUlfE_NS0_6memory8policies11unroll_baseILi256ESt5arrayIPcLm2EE23TrivialOffsetCalculatorILi1EjESE_NS7_15LoadWithoutCastENS7_16StoreWithoutCastELi4ELi1EEEEEvT0_T1_.num_agpr)
	.set _ZN2at6native29vectorized_elementwise_kernelILi16EZZZNS0_18lgamma_kernel_cudaERNS_18TensorIteratorBaseEENKUlvE_clEvENKUlvE0_clEvEUlfE_St5arrayIPcLm2EEEEviT0_T1_.numbered_sgpr, max(33, .L_ZN2at6native25elementwise_kernel_helperILb0EZZZNS0_18lgamma_kernel_cudaERNS_18TensorIteratorBaseEENKUlvE_clEvENKUlvE0_clEvEUlfE_NS0_6memory8policies10vectorizedILi4ESt5arrayIPcLm2EELi4EEEEEvT0_T1_.numbered_sgpr, .L_ZN2at6native25elementwise_kernel_helperILb0EZZZNS0_18lgamma_kernel_cudaERNS_18TensorIteratorBaseEENKUlvE_clEvENKUlvE0_clEvEUlfE_NS0_6memory8policies11unroll_baseILi256ESt5arrayIPcLm2EE23TrivialOffsetCalculatorILi1EjESE_NS7_15LoadWithoutCastENS7_16StoreWithoutCastELi4ELi1EEEEEvT0_T1_.numbered_sgpr)
	.set _ZN2at6native29vectorized_elementwise_kernelILi16EZZZNS0_18lgamma_kernel_cudaERNS_18TensorIteratorBaseEENKUlvE_clEvENKUlvE0_clEvEUlfE_St5arrayIPcLm2EEEEviT0_T1_.num_named_barrier, max(0, .L_ZN2at6native25elementwise_kernel_helperILb0EZZZNS0_18lgamma_kernel_cudaERNS_18TensorIteratorBaseEENKUlvE_clEvENKUlvE0_clEvEUlfE_NS0_6memory8policies10vectorizedILi4ESt5arrayIPcLm2EELi4EEEEEvT0_T1_.num_named_barrier, .L_ZN2at6native25elementwise_kernel_helperILb0EZZZNS0_18lgamma_kernel_cudaERNS_18TensorIteratorBaseEENKUlvE_clEvENKUlvE0_clEvEUlfE_NS0_6memory8policies11unroll_baseILi256ESt5arrayIPcLm2EE23TrivialOffsetCalculatorILi1EjESE_NS7_15LoadWithoutCastENS7_16StoreWithoutCastELi4ELi1EEEEEvT0_T1_.num_named_barrier)
	.set _ZN2at6native29vectorized_elementwise_kernelILi16EZZZNS0_18lgamma_kernel_cudaERNS_18TensorIteratorBaseEENKUlvE_clEvENKUlvE0_clEvEUlfE_St5arrayIPcLm2EEEEviT0_T1_.private_seg_size, 0+max(.L_ZN2at6native25elementwise_kernel_helperILb0EZZZNS0_18lgamma_kernel_cudaERNS_18TensorIteratorBaseEENKUlvE_clEvENKUlvE0_clEvEUlfE_NS0_6memory8policies10vectorizedILi4ESt5arrayIPcLm2EELi4EEEEEvT0_T1_.private_seg_size, .L_ZN2at6native25elementwise_kernel_helperILb0EZZZNS0_18lgamma_kernel_cudaERNS_18TensorIteratorBaseEENKUlvE_clEvENKUlvE0_clEvEUlfE_NS0_6memory8policies11unroll_baseILi256ESt5arrayIPcLm2EE23TrivialOffsetCalculatorILi1EjESE_NS7_15LoadWithoutCastENS7_16StoreWithoutCastELi4ELi1EEEEEvT0_T1_.private_seg_size)
	.set _ZN2at6native29vectorized_elementwise_kernelILi16EZZZNS0_18lgamma_kernel_cudaERNS_18TensorIteratorBaseEENKUlvE_clEvENKUlvE0_clEvEUlfE_St5arrayIPcLm2EEEEviT0_T1_.uses_vcc, or(1, .L_ZN2at6native25elementwise_kernel_helperILb0EZZZNS0_18lgamma_kernel_cudaERNS_18TensorIteratorBaseEENKUlvE_clEvENKUlvE0_clEvEUlfE_NS0_6memory8policies10vectorizedILi4ESt5arrayIPcLm2EELi4EEEEEvT0_T1_.uses_vcc, .L_ZN2at6native25elementwise_kernel_helperILb0EZZZNS0_18lgamma_kernel_cudaERNS_18TensorIteratorBaseEENKUlvE_clEvENKUlvE0_clEvEUlfE_NS0_6memory8policies11unroll_baseILi256ESt5arrayIPcLm2EE23TrivialOffsetCalculatorILi1EjESE_NS7_15LoadWithoutCastENS7_16StoreWithoutCastELi4ELi1EEEEEvT0_T1_.uses_vcc)
	.set _ZN2at6native29vectorized_elementwise_kernelILi16EZZZNS0_18lgamma_kernel_cudaERNS_18TensorIteratorBaseEENKUlvE_clEvENKUlvE0_clEvEUlfE_St5arrayIPcLm2EEEEviT0_T1_.uses_flat_scratch, or(0, .L_ZN2at6native25elementwise_kernel_helperILb0EZZZNS0_18lgamma_kernel_cudaERNS_18TensorIteratorBaseEENKUlvE_clEvENKUlvE0_clEvEUlfE_NS0_6memory8policies10vectorizedILi4ESt5arrayIPcLm2EELi4EEEEEvT0_T1_.uses_flat_scratch, .L_ZN2at6native25elementwise_kernel_helperILb0EZZZNS0_18lgamma_kernel_cudaERNS_18TensorIteratorBaseEENKUlvE_clEvENKUlvE0_clEvEUlfE_NS0_6memory8policies11unroll_baseILi256ESt5arrayIPcLm2EE23TrivialOffsetCalculatorILi1EjESE_NS7_15LoadWithoutCastENS7_16StoreWithoutCastELi4ELi1EEEEEvT0_T1_.uses_flat_scratch)
	.set _ZN2at6native29vectorized_elementwise_kernelILi16EZZZNS0_18lgamma_kernel_cudaERNS_18TensorIteratorBaseEENKUlvE_clEvENKUlvE0_clEvEUlfE_St5arrayIPcLm2EEEEviT0_T1_.has_dyn_sized_stack, or(0, .L_ZN2at6native25elementwise_kernel_helperILb0EZZZNS0_18lgamma_kernel_cudaERNS_18TensorIteratorBaseEENKUlvE_clEvENKUlvE0_clEvEUlfE_NS0_6memory8policies10vectorizedILi4ESt5arrayIPcLm2EELi4EEEEEvT0_T1_.has_dyn_sized_stack, .L_ZN2at6native25elementwise_kernel_helperILb0EZZZNS0_18lgamma_kernel_cudaERNS_18TensorIteratorBaseEENKUlvE_clEvENKUlvE0_clEvEUlfE_NS0_6memory8policies11unroll_baseILi256ESt5arrayIPcLm2EE23TrivialOffsetCalculatorILi1EjESE_NS7_15LoadWithoutCastENS7_16StoreWithoutCastELi4ELi1EEEEEvT0_T1_.has_dyn_sized_stack)
	.set _ZN2at6native29vectorized_elementwise_kernelILi16EZZZNS0_18lgamma_kernel_cudaERNS_18TensorIteratorBaseEENKUlvE_clEvENKUlvE0_clEvEUlfE_St5arrayIPcLm2EEEEviT0_T1_.has_recursion, or(0, .L_ZN2at6native25elementwise_kernel_helperILb0EZZZNS0_18lgamma_kernel_cudaERNS_18TensorIteratorBaseEENKUlvE_clEvENKUlvE0_clEvEUlfE_NS0_6memory8policies10vectorizedILi4ESt5arrayIPcLm2EELi4EEEEEvT0_T1_.has_recursion, .L_ZN2at6native25elementwise_kernel_helperILb0EZZZNS0_18lgamma_kernel_cudaERNS_18TensorIteratorBaseEENKUlvE_clEvENKUlvE0_clEvEUlfE_NS0_6memory8policies11unroll_baseILi256ESt5arrayIPcLm2EE23TrivialOffsetCalculatorILi1EjESE_NS7_15LoadWithoutCastENS7_16StoreWithoutCastELi4ELi1EEEEEvT0_T1_.has_recursion)
	.set _ZN2at6native29vectorized_elementwise_kernelILi16EZZZNS0_18lgamma_kernel_cudaERNS_18TensorIteratorBaseEENKUlvE_clEvENKUlvE0_clEvEUlfE_St5arrayIPcLm2EEEEviT0_T1_.has_indirect_call, or(0, .L_ZN2at6native25elementwise_kernel_helperILb0EZZZNS0_18lgamma_kernel_cudaERNS_18TensorIteratorBaseEENKUlvE_clEvENKUlvE0_clEvEUlfE_NS0_6memory8policies10vectorizedILi4ESt5arrayIPcLm2EELi4EEEEEvT0_T1_.has_indirect_call, .L_ZN2at6native25elementwise_kernel_helperILb0EZZZNS0_18lgamma_kernel_cudaERNS_18TensorIteratorBaseEENKUlvE_clEvENKUlvE0_clEvEUlfE_NS0_6memory8policies11unroll_baseILi256ESt5arrayIPcLm2EE23TrivialOffsetCalculatorILi1EjESE_NS7_15LoadWithoutCastENS7_16StoreWithoutCastELi4ELi1EEEEEvT0_T1_.has_indirect_call)
	.section	.AMDGPU.csdata,"",@progbits
; Kernel info:
; codeLenInByte = 172
; TotalNumSgprs: 37
; NumVgprs: 32
; ScratchSize: 0
; MemoryBound: 0
; FloatMode: 240
; IeeeMode: 1
; LDSByteSize: 0 bytes/workgroup (compile time only)
; SGPRBlocks: 4
; VGPRBlocks: 7
; NumSGPRsForWavesPerEU: 37
; NumVGPRsForWavesPerEU: 32
; Occupancy: 8
; WaveLimiterHint : 0
; COMPUTE_PGM_RSRC2:SCRATCH_EN: 0
; COMPUTE_PGM_RSRC2:USER_SGPR: 6
; COMPUTE_PGM_RSRC2:TRAP_HANDLER: 0
; COMPUTE_PGM_RSRC2:TGID_X_EN: 1
; COMPUTE_PGM_RSRC2:TGID_Y_EN: 0
; COMPUTE_PGM_RSRC2:TGID_Z_EN: 0
; COMPUTE_PGM_RSRC2:TIDIG_COMP_CNT: 0
	.section	.text._ZN2at6native29vectorized_elementwise_kernelILi8EZZZNS0_18lgamma_kernel_cudaERNS_18TensorIteratorBaseEENKUlvE_clEvENKUlvE0_clEvEUlfE_St5arrayIPcLm2EEEEviT0_T1_,"axG",@progbits,_ZN2at6native29vectorized_elementwise_kernelILi8EZZZNS0_18lgamma_kernel_cudaERNS_18TensorIteratorBaseEENKUlvE_clEvENKUlvE0_clEvEUlfE_St5arrayIPcLm2EEEEviT0_T1_,comdat
	.globl	_ZN2at6native29vectorized_elementwise_kernelILi8EZZZNS0_18lgamma_kernel_cudaERNS_18TensorIteratorBaseEENKUlvE_clEvENKUlvE0_clEvEUlfE_St5arrayIPcLm2EEEEviT0_T1_ ; -- Begin function _ZN2at6native29vectorized_elementwise_kernelILi8EZZZNS0_18lgamma_kernel_cudaERNS_18TensorIteratorBaseEENKUlvE_clEvENKUlvE0_clEvEUlfE_St5arrayIPcLm2EEEEviT0_T1_
	.p2align	8
	.type	_ZN2at6native29vectorized_elementwise_kernelILi8EZZZNS0_18lgamma_kernel_cudaERNS_18TensorIteratorBaseEENKUlvE_clEvENKUlvE0_clEvEUlfE_St5arrayIPcLm2EEEEviT0_T1_,@function
_ZN2at6native29vectorized_elementwise_kernelILi8EZZZNS0_18lgamma_kernel_cudaERNS_18TensorIteratorBaseEENKUlvE_clEvENKUlvE0_clEvEUlfE_St5arrayIPcLm2EEEEviT0_T1_: ; @_ZN2at6native29vectorized_elementwise_kernelILi8EZZZNS0_18lgamma_kernel_cudaERNS_18TensorIteratorBaseEENKUlvE_clEvENKUlvE0_clEvEUlfE_St5arrayIPcLm2EEEEviT0_T1_
; %bb.0:
	s_mov_b32 s22, s6
	s_load_dword s6, s[4:5], 0x0
	s_load_dwordx4 s[24:27], s[4:5], 0x8
	s_add_u32 s0, s0, s7
	s_addc_u32 s1, s1, 0
	s_lshl_b32 s4, s22, 10
	s_waitcnt lgkmcnt(0)
	s_sub_i32 s23, s6, s4
	v_mov_b32_e32 v31, v0
	s_cmpk_gt_i32 s23, 0x3ff
	s_mov_b64 s[4:5], -1
	s_mov_b32 s32, 0
	s_cbranch_scc1 .LBB138_3
; %bb.1:
	s_andn2_b64 vcc, exec, s[4:5]
	s_cbranch_vccz .LBB138_4
.LBB138_2:
	s_endpgm
.LBB138_3:
	s_getpc_b64 s[4:5]
	s_add_u32 s4, s4, _ZN2at6native25elementwise_kernel_helperILb0EZZZNS0_18lgamma_kernel_cudaERNS_18TensorIteratorBaseEENKUlvE_clEvENKUlvE0_clEvEUlfE_NS0_6memory8policies10vectorizedILi4ESt5arrayIPcLm2EELi4EEEEEvT0_T1_@rel32@lo+4
	s_addc_u32 s5, s5, _ZN2at6native25elementwise_kernel_helperILb0EZZZNS0_18lgamma_kernel_cudaERNS_18TensorIteratorBaseEENKUlvE_clEvENKUlvE0_clEvEUlfE_NS0_6memory8policies10vectorizedILi4ESt5arrayIPcLm2EELi4EEEEEvT0_T1_@rel32@hi+12
	s_mov_b32 s12, s22
	v_mov_b32_e32 v0, s24
	v_mov_b32_e32 v1, s25
	;; [unrolled: 1-line block ×4, first 2 shown]
	s_swappc_b64 s[30:31], s[4:5]
	s_cbranch_execnz .LBB138_2
.LBB138_4:
	s_getpc_b64 s[4:5]
	s_add_u32 s4, s4, _ZN2at6native25elementwise_kernel_helperILb0EZZZNS0_18lgamma_kernel_cudaERNS_18TensorIteratorBaseEENKUlvE_clEvENKUlvE0_clEvEUlfE_NS0_6memory8policies11unroll_baseILi256ESt5arrayIPcLm2EE23TrivialOffsetCalculatorILi1EjESE_NS7_15LoadWithoutCastENS7_16StoreWithoutCastELi4ELi1EEEEEvT0_T1_@rel32@lo+4
	s_addc_u32 s5, s5, _ZN2at6native25elementwise_kernel_helperILb0EZZZNS0_18lgamma_kernel_cudaERNS_18TensorIteratorBaseEENKUlvE_clEvENKUlvE0_clEvEUlfE_NS0_6memory8policies11unroll_baseILi256ESt5arrayIPcLm2EE23TrivialOffsetCalculatorILi1EjESE_NS7_15LoadWithoutCastENS7_16StoreWithoutCastELi4ELi1EEEEEvT0_T1_@rel32@hi+12
	s_mov_b32 s12, s22
	v_mov_b32_e32 v0, s24
	v_mov_b32_e32 v1, s25
	;; [unrolled: 1-line block ×5, first 2 shown]
	s_swappc_b64 s[30:31], s[4:5]
	s_endpgm
	.section	.rodata,"a",@progbits
	.p2align	6, 0x0
	.amdhsa_kernel _ZN2at6native29vectorized_elementwise_kernelILi8EZZZNS0_18lgamma_kernel_cudaERNS_18TensorIteratorBaseEENKUlvE_clEvENKUlvE0_clEvEUlfE_St5arrayIPcLm2EEEEviT0_T1_
		.amdhsa_group_segment_fixed_size 0
		.amdhsa_private_segment_fixed_size 0
		.amdhsa_kernarg_size 24
		.amdhsa_user_sgpr_count 6
		.amdhsa_user_sgpr_private_segment_buffer 1
		.amdhsa_user_sgpr_dispatch_ptr 0
		.amdhsa_user_sgpr_queue_ptr 0
		.amdhsa_user_sgpr_kernarg_segment_ptr 1
		.amdhsa_user_sgpr_dispatch_id 0
		.amdhsa_user_sgpr_flat_scratch_init 0
		.amdhsa_user_sgpr_private_segment_size 0
		.amdhsa_uses_dynamic_stack 0
		.amdhsa_system_sgpr_private_segment_wavefront_offset 0
		.amdhsa_system_sgpr_workgroup_id_x 1
		.amdhsa_system_sgpr_workgroup_id_y 0
		.amdhsa_system_sgpr_workgroup_id_z 0
		.amdhsa_system_sgpr_workgroup_info 0
		.amdhsa_system_vgpr_workitem_id 0
		.amdhsa_next_free_vgpr 32
		.amdhsa_next_free_sgpr 33
		.amdhsa_reserve_vcc 1
		.amdhsa_reserve_flat_scratch 0
		.amdhsa_float_round_mode_32 0
		.amdhsa_float_round_mode_16_64 0
		.amdhsa_float_denorm_mode_32 3
		.amdhsa_float_denorm_mode_16_64 3
		.amdhsa_dx10_clamp 1
		.amdhsa_ieee_mode 1
		.amdhsa_fp16_overflow 0
		.amdhsa_exception_fp_ieee_invalid_op 0
		.amdhsa_exception_fp_denorm_src 0
		.amdhsa_exception_fp_ieee_div_zero 0
		.amdhsa_exception_fp_ieee_overflow 0
		.amdhsa_exception_fp_ieee_underflow 0
		.amdhsa_exception_fp_ieee_inexact 0
		.amdhsa_exception_int_div_zero 0
	.end_amdhsa_kernel
	.section	.text._ZN2at6native29vectorized_elementwise_kernelILi8EZZZNS0_18lgamma_kernel_cudaERNS_18TensorIteratorBaseEENKUlvE_clEvENKUlvE0_clEvEUlfE_St5arrayIPcLm2EEEEviT0_T1_,"axG",@progbits,_ZN2at6native29vectorized_elementwise_kernelILi8EZZZNS0_18lgamma_kernel_cudaERNS_18TensorIteratorBaseEENKUlvE_clEvENKUlvE0_clEvEUlfE_St5arrayIPcLm2EEEEviT0_T1_,comdat
.Lfunc_end138:
	.size	_ZN2at6native29vectorized_elementwise_kernelILi8EZZZNS0_18lgamma_kernel_cudaERNS_18TensorIteratorBaseEENKUlvE_clEvENKUlvE0_clEvEUlfE_St5arrayIPcLm2EEEEviT0_T1_, .Lfunc_end138-_ZN2at6native29vectorized_elementwise_kernelILi8EZZZNS0_18lgamma_kernel_cudaERNS_18TensorIteratorBaseEENKUlvE_clEvENKUlvE0_clEvEUlfE_St5arrayIPcLm2EEEEviT0_T1_
                                        ; -- End function
	.set _ZN2at6native29vectorized_elementwise_kernelILi8EZZZNS0_18lgamma_kernel_cudaERNS_18TensorIteratorBaseEENKUlvE_clEvENKUlvE0_clEvEUlfE_St5arrayIPcLm2EEEEviT0_T1_.num_vgpr, max(32, .L_ZN2at6native25elementwise_kernel_helperILb0EZZZNS0_18lgamma_kernel_cudaERNS_18TensorIteratorBaseEENKUlvE_clEvENKUlvE0_clEvEUlfE_NS0_6memory8policies10vectorizedILi4ESt5arrayIPcLm2EELi4EEEEEvT0_T1_.num_vgpr, .L_ZN2at6native25elementwise_kernel_helperILb0EZZZNS0_18lgamma_kernel_cudaERNS_18TensorIteratorBaseEENKUlvE_clEvENKUlvE0_clEvEUlfE_NS0_6memory8policies11unroll_baseILi256ESt5arrayIPcLm2EE23TrivialOffsetCalculatorILi1EjESE_NS7_15LoadWithoutCastENS7_16StoreWithoutCastELi4ELi1EEEEEvT0_T1_.num_vgpr)
	.set _ZN2at6native29vectorized_elementwise_kernelILi8EZZZNS0_18lgamma_kernel_cudaERNS_18TensorIteratorBaseEENKUlvE_clEvENKUlvE0_clEvEUlfE_St5arrayIPcLm2EEEEviT0_T1_.num_agpr, max(0, .L_ZN2at6native25elementwise_kernel_helperILb0EZZZNS0_18lgamma_kernel_cudaERNS_18TensorIteratorBaseEENKUlvE_clEvENKUlvE0_clEvEUlfE_NS0_6memory8policies10vectorizedILi4ESt5arrayIPcLm2EELi4EEEEEvT0_T1_.num_agpr, .L_ZN2at6native25elementwise_kernel_helperILb0EZZZNS0_18lgamma_kernel_cudaERNS_18TensorIteratorBaseEENKUlvE_clEvENKUlvE0_clEvEUlfE_NS0_6memory8policies11unroll_baseILi256ESt5arrayIPcLm2EE23TrivialOffsetCalculatorILi1EjESE_NS7_15LoadWithoutCastENS7_16StoreWithoutCastELi4ELi1EEEEEvT0_T1_.num_agpr)
	.set _ZN2at6native29vectorized_elementwise_kernelILi8EZZZNS0_18lgamma_kernel_cudaERNS_18TensorIteratorBaseEENKUlvE_clEvENKUlvE0_clEvEUlfE_St5arrayIPcLm2EEEEviT0_T1_.numbered_sgpr, max(33, .L_ZN2at6native25elementwise_kernel_helperILb0EZZZNS0_18lgamma_kernel_cudaERNS_18TensorIteratorBaseEENKUlvE_clEvENKUlvE0_clEvEUlfE_NS0_6memory8policies10vectorizedILi4ESt5arrayIPcLm2EELi4EEEEEvT0_T1_.numbered_sgpr, .L_ZN2at6native25elementwise_kernel_helperILb0EZZZNS0_18lgamma_kernel_cudaERNS_18TensorIteratorBaseEENKUlvE_clEvENKUlvE0_clEvEUlfE_NS0_6memory8policies11unroll_baseILi256ESt5arrayIPcLm2EE23TrivialOffsetCalculatorILi1EjESE_NS7_15LoadWithoutCastENS7_16StoreWithoutCastELi4ELi1EEEEEvT0_T1_.numbered_sgpr)
	.set _ZN2at6native29vectorized_elementwise_kernelILi8EZZZNS0_18lgamma_kernel_cudaERNS_18TensorIteratorBaseEENKUlvE_clEvENKUlvE0_clEvEUlfE_St5arrayIPcLm2EEEEviT0_T1_.num_named_barrier, max(0, .L_ZN2at6native25elementwise_kernel_helperILb0EZZZNS0_18lgamma_kernel_cudaERNS_18TensorIteratorBaseEENKUlvE_clEvENKUlvE0_clEvEUlfE_NS0_6memory8policies10vectorizedILi4ESt5arrayIPcLm2EELi4EEEEEvT0_T1_.num_named_barrier, .L_ZN2at6native25elementwise_kernel_helperILb0EZZZNS0_18lgamma_kernel_cudaERNS_18TensorIteratorBaseEENKUlvE_clEvENKUlvE0_clEvEUlfE_NS0_6memory8policies11unroll_baseILi256ESt5arrayIPcLm2EE23TrivialOffsetCalculatorILi1EjESE_NS7_15LoadWithoutCastENS7_16StoreWithoutCastELi4ELi1EEEEEvT0_T1_.num_named_barrier)
	.set _ZN2at6native29vectorized_elementwise_kernelILi8EZZZNS0_18lgamma_kernel_cudaERNS_18TensorIteratorBaseEENKUlvE_clEvENKUlvE0_clEvEUlfE_St5arrayIPcLm2EEEEviT0_T1_.private_seg_size, 0+max(.L_ZN2at6native25elementwise_kernel_helperILb0EZZZNS0_18lgamma_kernel_cudaERNS_18TensorIteratorBaseEENKUlvE_clEvENKUlvE0_clEvEUlfE_NS0_6memory8policies10vectorizedILi4ESt5arrayIPcLm2EELi4EEEEEvT0_T1_.private_seg_size, .L_ZN2at6native25elementwise_kernel_helperILb0EZZZNS0_18lgamma_kernel_cudaERNS_18TensorIteratorBaseEENKUlvE_clEvENKUlvE0_clEvEUlfE_NS0_6memory8policies11unroll_baseILi256ESt5arrayIPcLm2EE23TrivialOffsetCalculatorILi1EjESE_NS7_15LoadWithoutCastENS7_16StoreWithoutCastELi4ELi1EEEEEvT0_T1_.private_seg_size)
	.set _ZN2at6native29vectorized_elementwise_kernelILi8EZZZNS0_18lgamma_kernel_cudaERNS_18TensorIteratorBaseEENKUlvE_clEvENKUlvE0_clEvEUlfE_St5arrayIPcLm2EEEEviT0_T1_.uses_vcc, or(1, .L_ZN2at6native25elementwise_kernel_helperILb0EZZZNS0_18lgamma_kernel_cudaERNS_18TensorIteratorBaseEENKUlvE_clEvENKUlvE0_clEvEUlfE_NS0_6memory8policies10vectorizedILi4ESt5arrayIPcLm2EELi4EEEEEvT0_T1_.uses_vcc, .L_ZN2at6native25elementwise_kernel_helperILb0EZZZNS0_18lgamma_kernel_cudaERNS_18TensorIteratorBaseEENKUlvE_clEvENKUlvE0_clEvEUlfE_NS0_6memory8policies11unroll_baseILi256ESt5arrayIPcLm2EE23TrivialOffsetCalculatorILi1EjESE_NS7_15LoadWithoutCastENS7_16StoreWithoutCastELi4ELi1EEEEEvT0_T1_.uses_vcc)
	.set _ZN2at6native29vectorized_elementwise_kernelILi8EZZZNS0_18lgamma_kernel_cudaERNS_18TensorIteratorBaseEENKUlvE_clEvENKUlvE0_clEvEUlfE_St5arrayIPcLm2EEEEviT0_T1_.uses_flat_scratch, or(0, .L_ZN2at6native25elementwise_kernel_helperILb0EZZZNS0_18lgamma_kernel_cudaERNS_18TensorIteratorBaseEENKUlvE_clEvENKUlvE0_clEvEUlfE_NS0_6memory8policies10vectorizedILi4ESt5arrayIPcLm2EELi4EEEEEvT0_T1_.uses_flat_scratch, .L_ZN2at6native25elementwise_kernel_helperILb0EZZZNS0_18lgamma_kernel_cudaERNS_18TensorIteratorBaseEENKUlvE_clEvENKUlvE0_clEvEUlfE_NS0_6memory8policies11unroll_baseILi256ESt5arrayIPcLm2EE23TrivialOffsetCalculatorILi1EjESE_NS7_15LoadWithoutCastENS7_16StoreWithoutCastELi4ELi1EEEEEvT0_T1_.uses_flat_scratch)
	.set _ZN2at6native29vectorized_elementwise_kernelILi8EZZZNS0_18lgamma_kernel_cudaERNS_18TensorIteratorBaseEENKUlvE_clEvENKUlvE0_clEvEUlfE_St5arrayIPcLm2EEEEviT0_T1_.has_dyn_sized_stack, or(0, .L_ZN2at6native25elementwise_kernel_helperILb0EZZZNS0_18lgamma_kernel_cudaERNS_18TensorIteratorBaseEENKUlvE_clEvENKUlvE0_clEvEUlfE_NS0_6memory8policies10vectorizedILi4ESt5arrayIPcLm2EELi4EEEEEvT0_T1_.has_dyn_sized_stack, .L_ZN2at6native25elementwise_kernel_helperILb0EZZZNS0_18lgamma_kernel_cudaERNS_18TensorIteratorBaseEENKUlvE_clEvENKUlvE0_clEvEUlfE_NS0_6memory8policies11unroll_baseILi256ESt5arrayIPcLm2EE23TrivialOffsetCalculatorILi1EjESE_NS7_15LoadWithoutCastENS7_16StoreWithoutCastELi4ELi1EEEEEvT0_T1_.has_dyn_sized_stack)
	.set _ZN2at6native29vectorized_elementwise_kernelILi8EZZZNS0_18lgamma_kernel_cudaERNS_18TensorIteratorBaseEENKUlvE_clEvENKUlvE0_clEvEUlfE_St5arrayIPcLm2EEEEviT0_T1_.has_recursion, or(0, .L_ZN2at6native25elementwise_kernel_helperILb0EZZZNS0_18lgamma_kernel_cudaERNS_18TensorIteratorBaseEENKUlvE_clEvENKUlvE0_clEvEUlfE_NS0_6memory8policies10vectorizedILi4ESt5arrayIPcLm2EELi4EEEEEvT0_T1_.has_recursion, .L_ZN2at6native25elementwise_kernel_helperILb0EZZZNS0_18lgamma_kernel_cudaERNS_18TensorIteratorBaseEENKUlvE_clEvENKUlvE0_clEvEUlfE_NS0_6memory8policies11unroll_baseILi256ESt5arrayIPcLm2EE23TrivialOffsetCalculatorILi1EjESE_NS7_15LoadWithoutCastENS7_16StoreWithoutCastELi4ELi1EEEEEvT0_T1_.has_recursion)
	.set _ZN2at6native29vectorized_elementwise_kernelILi8EZZZNS0_18lgamma_kernel_cudaERNS_18TensorIteratorBaseEENKUlvE_clEvENKUlvE0_clEvEUlfE_St5arrayIPcLm2EEEEviT0_T1_.has_indirect_call, or(0, .L_ZN2at6native25elementwise_kernel_helperILb0EZZZNS0_18lgamma_kernel_cudaERNS_18TensorIteratorBaseEENKUlvE_clEvENKUlvE0_clEvEUlfE_NS0_6memory8policies10vectorizedILi4ESt5arrayIPcLm2EELi4EEEEEvT0_T1_.has_indirect_call, .L_ZN2at6native25elementwise_kernel_helperILb0EZZZNS0_18lgamma_kernel_cudaERNS_18TensorIteratorBaseEENKUlvE_clEvENKUlvE0_clEvEUlfE_NS0_6memory8policies11unroll_baseILi256ESt5arrayIPcLm2EE23TrivialOffsetCalculatorILi1EjESE_NS7_15LoadWithoutCastENS7_16StoreWithoutCastELi4ELi1EEEEEvT0_T1_.has_indirect_call)
	.section	.AMDGPU.csdata,"",@progbits
; Kernel info:
; codeLenInByte = 172
; TotalNumSgprs: 37
; NumVgprs: 32
; ScratchSize: 0
; MemoryBound: 0
; FloatMode: 240
; IeeeMode: 1
; LDSByteSize: 0 bytes/workgroup (compile time only)
; SGPRBlocks: 4
; VGPRBlocks: 7
; NumSGPRsForWavesPerEU: 37
; NumVGPRsForWavesPerEU: 32
; Occupancy: 8
; WaveLimiterHint : 0
; COMPUTE_PGM_RSRC2:SCRATCH_EN: 0
; COMPUTE_PGM_RSRC2:USER_SGPR: 6
; COMPUTE_PGM_RSRC2:TRAP_HANDLER: 0
; COMPUTE_PGM_RSRC2:TGID_X_EN: 1
; COMPUTE_PGM_RSRC2:TGID_Y_EN: 0
; COMPUTE_PGM_RSRC2:TGID_Z_EN: 0
; COMPUTE_PGM_RSRC2:TIDIG_COMP_CNT: 0
	.section	.text._ZN2at6native29vectorized_elementwise_kernelILi4EZZZNS0_18lgamma_kernel_cudaERNS_18TensorIteratorBaseEENKUlvE_clEvENKUlvE0_clEvEUlfE_St5arrayIPcLm2EEEEviT0_T1_,"axG",@progbits,_ZN2at6native29vectorized_elementwise_kernelILi4EZZZNS0_18lgamma_kernel_cudaERNS_18TensorIteratorBaseEENKUlvE_clEvENKUlvE0_clEvEUlfE_St5arrayIPcLm2EEEEviT0_T1_,comdat
	.globl	_ZN2at6native29vectorized_elementwise_kernelILi4EZZZNS0_18lgamma_kernel_cudaERNS_18TensorIteratorBaseEENKUlvE_clEvENKUlvE0_clEvEUlfE_St5arrayIPcLm2EEEEviT0_T1_ ; -- Begin function _ZN2at6native29vectorized_elementwise_kernelILi4EZZZNS0_18lgamma_kernel_cudaERNS_18TensorIteratorBaseEENKUlvE_clEvENKUlvE0_clEvEUlfE_St5arrayIPcLm2EEEEviT0_T1_
	.p2align	8
	.type	_ZN2at6native29vectorized_elementwise_kernelILi4EZZZNS0_18lgamma_kernel_cudaERNS_18TensorIteratorBaseEENKUlvE_clEvENKUlvE0_clEvEUlfE_St5arrayIPcLm2EEEEviT0_T1_,@function
_ZN2at6native29vectorized_elementwise_kernelILi4EZZZNS0_18lgamma_kernel_cudaERNS_18TensorIteratorBaseEENKUlvE_clEvENKUlvE0_clEvEUlfE_St5arrayIPcLm2EEEEviT0_T1_: ; @_ZN2at6native29vectorized_elementwise_kernelILi4EZZZNS0_18lgamma_kernel_cudaERNS_18TensorIteratorBaseEENKUlvE_clEvENKUlvE0_clEvEUlfE_St5arrayIPcLm2EEEEviT0_T1_
; %bb.0:
	s_mov_b32 s22, s6
	s_load_dword s6, s[4:5], 0x0
	s_load_dwordx4 s[24:27], s[4:5], 0x8
	s_add_u32 s0, s0, s7
	s_addc_u32 s1, s1, 0
	s_lshl_b32 s4, s22, 10
	s_waitcnt lgkmcnt(0)
	s_sub_i32 s23, s6, s4
	v_mov_b32_e32 v31, v0
	s_cmpk_gt_i32 s23, 0x3ff
	s_mov_b64 s[4:5], -1
	s_mov_b32 s32, 0
	s_cbranch_scc1 .LBB139_3
; %bb.1:
	s_andn2_b64 vcc, exec, s[4:5]
	s_cbranch_vccz .LBB139_4
.LBB139_2:
	s_endpgm
.LBB139_3:
	s_getpc_b64 s[4:5]
	s_add_u32 s4, s4, _ZN2at6native25elementwise_kernel_helperILb0EZZZNS0_18lgamma_kernel_cudaERNS_18TensorIteratorBaseEENKUlvE_clEvENKUlvE0_clEvEUlfE_NS0_6memory8policies10vectorizedILi4ESt5arrayIPcLm2EELi4EEEEEvT0_T1_@rel32@lo+4
	s_addc_u32 s5, s5, _ZN2at6native25elementwise_kernel_helperILb0EZZZNS0_18lgamma_kernel_cudaERNS_18TensorIteratorBaseEENKUlvE_clEvENKUlvE0_clEvEUlfE_NS0_6memory8policies10vectorizedILi4ESt5arrayIPcLm2EELi4EEEEEvT0_T1_@rel32@hi+12
	s_mov_b32 s12, s22
	v_mov_b32_e32 v0, s24
	v_mov_b32_e32 v1, s25
	;; [unrolled: 1-line block ×4, first 2 shown]
	s_swappc_b64 s[30:31], s[4:5]
	s_cbranch_execnz .LBB139_2
.LBB139_4:
	s_getpc_b64 s[4:5]
	s_add_u32 s4, s4, _ZN2at6native25elementwise_kernel_helperILb0EZZZNS0_18lgamma_kernel_cudaERNS_18TensorIteratorBaseEENKUlvE_clEvENKUlvE0_clEvEUlfE_NS0_6memory8policies11unroll_baseILi256ESt5arrayIPcLm2EE23TrivialOffsetCalculatorILi1EjESE_NS7_15LoadWithoutCastENS7_16StoreWithoutCastELi4ELi1EEEEEvT0_T1_@rel32@lo+4
	s_addc_u32 s5, s5, _ZN2at6native25elementwise_kernel_helperILb0EZZZNS0_18lgamma_kernel_cudaERNS_18TensorIteratorBaseEENKUlvE_clEvENKUlvE0_clEvEUlfE_NS0_6memory8policies11unroll_baseILi256ESt5arrayIPcLm2EE23TrivialOffsetCalculatorILi1EjESE_NS7_15LoadWithoutCastENS7_16StoreWithoutCastELi4ELi1EEEEEvT0_T1_@rel32@hi+12
	s_mov_b32 s12, s22
	v_mov_b32_e32 v0, s24
	v_mov_b32_e32 v1, s25
	;; [unrolled: 1-line block ×5, first 2 shown]
	s_swappc_b64 s[30:31], s[4:5]
	s_endpgm
	.section	.rodata,"a",@progbits
	.p2align	6, 0x0
	.amdhsa_kernel _ZN2at6native29vectorized_elementwise_kernelILi4EZZZNS0_18lgamma_kernel_cudaERNS_18TensorIteratorBaseEENKUlvE_clEvENKUlvE0_clEvEUlfE_St5arrayIPcLm2EEEEviT0_T1_
		.amdhsa_group_segment_fixed_size 0
		.amdhsa_private_segment_fixed_size 0
		.amdhsa_kernarg_size 24
		.amdhsa_user_sgpr_count 6
		.amdhsa_user_sgpr_private_segment_buffer 1
		.amdhsa_user_sgpr_dispatch_ptr 0
		.amdhsa_user_sgpr_queue_ptr 0
		.amdhsa_user_sgpr_kernarg_segment_ptr 1
		.amdhsa_user_sgpr_dispatch_id 0
		.amdhsa_user_sgpr_flat_scratch_init 0
		.amdhsa_user_sgpr_private_segment_size 0
		.amdhsa_uses_dynamic_stack 0
		.amdhsa_system_sgpr_private_segment_wavefront_offset 0
		.amdhsa_system_sgpr_workgroup_id_x 1
		.amdhsa_system_sgpr_workgroup_id_y 0
		.amdhsa_system_sgpr_workgroup_id_z 0
		.amdhsa_system_sgpr_workgroup_info 0
		.amdhsa_system_vgpr_workitem_id 0
		.amdhsa_next_free_vgpr 32
		.amdhsa_next_free_sgpr 33
		.amdhsa_reserve_vcc 1
		.amdhsa_reserve_flat_scratch 0
		.amdhsa_float_round_mode_32 0
		.amdhsa_float_round_mode_16_64 0
		.amdhsa_float_denorm_mode_32 3
		.amdhsa_float_denorm_mode_16_64 3
		.amdhsa_dx10_clamp 1
		.amdhsa_ieee_mode 1
		.amdhsa_fp16_overflow 0
		.amdhsa_exception_fp_ieee_invalid_op 0
		.amdhsa_exception_fp_denorm_src 0
		.amdhsa_exception_fp_ieee_div_zero 0
		.amdhsa_exception_fp_ieee_overflow 0
		.amdhsa_exception_fp_ieee_underflow 0
		.amdhsa_exception_fp_ieee_inexact 0
		.amdhsa_exception_int_div_zero 0
	.end_amdhsa_kernel
	.section	.text._ZN2at6native29vectorized_elementwise_kernelILi4EZZZNS0_18lgamma_kernel_cudaERNS_18TensorIteratorBaseEENKUlvE_clEvENKUlvE0_clEvEUlfE_St5arrayIPcLm2EEEEviT0_T1_,"axG",@progbits,_ZN2at6native29vectorized_elementwise_kernelILi4EZZZNS0_18lgamma_kernel_cudaERNS_18TensorIteratorBaseEENKUlvE_clEvENKUlvE0_clEvEUlfE_St5arrayIPcLm2EEEEviT0_T1_,comdat
.Lfunc_end139:
	.size	_ZN2at6native29vectorized_elementwise_kernelILi4EZZZNS0_18lgamma_kernel_cudaERNS_18TensorIteratorBaseEENKUlvE_clEvENKUlvE0_clEvEUlfE_St5arrayIPcLm2EEEEviT0_T1_, .Lfunc_end139-_ZN2at6native29vectorized_elementwise_kernelILi4EZZZNS0_18lgamma_kernel_cudaERNS_18TensorIteratorBaseEENKUlvE_clEvENKUlvE0_clEvEUlfE_St5arrayIPcLm2EEEEviT0_T1_
                                        ; -- End function
	.set _ZN2at6native29vectorized_elementwise_kernelILi4EZZZNS0_18lgamma_kernel_cudaERNS_18TensorIteratorBaseEENKUlvE_clEvENKUlvE0_clEvEUlfE_St5arrayIPcLm2EEEEviT0_T1_.num_vgpr, max(32, .L_ZN2at6native25elementwise_kernel_helperILb0EZZZNS0_18lgamma_kernel_cudaERNS_18TensorIteratorBaseEENKUlvE_clEvENKUlvE0_clEvEUlfE_NS0_6memory8policies10vectorizedILi4ESt5arrayIPcLm2EELi4EEEEEvT0_T1_.num_vgpr, .L_ZN2at6native25elementwise_kernel_helperILb0EZZZNS0_18lgamma_kernel_cudaERNS_18TensorIteratorBaseEENKUlvE_clEvENKUlvE0_clEvEUlfE_NS0_6memory8policies11unroll_baseILi256ESt5arrayIPcLm2EE23TrivialOffsetCalculatorILi1EjESE_NS7_15LoadWithoutCastENS7_16StoreWithoutCastELi4ELi1EEEEEvT0_T1_.num_vgpr)
	.set _ZN2at6native29vectorized_elementwise_kernelILi4EZZZNS0_18lgamma_kernel_cudaERNS_18TensorIteratorBaseEENKUlvE_clEvENKUlvE0_clEvEUlfE_St5arrayIPcLm2EEEEviT0_T1_.num_agpr, max(0, .L_ZN2at6native25elementwise_kernel_helperILb0EZZZNS0_18lgamma_kernel_cudaERNS_18TensorIteratorBaseEENKUlvE_clEvENKUlvE0_clEvEUlfE_NS0_6memory8policies10vectorizedILi4ESt5arrayIPcLm2EELi4EEEEEvT0_T1_.num_agpr, .L_ZN2at6native25elementwise_kernel_helperILb0EZZZNS0_18lgamma_kernel_cudaERNS_18TensorIteratorBaseEENKUlvE_clEvENKUlvE0_clEvEUlfE_NS0_6memory8policies11unroll_baseILi256ESt5arrayIPcLm2EE23TrivialOffsetCalculatorILi1EjESE_NS7_15LoadWithoutCastENS7_16StoreWithoutCastELi4ELi1EEEEEvT0_T1_.num_agpr)
	.set _ZN2at6native29vectorized_elementwise_kernelILi4EZZZNS0_18lgamma_kernel_cudaERNS_18TensorIteratorBaseEENKUlvE_clEvENKUlvE0_clEvEUlfE_St5arrayIPcLm2EEEEviT0_T1_.numbered_sgpr, max(33, .L_ZN2at6native25elementwise_kernel_helperILb0EZZZNS0_18lgamma_kernel_cudaERNS_18TensorIteratorBaseEENKUlvE_clEvENKUlvE0_clEvEUlfE_NS0_6memory8policies10vectorizedILi4ESt5arrayIPcLm2EELi4EEEEEvT0_T1_.numbered_sgpr, .L_ZN2at6native25elementwise_kernel_helperILb0EZZZNS0_18lgamma_kernel_cudaERNS_18TensorIteratorBaseEENKUlvE_clEvENKUlvE0_clEvEUlfE_NS0_6memory8policies11unroll_baseILi256ESt5arrayIPcLm2EE23TrivialOffsetCalculatorILi1EjESE_NS7_15LoadWithoutCastENS7_16StoreWithoutCastELi4ELi1EEEEEvT0_T1_.numbered_sgpr)
	.set _ZN2at6native29vectorized_elementwise_kernelILi4EZZZNS0_18lgamma_kernel_cudaERNS_18TensorIteratorBaseEENKUlvE_clEvENKUlvE0_clEvEUlfE_St5arrayIPcLm2EEEEviT0_T1_.num_named_barrier, max(0, .L_ZN2at6native25elementwise_kernel_helperILb0EZZZNS0_18lgamma_kernel_cudaERNS_18TensorIteratorBaseEENKUlvE_clEvENKUlvE0_clEvEUlfE_NS0_6memory8policies10vectorizedILi4ESt5arrayIPcLm2EELi4EEEEEvT0_T1_.num_named_barrier, .L_ZN2at6native25elementwise_kernel_helperILb0EZZZNS0_18lgamma_kernel_cudaERNS_18TensorIteratorBaseEENKUlvE_clEvENKUlvE0_clEvEUlfE_NS0_6memory8policies11unroll_baseILi256ESt5arrayIPcLm2EE23TrivialOffsetCalculatorILi1EjESE_NS7_15LoadWithoutCastENS7_16StoreWithoutCastELi4ELi1EEEEEvT0_T1_.num_named_barrier)
	.set _ZN2at6native29vectorized_elementwise_kernelILi4EZZZNS0_18lgamma_kernel_cudaERNS_18TensorIteratorBaseEENKUlvE_clEvENKUlvE0_clEvEUlfE_St5arrayIPcLm2EEEEviT0_T1_.private_seg_size, 0+max(.L_ZN2at6native25elementwise_kernel_helperILb0EZZZNS0_18lgamma_kernel_cudaERNS_18TensorIteratorBaseEENKUlvE_clEvENKUlvE0_clEvEUlfE_NS0_6memory8policies10vectorizedILi4ESt5arrayIPcLm2EELi4EEEEEvT0_T1_.private_seg_size, .L_ZN2at6native25elementwise_kernel_helperILb0EZZZNS0_18lgamma_kernel_cudaERNS_18TensorIteratorBaseEENKUlvE_clEvENKUlvE0_clEvEUlfE_NS0_6memory8policies11unroll_baseILi256ESt5arrayIPcLm2EE23TrivialOffsetCalculatorILi1EjESE_NS7_15LoadWithoutCastENS7_16StoreWithoutCastELi4ELi1EEEEEvT0_T1_.private_seg_size)
	.set _ZN2at6native29vectorized_elementwise_kernelILi4EZZZNS0_18lgamma_kernel_cudaERNS_18TensorIteratorBaseEENKUlvE_clEvENKUlvE0_clEvEUlfE_St5arrayIPcLm2EEEEviT0_T1_.uses_vcc, or(1, .L_ZN2at6native25elementwise_kernel_helperILb0EZZZNS0_18lgamma_kernel_cudaERNS_18TensorIteratorBaseEENKUlvE_clEvENKUlvE0_clEvEUlfE_NS0_6memory8policies10vectorizedILi4ESt5arrayIPcLm2EELi4EEEEEvT0_T1_.uses_vcc, .L_ZN2at6native25elementwise_kernel_helperILb0EZZZNS0_18lgamma_kernel_cudaERNS_18TensorIteratorBaseEENKUlvE_clEvENKUlvE0_clEvEUlfE_NS0_6memory8policies11unroll_baseILi256ESt5arrayIPcLm2EE23TrivialOffsetCalculatorILi1EjESE_NS7_15LoadWithoutCastENS7_16StoreWithoutCastELi4ELi1EEEEEvT0_T1_.uses_vcc)
	.set _ZN2at6native29vectorized_elementwise_kernelILi4EZZZNS0_18lgamma_kernel_cudaERNS_18TensorIteratorBaseEENKUlvE_clEvENKUlvE0_clEvEUlfE_St5arrayIPcLm2EEEEviT0_T1_.uses_flat_scratch, or(0, .L_ZN2at6native25elementwise_kernel_helperILb0EZZZNS0_18lgamma_kernel_cudaERNS_18TensorIteratorBaseEENKUlvE_clEvENKUlvE0_clEvEUlfE_NS0_6memory8policies10vectorizedILi4ESt5arrayIPcLm2EELi4EEEEEvT0_T1_.uses_flat_scratch, .L_ZN2at6native25elementwise_kernel_helperILb0EZZZNS0_18lgamma_kernel_cudaERNS_18TensorIteratorBaseEENKUlvE_clEvENKUlvE0_clEvEUlfE_NS0_6memory8policies11unroll_baseILi256ESt5arrayIPcLm2EE23TrivialOffsetCalculatorILi1EjESE_NS7_15LoadWithoutCastENS7_16StoreWithoutCastELi4ELi1EEEEEvT0_T1_.uses_flat_scratch)
	.set _ZN2at6native29vectorized_elementwise_kernelILi4EZZZNS0_18lgamma_kernel_cudaERNS_18TensorIteratorBaseEENKUlvE_clEvENKUlvE0_clEvEUlfE_St5arrayIPcLm2EEEEviT0_T1_.has_dyn_sized_stack, or(0, .L_ZN2at6native25elementwise_kernel_helperILb0EZZZNS0_18lgamma_kernel_cudaERNS_18TensorIteratorBaseEENKUlvE_clEvENKUlvE0_clEvEUlfE_NS0_6memory8policies10vectorizedILi4ESt5arrayIPcLm2EELi4EEEEEvT0_T1_.has_dyn_sized_stack, .L_ZN2at6native25elementwise_kernel_helperILb0EZZZNS0_18lgamma_kernel_cudaERNS_18TensorIteratorBaseEENKUlvE_clEvENKUlvE0_clEvEUlfE_NS0_6memory8policies11unroll_baseILi256ESt5arrayIPcLm2EE23TrivialOffsetCalculatorILi1EjESE_NS7_15LoadWithoutCastENS7_16StoreWithoutCastELi4ELi1EEEEEvT0_T1_.has_dyn_sized_stack)
	.set _ZN2at6native29vectorized_elementwise_kernelILi4EZZZNS0_18lgamma_kernel_cudaERNS_18TensorIteratorBaseEENKUlvE_clEvENKUlvE0_clEvEUlfE_St5arrayIPcLm2EEEEviT0_T1_.has_recursion, or(0, .L_ZN2at6native25elementwise_kernel_helperILb0EZZZNS0_18lgamma_kernel_cudaERNS_18TensorIteratorBaseEENKUlvE_clEvENKUlvE0_clEvEUlfE_NS0_6memory8policies10vectorizedILi4ESt5arrayIPcLm2EELi4EEEEEvT0_T1_.has_recursion, .L_ZN2at6native25elementwise_kernel_helperILb0EZZZNS0_18lgamma_kernel_cudaERNS_18TensorIteratorBaseEENKUlvE_clEvENKUlvE0_clEvEUlfE_NS0_6memory8policies11unroll_baseILi256ESt5arrayIPcLm2EE23TrivialOffsetCalculatorILi1EjESE_NS7_15LoadWithoutCastENS7_16StoreWithoutCastELi4ELi1EEEEEvT0_T1_.has_recursion)
	.set _ZN2at6native29vectorized_elementwise_kernelILi4EZZZNS0_18lgamma_kernel_cudaERNS_18TensorIteratorBaseEENKUlvE_clEvENKUlvE0_clEvEUlfE_St5arrayIPcLm2EEEEviT0_T1_.has_indirect_call, or(0, .L_ZN2at6native25elementwise_kernel_helperILb0EZZZNS0_18lgamma_kernel_cudaERNS_18TensorIteratorBaseEENKUlvE_clEvENKUlvE0_clEvEUlfE_NS0_6memory8policies10vectorizedILi4ESt5arrayIPcLm2EELi4EEEEEvT0_T1_.has_indirect_call, .L_ZN2at6native25elementwise_kernel_helperILb0EZZZNS0_18lgamma_kernel_cudaERNS_18TensorIteratorBaseEENKUlvE_clEvENKUlvE0_clEvEUlfE_NS0_6memory8policies11unroll_baseILi256ESt5arrayIPcLm2EE23TrivialOffsetCalculatorILi1EjESE_NS7_15LoadWithoutCastENS7_16StoreWithoutCastELi4ELi1EEEEEvT0_T1_.has_indirect_call)
	.section	.AMDGPU.csdata,"",@progbits
; Kernel info:
; codeLenInByte = 172
; TotalNumSgprs: 37
; NumVgprs: 32
; ScratchSize: 0
; MemoryBound: 0
; FloatMode: 240
; IeeeMode: 1
; LDSByteSize: 0 bytes/workgroup (compile time only)
; SGPRBlocks: 4
; VGPRBlocks: 7
; NumSGPRsForWavesPerEU: 37
; NumVGPRsForWavesPerEU: 32
; Occupancy: 8
; WaveLimiterHint : 0
; COMPUTE_PGM_RSRC2:SCRATCH_EN: 0
; COMPUTE_PGM_RSRC2:USER_SGPR: 6
; COMPUTE_PGM_RSRC2:TRAP_HANDLER: 0
; COMPUTE_PGM_RSRC2:TGID_X_EN: 1
; COMPUTE_PGM_RSRC2:TGID_Y_EN: 0
; COMPUTE_PGM_RSRC2:TGID_Z_EN: 0
; COMPUTE_PGM_RSRC2:TIDIG_COMP_CNT: 0
	.section	.text._ZN2at6native29vectorized_elementwise_kernelILi2EZZZNS0_18lgamma_kernel_cudaERNS_18TensorIteratorBaseEENKUlvE_clEvENKUlvE0_clEvEUlfE_St5arrayIPcLm2EEEEviT0_T1_,"axG",@progbits,_ZN2at6native29vectorized_elementwise_kernelILi2EZZZNS0_18lgamma_kernel_cudaERNS_18TensorIteratorBaseEENKUlvE_clEvENKUlvE0_clEvEUlfE_St5arrayIPcLm2EEEEviT0_T1_,comdat
	.globl	_ZN2at6native29vectorized_elementwise_kernelILi2EZZZNS0_18lgamma_kernel_cudaERNS_18TensorIteratorBaseEENKUlvE_clEvENKUlvE0_clEvEUlfE_St5arrayIPcLm2EEEEviT0_T1_ ; -- Begin function _ZN2at6native29vectorized_elementwise_kernelILi2EZZZNS0_18lgamma_kernel_cudaERNS_18TensorIteratorBaseEENKUlvE_clEvENKUlvE0_clEvEUlfE_St5arrayIPcLm2EEEEviT0_T1_
	.p2align	8
	.type	_ZN2at6native29vectorized_elementwise_kernelILi2EZZZNS0_18lgamma_kernel_cudaERNS_18TensorIteratorBaseEENKUlvE_clEvENKUlvE0_clEvEUlfE_St5arrayIPcLm2EEEEviT0_T1_,@function
_ZN2at6native29vectorized_elementwise_kernelILi2EZZZNS0_18lgamma_kernel_cudaERNS_18TensorIteratorBaseEENKUlvE_clEvENKUlvE0_clEvEUlfE_St5arrayIPcLm2EEEEviT0_T1_: ; @_ZN2at6native29vectorized_elementwise_kernelILi2EZZZNS0_18lgamma_kernel_cudaERNS_18TensorIteratorBaseEENKUlvE_clEvENKUlvE0_clEvEUlfE_St5arrayIPcLm2EEEEviT0_T1_
; %bb.0:
	s_mov_b32 s12, s6
	s_load_dword s6, s[4:5], 0x0
	s_load_dwordx4 s[16:19], s[4:5], 0x8
	s_add_u32 s0, s0, s7
	s_addc_u32 s1, s1, 0
	s_lshl_b32 s4, s12, 10
	s_waitcnt lgkmcnt(0)
	s_sub_i32 s13, s6, s4
	s_cmpk_gt_i32 s13, 0x3ff
	s_mov_b64 s[6:7], -1
	s_mov_b32 s32, 0
	s_cbranch_scc1 .LBB140_3
; %bb.1:
	s_and_b64 vcc, exec, s[6:7]
	s_cbranch_vccnz .LBB140_156
.LBB140_2:
	s_endpgm
.LBB140_3:
	s_ashr_i32 s5, s4, 31
	s_lshl_b64 s[20:21], s[4:5], 2
	s_add_u32 s4, s18, s20
	s_addc_u32 s5, s19, s21
	v_lshlrev_b32_e32 v5, 3, v0
	global_load_dwordx2 v[3:4], v5, s[4:5]
	global_load_dwordx2 v[1:2], v5, s[4:5] offset:2048
	s_mov_b32 s4, 0x3c800000
                                        ; implicit-def: $vgpr6
	s_waitcnt vmcnt(1)
	v_and_b32_e32 v7, 0x7fffffff, v3
	v_cmp_nlt_f32_e64 s[4:5], |v3|, s4
	s_and_saveexec_b64 s[6:7], s[4:5]
	s_xor_b64 s[6:7], exec, s[6:7]
	s_cbranch_execz .LBB140_33
; %bb.4:
	v_cmp_nlt_f32_e64 s[4:5], |v3|, 2.0
                                        ; implicit-def: $vgpr6
	s_and_saveexec_b64 s[8:9], s[4:5]
	s_xor_b64 s[8:9], exec, s[8:9]
	s_cbranch_execz .LBB140_14
; %bb.5:
	s_mov_b32 s4, 0x41000000
	v_cmp_nlt_f32_e64 s[4:5], |v3|, s4
                                        ; implicit-def: $vgpr6
	s_and_saveexec_b64 s[10:11], s[4:5]
	s_xor_b64 s[10:11], exec, s[10:11]
	s_cbranch_execz .LBB140_11
; %bb.6:
	s_mov_b32 s4, 0x5c800000
	v_cmp_nlt_f32_e64 s[4:5], |v3|, s4
                                        ; implicit-def: $vgpr6
	s_and_saveexec_b64 s[14:15], s[4:5]
	s_xor_b64 s[14:15], exec, s[14:15]
	s_cbranch_execz .LBB140_8
; %bb.7:
	s_mov_b32 s4, 0x800000
	v_cmp_lt_f32_e64 vcc, |v3|, s4
	v_cndmask_b32_e64 v6, 0, 32, vcc
	v_ldexp_f32 v6, |v3|, v6
	v_log_f32_e32 v6, v6
	s_mov_b32 s4, 0x3f317217
	s_mov_b32 s5, 0x7f800000
	v_mul_f32_e32 v8, 0x3f317217, v6
	v_fma_f32 v9, v6, s4, -v8
	v_fmac_f32_e32 v9, 0x3377d1cf, v6
	v_add_f32_e32 v8, v8, v9
	v_cmp_lt_f32_e64 s[4:5], |v6|, s5
	v_cndmask_b32_e64 v6, v6, v8, s[4:5]
	v_mov_b32_e32 v8, 0x41b17218
	v_cndmask_b32_e32 v8, 0, v8, vcc
	v_sub_f32_e32 v6, v6, v8
	v_fma_f32 v6, |v3|, v6, -|v3|
.LBB140_8:
	s_andn2_saveexec_b64 s[14:15], s[14:15]
	s_cbranch_execz .LBB140_10
; %bb.9:
	v_rcp_f32_e64 v8, |v3|
	v_mov_b32_e32 v6, 0x3a5b3dd2
	v_mov_b32_e32 v9, 0xba1c065c
	;; [unrolled: 1-line block ×3, first 2 shown]
	v_mul_f32_e32 v11, v8, v8
	v_fmac_f32_e32 v6, 0xbad5c4e8, v11
	v_fmac_f32_e32 v9, v11, v6
	s_mov_b32 s4, 0x800000
	v_fmac_f32_e32 v10, v11, v9
	v_mov_b32_e32 v6, 0xbb360b61
	v_cmp_lt_f32_e64 vcc, |v3|, s4
	v_fmac_f32_e32 v6, v11, v10
	v_cndmask_b32_e64 v10, 0, 32, vcc
	v_ldexp_f32 v10, |v3|, v10
	v_log_f32_e32 v10, v10
	v_mov_b32_e32 v9, 0x3daaaaab
	v_fmac_f32_e32 v9, v11, v6
	v_mov_b32_e32 v6, 0x3ed67f1d
	v_fmac_f32_e32 v6, v8, v9
	s_mov_b32 s4, 0x3f317217
	v_mul_f32_e32 v9, 0x3f317217, v10
	v_fma_f32 v11, v10, s4, -v9
	v_fmac_f32_e32 v11, 0x3377d1cf, v10
	s_mov_b32 s4, 0x7f800000
	v_add_f32_e32 v9, v9, v11
	v_cmp_lt_f32_e64 s[4:5], |v10|, s4
	v_cndmask_b32_e64 v9, v10, v9, s[4:5]
	v_mov_b32_e32 v10, 0x41b17218
	v_cndmask_b32_e32 v10, 0, v10, vcc
	v_sub_f32_e32 v9, v9, v10
	v_add_f32_e64 v8, |v3|, -0.5
	v_add_f32_e32 v9, -1.0, v9
	v_fmac_f32_e32 v6, v8, v9
.LBB140_10:
	s_or_b64 exec, exec, s[14:15]
.LBB140_11:
	s_andn2_saveexec_b64 s[10:11], s[10:11]
	s_cbranch_execz .LBB140_13
; %bb.12:
	v_cvt_i32_f32_e32 v6, v7
	v_mov_b32_e32 v8, 0x3af135b4
	v_mov_b32_e32 v9, 0x3cda40e4
	;; [unrolled: 1-line block ×3, first 2 shown]
	v_cvt_f32_i32_e32 v11, v6
	v_mov_b32_e32 v12, 0x3ea6cc7a
	v_mov_b32_e32 v13, 0x3e5c245a
	v_cmp_lt_i32_e32 vcc, 2, v6
	v_sub_f32_e64 v11, |v3|, v11
	v_fmac_f32_e32 v8, 0x3805ff67, v11
	v_fmac_f32_e32 v9, v11, v8
	;; [unrolled: 1-line block ×3, first 2 shown]
	v_mov_b32_e32 v9, 0x3a4beed6
	v_fmac_f32_e32 v12, v11, v10
	v_fmac_f32_e32 v9, 0x36f5d7bd, v11
	v_mov_b32_e32 v10, 0x3c98bf54
	v_fmac_f32_e32 v10, v11, v9
	v_mov_b32_e32 v9, 0x3e300f6e
	;; [unrolled: 2-line block ×4, first 2 shown]
	v_fmac_f32_e32 v9, v11, v10
	v_add_f32_e32 v10, 2.0, v11
	v_mov_b32_e32 v14, 0xbd9e233f
	v_fmac_f32_e32 v13, v11, v12
	v_add_f32_e32 v12, 0x40400000, v11
	v_cndmask_b32_e32 v10, 1.0, v10, vcc
	v_cmp_lt_i32_e32 vcc, 3, v6
	v_fmac_f32_e32 v14, v11, v13
	v_add_f32_e32 v13, 4.0, v11
	v_cndmask_b32_e32 v12, 1.0, v12, vcc
	v_cmp_lt_i32_e32 vcc, 4, v6
	v_mul_f32_e32 v8, v11, v14
	v_add_f32_e32 v14, 0x40a00000, v11
	v_mul_f32_e32 v10, v10, v12
	v_cndmask_b32_e32 v12, 1.0, v13, vcc
	v_cmp_lt_i32_e32 vcc, 5, v6
	v_add_f32_e32 v15, 0x40c00000, v11
	v_mul_f32_e32 v10, v12, v10
	v_cndmask_b32_e32 v12, 1.0, v14, vcc
	v_cmp_lt_i32_e32 vcc, 6, v6
	v_mul_f32_e32 v10, v12, v10
	v_cndmask_b32_e32 v6, 1.0, v15, vcc
	v_mul_f32_e32 v6, v6, v10
	s_mov_b32 s4, 0x800000
	v_cmp_gt_f32_e32 vcc, s4, v6
	v_cndmask_b32_e64 v10, 0, 32, vcc
	v_fma_f32 v9, v11, v9, 1.0
	v_ldexp_f32 v6, v6, v10
	v_rcp_f32_e32 v9, v9
	v_log_f32_e32 v6, v6
	s_mov_b32 s4, 0x3f317217
	v_mul_f32_e32 v8, v8, v9
	v_mul_f32_e32 v9, 0x3f317217, v6
	v_fma_f32 v10, v6, s4, -v9
	v_fmac_f32_e32 v10, 0x3377d1cf, v6
	s_mov_b32 s4, 0x7f800000
	v_add_f32_e32 v9, v9, v10
	v_cmp_lt_f32_e64 s[4:5], |v6|, s4
	v_cndmask_b32_e64 v6, v6, v9, s[4:5]
	v_mov_b32_e32 v9, 0x41b17218
	v_cndmask_b32_e32 v9, 0, v9, vcc
	v_fmac_f32_e32 v8, 0.5, v11
	v_sub_f32_e32 v6, v6, v9
	v_add_f32_e32 v6, v6, v8
.LBB140_13:
	s_or_b64 exec, exec, s[10:11]
.LBB140_14:
	s_andn2_saveexec_b64 s[8:9], s[8:9]
	s_cbranch_execz .LBB140_32
; %bb.15:
	s_mov_b32 s4, 0x3f666666
	v_cmp_le_f32_e64 s[4:5], |v3|, s4
                                        ; implicit-def: $vgpr6
                                        ; implicit-def: $vgpr9
                                        ; implicit-def: $vgpr8
	s_and_saveexec_b64 s[10:11], s[4:5]
	s_xor_b64 s[10:11], exec, s[10:11]
	s_cbranch_execz .LBB140_17
; %bb.16:
	s_mov_b32 s4, 0x800000
	v_cmp_lt_f32_e64 vcc, |v3|, s4
	v_cndmask_b32_e64 v6, 0, 32, vcc
	v_ldexp_f32 v6, |v3|, v6
	v_log_f32_e32 v6, v6
	s_mov_b32 s4, 0x3f317217
	s_mov_b32 s5, 0x7f800000
	v_mul_f32_e32 v8, 0x3f317217, v6
	v_fma_f32 v9, v6, s4, -v8
	v_fmac_f32_e32 v9, 0x3377d1cf, v6
	v_add_f32_e32 v8, v8, v9
	v_cmp_lt_f32_e64 s[4:5], |v6|, s5
	v_cndmask_b32_e64 v6, v6, v8, s[4:5]
	v_mov_b32_e32 v8, 0x41b17218
	v_cndmask_b32_e32 v8, 0, v8, vcc
	s_mov_b32 s4, 0x3f3b4a23
	s_mov_b32 s5, 0xbeec5b0c
	v_sub_f32_e32 v6, v6, v8
	v_sub_f32_e64 v8, 1.0, |v3|
	v_add_f32_e64 v9, |v3|, s5
	v_cmp_lt_f32_e64 vcc, |v3|, s4
	s_mov_b32 s4, 0x3e6d3309
	v_cndmask_b32_e32 v8, v8, v9, vcc
	v_cndmask_b32_e64 v9, 0, 1, vcc
	v_cmp_lt_f32_e64 s[4:5], |v3|, s4
	v_xor_b32_e32 v6, 0x80000000, v6
	v_cndmask_b32_e64 v8, v8, |v3|, s[4:5]
	v_cndmask_b32_e64 v9, v9, 2, s[4:5]
.LBB140_17:
	s_andn2_saveexec_b64 s[4:5], s[10:11]
	s_cbranch_execz .LBB140_19
; %bb.18:
	s_mov_b32 s10, 0x3fdda512
	s_mov_b32 s11, 0xbfbb16c3
	v_sub_f32_e64 v6, 2.0, |v3|
	v_add_f32_e64 v8, |v3|, s11
	v_cmp_lt_f32_e64 vcc, |v3|, s10
	v_cndmask_b32_e32 v8, v6, v8, vcc
	v_cndmask_b32_e64 v6, v6, 1.0, vcc
	v_cvt_i32_f32_e32 v6, v6
	s_mov_b32 s10, 0x3f9d70a4
	v_add_f32_e64 v9, |v3|, -1.0
	v_cmp_lt_f32_e64 vcc, |v3|, s10
	v_cndmask_b32_e32 v8, v8, v9, vcc
	v_cndmask_b32_e64 v9, v6, 2, vcc
	v_mov_b32_e32 v6, 0
.LBB140_19:
	s_or_b64 exec, exec, s[4:5]
	v_cmp_lt_i32_e32 vcc, 0, v9
	s_and_saveexec_b64 s[4:5], vcc
	s_xor_b64 s[4:5], exec, s[4:5]
	s_cbranch_execz .LBB140_27
; %bb.20:
	v_cmp_lt_i32_e32 vcc, 1, v9
	s_and_saveexec_b64 s[10:11], vcc
	s_xor_b64 s[10:11], exec, s[10:11]
	s_cbranch_execz .LBB140_24
; %bb.21:
	v_cmp_eq_u32_e32 vcc, 2, v9
	s_and_saveexec_b64 s[14:15], vcc
	s_cbranch_execz .LBB140_23
; %bb.22:
	v_mov_b32_e32 v9, 0x3e6a7578
	v_fmac_f32_e32 v9, 0x3c5b3c5e, v8
	v_mov_b32_e32 v10, 0x3f7a4bb2
	v_fmac_f32_e32 v10, v8, v9
	;; [unrolled: 2-line block ×8, first 2 shown]
	v_fma_f32 v9, v8, v11, 1.0
	v_rcp_f32_e32 v9, v9
	v_mov_b32_e32 v11, 0xbd9e233f
	v_fmac_f32_e32 v11, v8, v10
	v_mul_f32_e32 v10, v8, v11
	v_mul_f32_e32 v9, v10, v9
	v_fmac_f32_e32 v9, -0.5, v8
	v_add_f32_e32 v6, v6, v9
.LBB140_23:
	s_or_b64 exec, exec, s[14:15]
                                        ; implicit-def: $vgpr8
.LBB140_24:
	s_andn2_saveexec_b64 s[10:11], s[10:11]
	s_cbranch_execz .LBB140_26
; %bb.25:
	v_mul_f32_e32 v9, v8, v8
	v_mul_f32_e32 v10, v8, v9
	v_mov_b32_e32 v11, 0xbab7f476
	v_fmac_f32_e32 v11, 0x39a57b6b, v10
	v_mov_b32_e32 v12, 0x3bc7e707
	v_fmac_f32_e32 v12, v10, v11
	;; [unrolled: 2-line block ×12, first 2 shown]
	v_fmac_f32_e32 v13, v8, v14
	s_mov_b32 s14, 0xa2863e55
	v_fma_f32 v8, v10, -v13, s14
	v_fma_f32 v8, v9, v12, -v8
	v_add_f32_e32 v8, 0xbdf8cdce, v8
	v_add_f32_e32 v6, v6, v8
.LBB140_26:
	s_or_b64 exec, exec, s[10:11]
                                        ; implicit-def: $vgpr9
                                        ; implicit-def: $vgpr8
.LBB140_27:
	s_andn2_saveexec_b64 s[4:5], s[4:5]
	s_cbranch_execz .LBB140_31
; %bb.28:
	v_cmp_eq_u32_e32 vcc, 0, v9
	s_and_saveexec_b64 s[10:11], vcc
	s_cbranch_execz .LBB140_30
; %bb.29:
	v_mul_f32_e32 v9, v8, v8
	v_mov_b32_e32 v10, 0x39679767
	v_fmac_f32_e32 v10, 0x37d383a2, v9
	v_mov_b32_e32 v11, 0x3a9c54a1
	v_fmac_f32_e32 v11, v9, v10
	;; [unrolled: 2-line block ×10, first 2 shown]
	v_mul_f32_e32 v9, v9, v11
	v_fmac_f32_e32 v9, v8, v10
	v_fmac_f32_e32 v9, -0.5, v8
	v_add_f32_e32 v6, v6, v9
.LBB140_30:
	s_or_b64 exec, exec, s[10:11]
.LBB140_31:
	s_or_b64 exec, exec, s[4:5]
.LBB140_32:
	s_or_b64 exec, exec, s[8:9]
.LBB140_33:
	s_andn2_saveexec_b64 s[6:7], s[6:7]
	s_cbranch_execz .LBB140_35
; %bb.34:
	s_mov_b32 s4, 0x3e8a8991
	v_mov_b32_e32 v6, 0xbecd26ab
	v_fma_f32 v6, |v3|, s4, v6
	s_mov_b32 s4, 0x3f528d33
	v_fma_f32 v6, |v3|, v6, s4
	s_mov_b32 s4, 0x800000
	v_cmp_lt_f32_e64 vcc, |v3|, s4
	v_cndmask_b32_e64 v8, 0, 32, vcc
	v_ldexp_f32 v8, |v3|, v8
	v_log_f32_e32 v8, v8
	s_mov_b32 s4, 0xbf13c468
	v_fma_f32 v6, |v3|, v6, s4
	s_mov_b32 s4, 0x3f317217
	v_mul_f32_e32 v9, 0x3f317217, v8
	v_fma_f32 v10, v8, s4, -v9
	v_fmac_f32_e32 v10, 0x3377d1cf, v8
	s_mov_b32 s4, 0x7f800000
	v_add_f32_e32 v9, v9, v10
	v_cmp_lt_f32_e64 s[4:5], |v8|, s4
	v_cndmask_b32_e64 v8, v8, v9, s[4:5]
	v_mov_b32_e32 v9, 0x41b17218
	v_cndmask_b32_e32 v9, 0, v9, vcc
	v_sub_f32_e32 v8, v8, v9
	v_fma_f32 v6, |v3|, v6, -v8
.LBB140_35:
	s_or_b64 exec, exec, s[6:7]
	v_cmp_le_f32_e32 vcc, 0, v3
	v_cmp_nle_f32_e64 s[4:5], 0, v3
	s_and_saveexec_b64 s[6:7], s[4:5]
	s_xor_b64 s[8:9], exec, s[6:7]
	s_cbranch_execz .LBB140_39
; %bb.36:
	s_mov_b32 s4, 0x4b000000
	s_mov_b32 s6, 0x35000000
	v_cmp_lt_f32_e64 s[4:5], |v3|, s4
	v_cmp_gt_f32_e64 s[6:7], |v3|, s6
	s_and_b64 s[4:5], s[4:5], s[6:7]
	s_and_saveexec_b64 s[10:11], s[4:5]
	s_cbranch_execz .LBB140_38
; %bb.37:
	v_mul_f32_e64 v8, |v3|, 0.5
	v_floor_f32_e32 v9, v8
	v_sub_f32_e32 v9, v8, v9
	v_min_f32_e32 v9, 0x3f7fffff, v9
	s_mov_b32 s6, 0x7f800000
	v_add_f32_e32 v9, v9, v9
	v_cmp_neq_f32_e64 s[4:5], s6, v8
	v_cndmask_b32_e64 v8, 0, v9, s[4:5]
	v_cmp_gt_f32_e64 s[4:5], |v3|, 1.0
	v_cndmask_b32_e64 v8, |v3|, v8, s[4:5]
	v_add_f32_e32 v9, v8, v8
	v_rndne_f32_e32 v9, v9
	v_fmac_f32_e32 v8, -0.5, v9
	v_mul_f32_e32 v10, v8, v8
	v_mov_b32_e32 v11, 0xbf1f24be
	v_fmac_f32_e32 v11, 0x3e75aa41, v10
	v_mov_b32_e32 v12, 0x40234736
	v_fmac_f32_e32 v12, v10, v11
	;; [unrolled: 2-line block ×3, first 2 shown]
	v_mul_f32_e32 v12, v8, v10
	v_mul_f32_e32 v11, v12, v11
	v_fmac_f32_e32 v11, 0x40490fdb, v8
	v_mov_b32_e32 v8, 0x3e642e9d
	v_cvt_i32_f32_e32 v9, v9
	v_fmac_f32_e32 v8, 0x3d4be544, v10
	v_mov_b32_e32 v12, 0xbfaad1da
	v_fmac_f32_e32 v12, v10, v8
	v_mov_b32_e32 v8, 0x4081e0d3
	;; [unrolled: 2-line block ×3, first 2 shown]
	v_fmac_f32_e32 v12, v10, v8
	v_fma_f32 v8, v10, v12, 1.0
	v_and_b32_e32 v10, 1, v9
	v_lshlrev_b32_e32 v9, 30, v9
	v_cmp_eq_u32_e64 s[4:5], 0, v10
	v_and_b32_e32 v9, 0x80000000, v9
	v_xor_b32_e32 v7, v7, v3
	v_cndmask_b32_e64 v8, v8, v11, s[4:5]
	v_xor_b32_e32 v7, v7, v9
	v_xor_b32_e32 v7, v7, v8
	v_mul_f32_e32 v7, v3, v7
	v_frexp_mant_f32_e64 v8, |v7|
	v_rcp_f32_e32 v8, v8
	v_frexp_exp_i32_f32_e32 v7, v7
	v_sub_u32_e32 v7, 2, v7
	s_mov_b32 s4, 0x800000
	v_mul_f32_e32 v8, 0x3f490fdb, v8
	v_ldexp_f32 v7, v8, v7
	v_cmp_gt_f32_e64 s[4:5], s4, v7
	v_cndmask_b32_e64 v8, 0, 32, s[4:5]
	v_ldexp_f32 v7, v7, v8
	v_log_f32_e32 v7, v7
	s_mov_b32 s7, 0x3f317217
	v_mul_f32_e32 v8, 0x3f317217, v7
	v_fma_f32 v9, v7, s7, -v8
	v_fmac_f32_e32 v9, 0x3377d1cf, v7
	v_add_f32_e32 v8, v8, v9
	v_cmp_lt_f32_e64 s[6:7], |v7|, s6
	v_cndmask_b32_e64 v7, v7, v8, s[6:7]
	v_mov_b32_e32 v8, 0x41b17218
	v_cndmask_b32_e64 v8, 0, v8, s[4:5]
	v_sub_f32_e32 v7, v7, v8
	v_sub_f32_e32 v6, v7, v6
	v_floor_f32_e32 v7, v3
	v_sub_f32_e32 v7, v3, v7
	v_min_f32_e32 v7, 0x3f7fffff, v7
	v_mov_b32_e32 v8, 0x7f800000
	v_cmp_neq_f32_e64 s[4:5], 0, v7
	v_cndmask_b32_e64 v6, v8, v6, s[4:5]
.LBB140_38:
	s_or_b64 exec, exec, s[10:11]
.LBB140_39:
	s_andn2_saveexec_b64 s[8:9], s[8:9]
; %bb.40:
	v_cmp_eq_f32_e64 s[4:5], 1.0, v3
	v_cmp_eq_f32_e64 s[6:7], 2.0, v3
	s_or_b64 s[4:5], s[4:5], s[6:7]
	v_cndmask_b32_e64 v6, v6, 0, s[4:5]
; %bb.41:
	s_or_b64 exec, exec, s[8:9]
	s_mov_b32 s4, 0x3c800000
	v_and_b32_e32 v8, 0x7fffffff, v4
	v_cmp_nlt_f32_e64 s[4:5], |v4|, s4
                                        ; implicit-def: $vgpr7
	s_and_saveexec_b64 s[6:7], s[4:5]
	s_xor_b64 s[8:9], exec, s[6:7]
	s_cbranch_execz .LBB140_71
; %bb.42:
	v_cmp_nlt_f32_e64 s[4:5], |v4|, 2.0
                                        ; implicit-def: $vgpr7
	s_and_saveexec_b64 s[6:7], s[4:5]
	s_xor_b64 s[10:11], exec, s[6:7]
	s_cbranch_execz .LBB140_52
; %bb.43:
	s_mov_b32 s4, 0x41000000
	v_cmp_nlt_f32_e64 s[4:5], |v4|, s4
                                        ; implicit-def: $vgpr7
	s_and_saveexec_b64 s[6:7], s[4:5]
	s_xor_b64 s[14:15], exec, s[6:7]
	s_cbranch_execz .LBB140_49
; %bb.44:
	s_mov_b32 s4, 0x5c800000
	v_cmp_nlt_f32_e64 s[4:5], |v4|, s4
                                        ; implicit-def: $vgpr7
	s_and_saveexec_b64 s[6:7], s[4:5]
	s_xor_b64 s[22:23], exec, s[6:7]
	s_cbranch_execz .LBB140_46
; %bb.45:
	s_mov_b32 s4, 0x800000
	v_cmp_lt_f32_e64 s[4:5], |v4|, s4
	v_cndmask_b32_e64 v7, 0, 32, s[4:5]
	v_ldexp_f32 v7, |v4|, v7
	v_log_f32_e32 v7, v7
	s_mov_b32 s6, 0x3f317217
	s_mov_b32 s7, 0x7f800000
	v_mul_f32_e32 v9, 0x3f317217, v7
	v_fma_f32 v10, v7, s6, -v9
	v_fmac_f32_e32 v10, 0x3377d1cf, v7
	v_add_f32_e32 v9, v9, v10
	v_cmp_lt_f32_e64 s[6:7], |v7|, s7
	v_cndmask_b32_e64 v7, v7, v9, s[6:7]
	v_mov_b32_e32 v9, 0x41b17218
	v_cndmask_b32_e64 v9, 0, v9, s[4:5]
	v_sub_f32_e32 v7, v7, v9
	v_fma_f32 v7, |v4|, v7, -|v4|
.LBB140_46:
	s_andn2_saveexec_b64 s[22:23], s[22:23]
	s_cbranch_execz .LBB140_48
; %bb.47:
	v_rcp_f32_e64 v9, |v4|
	v_mov_b32_e32 v7, 0x3a5b3dd2
	v_mov_b32_e32 v10, 0xba1c065c
	;; [unrolled: 1-line block ×3, first 2 shown]
	v_mul_f32_e32 v12, v9, v9
	v_fmac_f32_e32 v7, 0xbad5c4e8, v12
	v_fmac_f32_e32 v10, v12, v7
	s_mov_b32 s4, 0x800000
	v_fmac_f32_e32 v11, v12, v10
	v_mov_b32_e32 v7, 0xbb360b61
	v_cmp_lt_f32_e64 s[4:5], |v4|, s4
	v_fmac_f32_e32 v7, v12, v11
	v_cndmask_b32_e64 v11, 0, 32, s[4:5]
	v_ldexp_f32 v11, |v4|, v11
	v_log_f32_e32 v11, v11
	v_mov_b32_e32 v10, 0x3daaaaab
	v_fmac_f32_e32 v10, v12, v7
	v_mov_b32_e32 v7, 0x3ed67f1d
	v_fmac_f32_e32 v7, v9, v10
	s_mov_b32 s6, 0x3f317217
	v_mul_f32_e32 v10, 0x3f317217, v11
	v_fma_f32 v12, v11, s6, -v10
	v_fmac_f32_e32 v12, 0x3377d1cf, v11
	s_mov_b32 s6, 0x7f800000
	v_add_f32_e32 v10, v10, v12
	v_cmp_lt_f32_e64 s[6:7], |v11|, s6
	v_cndmask_b32_e64 v10, v11, v10, s[6:7]
	v_mov_b32_e32 v11, 0x41b17218
	v_cndmask_b32_e64 v11, 0, v11, s[4:5]
	v_sub_f32_e32 v10, v10, v11
	v_add_f32_e64 v9, |v4|, -0.5
	v_add_f32_e32 v10, -1.0, v10
	v_fmac_f32_e32 v7, v9, v10
.LBB140_48:
	s_or_b64 exec, exec, s[22:23]
.LBB140_49:
	s_andn2_saveexec_b64 s[14:15], s[14:15]
	s_cbranch_execz .LBB140_51
; %bb.50:
	v_cvt_i32_f32_e32 v7, v8
	v_mov_b32_e32 v9, 0x3af135b4
	v_mov_b32_e32 v10, 0x3cda40e4
	;; [unrolled: 1-line block ×3, first 2 shown]
	v_cvt_f32_i32_e32 v12, v7
	v_mov_b32_e32 v13, 0x3ea6cc7a
	v_mov_b32_e32 v14, 0x3e5c245a
	v_cmp_lt_i32_e64 s[4:5], 2, v7
	v_sub_f32_e64 v12, |v4|, v12
	v_fmac_f32_e32 v9, 0x3805ff67, v12
	v_fmac_f32_e32 v10, v12, v9
	;; [unrolled: 1-line block ×3, first 2 shown]
	v_mov_b32_e32 v10, 0x3a4beed6
	v_fmac_f32_e32 v13, v12, v11
	v_fmac_f32_e32 v10, 0x36f5d7bd, v12
	v_mov_b32_e32 v11, 0x3c98bf54
	v_fmac_f32_e32 v11, v12, v10
	v_mov_b32_e32 v10, 0x3e300f6e
	;; [unrolled: 2-line block ×4, first 2 shown]
	v_fmac_f32_e32 v10, v12, v11
	v_add_f32_e32 v11, 2.0, v12
	v_mov_b32_e32 v15, 0xbd9e233f
	v_fmac_f32_e32 v14, v12, v13
	v_add_f32_e32 v13, 0x40400000, v12
	v_cndmask_b32_e64 v11, 1.0, v11, s[4:5]
	v_cmp_lt_i32_e64 s[4:5], 3, v7
	v_fmac_f32_e32 v15, v12, v14
	v_add_f32_e32 v14, 4.0, v12
	v_cndmask_b32_e64 v13, 1.0, v13, s[4:5]
	v_cmp_lt_i32_e64 s[4:5], 4, v7
	v_mul_f32_e32 v9, v12, v15
	v_add_f32_e32 v15, 0x40a00000, v12
	v_mul_f32_e32 v11, v11, v13
	v_cndmask_b32_e64 v13, 1.0, v14, s[4:5]
	v_cmp_lt_i32_e64 s[4:5], 5, v7
	v_add_f32_e32 v16, 0x40c00000, v12
	v_mul_f32_e32 v11, v13, v11
	v_cndmask_b32_e64 v13, 1.0, v15, s[4:5]
	v_cmp_lt_i32_e64 s[4:5], 6, v7
	v_mul_f32_e32 v11, v13, v11
	v_cndmask_b32_e64 v7, 1.0, v16, s[4:5]
	v_mul_f32_e32 v7, v7, v11
	s_mov_b32 s4, 0x800000
	v_cmp_gt_f32_e64 s[4:5], s4, v7
	v_cndmask_b32_e64 v11, 0, 32, s[4:5]
	v_fma_f32 v10, v12, v10, 1.0
	v_ldexp_f32 v7, v7, v11
	v_rcp_f32_e32 v10, v10
	v_log_f32_e32 v7, v7
	s_mov_b32 s6, 0x3f317217
	v_mul_f32_e32 v9, v9, v10
	v_mul_f32_e32 v10, 0x3f317217, v7
	v_fma_f32 v11, v7, s6, -v10
	v_fmac_f32_e32 v11, 0x3377d1cf, v7
	s_mov_b32 s6, 0x7f800000
	v_add_f32_e32 v10, v10, v11
	v_cmp_lt_f32_e64 s[6:7], |v7|, s6
	v_cndmask_b32_e64 v7, v7, v10, s[6:7]
	v_mov_b32_e32 v10, 0x41b17218
	v_cndmask_b32_e64 v10, 0, v10, s[4:5]
	v_fmac_f32_e32 v9, 0.5, v12
	v_sub_f32_e32 v7, v7, v10
	v_add_f32_e32 v7, v7, v9
.LBB140_51:
	s_or_b64 exec, exec, s[14:15]
.LBB140_52:
	s_andn2_saveexec_b64 s[10:11], s[10:11]
	s_cbranch_execz .LBB140_70
; %bb.53:
	s_mov_b32 s4, 0x3f666666
	v_cmp_le_f32_e64 s[4:5], |v4|, s4
                                        ; implicit-def: $vgpr7
                                        ; implicit-def: $vgpr10
                                        ; implicit-def: $vgpr9
	s_and_saveexec_b64 s[6:7], s[4:5]
	s_xor_b64 s[14:15], exec, s[6:7]
	s_cbranch_execz .LBB140_55
; %bb.54:
	s_mov_b32 s4, 0x800000
	v_cmp_lt_f32_e64 s[4:5], |v4|, s4
	v_cndmask_b32_e64 v7, 0, 32, s[4:5]
	v_ldexp_f32 v7, |v4|, v7
	v_log_f32_e32 v7, v7
	s_mov_b32 s6, 0x3f317217
	s_mov_b32 s7, 0x7f800000
	v_mul_f32_e32 v9, 0x3f317217, v7
	v_fma_f32 v10, v7, s6, -v9
	v_fmac_f32_e32 v10, 0x3377d1cf, v7
	v_add_f32_e32 v9, v9, v10
	v_cmp_lt_f32_e64 s[6:7], |v7|, s7
	v_cndmask_b32_e64 v7, v7, v9, s[6:7]
	v_mov_b32_e32 v9, 0x41b17218
	v_cndmask_b32_e64 v9, 0, v9, s[4:5]
	s_mov_b32 s4, 0x3f3b4a23
	s_mov_b32 s5, 0xbeec5b0c
	v_sub_f32_e32 v7, v7, v9
	v_sub_f32_e64 v9, 1.0, |v4|
	v_add_f32_e64 v10, |v4|, s5
	v_cmp_lt_f32_e64 s[4:5], |v4|, s4
	v_cndmask_b32_e64 v9, v9, v10, s[4:5]
	v_cndmask_b32_e64 v10, 0, 1, s[4:5]
	s_mov_b32 s4, 0x3e6d3309
	v_cmp_lt_f32_e64 s[4:5], |v4|, s4
	v_xor_b32_e32 v7, 0x80000000, v7
	v_cndmask_b32_e64 v9, v9, |v4|, s[4:5]
	v_cndmask_b32_e64 v10, v10, 2, s[4:5]
.LBB140_55:
	s_andn2_saveexec_b64 s[6:7], s[14:15]
	s_cbranch_execz .LBB140_57
; %bb.56:
	s_mov_b32 s4, 0x3fdda512
	s_mov_b32 s5, 0xbfbb16c3
	v_sub_f32_e64 v7, 2.0, |v4|
	v_add_f32_e64 v9, |v4|, s5
	v_cmp_lt_f32_e64 s[4:5], |v4|, s4
	v_cndmask_b32_e64 v9, v7, v9, s[4:5]
	v_cndmask_b32_e64 v7, v7, 1.0, s[4:5]
	v_cvt_i32_f32_e32 v7, v7
	s_mov_b32 s4, 0x3f9d70a4
	v_add_f32_e64 v10, |v4|, -1.0
	v_cmp_lt_f32_e64 s[4:5], |v4|, s4
	v_cndmask_b32_e64 v9, v9, v10, s[4:5]
	v_cndmask_b32_e64 v10, v7, 2, s[4:5]
	v_mov_b32_e32 v7, 0
.LBB140_57:
	s_or_b64 exec, exec, s[6:7]
	v_cmp_lt_i32_e64 s[4:5], 0, v10
	s_and_saveexec_b64 s[6:7], s[4:5]
	s_xor_b64 s[6:7], exec, s[6:7]
	s_cbranch_execz .LBB140_65
; %bb.58:
	v_cmp_lt_i32_e64 s[4:5], 1, v10
	s_and_saveexec_b64 s[14:15], s[4:5]
	s_xor_b64 s[14:15], exec, s[14:15]
	s_cbranch_execz .LBB140_62
; %bb.59:
	v_cmp_eq_u32_e64 s[4:5], 2, v10
	s_and_saveexec_b64 s[22:23], s[4:5]
	s_cbranch_execz .LBB140_61
; %bb.60:
	v_mov_b32_e32 v10, 0x3e6a7578
	v_fmac_f32_e32 v10, 0x3c5b3c5e, v9
	v_mov_b32_e32 v11, 0x3f7a4bb2
	v_fmac_f32_e32 v11, v9, v10
	;; [unrolled: 2-line block ×8, first 2 shown]
	v_fma_f32 v10, v9, v12, 1.0
	v_rcp_f32_e32 v10, v10
	v_mov_b32_e32 v12, 0xbd9e233f
	v_fmac_f32_e32 v12, v9, v11
	v_mul_f32_e32 v11, v9, v12
	v_mul_f32_e32 v10, v11, v10
	v_fmac_f32_e32 v10, -0.5, v9
	v_add_f32_e32 v7, v7, v10
.LBB140_61:
	s_or_b64 exec, exec, s[22:23]
                                        ; implicit-def: $vgpr9
.LBB140_62:
	s_andn2_saveexec_b64 s[4:5], s[14:15]
	s_cbranch_execz .LBB140_64
; %bb.63:
	v_mul_f32_e32 v10, v9, v9
	v_mul_f32_e32 v11, v9, v10
	v_mov_b32_e32 v12, 0xbab7f476
	v_fmac_f32_e32 v12, 0x39a57b6b, v11
	v_mov_b32_e32 v13, 0x3bc7e707
	v_fmac_f32_e32 v13, v11, v12
	;; [unrolled: 2-line block ×12, first 2 shown]
	v_fmac_f32_e32 v14, v9, v15
	s_mov_b32 s14, 0xa2863e55
	v_fma_f32 v9, v11, -v14, s14
	v_fma_f32 v9, v10, v13, -v9
	v_add_f32_e32 v9, 0xbdf8cdce, v9
	v_add_f32_e32 v7, v7, v9
.LBB140_64:
	s_or_b64 exec, exec, s[4:5]
                                        ; implicit-def: $vgpr10
                                        ; implicit-def: $vgpr9
.LBB140_65:
	s_andn2_saveexec_b64 s[6:7], s[6:7]
	s_cbranch_execz .LBB140_69
; %bb.66:
	v_cmp_eq_u32_e64 s[4:5], 0, v10
	s_and_saveexec_b64 s[14:15], s[4:5]
	s_cbranch_execz .LBB140_68
; %bb.67:
	v_mul_f32_e32 v10, v9, v9
	v_mov_b32_e32 v11, 0x39679767
	v_fmac_f32_e32 v11, 0x37d383a2, v10
	v_mov_b32_e32 v12, 0x3a9c54a1
	v_fmac_f32_e32 v12, v10, v11
	;; [unrolled: 2-line block ×10, first 2 shown]
	v_mul_f32_e32 v10, v10, v12
	v_fmac_f32_e32 v10, v9, v11
	v_fmac_f32_e32 v10, -0.5, v9
	v_add_f32_e32 v7, v7, v10
.LBB140_68:
	s_or_b64 exec, exec, s[14:15]
.LBB140_69:
	s_or_b64 exec, exec, s[6:7]
.LBB140_70:
	s_or_b64 exec, exec, s[10:11]
.LBB140_71:
	s_andn2_saveexec_b64 s[8:9], s[8:9]
	s_cbranch_execz .LBB140_73
; %bb.72:
	s_mov_b32 s4, 0x3e8a8991
	v_mov_b32_e32 v7, 0xbecd26ab
	v_fma_f32 v7, |v4|, s4, v7
	s_mov_b32 s4, 0x3f528d33
	v_fma_f32 v7, |v4|, v7, s4
	s_mov_b32 s4, 0x800000
	v_cmp_lt_f32_e64 s[4:5], |v4|, s4
	v_cndmask_b32_e64 v9, 0, 32, s[4:5]
	v_ldexp_f32 v9, |v4|, v9
	v_log_f32_e32 v9, v9
	s_mov_b32 s6, 0xbf13c468
	v_fma_f32 v7, |v4|, v7, s6
	s_mov_b32 s6, 0x3f317217
	v_mul_f32_e32 v10, 0x3f317217, v9
	v_fma_f32 v11, v9, s6, -v10
	v_fmac_f32_e32 v11, 0x3377d1cf, v9
	s_mov_b32 s6, 0x7f800000
	v_add_f32_e32 v10, v10, v11
	v_cmp_lt_f32_e64 s[6:7], |v9|, s6
	v_cndmask_b32_e64 v9, v9, v10, s[6:7]
	v_mov_b32_e32 v10, 0x41b17218
	v_cndmask_b32_e64 v10, 0, v10, s[4:5]
	v_sub_f32_e32 v9, v9, v10
	v_fma_f32 v7, |v4|, v7, -v9
.LBB140_73:
	s_or_b64 exec, exec, s[8:9]
	v_cmp_le_f32_e64 s[4:5], 0, v4
	v_cmp_nle_f32_e64 s[6:7], 0, v4
	s_and_saveexec_b64 s[8:9], s[6:7]
	s_xor_b64 s[10:11], exec, s[8:9]
	s_cbranch_execz .LBB140_77
; %bb.74:
	s_mov_b32 s6, 0x4b000000
	s_mov_b32 s8, 0x35000000
	v_cmp_lt_f32_e64 s[6:7], |v4|, s6
	v_cmp_gt_f32_e64 s[8:9], |v4|, s8
	s_and_b64 s[6:7], s[6:7], s[8:9]
	s_and_saveexec_b64 s[14:15], s[6:7]
	s_cbranch_execz .LBB140_76
; %bb.75:
	v_mul_f32_e64 v9, |v4|, 0.5
	v_floor_f32_e32 v10, v9
	v_sub_f32_e32 v10, v9, v10
	v_min_f32_e32 v10, 0x3f7fffff, v10
	s_mov_b32 s8, 0x7f800000
	v_add_f32_e32 v10, v10, v10
	v_cmp_neq_f32_e64 s[6:7], s8, v9
	v_cndmask_b32_e64 v9, 0, v10, s[6:7]
	v_cmp_gt_f32_e64 s[6:7], |v4|, 1.0
	v_cndmask_b32_e64 v9, |v4|, v9, s[6:7]
	v_add_f32_e32 v10, v9, v9
	v_rndne_f32_e32 v10, v10
	v_fmac_f32_e32 v9, -0.5, v10
	v_mul_f32_e32 v11, v9, v9
	v_mov_b32_e32 v12, 0xbf1f24be
	v_fmac_f32_e32 v12, 0x3e75aa41, v11
	v_mov_b32_e32 v13, 0x40234736
	v_fmac_f32_e32 v13, v11, v12
	;; [unrolled: 2-line block ×3, first 2 shown]
	v_mul_f32_e32 v13, v9, v11
	v_mul_f32_e32 v12, v13, v12
	v_fmac_f32_e32 v12, 0x40490fdb, v9
	v_mov_b32_e32 v9, 0x3e642e9d
	v_cvt_i32_f32_e32 v10, v10
	v_fmac_f32_e32 v9, 0x3d4be544, v11
	v_mov_b32_e32 v13, 0xbfaad1da
	v_fmac_f32_e32 v13, v11, v9
	v_mov_b32_e32 v9, 0x4081e0d3
	;; [unrolled: 2-line block ×3, first 2 shown]
	v_fmac_f32_e32 v13, v11, v9
	v_fma_f32 v9, v11, v13, 1.0
	v_and_b32_e32 v11, 1, v10
	v_lshlrev_b32_e32 v10, 30, v10
	v_cmp_eq_u32_e64 s[6:7], 0, v11
	v_and_b32_e32 v10, 0x80000000, v10
	v_xor_b32_e32 v8, v8, v4
	v_cndmask_b32_e64 v9, v9, v12, s[6:7]
	v_xor_b32_e32 v8, v8, v10
	v_xor_b32_e32 v8, v8, v9
	v_mul_f32_e32 v8, v4, v8
	v_frexp_mant_f32_e64 v9, |v8|
	v_rcp_f32_e32 v9, v9
	v_frexp_exp_i32_f32_e32 v8, v8
	v_sub_u32_e32 v8, 2, v8
	s_mov_b32 s6, 0x800000
	v_mul_f32_e32 v9, 0x3f490fdb, v9
	v_ldexp_f32 v8, v9, v8
	v_cmp_gt_f32_e64 s[6:7], s6, v8
	v_cndmask_b32_e64 v9, 0, 32, s[6:7]
	v_ldexp_f32 v8, v8, v9
	v_log_f32_e32 v8, v8
	s_mov_b32 s9, 0x3f317217
	v_mul_f32_e32 v9, 0x3f317217, v8
	v_fma_f32 v10, v8, s9, -v9
	v_fmac_f32_e32 v10, 0x3377d1cf, v8
	v_add_f32_e32 v9, v9, v10
	v_cmp_lt_f32_e64 s[8:9], |v8|, s8
	v_cndmask_b32_e64 v8, v8, v9, s[8:9]
	v_mov_b32_e32 v9, 0x41b17218
	v_cndmask_b32_e64 v9, 0, v9, s[6:7]
	v_sub_f32_e32 v8, v8, v9
	v_sub_f32_e32 v7, v8, v7
	v_floor_f32_e32 v8, v4
	v_sub_f32_e32 v8, v4, v8
	v_min_f32_e32 v8, 0x3f7fffff, v8
	v_mov_b32_e32 v9, 0x7f800000
	v_cmp_neq_f32_e64 s[6:7], 0, v8
	v_cndmask_b32_e64 v7, v9, v7, s[6:7]
.LBB140_76:
	s_or_b64 exec, exec, s[14:15]
.LBB140_77:
	s_andn2_saveexec_b64 s[10:11], s[10:11]
; %bb.78:
	v_cmp_eq_f32_e64 s[6:7], 1.0, v4
	v_cmp_eq_f32_e64 s[8:9], 2.0, v4
	s_or_b64 s[6:7], s[6:7], s[8:9]
	v_cndmask_b32_e64 v7, v7, 0, s[6:7]
; %bb.79:
	s_or_b64 exec, exec, s[10:11]
	s_mov_b32 s6, 0x3c800000
	s_waitcnt vmcnt(0)
	v_and_b32_e32 v9, 0x7fffffff, v1
	v_cmp_nlt_f32_e64 s[6:7], |v1|, s6
                                        ; implicit-def: $vgpr8
	s_and_saveexec_b64 s[8:9], s[6:7]
	s_xor_b64 s[10:11], exec, s[8:9]
	s_cbranch_execz .LBB140_109
; %bb.80:
	v_cmp_nlt_f32_e64 s[6:7], |v1|, 2.0
                                        ; implicit-def: $vgpr8
	s_and_saveexec_b64 s[8:9], s[6:7]
	s_xor_b64 s[14:15], exec, s[8:9]
	s_cbranch_execz .LBB140_90
; %bb.81:
	s_mov_b32 s6, 0x41000000
	v_cmp_nlt_f32_e64 s[6:7], |v1|, s6
                                        ; implicit-def: $vgpr8
	s_and_saveexec_b64 s[8:9], s[6:7]
	s_xor_b64 s[22:23], exec, s[8:9]
	s_cbranch_execz .LBB140_87
; %bb.82:
	s_mov_b32 s6, 0x5c800000
	v_cmp_nlt_f32_e64 s[6:7], |v1|, s6
                                        ; implicit-def: $vgpr8
	s_and_saveexec_b64 s[8:9], s[6:7]
	s_xor_b64 s[24:25], exec, s[8:9]
	s_cbranch_execz .LBB140_84
; %bb.83:
	s_mov_b32 s6, 0x800000
	v_cmp_lt_f32_e64 s[6:7], |v1|, s6
	v_cndmask_b32_e64 v8, 0, 32, s[6:7]
	v_ldexp_f32 v8, |v1|, v8
	v_log_f32_e32 v8, v8
	s_mov_b32 s8, 0x3f317217
	s_mov_b32 s9, 0x7f800000
	v_mul_f32_e32 v10, 0x3f317217, v8
	v_fma_f32 v11, v8, s8, -v10
	v_fmac_f32_e32 v11, 0x3377d1cf, v8
	v_add_f32_e32 v10, v10, v11
	v_cmp_lt_f32_e64 s[8:9], |v8|, s9
	v_cndmask_b32_e64 v8, v8, v10, s[8:9]
	v_mov_b32_e32 v10, 0x41b17218
	v_cndmask_b32_e64 v10, 0, v10, s[6:7]
	v_sub_f32_e32 v8, v8, v10
	v_fma_f32 v8, |v1|, v8, -|v1|
.LBB140_84:
	s_andn2_saveexec_b64 s[24:25], s[24:25]
	s_cbranch_execz .LBB140_86
; %bb.85:
	v_rcp_f32_e64 v10, |v1|
	v_mov_b32_e32 v8, 0x3a5b3dd2
	v_mov_b32_e32 v11, 0xba1c065c
	;; [unrolled: 1-line block ×3, first 2 shown]
	v_mul_f32_e32 v13, v10, v10
	v_fmac_f32_e32 v8, 0xbad5c4e8, v13
	v_fmac_f32_e32 v11, v13, v8
	s_mov_b32 s6, 0x800000
	v_fmac_f32_e32 v12, v13, v11
	v_mov_b32_e32 v8, 0xbb360b61
	v_cmp_lt_f32_e64 s[6:7], |v1|, s6
	v_fmac_f32_e32 v8, v13, v12
	v_cndmask_b32_e64 v12, 0, 32, s[6:7]
	v_ldexp_f32 v12, |v1|, v12
	v_log_f32_e32 v12, v12
	v_mov_b32_e32 v11, 0x3daaaaab
	v_fmac_f32_e32 v11, v13, v8
	v_mov_b32_e32 v8, 0x3ed67f1d
	v_fmac_f32_e32 v8, v10, v11
	s_mov_b32 s8, 0x3f317217
	v_mul_f32_e32 v11, 0x3f317217, v12
	v_fma_f32 v13, v12, s8, -v11
	v_fmac_f32_e32 v13, 0x3377d1cf, v12
	s_mov_b32 s8, 0x7f800000
	v_add_f32_e32 v11, v11, v13
	v_cmp_lt_f32_e64 s[8:9], |v12|, s8
	v_cndmask_b32_e64 v11, v12, v11, s[8:9]
	v_mov_b32_e32 v12, 0x41b17218
	v_cndmask_b32_e64 v12, 0, v12, s[6:7]
	v_sub_f32_e32 v11, v11, v12
	v_add_f32_e64 v10, |v1|, -0.5
	v_add_f32_e32 v11, -1.0, v11
	v_fmac_f32_e32 v8, v10, v11
.LBB140_86:
	s_or_b64 exec, exec, s[24:25]
.LBB140_87:
	s_andn2_saveexec_b64 s[22:23], s[22:23]
	s_cbranch_execz .LBB140_89
; %bb.88:
	v_cvt_i32_f32_e32 v8, v9
	v_mov_b32_e32 v10, 0x3af135b4
	v_mov_b32_e32 v11, 0x3cda40e4
	;; [unrolled: 1-line block ×3, first 2 shown]
	v_cvt_f32_i32_e32 v13, v8
	v_mov_b32_e32 v14, 0x3ea6cc7a
	v_mov_b32_e32 v15, 0x3e5c245a
	v_cmp_lt_i32_e64 s[6:7], 2, v8
	v_sub_f32_e64 v13, |v1|, v13
	v_fmac_f32_e32 v10, 0x3805ff67, v13
	v_fmac_f32_e32 v11, v13, v10
	;; [unrolled: 1-line block ×3, first 2 shown]
	v_mov_b32_e32 v11, 0x3a4beed6
	v_fmac_f32_e32 v14, v13, v12
	v_fmac_f32_e32 v11, 0x36f5d7bd, v13
	v_mov_b32_e32 v12, 0x3c98bf54
	v_fmac_f32_e32 v12, v13, v11
	v_mov_b32_e32 v11, 0x3e300f6e
	;; [unrolled: 2-line block ×4, first 2 shown]
	v_fmac_f32_e32 v11, v13, v12
	v_add_f32_e32 v12, 2.0, v13
	v_mov_b32_e32 v16, 0xbd9e233f
	v_fmac_f32_e32 v15, v13, v14
	v_add_f32_e32 v14, 0x40400000, v13
	v_cndmask_b32_e64 v12, 1.0, v12, s[6:7]
	v_cmp_lt_i32_e64 s[6:7], 3, v8
	v_fmac_f32_e32 v16, v13, v15
	v_add_f32_e32 v15, 4.0, v13
	v_cndmask_b32_e64 v14, 1.0, v14, s[6:7]
	v_cmp_lt_i32_e64 s[6:7], 4, v8
	v_mul_f32_e32 v10, v13, v16
	v_add_f32_e32 v16, 0x40a00000, v13
	v_mul_f32_e32 v12, v12, v14
	v_cndmask_b32_e64 v14, 1.0, v15, s[6:7]
	v_cmp_lt_i32_e64 s[6:7], 5, v8
	v_add_f32_e32 v17, 0x40c00000, v13
	v_mul_f32_e32 v12, v14, v12
	v_cndmask_b32_e64 v14, 1.0, v16, s[6:7]
	v_cmp_lt_i32_e64 s[6:7], 6, v8
	v_mul_f32_e32 v12, v14, v12
	v_cndmask_b32_e64 v8, 1.0, v17, s[6:7]
	v_mul_f32_e32 v8, v8, v12
	s_mov_b32 s6, 0x800000
	v_cmp_gt_f32_e64 s[6:7], s6, v8
	v_cndmask_b32_e64 v12, 0, 32, s[6:7]
	v_fma_f32 v11, v13, v11, 1.0
	v_ldexp_f32 v8, v8, v12
	v_rcp_f32_e32 v11, v11
	v_log_f32_e32 v8, v8
	s_mov_b32 s8, 0x3f317217
	v_mul_f32_e32 v10, v10, v11
	v_mul_f32_e32 v11, 0x3f317217, v8
	v_fma_f32 v12, v8, s8, -v11
	v_fmac_f32_e32 v12, 0x3377d1cf, v8
	s_mov_b32 s8, 0x7f800000
	v_add_f32_e32 v11, v11, v12
	v_cmp_lt_f32_e64 s[8:9], |v8|, s8
	v_cndmask_b32_e64 v8, v8, v11, s[8:9]
	v_mov_b32_e32 v11, 0x41b17218
	v_cndmask_b32_e64 v11, 0, v11, s[6:7]
	v_fmac_f32_e32 v10, 0.5, v13
	v_sub_f32_e32 v8, v8, v11
	v_add_f32_e32 v8, v8, v10
.LBB140_89:
	s_or_b64 exec, exec, s[22:23]
.LBB140_90:
	s_andn2_saveexec_b64 s[14:15], s[14:15]
	s_cbranch_execz .LBB140_108
; %bb.91:
	s_mov_b32 s6, 0x3f666666
	v_cmp_le_f32_e64 s[6:7], |v1|, s6
                                        ; implicit-def: $vgpr8
                                        ; implicit-def: $vgpr11
                                        ; implicit-def: $vgpr10
	s_and_saveexec_b64 s[8:9], s[6:7]
	s_xor_b64 s[22:23], exec, s[8:9]
	s_cbranch_execz .LBB140_93
; %bb.92:
	s_mov_b32 s6, 0x800000
	v_cmp_lt_f32_e64 s[6:7], |v1|, s6
	v_cndmask_b32_e64 v8, 0, 32, s[6:7]
	v_ldexp_f32 v8, |v1|, v8
	v_log_f32_e32 v8, v8
	s_mov_b32 s8, 0x3f317217
	s_mov_b32 s9, 0x7f800000
	v_mul_f32_e32 v10, 0x3f317217, v8
	v_fma_f32 v11, v8, s8, -v10
	v_fmac_f32_e32 v11, 0x3377d1cf, v8
	v_add_f32_e32 v10, v10, v11
	v_cmp_lt_f32_e64 s[8:9], |v8|, s9
	v_cndmask_b32_e64 v8, v8, v10, s[8:9]
	v_mov_b32_e32 v10, 0x41b17218
	v_cndmask_b32_e64 v10, 0, v10, s[6:7]
	s_mov_b32 s6, 0x3f3b4a23
	s_mov_b32 s7, 0xbeec5b0c
	v_sub_f32_e32 v8, v8, v10
	v_sub_f32_e64 v10, 1.0, |v1|
	v_add_f32_e64 v11, |v1|, s7
	v_cmp_lt_f32_e64 s[6:7], |v1|, s6
	v_cndmask_b32_e64 v10, v10, v11, s[6:7]
	v_cndmask_b32_e64 v11, 0, 1, s[6:7]
	s_mov_b32 s6, 0x3e6d3309
	v_cmp_lt_f32_e64 s[6:7], |v1|, s6
	v_xor_b32_e32 v8, 0x80000000, v8
	v_cndmask_b32_e64 v10, v10, |v1|, s[6:7]
	v_cndmask_b32_e64 v11, v11, 2, s[6:7]
.LBB140_93:
	s_andn2_saveexec_b64 s[8:9], s[22:23]
	s_cbranch_execz .LBB140_95
; %bb.94:
	s_mov_b32 s6, 0x3fdda512
	s_mov_b32 s7, 0xbfbb16c3
	v_sub_f32_e64 v8, 2.0, |v1|
	v_add_f32_e64 v10, |v1|, s7
	v_cmp_lt_f32_e64 s[6:7], |v1|, s6
	v_cndmask_b32_e64 v10, v8, v10, s[6:7]
	v_cndmask_b32_e64 v8, v8, 1.0, s[6:7]
	v_cvt_i32_f32_e32 v8, v8
	s_mov_b32 s6, 0x3f9d70a4
	v_add_f32_e64 v11, |v1|, -1.0
	v_cmp_lt_f32_e64 s[6:7], |v1|, s6
	v_cndmask_b32_e64 v10, v10, v11, s[6:7]
	v_cndmask_b32_e64 v11, v8, 2, s[6:7]
	v_mov_b32_e32 v8, 0
.LBB140_95:
	s_or_b64 exec, exec, s[8:9]
	v_cmp_lt_i32_e64 s[6:7], 0, v11
	s_and_saveexec_b64 s[8:9], s[6:7]
	s_xor_b64 s[8:9], exec, s[8:9]
	s_cbranch_execz .LBB140_103
; %bb.96:
	v_cmp_lt_i32_e64 s[6:7], 1, v11
	s_and_saveexec_b64 s[22:23], s[6:7]
	s_xor_b64 s[22:23], exec, s[22:23]
	s_cbranch_execz .LBB140_100
; %bb.97:
	v_cmp_eq_u32_e64 s[6:7], 2, v11
	s_and_saveexec_b64 s[24:25], s[6:7]
	s_cbranch_execz .LBB140_99
; %bb.98:
	v_mov_b32_e32 v11, 0x3e6a7578
	v_fmac_f32_e32 v11, 0x3c5b3c5e, v10
	v_mov_b32_e32 v12, 0x3f7a4bb2
	v_fmac_f32_e32 v12, v10, v11
	;; [unrolled: 2-line block ×8, first 2 shown]
	v_fma_f32 v11, v10, v13, 1.0
	v_rcp_f32_e32 v11, v11
	v_mov_b32_e32 v13, 0xbd9e233f
	v_fmac_f32_e32 v13, v10, v12
	v_mul_f32_e32 v12, v10, v13
	v_mul_f32_e32 v11, v12, v11
	v_fmac_f32_e32 v11, -0.5, v10
	v_add_f32_e32 v8, v8, v11
.LBB140_99:
	s_or_b64 exec, exec, s[24:25]
                                        ; implicit-def: $vgpr10
.LBB140_100:
	s_andn2_saveexec_b64 s[6:7], s[22:23]
	s_cbranch_execz .LBB140_102
; %bb.101:
	v_mul_f32_e32 v11, v10, v10
	v_mul_f32_e32 v12, v10, v11
	v_mov_b32_e32 v13, 0xbab7f476
	v_fmac_f32_e32 v13, 0x39a57b6b, v12
	v_mov_b32_e32 v14, 0x3bc7e707
	v_fmac_f32_e32 v14, v12, v13
	;; [unrolled: 2-line block ×12, first 2 shown]
	v_fmac_f32_e32 v15, v10, v16
	s_mov_b32 s22, 0xa2863e55
	v_fma_f32 v10, v12, -v15, s22
	v_fma_f32 v10, v11, v14, -v10
	v_add_f32_e32 v10, 0xbdf8cdce, v10
	v_add_f32_e32 v8, v8, v10
.LBB140_102:
	s_or_b64 exec, exec, s[6:7]
                                        ; implicit-def: $vgpr11
                                        ; implicit-def: $vgpr10
.LBB140_103:
	s_andn2_saveexec_b64 s[8:9], s[8:9]
	s_cbranch_execz .LBB140_107
; %bb.104:
	v_cmp_eq_u32_e64 s[6:7], 0, v11
	s_and_saveexec_b64 s[22:23], s[6:7]
	s_cbranch_execz .LBB140_106
; %bb.105:
	v_mul_f32_e32 v11, v10, v10
	v_mov_b32_e32 v12, 0x39679767
	v_fmac_f32_e32 v12, 0x37d383a2, v11
	v_mov_b32_e32 v13, 0x3a9c54a1
	v_fmac_f32_e32 v13, v11, v12
	;; [unrolled: 2-line block ×10, first 2 shown]
	v_mul_f32_e32 v11, v11, v13
	v_fmac_f32_e32 v11, v10, v12
	v_fmac_f32_e32 v11, -0.5, v10
	v_add_f32_e32 v8, v8, v11
.LBB140_106:
	s_or_b64 exec, exec, s[22:23]
.LBB140_107:
	s_or_b64 exec, exec, s[8:9]
.LBB140_108:
	s_or_b64 exec, exec, s[14:15]
.LBB140_109:
	s_andn2_saveexec_b64 s[10:11], s[10:11]
	s_cbranch_execz .LBB140_111
; %bb.110:
	s_mov_b32 s6, 0x3e8a8991
	v_mov_b32_e32 v8, 0xbecd26ab
	v_fma_f32 v8, |v1|, s6, v8
	s_mov_b32 s6, 0x3f528d33
	v_fma_f32 v8, |v1|, v8, s6
	s_mov_b32 s6, 0x800000
	v_cmp_lt_f32_e64 s[6:7], |v1|, s6
	v_cndmask_b32_e64 v10, 0, 32, s[6:7]
	v_ldexp_f32 v10, |v1|, v10
	v_log_f32_e32 v10, v10
	s_mov_b32 s8, 0xbf13c468
	v_fma_f32 v8, |v1|, v8, s8
	s_mov_b32 s8, 0x3f317217
	v_mul_f32_e32 v11, 0x3f317217, v10
	v_fma_f32 v12, v10, s8, -v11
	v_fmac_f32_e32 v12, 0x3377d1cf, v10
	s_mov_b32 s8, 0x7f800000
	v_add_f32_e32 v11, v11, v12
	v_cmp_lt_f32_e64 s[8:9], |v10|, s8
	v_cndmask_b32_e64 v10, v10, v11, s[8:9]
	v_mov_b32_e32 v11, 0x41b17218
	v_cndmask_b32_e64 v11, 0, v11, s[6:7]
	v_sub_f32_e32 v10, v10, v11
	v_fma_f32 v8, |v1|, v8, -v10
.LBB140_111:
	s_or_b64 exec, exec, s[10:11]
	v_cmp_le_f32_e64 s[6:7], 0, v1
	v_cmp_nle_f32_e64 s[8:9], 0, v1
	s_and_saveexec_b64 s[10:11], s[8:9]
	s_xor_b64 s[14:15], exec, s[10:11]
	s_cbranch_execz .LBB140_115
; %bb.112:
	s_mov_b32 s8, 0x4b000000
	s_mov_b32 s10, 0x35000000
	v_cmp_lt_f32_e64 s[8:9], |v1|, s8
	v_cmp_gt_f32_e64 s[10:11], |v1|, s10
	s_and_b64 s[8:9], s[8:9], s[10:11]
	s_and_saveexec_b64 s[22:23], s[8:9]
	s_cbranch_execz .LBB140_114
; %bb.113:
	v_mul_f32_e64 v10, |v1|, 0.5
	v_floor_f32_e32 v11, v10
	v_sub_f32_e32 v11, v10, v11
	v_min_f32_e32 v11, 0x3f7fffff, v11
	s_mov_b32 s10, 0x7f800000
	v_add_f32_e32 v11, v11, v11
	v_cmp_neq_f32_e64 s[8:9], s10, v10
	v_cndmask_b32_e64 v10, 0, v11, s[8:9]
	v_cmp_gt_f32_e64 s[8:9], |v1|, 1.0
	v_cndmask_b32_e64 v10, |v1|, v10, s[8:9]
	v_add_f32_e32 v11, v10, v10
	v_rndne_f32_e32 v11, v11
	v_fmac_f32_e32 v10, -0.5, v11
	v_mul_f32_e32 v12, v10, v10
	v_mov_b32_e32 v13, 0xbf1f24be
	v_fmac_f32_e32 v13, 0x3e75aa41, v12
	v_mov_b32_e32 v14, 0x40234736
	v_fmac_f32_e32 v14, v12, v13
	;; [unrolled: 2-line block ×3, first 2 shown]
	v_mul_f32_e32 v14, v10, v12
	v_mul_f32_e32 v13, v14, v13
	v_fmac_f32_e32 v13, 0x40490fdb, v10
	v_mov_b32_e32 v10, 0x3e642e9d
	v_cvt_i32_f32_e32 v11, v11
	v_fmac_f32_e32 v10, 0x3d4be544, v12
	v_mov_b32_e32 v14, 0xbfaad1da
	v_fmac_f32_e32 v14, v12, v10
	v_mov_b32_e32 v10, 0x4081e0d3
	;; [unrolled: 2-line block ×3, first 2 shown]
	v_fmac_f32_e32 v14, v12, v10
	v_fma_f32 v10, v12, v14, 1.0
	v_and_b32_e32 v12, 1, v11
	v_lshlrev_b32_e32 v11, 30, v11
	v_cmp_eq_u32_e64 s[8:9], 0, v12
	v_and_b32_e32 v11, 0x80000000, v11
	v_xor_b32_e32 v9, v9, v1
	v_cndmask_b32_e64 v10, v10, v13, s[8:9]
	v_xor_b32_e32 v9, v9, v11
	v_xor_b32_e32 v9, v9, v10
	v_mul_f32_e32 v9, v1, v9
	v_frexp_mant_f32_e64 v10, |v9|
	v_rcp_f32_e32 v10, v10
	v_frexp_exp_i32_f32_e32 v9, v9
	v_sub_u32_e32 v9, 2, v9
	s_mov_b32 s8, 0x800000
	v_mul_f32_e32 v10, 0x3f490fdb, v10
	v_ldexp_f32 v9, v10, v9
	v_cmp_gt_f32_e64 s[8:9], s8, v9
	v_cndmask_b32_e64 v10, 0, 32, s[8:9]
	v_ldexp_f32 v9, v9, v10
	v_log_f32_e32 v9, v9
	s_mov_b32 s11, 0x3f317217
	v_mul_f32_e32 v10, 0x3f317217, v9
	v_fma_f32 v11, v9, s11, -v10
	v_fmac_f32_e32 v11, 0x3377d1cf, v9
	v_add_f32_e32 v10, v10, v11
	v_cmp_lt_f32_e64 s[10:11], |v9|, s10
	v_cndmask_b32_e64 v9, v9, v10, s[10:11]
	v_mov_b32_e32 v10, 0x41b17218
	v_cndmask_b32_e64 v10, 0, v10, s[8:9]
	v_sub_f32_e32 v9, v9, v10
	v_sub_f32_e32 v8, v9, v8
	v_floor_f32_e32 v9, v1
	v_sub_f32_e32 v9, v1, v9
	v_min_f32_e32 v9, 0x3f7fffff, v9
	v_mov_b32_e32 v10, 0x7f800000
	v_cmp_neq_f32_e64 s[8:9], 0, v9
	v_cndmask_b32_e64 v8, v10, v8, s[8:9]
.LBB140_114:
	s_or_b64 exec, exec, s[22:23]
.LBB140_115:
	s_andn2_saveexec_b64 s[14:15], s[14:15]
; %bb.116:
	v_cmp_eq_f32_e64 s[8:9], 1.0, v1
	v_cmp_eq_f32_e64 s[10:11], 2.0, v1
	s_or_b64 s[8:9], s[8:9], s[10:11]
	v_cndmask_b32_e64 v8, v8, 0, s[8:9]
; %bb.117:
	s_or_b64 exec, exec, s[14:15]
	s_mov_b32 s8, 0x3c800000
	v_and_b32_e32 v9, 0x7fffffff, v2
	v_cmp_nlt_f32_e64 s[8:9], |v2|, s8
                                        ; implicit-def: $vgpr10
	s_and_saveexec_b64 s[10:11], s[8:9]
	s_xor_b64 s[14:15], exec, s[10:11]
	s_cbranch_execz .LBB140_147
; %bb.118:
	v_cmp_nlt_f32_e64 s[8:9], |v2|, 2.0
                                        ; implicit-def: $vgpr10
	s_and_saveexec_b64 s[10:11], s[8:9]
	s_xor_b64 s[22:23], exec, s[10:11]
	s_cbranch_execz .LBB140_128
; %bb.119:
	s_mov_b32 s8, 0x41000000
	v_cmp_nlt_f32_e64 s[8:9], |v2|, s8
                                        ; implicit-def: $vgpr10
	s_and_saveexec_b64 s[10:11], s[8:9]
	s_xor_b64 s[24:25], exec, s[10:11]
	s_cbranch_execz .LBB140_125
; %bb.120:
	s_mov_b32 s8, 0x5c800000
	v_cmp_nlt_f32_e64 s[8:9], |v2|, s8
                                        ; implicit-def: $vgpr10
	s_and_saveexec_b64 s[10:11], s[8:9]
	s_xor_b64 s[26:27], exec, s[10:11]
	s_cbranch_execz .LBB140_122
; %bb.121:
	s_mov_b32 s8, 0x800000
	v_cmp_lt_f32_e64 s[8:9], |v2|, s8
	v_cndmask_b32_e64 v10, 0, 32, s[8:9]
	v_ldexp_f32 v10, |v2|, v10
	v_log_f32_e32 v10, v10
	s_mov_b32 s10, 0x3f317217
	s_mov_b32 s11, 0x7f800000
	v_mul_f32_e32 v11, 0x3f317217, v10
	v_fma_f32 v12, v10, s10, -v11
	v_fmac_f32_e32 v12, 0x3377d1cf, v10
	v_add_f32_e32 v11, v11, v12
	v_cmp_lt_f32_e64 s[10:11], |v10|, s11
	v_cndmask_b32_e64 v10, v10, v11, s[10:11]
	v_mov_b32_e32 v11, 0x41b17218
	v_cndmask_b32_e64 v11, 0, v11, s[8:9]
	v_sub_f32_e32 v10, v10, v11
	v_fma_f32 v10, |v2|, v10, -|v2|
.LBB140_122:
	s_andn2_saveexec_b64 s[26:27], s[26:27]
	s_cbranch_execz .LBB140_124
; %bb.123:
	v_rcp_f32_e64 v11, |v2|
	v_mov_b32_e32 v10, 0x3a5b3dd2
	v_mov_b32_e32 v12, 0xba1c065c
	;; [unrolled: 1-line block ×3, first 2 shown]
	v_mul_f32_e32 v14, v11, v11
	v_fmac_f32_e32 v10, 0xbad5c4e8, v14
	v_fmac_f32_e32 v12, v14, v10
	s_mov_b32 s8, 0x800000
	v_fmac_f32_e32 v13, v14, v12
	v_mov_b32_e32 v10, 0xbb360b61
	v_cmp_lt_f32_e64 s[8:9], |v2|, s8
	v_fmac_f32_e32 v10, v14, v13
	v_cndmask_b32_e64 v13, 0, 32, s[8:9]
	v_ldexp_f32 v13, |v2|, v13
	v_log_f32_e32 v13, v13
	v_mov_b32_e32 v12, 0x3daaaaab
	v_fmac_f32_e32 v12, v14, v10
	v_mov_b32_e32 v10, 0x3ed67f1d
	v_fmac_f32_e32 v10, v11, v12
	s_mov_b32 s10, 0x3f317217
	v_mul_f32_e32 v12, 0x3f317217, v13
	v_fma_f32 v14, v13, s10, -v12
	v_fmac_f32_e32 v14, 0x3377d1cf, v13
	s_mov_b32 s10, 0x7f800000
	v_add_f32_e32 v12, v12, v14
	v_cmp_lt_f32_e64 s[10:11], |v13|, s10
	v_cndmask_b32_e64 v12, v13, v12, s[10:11]
	v_mov_b32_e32 v13, 0x41b17218
	v_cndmask_b32_e64 v13, 0, v13, s[8:9]
	v_sub_f32_e32 v12, v12, v13
	v_add_f32_e64 v11, |v2|, -0.5
	v_add_f32_e32 v12, -1.0, v12
	v_fmac_f32_e32 v10, v11, v12
.LBB140_124:
	s_or_b64 exec, exec, s[26:27]
.LBB140_125:
	s_andn2_saveexec_b64 s[24:25], s[24:25]
	s_cbranch_execz .LBB140_127
; %bb.126:
	v_cvt_i32_f32_e32 v10, v9
	v_mov_b32_e32 v11, 0x3af135b4
	v_mov_b32_e32 v12, 0x3cda40e4
	;; [unrolled: 1-line block ×3, first 2 shown]
	v_cvt_f32_i32_e32 v14, v10
	v_mov_b32_e32 v15, 0x3ea6cc7a
	v_mov_b32_e32 v16, 0x3e5c245a
	v_cmp_lt_i32_e64 s[8:9], 2, v10
	v_sub_f32_e64 v14, |v2|, v14
	v_fmac_f32_e32 v11, 0x3805ff67, v14
	v_fmac_f32_e32 v12, v14, v11
	;; [unrolled: 1-line block ×3, first 2 shown]
	v_mov_b32_e32 v12, 0x3a4beed6
	v_fmac_f32_e32 v15, v14, v13
	v_fmac_f32_e32 v12, 0x36f5d7bd, v14
	v_mov_b32_e32 v13, 0x3c98bf54
	v_fmac_f32_e32 v13, v14, v12
	v_mov_b32_e32 v12, 0x3e300f6e
	v_fmac_f32_e32 v12, v14, v13
	v_mov_b32_e32 v13, 0x3f38d0c5
	v_fmac_f32_e32 v13, v14, v12
	v_mov_b32_e32 v12, 0x3fb22d3b
	v_fmac_f32_e32 v12, v14, v13
	v_add_f32_e32 v13, 2.0, v14
	v_mov_b32_e32 v17, 0xbd9e233f
	v_fmac_f32_e32 v16, v14, v15
	v_add_f32_e32 v15, 0x40400000, v14
	v_cndmask_b32_e64 v13, 1.0, v13, s[8:9]
	v_cmp_lt_i32_e64 s[8:9], 3, v10
	v_fmac_f32_e32 v17, v14, v16
	v_add_f32_e32 v16, 4.0, v14
	v_cndmask_b32_e64 v15, 1.0, v15, s[8:9]
	v_cmp_lt_i32_e64 s[8:9], 4, v10
	v_mul_f32_e32 v11, v14, v17
	v_add_f32_e32 v17, 0x40a00000, v14
	v_mul_f32_e32 v13, v13, v15
	v_cndmask_b32_e64 v15, 1.0, v16, s[8:9]
	v_cmp_lt_i32_e64 s[8:9], 5, v10
	v_add_f32_e32 v18, 0x40c00000, v14
	v_mul_f32_e32 v13, v15, v13
	v_cndmask_b32_e64 v15, 1.0, v17, s[8:9]
	v_cmp_lt_i32_e64 s[8:9], 6, v10
	v_mul_f32_e32 v13, v15, v13
	v_cndmask_b32_e64 v10, 1.0, v18, s[8:9]
	v_mul_f32_e32 v10, v10, v13
	s_mov_b32 s8, 0x800000
	v_cmp_gt_f32_e64 s[8:9], s8, v10
	v_cndmask_b32_e64 v13, 0, 32, s[8:9]
	v_fma_f32 v12, v14, v12, 1.0
	v_ldexp_f32 v10, v10, v13
	v_rcp_f32_e32 v12, v12
	v_log_f32_e32 v10, v10
	s_mov_b32 s10, 0x3f317217
	v_mul_f32_e32 v11, v11, v12
	v_mul_f32_e32 v12, 0x3f317217, v10
	v_fma_f32 v13, v10, s10, -v12
	v_fmac_f32_e32 v13, 0x3377d1cf, v10
	s_mov_b32 s10, 0x7f800000
	v_add_f32_e32 v12, v12, v13
	v_cmp_lt_f32_e64 s[10:11], |v10|, s10
	v_cndmask_b32_e64 v10, v10, v12, s[10:11]
	v_mov_b32_e32 v12, 0x41b17218
	v_cndmask_b32_e64 v12, 0, v12, s[8:9]
	v_fmac_f32_e32 v11, 0.5, v14
	v_sub_f32_e32 v10, v10, v12
	v_add_f32_e32 v10, v10, v11
.LBB140_127:
	s_or_b64 exec, exec, s[24:25]
.LBB140_128:
	s_andn2_saveexec_b64 s[22:23], s[22:23]
	s_cbranch_execz .LBB140_146
; %bb.129:
	s_mov_b32 s8, 0x3f666666
	v_cmp_le_f32_e64 s[8:9], |v2|, s8
                                        ; implicit-def: $vgpr10
                                        ; implicit-def: $vgpr12
                                        ; implicit-def: $vgpr11
	s_and_saveexec_b64 s[10:11], s[8:9]
	s_xor_b64 s[24:25], exec, s[10:11]
	s_cbranch_execz .LBB140_131
; %bb.130:
	s_mov_b32 s8, 0x800000
	v_cmp_lt_f32_e64 s[8:9], |v2|, s8
	v_cndmask_b32_e64 v10, 0, 32, s[8:9]
	v_ldexp_f32 v10, |v2|, v10
	v_log_f32_e32 v10, v10
	s_mov_b32 s10, 0x3f317217
	s_mov_b32 s11, 0x7f800000
	v_mul_f32_e32 v11, 0x3f317217, v10
	v_fma_f32 v12, v10, s10, -v11
	v_fmac_f32_e32 v12, 0x3377d1cf, v10
	v_add_f32_e32 v11, v11, v12
	v_cmp_lt_f32_e64 s[10:11], |v10|, s11
	v_cndmask_b32_e64 v10, v10, v11, s[10:11]
	v_mov_b32_e32 v11, 0x41b17218
	v_cndmask_b32_e64 v11, 0, v11, s[8:9]
	s_mov_b32 s8, 0x3f3b4a23
	s_mov_b32 s9, 0xbeec5b0c
	v_sub_f32_e32 v10, v10, v11
	v_sub_f32_e64 v11, 1.0, |v2|
	v_add_f32_e64 v12, |v2|, s9
	v_cmp_lt_f32_e64 s[8:9], |v2|, s8
	v_cndmask_b32_e64 v11, v11, v12, s[8:9]
	v_cndmask_b32_e64 v12, 0, 1, s[8:9]
	s_mov_b32 s8, 0x3e6d3309
	v_cmp_lt_f32_e64 s[8:9], |v2|, s8
	v_xor_b32_e32 v10, 0x80000000, v10
	v_cndmask_b32_e64 v11, v11, |v2|, s[8:9]
	v_cndmask_b32_e64 v12, v12, 2, s[8:9]
.LBB140_131:
	s_andn2_saveexec_b64 s[10:11], s[24:25]
	s_cbranch_execz .LBB140_133
; %bb.132:
	s_mov_b32 s8, 0x3fdda512
	s_mov_b32 s9, 0xbfbb16c3
	v_sub_f32_e64 v10, 2.0, |v2|
	v_add_f32_e64 v11, |v2|, s9
	v_cmp_lt_f32_e64 s[8:9], |v2|, s8
	v_cndmask_b32_e64 v11, v10, v11, s[8:9]
	v_cndmask_b32_e64 v10, v10, 1.0, s[8:9]
	v_cvt_i32_f32_e32 v10, v10
	s_mov_b32 s8, 0x3f9d70a4
	v_add_f32_e64 v12, |v2|, -1.0
	v_cmp_lt_f32_e64 s[8:9], |v2|, s8
	v_cndmask_b32_e64 v11, v11, v12, s[8:9]
	v_cndmask_b32_e64 v12, v10, 2, s[8:9]
	v_mov_b32_e32 v10, 0
.LBB140_133:
	s_or_b64 exec, exec, s[10:11]
	v_cmp_lt_i32_e64 s[8:9], 0, v12
	s_and_saveexec_b64 s[10:11], s[8:9]
	s_xor_b64 s[10:11], exec, s[10:11]
	s_cbranch_execz .LBB140_141
; %bb.134:
	v_cmp_lt_i32_e64 s[8:9], 1, v12
	s_and_saveexec_b64 s[24:25], s[8:9]
	s_xor_b64 s[24:25], exec, s[24:25]
	s_cbranch_execz .LBB140_138
; %bb.135:
	v_cmp_eq_u32_e64 s[8:9], 2, v12
	s_and_saveexec_b64 s[26:27], s[8:9]
	s_cbranch_execz .LBB140_137
; %bb.136:
	v_mov_b32_e32 v12, 0x3e6a7578
	v_fmac_f32_e32 v12, 0x3c5b3c5e, v11
	v_mov_b32_e32 v13, 0x3f7a4bb2
	v_fmac_f32_e32 v13, v11, v12
	;; [unrolled: 2-line block ×8, first 2 shown]
	v_fma_f32 v12, v11, v14, 1.0
	v_rcp_f32_e32 v12, v12
	v_mov_b32_e32 v14, 0xbd9e233f
	v_fmac_f32_e32 v14, v11, v13
	v_mul_f32_e32 v13, v11, v14
	v_mul_f32_e32 v12, v13, v12
	v_fmac_f32_e32 v12, -0.5, v11
	v_add_f32_e32 v10, v10, v12
.LBB140_137:
	s_or_b64 exec, exec, s[26:27]
                                        ; implicit-def: $vgpr11
.LBB140_138:
	s_andn2_saveexec_b64 s[8:9], s[24:25]
	s_cbranch_execz .LBB140_140
; %bb.139:
	v_mul_f32_e32 v12, v11, v11
	v_mul_f32_e32 v13, v11, v12
	v_mov_b32_e32 v14, 0xbab7f476
	v_fmac_f32_e32 v14, 0x39a57b6b, v13
	v_mov_b32_e32 v15, 0x3bc7e707
	v_fmac_f32_e32 v15, v13, v14
	;; [unrolled: 2-line block ×12, first 2 shown]
	v_fmac_f32_e32 v16, v11, v17
	s_mov_b32 s24, 0xa2863e55
	v_fma_f32 v11, v13, -v16, s24
	v_fma_f32 v11, v12, v15, -v11
	v_add_f32_e32 v11, 0xbdf8cdce, v11
	v_add_f32_e32 v10, v10, v11
.LBB140_140:
	s_or_b64 exec, exec, s[8:9]
                                        ; implicit-def: $vgpr12
                                        ; implicit-def: $vgpr11
.LBB140_141:
	s_andn2_saveexec_b64 s[10:11], s[10:11]
	s_cbranch_execz .LBB140_145
; %bb.142:
	v_cmp_eq_u32_e64 s[8:9], 0, v12
	s_and_saveexec_b64 s[24:25], s[8:9]
	s_cbranch_execz .LBB140_144
; %bb.143:
	v_mul_f32_e32 v12, v11, v11
	v_mov_b32_e32 v13, 0x39679767
	v_fmac_f32_e32 v13, 0x37d383a2, v12
	v_mov_b32_e32 v14, 0x3a9c54a1
	v_fmac_f32_e32 v14, v12, v13
	;; [unrolled: 2-line block ×10, first 2 shown]
	v_mul_f32_e32 v12, v12, v14
	v_fmac_f32_e32 v12, v11, v13
	v_fmac_f32_e32 v12, -0.5, v11
	v_add_f32_e32 v10, v10, v12
.LBB140_144:
	s_or_b64 exec, exec, s[24:25]
.LBB140_145:
	s_or_b64 exec, exec, s[10:11]
.LBB140_146:
	s_or_b64 exec, exec, s[22:23]
.LBB140_147:
	s_andn2_saveexec_b64 s[14:15], s[14:15]
	s_cbranch_execz .LBB140_149
; %bb.148:
	s_mov_b32 s8, 0x3e8a8991
	v_mov_b32_e32 v10, 0xbecd26ab
	v_fma_f32 v10, |v2|, s8, v10
	s_mov_b32 s8, 0x3f528d33
	v_fma_f32 v10, |v2|, v10, s8
	s_mov_b32 s8, 0x800000
	v_cmp_lt_f32_e64 s[8:9], |v2|, s8
	v_cndmask_b32_e64 v11, 0, 32, s[8:9]
	v_ldexp_f32 v11, |v2|, v11
	v_log_f32_e32 v11, v11
	s_mov_b32 s10, 0xbf13c468
	v_fma_f32 v10, |v2|, v10, s10
	s_mov_b32 s10, 0x3f317217
	v_mul_f32_e32 v12, 0x3f317217, v11
	v_fma_f32 v13, v11, s10, -v12
	v_fmac_f32_e32 v13, 0x3377d1cf, v11
	s_mov_b32 s10, 0x7f800000
	v_add_f32_e32 v12, v12, v13
	v_cmp_lt_f32_e64 s[10:11], |v11|, s10
	v_cndmask_b32_e64 v11, v11, v12, s[10:11]
	v_mov_b32_e32 v12, 0x41b17218
	v_cndmask_b32_e64 v12, 0, v12, s[8:9]
	v_sub_f32_e32 v11, v11, v12
	v_fma_f32 v10, |v2|, v10, -v11
.LBB140_149:
	s_or_b64 exec, exec, s[14:15]
	v_cmp_le_f32_e64 s[8:9], 0, v2
	v_cmp_nle_f32_e64 s[10:11], 0, v2
	s_and_saveexec_b64 s[14:15], s[10:11]
	s_xor_b64 s[22:23], exec, s[14:15]
	s_cbranch_execz .LBB140_153
; %bb.150:
	s_mov_b32 s10, 0x4b000000
	s_mov_b32 s14, 0x35000000
	v_cmp_lt_f32_e64 s[10:11], |v2|, s10
	v_cmp_gt_f32_e64 s[14:15], |v2|, s14
	s_and_b64 s[10:11], s[10:11], s[14:15]
	s_and_saveexec_b64 s[24:25], s[10:11]
	s_cbranch_execz .LBB140_152
; %bb.151:
	v_mul_f32_e64 v11, |v2|, 0.5
	v_floor_f32_e32 v12, v11
	v_sub_f32_e32 v12, v11, v12
	v_min_f32_e32 v12, 0x3f7fffff, v12
	s_mov_b32 s14, 0x7f800000
	v_add_f32_e32 v12, v12, v12
	v_cmp_neq_f32_e64 s[10:11], s14, v11
	v_cndmask_b32_e64 v11, 0, v12, s[10:11]
	v_cmp_gt_f32_e64 s[10:11], |v2|, 1.0
	v_cndmask_b32_e64 v11, |v2|, v11, s[10:11]
	v_add_f32_e32 v12, v11, v11
	v_rndne_f32_e32 v12, v12
	v_fmac_f32_e32 v11, -0.5, v12
	v_mul_f32_e32 v13, v11, v11
	v_mov_b32_e32 v14, 0xbf1f24be
	v_fmac_f32_e32 v14, 0x3e75aa41, v13
	v_mov_b32_e32 v15, 0x40234736
	v_fmac_f32_e32 v15, v13, v14
	;; [unrolled: 2-line block ×3, first 2 shown]
	v_mul_f32_e32 v15, v11, v13
	v_mul_f32_e32 v14, v15, v14
	v_fmac_f32_e32 v14, 0x40490fdb, v11
	v_mov_b32_e32 v11, 0x3e642e9d
	v_cvt_i32_f32_e32 v12, v12
	v_fmac_f32_e32 v11, 0x3d4be544, v13
	v_mov_b32_e32 v15, 0xbfaad1da
	v_fmac_f32_e32 v15, v13, v11
	v_mov_b32_e32 v11, 0x4081e0d3
	;; [unrolled: 2-line block ×3, first 2 shown]
	v_fmac_f32_e32 v15, v13, v11
	v_fma_f32 v11, v13, v15, 1.0
	v_and_b32_e32 v13, 1, v12
	v_lshlrev_b32_e32 v12, 30, v12
	v_cmp_eq_u32_e64 s[10:11], 0, v13
	v_and_b32_e32 v12, 0x80000000, v12
	v_xor_b32_e32 v9, v9, v2
	v_cndmask_b32_e64 v11, v11, v14, s[10:11]
	v_xor_b32_e32 v9, v9, v12
	v_xor_b32_e32 v9, v9, v11
	v_mul_f32_e32 v9, v2, v9
	v_frexp_mant_f32_e64 v11, |v9|
	v_rcp_f32_e32 v11, v11
	v_frexp_exp_i32_f32_e32 v9, v9
	v_sub_u32_e32 v9, 2, v9
	s_mov_b32 s10, 0x800000
	v_mul_f32_e32 v11, 0x3f490fdb, v11
	v_ldexp_f32 v9, v11, v9
	v_cmp_gt_f32_e64 s[10:11], s10, v9
	v_cndmask_b32_e64 v11, 0, 32, s[10:11]
	v_ldexp_f32 v9, v9, v11
	v_log_f32_e32 v9, v9
	s_mov_b32 s15, 0x3f317217
	v_mul_f32_e32 v11, 0x3f317217, v9
	v_fma_f32 v12, v9, s15, -v11
	v_fmac_f32_e32 v12, 0x3377d1cf, v9
	v_add_f32_e32 v11, v11, v12
	v_cmp_lt_f32_e64 s[14:15], |v9|, s14
	v_cndmask_b32_e64 v9, v9, v11, s[14:15]
	v_mov_b32_e32 v11, 0x41b17218
	v_cndmask_b32_e64 v11, 0, v11, s[10:11]
	v_sub_f32_e32 v9, v9, v11
	v_sub_f32_e32 v9, v9, v10
	v_floor_f32_e32 v10, v2
	v_sub_f32_e32 v10, v2, v10
	v_min_f32_e32 v10, 0x3f7fffff, v10
	v_mov_b32_e32 v11, 0x7f800000
	v_cmp_neq_f32_e64 s[10:11], 0, v10
	v_cndmask_b32_e64 v10, v11, v9, s[10:11]
.LBB140_152:
	s_or_b64 exec, exec, s[24:25]
.LBB140_153:
	s_andn2_saveexec_b64 s[22:23], s[22:23]
; %bb.154:
	v_cmp_eq_f32_e64 s[10:11], 1.0, v2
	v_cmp_eq_f32_e64 s[14:15], 2.0, v2
	s_or_b64 s[10:11], s[10:11], s[14:15]
	v_cndmask_b32_e64 v10, v10, 0, s[10:11]
; %bb.155:
	s_or_b64 exec, exec, s[22:23]
	s_mov_b32 s14, 0x4b000000
	v_cmp_lt_f32_e64 s[10:11], |v3|, s14
	v_mov_b32_e32 v9, 0x264
	v_mov_b32_e32 v11, 0x7f800000
	s_or_b64 vcc, vcc, s[10:11]
	v_cndmask_b32_e32 v6, v11, v6, vcc
	v_cmp_class_f32_e32 vcc, v3, v9
	v_cndmask_b32_e32 v6, v6, v11, vcc
	v_cmp_u_f32_e32 vcc, v3, v3
	v_cmp_lt_f32_e64 s[10:11], |v4|, s14
	v_cndmask_b32_e32 v3, v6, v3, vcc
	s_or_b64 vcc, s[4:5], s[10:11]
	v_cndmask_b32_e32 v6, v11, v7, vcc
	v_cmp_class_f32_e32 vcc, v4, v9
	v_cndmask_b32_e32 v6, v6, v11, vcc
	v_cmp_u_f32_e32 vcc, v4, v4
	v_cmp_lt_f32_e64 s[4:5], |v1|, s14
	v_cndmask_b32_e32 v4, v6, v4, vcc
	s_or_b64 vcc, s[6:7], s[4:5]
	;; [unrolled: 7-line block ×3, first 2 shown]
	v_cndmask_b32_e32 v6, v11, v10, vcc
	v_cmp_class_f32_e32 vcc, v2, v9
	s_add_u32 s4, s16, s20
	v_cndmask_b32_e32 v6, v6, v11, vcc
	v_cmp_u_f32_e32 vcc, v2, v2
	s_addc_u32 s5, s17, s21
	v_cndmask_b32_e32 v2, v6, v2, vcc
	global_store_dwordx2 v5, v[3:4], s[4:5]
	global_store_dwordx2 v5, v[1:2], s[4:5] offset:2048
	s_branch .LBB140_2
.LBB140_156:
	s_getpc_b64 s[4:5]
	s_add_u32 s4, s4, _ZN2at6native25elementwise_kernel_helperILb0EZZZNS0_18lgamma_kernel_cudaERNS_18TensorIteratorBaseEENKUlvE_clEvENKUlvE0_clEvEUlfE_NS0_6memory8policies11unroll_baseILi256ESt5arrayIPcLm2EE23TrivialOffsetCalculatorILi1EjESE_NS7_15LoadWithoutCastENS7_16StoreWithoutCastELi4ELi1EEEEEvT0_T1_@rel32@lo+4
	s_addc_u32 s5, s5, _ZN2at6native25elementwise_kernel_helperILb0EZZZNS0_18lgamma_kernel_cudaERNS_18TensorIteratorBaseEENKUlvE_clEvENKUlvE0_clEvEUlfE_NS0_6memory8policies11unroll_baseILi256ESt5arrayIPcLm2EE23TrivialOffsetCalculatorILi1EjESE_NS7_15LoadWithoutCastENS7_16StoreWithoutCastELi4ELi1EEEEEvT0_T1_@rel32@hi+12
	v_mov_b32_e32 v31, v0
	v_mov_b32_e32 v0, s16
	;; [unrolled: 1-line block ×6, first 2 shown]
	s_swappc_b64 s[30:31], s[4:5]
	s_endpgm
	.section	.rodata,"a",@progbits
	.p2align	6, 0x0
	.amdhsa_kernel _ZN2at6native29vectorized_elementwise_kernelILi2EZZZNS0_18lgamma_kernel_cudaERNS_18TensorIteratorBaseEENKUlvE_clEvENKUlvE0_clEvEUlfE_St5arrayIPcLm2EEEEviT0_T1_
		.amdhsa_group_segment_fixed_size 0
		.amdhsa_private_segment_fixed_size 0
		.amdhsa_kernarg_size 24
		.amdhsa_user_sgpr_count 6
		.amdhsa_user_sgpr_private_segment_buffer 1
		.amdhsa_user_sgpr_dispatch_ptr 0
		.amdhsa_user_sgpr_queue_ptr 0
		.amdhsa_user_sgpr_kernarg_segment_ptr 1
		.amdhsa_user_sgpr_dispatch_id 0
		.amdhsa_user_sgpr_flat_scratch_init 0
		.amdhsa_user_sgpr_private_segment_size 0
		.amdhsa_uses_dynamic_stack 0
		.amdhsa_system_sgpr_private_segment_wavefront_offset 0
		.amdhsa_system_sgpr_workgroup_id_x 1
		.amdhsa_system_sgpr_workgroup_id_y 0
		.amdhsa_system_sgpr_workgroup_id_z 0
		.amdhsa_system_sgpr_workgroup_info 0
		.amdhsa_system_vgpr_workitem_id 0
		.amdhsa_next_free_vgpr 32
		.amdhsa_next_free_sgpr 33
		.amdhsa_reserve_vcc 1
		.amdhsa_reserve_flat_scratch 0
		.amdhsa_float_round_mode_32 0
		.amdhsa_float_round_mode_16_64 0
		.amdhsa_float_denorm_mode_32 3
		.amdhsa_float_denorm_mode_16_64 3
		.amdhsa_dx10_clamp 1
		.amdhsa_ieee_mode 1
		.amdhsa_fp16_overflow 0
		.amdhsa_exception_fp_ieee_invalid_op 0
		.amdhsa_exception_fp_denorm_src 0
		.amdhsa_exception_fp_ieee_div_zero 0
		.amdhsa_exception_fp_ieee_overflow 0
		.amdhsa_exception_fp_ieee_underflow 0
		.amdhsa_exception_fp_ieee_inexact 0
		.amdhsa_exception_int_div_zero 0
	.end_amdhsa_kernel
	.section	.text._ZN2at6native29vectorized_elementwise_kernelILi2EZZZNS0_18lgamma_kernel_cudaERNS_18TensorIteratorBaseEENKUlvE_clEvENKUlvE0_clEvEUlfE_St5arrayIPcLm2EEEEviT0_T1_,"axG",@progbits,_ZN2at6native29vectorized_elementwise_kernelILi2EZZZNS0_18lgamma_kernel_cudaERNS_18TensorIteratorBaseEENKUlvE_clEvENKUlvE0_clEvEUlfE_St5arrayIPcLm2EEEEviT0_T1_,comdat
.Lfunc_end140:
	.size	_ZN2at6native29vectorized_elementwise_kernelILi2EZZZNS0_18lgamma_kernel_cudaERNS_18TensorIteratorBaseEENKUlvE_clEvENKUlvE0_clEvEUlfE_St5arrayIPcLm2EEEEviT0_T1_, .Lfunc_end140-_ZN2at6native29vectorized_elementwise_kernelILi2EZZZNS0_18lgamma_kernel_cudaERNS_18TensorIteratorBaseEENKUlvE_clEvENKUlvE0_clEvEUlfE_St5arrayIPcLm2EEEEviT0_T1_
                                        ; -- End function
	.set _ZN2at6native29vectorized_elementwise_kernelILi2EZZZNS0_18lgamma_kernel_cudaERNS_18TensorIteratorBaseEENKUlvE_clEvENKUlvE0_clEvEUlfE_St5arrayIPcLm2EEEEviT0_T1_.num_vgpr, max(32, .L_ZN2at6native25elementwise_kernel_helperILb0EZZZNS0_18lgamma_kernel_cudaERNS_18TensorIteratorBaseEENKUlvE_clEvENKUlvE0_clEvEUlfE_NS0_6memory8policies11unroll_baseILi256ESt5arrayIPcLm2EE23TrivialOffsetCalculatorILi1EjESE_NS7_15LoadWithoutCastENS7_16StoreWithoutCastELi4ELi1EEEEEvT0_T1_.num_vgpr)
	.set _ZN2at6native29vectorized_elementwise_kernelILi2EZZZNS0_18lgamma_kernel_cudaERNS_18TensorIteratorBaseEENKUlvE_clEvENKUlvE0_clEvEUlfE_St5arrayIPcLm2EEEEviT0_T1_.num_agpr, max(0, .L_ZN2at6native25elementwise_kernel_helperILb0EZZZNS0_18lgamma_kernel_cudaERNS_18TensorIteratorBaseEENKUlvE_clEvENKUlvE0_clEvEUlfE_NS0_6memory8policies11unroll_baseILi256ESt5arrayIPcLm2EE23TrivialOffsetCalculatorILi1EjESE_NS7_15LoadWithoutCastENS7_16StoreWithoutCastELi4ELi1EEEEEvT0_T1_.num_agpr)
	.set _ZN2at6native29vectorized_elementwise_kernelILi2EZZZNS0_18lgamma_kernel_cudaERNS_18TensorIteratorBaseEENKUlvE_clEvENKUlvE0_clEvEUlfE_St5arrayIPcLm2EEEEviT0_T1_.numbered_sgpr, max(33, .L_ZN2at6native25elementwise_kernel_helperILb0EZZZNS0_18lgamma_kernel_cudaERNS_18TensorIteratorBaseEENKUlvE_clEvENKUlvE0_clEvEUlfE_NS0_6memory8policies11unroll_baseILi256ESt5arrayIPcLm2EE23TrivialOffsetCalculatorILi1EjESE_NS7_15LoadWithoutCastENS7_16StoreWithoutCastELi4ELi1EEEEEvT0_T1_.numbered_sgpr)
	.set _ZN2at6native29vectorized_elementwise_kernelILi2EZZZNS0_18lgamma_kernel_cudaERNS_18TensorIteratorBaseEENKUlvE_clEvENKUlvE0_clEvEUlfE_St5arrayIPcLm2EEEEviT0_T1_.num_named_barrier, max(0, .L_ZN2at6native25elementwise_kernel_helperILb0EZZZNS0_18lgamma_kernel_cudaERNS_18TensorIteratorBaseEENKUlvE_clEvENKUlvE0_clEvEUlfE_NS0_6memory8policies11unroll_baseILi256ESt5arrayIPcLm2EE23TrivialOffsetCalculatorILi1EjESE_NS7_15LoadWithoutCastENS7_16StoreWithoutCastELi4ELi1EEEEEvT0_T1_.num_named_barrier)
	.set _ZN2at6native29vectorized_elementwise_kernelILi2EZZZNS0_18lgamma_kernel_cudaERNS_18TensorIteratorBaseEENKUlvE_clEvENKUlvE0_clEvEUlfE_St5arrayIPcLm2EEEEviT0_T1_.private_seg_size, 0+max(.L_ZN2at6native25elementwise_kernel_helperILb0EZZZNS0_18lgamma_kernel_cudaERNS_18TensorIteratorBaseEENKUlvE_clEvENKUlvE0_clEvEUlfE_NS0_6memory8policies11unroll_baseILi256ESt5arrayIPcLm2EE23TrivialOffsetCalculatorILi1EjESE_NS7_15LoadWithoutCastENS7_16StoreWithoutCastELi4ELi1EEEEEvT0_T1_.private_seg_size)
	.set _ZN2at6native29vectorized_elementwise_kernelILi2EZZZNS0_18lgamma_kernel_cudaERNS_18TensorIteratorBaseEENKUlvE_clEvENKUlvE0_clEvEUlfE_St5arrayIPcLm2EEEEviT0_T1_.uses_vcc, or(1, .L_ZN2at6native25elementwise_kernel_helperILb0EZZZNS0_18lgamma_kernel_cudaERNS_18TensorIteratorBaseEENKUlvE_clEvENKUlvE0_clEvEUlfE_NS0_6memory8policies11unroll_baseILi256ESt5arrayIPcLm2EE23TrivialOffsetCalculatorILi1EjESE_NS7_15LoadWithoutCastENS7_16StoreWithoutCastELi4ELi1EEEEEvT0_T1_.uses_vcc)
	.set _ZN2at6native29vectorized_elementwise_kernelILi2EZZZNS0_18lgamma_kernel_cudaERNS_18TensorIteratorBaseEENKUlvE_clEvENKUlvE0_clEvEUlfE_St5arrayIPcLm2EEEEviT0_T1_.uses_flat_scratch, or(0, .L_ZN2at6native25elementwise_kernel_helperILb0EZZZNS0_18lgamma_kernel_cudaERNS_18TensorIteratorBaseEENKUlvE_clEvENKUlvE0_clEvEUlfE_NS0_6memory8policies11unroll_baseILi256ESt5arrayIPcLm2EE23TrivialOffsetCalculatorILi1EjESE_NS7_15LoadWithoutCastENS7_16StoreWithoutCastELi4ELi1EEEEEvT0_T1_.uses_flat_scratch)
	.set _ZN2at6native29vectorized_elementwise_kernelILi2EZZZNS0_18lgamma_kernel_cudaERNS_18TensorIteratorBaseEENKUlvE_clEvENKUlvE0_clEvEUlfE_St5arrayIPcLm2EEEEviT0_T1_.has_dyn_sized_stack, or(0, .L_ZN2at6native25elementwise_kernel_helperILb0EZZZNS0_18lgamma_kernel_cudaERNS_18TensorIteratorBaseEENKUlvE_clEvENKUlvE0_clEvEUlfE_NS0_6memory8policies11unroll_baseILi256ESt5arrayIPcLm2EE23TrivialOffsetCalculatorILi1EjESE_NS7_15LoadWithoutCastENS7_16StoreWithoutCastELi4ELi1EEEEEvT0_T1_.has_dyn_sized_stack)
	.set _ZN2at6native29vectorized_elementwise_kernelILi2EZZZNS0_18lgamma_kernel_cudaERNS_18TensorIteratorBaseEENKUlvE_clEvENKUlvE0_clEvEUlfE_St5arrayIPcLm2EEEEviT0_T1_.has_recursion, or(0, .L_ZN2at6native25elementwise_kernel_helperILb0EZZZNS0_18lgamma_kernel_cudaERNS_18TensorIteratorBaseEENKUlvE_clEvENKUlvE0_clEvEUlfE_NS0_6memory8policies11unroll_baseILi256ESt5arrayIPcLm2EE23TrivialOffsetCalculatorILi1EjESE_NS7_15LoadWithoutCastENS7_16StoreWithoutCastELi4ELi1EEEEEvT0_T1_.has_recursion)
	.set _ZN2at6native29vectorized_elementwise_kernelILi2EZZZNS0_18lgamma_kernel_cudaERNS_18TensorIteratorBaseEENKUlvE_clEvENKUlvE0_clEvEUlfE_St5arrayIPcLm2EEEEviT0_T1_.has_indirect_call, or(0, .L_ZN2at6native25elementwise_kernel_helperILb0EZZZNS0_18lgamma_kernel_cudaERNS_18TensorIteratorBaseEENKUlvE_clEvENKUlvE0_clEvEUlfE_NS0_6memory8policies11unroll_baseILi256ESt5arrayIPcLm2EE23TrivialOffsetCalculatorILi1EjESE_NS7_15LoadWithoutCastENS7_16StoreWithoutCastELi4ELi1EEEEEvT0_T1_.has_indirect_call)
	.section	.AMDGPU.csdata,"",@progbits
; Kernel info:
; codeLenInByte = 10728
; TotalNumSgprs: 37
; NumVgprs: 32
; ScratchSize: 0
; MemoryBound: 0
; FloatMode: 240
; IeeeMode: 1
; LDSByteSize: 0 bytes/workgroup (compile time only)
; SGPRBlocks: 4
; VGPRBlocks: 7
; NumSGPRsForWavesPerEU: 37
; NumVGPRsForWavesPerEU: 32
; Occupancy: 8
; WaveLimiterHint : 1
; COMPUTE_PGM_RSRC2:SCRATCH_EN: 0
; COMPUTE_PGM_RSRC2:USER_SGPR: 6
; COMPUTE_PGM_RSRC2:TRAP_HANDLER: 0
; COMPUTE_PGM_RSRC2:TGID_X_EN: 1
; COMPUTE_PGM_RSRC2:TGID_Y_EN: 0
; COMPUTE_PGM_RSRC2:TGID_Z_EN: 0
; COMPUTE_PGM_RSRC2:TIDIG_COMP_CNT: 0
	.section	.text._ZN2at6native27unrolled_elementwise_kernelIZZZNS0_18lgamma_kernel_cudaERNS_18TensorIteratorBaseEENKUlvE_clEvENKUlvE0_clEvEUlfE_St5arrayIPcLm2EELi4E23TrivialOffsetCalculatorILi1EjESB_NS0_6memory15LoadWithoutCastENSC_16StoreWithoutCastEEEviT_T0_T2_T3_T4_T5_,"axG",@progbits,_ZN2at6native27unrolled_elementwise_kernelIZZZNS0_18lgamma_kernel_cudaERNS_18TensorIteratorBaseEENKUlvE_clEvENKUlvE0_clEvEUlfE_St5arrayIPcLm2EELi4E23TrivialOffsetCalculatorILi1EjESB_NS0_6memory15LoadWithoutCastENSC_16StoreWithoutCastEEEviT_T0_T2_T3_T4_T5_,comdat
	.globl	_ZN2at6native27unrolled_elementwise_kernelIZZZNS0_18lgamma_kernel_cudaERNS_18TensorIteratorBaseEENKUlvE_clEvENKUlvE0_clEvEUlfE_St5arrayIPcLm2EELi4E23TrivialOffsetCalculatorILi1EjESB_NS0_6memory15LoadWithoutCastENSC_16StoreWithoutCastEEEviT_T0_T2_T3_T4_T5_ ; -- Begin function _ZN2at6native27unrolled_elementwise_kernelIZZZNS0_18lgamma_kernel_cudaERNS_18TensorIteratorBaseEENKUlvE_clEvENKUlvE0_clEvEUlfE_St5arrayIPcLm2EELi4E23TrivialOffsetCalculatorILi1EjESB_NS0_6memory15LoadWithoutCastENSC_16StoreWithoutCastEEEviT_T0_T2_T3_T4_T5_
	.p2align	8
	.type	_ZN2at6native27unrolled_elementwise_kernelIZZZNS0_18lgamma_kernel_cudaERNS_18TensorIteratorBaseEENKUlvE_clEvENKUlvE0_clEvEUlfE_St5arrayIPcLm2EELi4E23TrivialOffsetCalculatorILi1EjESB_NS0_6memory15LoadWithoutCastENSC_16StoreWithoutCastEEEviT_T0_T2_T3_T4_T5_,@function
_ZN2at6native27unrolled_elementwise_kernelIZZZNS0_18lgamma_kernel_cudaERNS_18TensorIteratorBaseEENKUlvE_clEvENKUlvE0_clEvEUlfE_St5arrayIPcLm2EELi4E23TrivialOffsetCalculatorILi1EjESB_NS0_6memory15LoadWithoutCastENSC_16StoreWithoutCastEEEviT_T0_T2_T3_T4_T5_: ; @_ZN2at6native27unrolled_elementwise_kernelIZZZNS0_18lgamma_kernel_cudaERNS_18TensorIteratorBaseEENKUlvE_clEvENKUlvE0_clEvEUlfE_St5arrayIPcLm2EELi4E23TrivialOffsetCalculatorILi1EjESB_NS0_6memory15LoadWithoutCastENSC_16StoreWithoutCastEEEviT_T0_T2_T3_T4_T5_
; %bb.0:
	s_add_u32 s0, s0, s7
	s_load_dword s7, s[4:5], 0x0
	s_load_dwordx4 s[8:11], s[4:5], 0x8
	s_addc_u32 s1, s1, 0
	s_lshl_b32 s4, s6, 10
	s_mov_b32 s12, s6
	s_waitcnt lgkmcnt(0)
	s_sub_i32 s7, s7, s4
	s_getpc_b64 s[4:5]
	s_add_u32 s4, s4, _ZN2at6native25elementwise_kernel_helperILb0EZZZNS0_18lgamma_kernel_cudaERNS_18TensorIteratorBaseEENKUlvE_clEvENKUlvE0_clEvEUlfE_NS0_6memory8policies11unroll_baseILi256ESt5arrayIPcLm2EE23TrivialOffsetCalculatorILi1EjESE_NS7_15LoadWithoutCastENS7_16StoreWithoutCastELi4ELi1EEEEEvT0_T1_@rel32@lo+4
	s_addc_u32 s5, s5, _ZN2at6native25elementwise_kernel_helperILb0EZZZNS0_18lgamma_kernel_cudaERNS_18TensorIteratorBaseEENKUlvE_clEvENKUlvE0_clEvEUlfE_NS0_6memory8policies11unroll_baseILi256ESt5arrayIPcLm2EE23TrivialOffsetCalculatorILi1EjESE_NS7_15LoadWithoutCastENS7_16StoreWithoutCastELi4ELi1EEEEEvT0_T1_@rel32@hi+12
	v_mov_b32_e32 v31, v0
	v_mov_b32_e32 v0, s8
	;; [unrolled: 1-line block ×6, first 2 shown]
	s_mov_b32 s32, 0
	s_swappc_b64 s[30:31], s[4:5]
	s_endpgm
	.section	.rodata,"a",@progbits
	.p2align	6, 0x0
	.amdhsa_kernel _ZN2at6native27unrolled_elementwise_kernelIZZZNS0_18lgamma_kernel_cudaERNS_18TensorIteratorBaseEENKUlvE_clEvENKUlvE0_clEvEUlfE_St5arrayIPcLm2EELi4E23TrivialOffsetCalculatorILi1EjESB_NS0_6memory15LoadWithoutCastENSC_16StoreWithoutCastEEEviT_T0_T2_T3_T4_T5_
		.amdhsa_group_segment_fixed_size 0
		.amdhsa_private_segment_fixed_size 0
		.amdhsa_kernarg_size 28
		.amdhsa_user_sgpr_count 6
		.amdhsa_user_sgpr_private_segment_buffer 1
		.amdhsa_user_sgpr_dispatch_ptr 0
		.amdhsa_user_sgpr_queue_ptr 0
		.amdhsa_user_sgpr_kernarg_segment_ptr 1
		.amdhsa_user_sgpr_dispatch_id 0
		.amdhsa_user_sgpr_flat_scratch_init 0
		.amdhsa_user_sgpr_private_segment_size 0
		.amdhsa_uses_dynamic_stack 0
		.amdhsa_system_sgpr_private_segment_wavefront_offset 0
		.amdhsa_system_sgpr_workgroup_id_x 1
		.amdhsa_system_sgpr_workgroup_id_y 0
		.amdhsa_system_sgpr_workgroup_id_z 0
		.amdhsa_system_sgpr_workgroup_info 0
		.amdhsa_system_vgpr_workitem_id 0
		.amdhsa_next_free_vgpr 32
		.amdhsa_next_free_sgpr 33
		.amdhsa_reserve_vcc 1
		.amdhsa_reserve_flat_scratch 0
		.amdhsa_float_round_mode_32 0
		.amdhsa_float_round_mode_16_64 0
		.amdhsa_float_denorm_mode_32 3
		.amdhsa_float_denorm_mode_16_64 3
		.amdhsa_dx10_clamp 1
		.amdhsa_ieee_mode 1
		.amdhsa_fp16_overflow 0
		.amdhsa_exception_fp_ieee_invalid_op 0
		.amdhsa_exception_fp_denorm_src 0
		.amdhsa_exception_fp_ieee_div_zero 0
		.amdhsa_exception_fp_ieee_overflow 0
		.amdhsa_exception_fp_ieee_underflow 0
		.amdhsa_exception_fp_ieee_inexact 0
		.amdhsa_exception_int_div_zero 0
	.end_amdhsa_kernel
	.section	.text._ZN2at6native27unrolled_elementwise_kernelIZZZNS0_18lgamma_kernel_cudaERNS_18TensorIteratorBaseEENKUlvE_clEvENKUlvE0_clEvEUlfE_St5arrayIPcLm2EELi4E23TrivialOffsetCalculatorILi1EjESB_NS0_6memory15LoadWithoutCastENSC_16StoreWithoutCastEEEviT_T0_T2_T3_T4_T5_,"axG",@progbits,_ZN2at6native27unrolled_elementwise_kernelIZZZNS0_18lgamma_kernel_cudaERNS_18TensorIteratorBaseEENKUlvE_clEvENKUlvE0_clEvEUlfE_St5arrayIPcLm2EELi4E23TrivialOffsetCalculatorILi1EjESB_NS0_6memory15LoadWithoutCastENSC_16StoreWithoutCastEEEviT_T0_T2_T3_T4_T5_,comdat
.Lfunc_end141:
	.size	_ZN2at6native27unrolled_elementwise_kernelIZZZNS0_18lgamma_kernel_cudaERNS_18TensorIteratorBaseEENKUlvE_clEvENKUlvE0_clEvEUlfE_St5arrayIPcLm2EELi4E23TrivialOffsetCalculatorILi1EjESB_NS0_6memory15LoadWithoutCastENSC_16StoreWithoutCastEEEviT_T0_T2_T3_T4_T5_, .Lfunc_end141-_ZN2at6native27unrolled_elementwise_kernelIZZZNS0_18lgamma_kernel_cudaERNS_18TensorIteratorBaseEENKUlvE_clEvENKUlvE0_clEvEUlfE_St5arrayIPcLm2EELi4E23TrivialOffsetCalculatorILi1EjESB_NS0_6memory15LoadWithoutCastENSC_16StoreWithoutCastEEEviT_T0_T2_T3_T4_T5_
                                        ; -- End function
	.set _ZN2at6native27unrolled_elementwise_kernelIZZZNS0_18lgamma_kernel_cudaERNS_18TensorIteratorBaseEENKUlvE_clEvENKUlvE0_clEvEUlfE_St5arrayIPcLm2EELi4E23TrivialOffsetCalculatorILi1EjESB_NS0_6memory15LoadWithoutCastENSC_16StoreWithoutCastEEEviT_T0_T2_T3_T4_T5_.num_vgpr, max(32, .L_ZN2at6native25elementwise_kernel_helperILb0EZZZNS0_18lgamma_kernel_cudaERNS_18TensorIteratorBaseEENKUlvE_clEvENKUlvE0_clEvEUlfE_NS0_6memory8policies11unroll_baseILi256ESt5arrayIPcLm2EE23TrivialOffsetCalculatorILi1EjESE_NS7_15LoadWithoutCastENS7_16StoreWithoutCastELi4ELi1EEEEEvT0_T1_.num_vgpr)
	.set _ZN2at6native27unrolled_elementwise_kernelIZZZNS0_18lgamma_kernel_cudaERNS_18TensorIteratorBaseEENKUlvE_clEvENKUlvE0_clEvEUlfE_St5arrayIPcLm2EELi4E23TrivialOffsetCalculatorILi1EjESB_NS0_6memory15LoadWithoutCastENSC_16StoreWithoutCastEEEviT_T0_T2_T3_T4_T5_.num_agpr, max(0, .L_ZN2at6native25elementwise_kernel_helperILb0EZZZNS0_18lgamma_kernel_cudaERNS_18TensorIteratorBaseEENKUlvE_clEvENKUlvE0_clEvEUlfE_NS0_6memory8policies11unroll_baseILi256ESt5arrayIPcLm2EE23TrivialOffsetCalculatorILi1EjESE_NS7_15LoadWithoutCastENS7_16StoreWithoutCastELi4ELi1EEEEEvT0_T1_.num_agpr)
	.set _ZN2at6native27unrolled_elementwise_kernelIZZZNS0_18lgamma_kernel_cudaERNS_18TensorIteratorBaseEENKUlvE_clEvENKUlvE0_clEvEUlfE_St5arrayIPcLm2EELi4E23TrivialOffsetCalculatorILi1EjESB_NS0_6memory15LoadWithoutCastENSC_16StoreWithoutCastEEEviT_T0_T2_T3_T4_T5_.numbered_sgpr, max(33, .L_ZN2at6native25elementwise_kernel_helperILb0EZZZNS0_18lgamma_kernel_cudaERNS_18TensorIteratorBaseEENKUlvE_clEvENKUlvE0_clEvEUlfE_NS0_6memory8policies11unroll_baseILi256ESt5arrayIPcLm2EE23TrivialOffsetCalculatorILi1EjESE_NS7_15LoadWithoutCastENS7_16StoreWithoutCastELi4ELi1EEEEEvT0_T1_.numbered_sgpr)
	.set _ZN2at6native27unrolled_elementwise_kernelIZZZNS0_18lgamma_kernel_cudaERNS_18TensorIteratorBaseEENKUlvE_clEvENKUlvE0_clEvEUlfE_St5arrayIPcLm2EELi4E23TrivialOffsetCalculatorILi1EjESB_NS0_6memory15LoadWithoutCastENSC_16StoreWithoutCastEEEviT_T0_T2_T3_T4_T5_.num_named_barrier, max(0, .L_ZN2at6native25elementwise_kernel_helperILb0EZZZNS0_18lgamma_kernel_cudaERNS_18TensorIteratorBaseEENKUlvE_clEvENKUlvE0_clEvEUlfE_NS0_6memory8policies11unroll_baseILi256ESt5arrayIPcLm2EE23TrivialOffsetCalculatorILi1EjESE_NS7_15LoadWithoutCastENS7_16StoreWithoutCastELi4ELi1EEEEEvT0_T1_.num_named_barrier)
	.set _ZN2at6native27unrolled_elementwise_kernelIZZZNS0_18lgamma_kernel_cudaERNS_18TensorIteratorBaseEENKUlvE_clEvENKUlvE0_clEvEUlfE_St5arrayIPcLm2EELi4E23TrivialOffsetCalculatorILi1EjESB_NS0_6memory15LoadWithoutCastENSC_16StoreWithoutCastEEEviT_T0_T2_T3_T4_T5_.private_seg_size, 0+max(.L_ZN2at6native25elementwise_kernel_helperILb0EZZZNS0_18lgamma_kernel_cudaERNS_18TensorIteratorBaseEENKUlvE_clEvENKUlvE0_clEvEUlfE_NS0_6memory8policies11unroll_baseILi256ESt5arrayIPcLm2EE23TrivialOffsetCalculatorILi1EjESE_NS7_15LoadWithoutCastENS7_16StoreWithoutCastELi4ELi1EEEEEvT0_T1_.private_seg_size)
	.set _ZN2at6native27unrolled_elementwise_kernelIZZZNS0_18lgamma_kernel_cudaERNS_18TensorIteratorBaseEENKUlvE_clEvENKUlvE0_clEvEUlfE_St5arrayIPcLm2EELi4E23TrivialOffsetCalculatorILi1EjESB_NS0_6memory15LoadWithoutCastENSC_16StoreWithoutCastEEEviT_T0_T2_T3_T4_T5_.uses_vcc, or(1, .L_ZN2at6native25elementwise_kernel_helperILb0EZZZNS0_18lgamma_kernel_cudaERNS_18TensorIteratorBaseEENKUlvE_clEvENKUlvE0_clEvEUlfE_NS0_6memory8policies11unroll_baseILi256ESt5arrayIPcLm2EE23TrivialOffsetCalculatorILi1EjESE_NS7_15LoadWithoutCastENS7_16StoreWithoutCastELi4ELi1EEEEEvT0_T1_.uses_vcc)
	.set _ZN2at6native27unrolled_elementwise_kernelIZZZNS0_18lgamma_kernel_cudaERNS_18TensorIteratorBaseEENKUlvE_clEvENKUlvE0_clEvEUlfE_St5arrayIPcLm2EELi4E23TrivialOffsetCalculatorILi1EjESB_NS0_6memory15LoadWithoutCastENSC_16StoreWithoutCastEEEviT_T0_T2_T3_T4_T5_.uses_flat_scratch, or(0, .L_ZN2at6native25elementwise_kernel_helperILb0EZZZNS0_18lgamma_kernel_cudaERNS_18TensorIteratorBaseEENKUlvE_clEvENKUlvE0_clEvEUlfE_NS0_6memory8policies11unroll_baseILi256ESt5arrayIPcLm2EE23TrivialOffsetCalculatorILi1EjESE_NS7_15LoadWithoutCastENS7_16StoreWithoutCastELi4ELi1EEEEEvT0_T1_.uses_flat_scratch)
	.set _ZN2at6native27unrolled_elementwise_kernelIZZZNS0_18lgamma_kernel_cudaERNS_18TensorIteratorBaseEENKUlvE_clEvENKUlvE0_clEvEUlfE_St5arrayIPcLm2EELi4E23TrivialOffsetCalculatorILi1EjESB_NS0_6memory15LoadWithoutCastENSC_16StoreWithoutCastEEEviT_T0_T2_T3_T4_T5_.has_dyn_sized_stack, or(0, .L_ZN2at6native25elementwise_kernel_helperILb0EZZZNS0_18lgamma_kernel_cudaERNS_18TensorIteratorBaseEENKUlvE_clEvENKUlvE0_clEvEUlfE_NS0_6memory8policies11unroll_baseILi256ESt5arrayIPcLm2EE23TrivialOffsetCalculatorILi1EjESE_NS7_15LoadWithoutCastENS7_16StoreWithoutCastELi4ELi1EEEEEvT0_T1_.has_dyn_sized_stack)
	.set _ZN2at6native27unrolled_elementwise_kernelIZZZNS0_18lgamma_kernel_cudaERNS_18TensorIteratorBaseEENKUlvE_clEvENKUlvE0_clEvEUlfE_St5arrayIPcLm2EELi4E23TrivialOffsetCalculatorILi1EjESB_NS0_6memory15LoadWithoutCastENSC_16StoreWithoutCastEEEviT_T0_T2_T3_T4_T5_.has_recursion, or(0, .L_ZN2at6native25elementwise_kernel_helperILb0EZZZNS0_18lgamma_kernel_cudaERNS_18TensorIteratorBaseEENKUlvE_clEvENKUlvE0_clEvEUlfE_NS0_6memory8policies11unroll_baseILi256ESt5arrayIPcLm2EE23TrivialOffsetCalculatorILi1EjESE_NS7_15LoadWithoutCastENS7_16StoreWithoutCastELi4ELi1EEEEEvT0_T1_.has_recursion)
	.set _ZN2at6native27unrolled_elementwise_kernelIZZZNS0_18lgamma_kernel_cudaERNS_18TensorIteratorBaseEENKUlvE_clEvENKUlvE0_clEvEUlfE_St5arrayIPcLm2EELi4E23TrivialOffsetCalculatorILi1EjESB_NS0_6memory15LoadWithoutCastENSC_16StoreWithoutCastEEEviT_T0_T2_T3_T4_T5_.has_indirect_call, or(0, .L_ZN2at6native25elementwise_kernel_helperILb0EZZZNS0_18lgamma_kernel_cudaERNS_18TensorIteratorBaseEENKUlvE_clEvENKUlvE0_clEvEUlfE_NS0_6memory8policies11unroll_baseILi256ESt5arrayIPcLm2EE23TrivialOffsetCalculatorILi1EjESE_NS7_15LoadWithoutCastENS7_16StoreWithoutCastELi4ELi1EEEEEvT0_T1_.has_indirect_call)
	.section	.AMDGPU.csdata,"",@progbits
; Kernel info:
; codeLenInByte = 96
; TotalNumSgprs: 37
; NumVgprs: 32
; ScratchSize: 0
; MemoryBound: 0
; FloatMode: 240
; IeeeMode: 1
; LDSByteSize: 0 bytes/workgroup (compile time only)
; SGPRBlocks: 4
; VGPRBlocks: 7
; NumSGPRsForWavesPerEU: 37
; NumVGPRsForWavesPerEU: 32
; Occupancy: 8
; WaveLimiterHint : 0
; COMPUTE_PGM_RSRC2:SCRATCH_EN: 0
; COMPUTE_PGM_RSRC2:USER_SGPR: 6
; COMPUTE_PGM_RSRC2:TRAP_HANDLER: 0
; COMPUTE_PGM_RSRC2:TGID_X_EN: 1
; COMPUTE_PGM_RSRC2:TGID_Y_EN: 0
; COMPUTE_PGM_RSRC2:TGID_Z_EN: 0
; COMPUTE_PGM_RSRC2:TIDIG_COMP_CNT: 0
	.section	.text._ZN2at6native32elementwise_kernel_manual_unrollILi128ELi4EZNS0_22gpu_kernel_impl_nocastIZZZNS0_18lgamma_kernel_cudaERNS_18TensorIteratorBaseEENKUlvE_clEvENKUlvE0_clEvEUlfE_EEvS4_RKT_EUlibE_EEviT1_,"axG",@progbits,_ZN2at6native32elementwise_kernel_manual_unrollILi128ELi4EZNS0_22gpu_kernel_impl_nocastIZZZNS0_18lgamma_kernel_cudaERNS_18TensorIteratorBaseEENKUlvE_clEvENKUlvE0_clEvEUlfE_EEvS4_RKT_EUlibE_EEviT1_,comdat
	.globl	_ZN2at6native32elementwise_kernel_manual_unrollILi128ELi4EZNS0_22gpu_kernel_impl_nocastIZZZNS0_18lgamma_kernel_cudaERNS_18TensorIteratorBaseEENKUlvE_clEvENKUlvE0_clEvEUlfE_EEvS4_RKT_EUlibE_EEviT1_ ; -- Begin function _ZN2at6native32elementwise_kernel_manual_unrollILi128ELi4EZNS0_22gpu_kernel_impl_nocastIZZZNS0_18lgamma_kernel_cudaERNS_18TensorIteratorBaseEENKUlvE_clEvENKUlvE0_clEvEUlfE_EEvS4_RKT_EUlibE_EEviT1_
	.p2align	8
	.type	_ZN2at6native32elementwise_kernel_manual_unrollILi128ELi4EZNS0_22gpu_kernel_impl_nocastIZZZNS0_18lgamma_kernel_cudaERNS_18TensorIteratorBaseEENKUlvE_clEvENKUlvE0_clEvEUlfE_EEvS4_RKT_EUlibE_EEviT1_,@function
_ZN2at6native32elementwise_kernel_manual_unrollILi128ELi4EZNS0_22gpu_kernel_impl_nocastIZZZNS0_18lgamma_kernel_cudaERNS_18TensorIteratorBaseEENKUlvE_clEvENKUlvE0_clEvEUlfE_EEvS4_RKT_EUlibE_EEviT1_: ; @_ZN2at6native32elementwise_kernel_manual_unrollILi128ELi4EZNS0_22gpu_kernel_impl_nocastIZZZNS0_18lgamma_kernel_cudaERNS_18TensorIteratorBaseEENKUlvE_clEvENKUlvE0_clEvEUlfE_EEvS4_RKT_EUlibE_EEviT1_
; %bb.0:
	s_load_dword s55, s[4:5], 0x0
	s_load_dword s33, s[4:5], 0x8
	s_add_u32 s34, s4, 8
	s_addc_u32 s35, s5, 0
	v_lshl_or_b32 v4, s6, 9, v0
	v_or_b32_e32 v13, 0x180, v4
	s_waitcnt lgkmcnt(0)
	s_add_i32 s54, s33, -1
	s_cmp_gt_u32 s54, 1
	v_cmp_le_i32_e32 vcc, s55, v13
	s_cselect_b64 s[36:37], -1, 0
	s_and_saveexec_b64 s[0:1], vcc
	s_xor_b64 s[38:39], exec, s[0:1]
	s_cbranch_execz .LBB142_7
; %bb.1:
	s_load_dwordx4 s[24:27], s[34:35], 0x4
	s_load_dwordx2 s[40:41], s[34:35], 0x14
	s_load_dwordx4 s[20:23], s[34:35], 0xc4
	s_load_dwordx4 s[16:19], s[34:35], 0x148
	s_cmp_lg_u32 s33, 0
	s_cselect_b64 s[46:47], -1, 0
	s_add_u32 s44, s34, 0xc4
	s_addc_u32 s45, s35, 0
	s_min_u32 s56, s54, 15
	s_cmp_gt_u32 s33, 1
	s_cselect_b64 s[42:43], -1, 0
	v_cmp_gt_i32_e32 vcc, s55, v4
	s_and_saveexec_b64 s[48:49], vcc
	s_cbranch_execz .LBB142_14
; %bb.2:
	s_andn2_b64 vcc, exec, s[36:37]
	s_cbranch_vccnz .LBB142_21
; %bb.3:
	s_andn2_b64 vcc, exec, s[46:47]
	s_cbranch_vccnz .LBB142_225
; %bb.4:
	s_add_i32 s58, s56, 1
	s_cmp_eq_u32 s54, 2
	s_cbranch_scc1 .LBB142_227
; %bb.5:
	s_and_b32 s57, s58, 28
	v_mov_b32_e32 v2, 0
	s_mov_b32 s59, 0
	s_mov_b64 s[50:51], s[34:35]
	s_mov_b64 s[52:53], s[44:45]
	v_mov_b32_e32 v0, 0
	v_mov_b32_e32 v1, v4
.LBB142_6:                              ; =>This Inner Loop Header: Depth=1
	s_load_dwordx8 s[8:15], s[50:51], 0x4
	s_load_dwordx4 s[28:31], s[50:51], 0x24
	s_load_dwordx8 s[0:7], s[52:53], 0x0
	s_add_u32 s50, s50, 48
	s_addc_u32 s51, s51, 0
	s_waitcnt lgkmcnt(0)
	v_mul_hi_u32 v3, s9, v1
	s_add_i32 s59, s59, 4
	s_add_u32 s52, s52, 32
	s_addc_u32 s53, s53, 0
	v_add_u32_e32 v3, v1, v3
	v_lshrrev_b32_e32 v3, s10, v3
	v_mul_lo_u32 v5, v3, s8
	v_mul_hi_u32 v6, s12, v3
	s_cmp_lg_u32 s57, s59
	v_sub_u32_e32 v1, v1, v5
	v_add_u32_e32 v5, v3, v6
	v_mul_lo_u32 v6, v1, s0
	v_mul_lo_u32 v7, v1, s1
	v_lshrrev_b32_e32 v1, s13, v5
	v_mul_lo_u32 v5, v1, s11
	v_mul_hi_u32 v8, s15, v1
	v_sub_u32_e32 v3, v3, v5
	v_add_u32_e32 v5, v1, v8
	v_lshrrev_b32_e32 v5, s28, v5
	v_mul_hi_u32 v9, s30, v5
	v_mul_lo_u32 v10, v5, s14
	v_mul_lo_u32 v8, v3, s2
	;; [unrolled: 1-line block ×3, first 2 shown]
	v_sub_u32_e32 v10, v1, v10
	v_add_u32_e32 v1, v5, v9
	v_lshrrev_b32_e32 v1, s31, v1
	v_mul_lo_u32 v9, v1, s29
	v_mul_lo_u32 v11, v10, s4
	;; [unrolled: 1-line block ×3, first 2 shown]
	v_add3_u32 v0, v6, v0, v8
	v_sub_u32_e32 v5, v5, v9
	v_mul_lo_u32 v9, v5, s6
	v_mul_lo_u32 v5, v5, s7
	v_add3_u32 v2, v7, v2, v3
	v_add3_u32 v0, v11, v0, v9
	;; [unrolled: 1-line block ×3, first 2 shown]
	s_cbranch_scc1 .LBB142_6
	s_branch .LBB142_228
.LBB142_7:
	s_andn2_saveexec_b64 s[0:1], s[38:39]
	s_cbranch_execz .LBB142_329
.LBB142_8:
	v_cndmask_b32_e64 v0, 0, 1, s[36:37]
	v_cmp_ne_u32_e64 s[0:1], 1, v0
	s_andn2_b64 vcc, exec, s[36:37]
	s_cbranch_vccnz .LBB142_20
; %bb.9:
	s_cmp_lg_u32 s33, 0
	s_waitcnt lgkmcnt(0)
	s_mov_b32 s26, 0
	s_cbranch_scc0 .LBB142_23
; %bb.10:
	s_min_u32 s27, s54, 15
	s_add_i32 s27, s27, 1
	s_cmp_eq_u32 s54, 2
	s_cbranch_scc1 .LBB142_24
; %bb.11:
	s_and_b32 s26, s27, 28
	s_add_u32 s2, s34, 0xc4
	s_addc_u32 s3, s35, 0
	v_mov_b32_e32 v11, 0
	s_mov_b32 s28, 0
	s_mov_b64 s[24:25], s[34:35]
	v_mov_b32_e32 v0, 0
	v_mov_b32_e32 v1, v4
.LBB142_12:                             ; =>This Inner Loop Header: Depth=1
	s_load_dwordx8 s[12:19], s[24:25], 0x4
	s_load_dwordx4 s[20:23], s[24:25], 0x24
	s_load_dwordx8 s[4:11], s[2:3], 0x0
	s_add_u32 s24, s24, 48
	s_addc_u32 s25, s25, 0
	s_waitcnt lgkmcnt(0)
	v_mul_hi_u32 v2, s13, v1
	s_add_i32 s28, s28, 4
	s_add_u32 s2, s2, 32
	s_addc_u32 s3, s3, 0
	v_add_u32_e32 v2, v1, v2
	v_lshrrev_b32_e32 v2, s14, v2
	v_mul_lo_u32 v3, v2, s12
	v_mul_hi_u32 v5, s16, v2
	s_cmp_lg_u32 s26, s28
	v_sub_u32_e32 v1, v1, v3
	v_add_u32_e32 v3, v2, v5
	v_mul_lo_u32 v5, v1, s4
	v_mul_lo_u32 v6, v1, s5
	v_lshrrev_b32_e32 v1, s17, v3
	v_mul_lo_u32 v3, v1, s15
	v_mul_hi_u32 v7, s19, v1
	v_sub_u32_e32 v2, v2, v3
	v_add_u32_e32 v3, v1, v7
	v_lshrrev_b32_e32 v3, s20, v3
	v_mul_hi_u32 v8, s22, v3
	v_mul_lo_u32 v9, v3, s18
	v_mul_lo_u32 v7, v2, s6
	;; [unrolled: 1-line block ×3, first 2 shown]
	v_sub_u32_e32 v9, v1, v9
	v_add_u32_e32 v1, v3, v8
	v_lshrrev_b32_e32 v1, s23, v1
	v_mul_lo_u32 v8, v1, s21
	v_mul_lo_u32 v10, v9, s8
	;; [unrolled: 1-line block ×3, first 2 shown]
	v_add3_u32 v0, v5, v0, v7
	v_sub_u32_e32 v3, v3, v8
	v_mul_lo_u32 v8, v3, s10
	v_mul_lo_u32 v3, v3, s11
	v_add3_u32 v2, v6, v11, v2
	v_add3_u32 v0, v10, v0, v8
	v_add3_u32 v11, v9, v2, v3
	s_cbranch_scc1 .LBB142_12
; %bb.13:
	s_and_b32 s6, s27, 3
	s_cmp_eq_u32 s6, 0
	s_cbranch_scc0 .LBB142_25
	s_branch .LBB142_27
.LBB142_14:
	s_or_b64 exec, exec, s[48:49]
	v_cmp_gt_i32_e32 vcc, s55, v4
	s_and_saveexec_b64 s[48:49], vcc
	s_cbranch_execz .LBB142_273
.LBB142_15:
	s_andn2_b64 vcc, exec, s[36:37]
	s_cbranch_vccnz .LBB142_22
; %bb.16:
	s_andn2_b64 vcc, exec, s[46:47]
	s_cbranch_vccnz .LBB142_226
; %bb.17:
	s_add_i32 s58, s56, 1
	s_cmp_eq_u32 s54, 2
	s_cbranch_scc1 .LBB142_281
; %bb.18:
	s_and_b32 s57, s58, 28
	v_mov_b32_e32 v2, 0
	s_mov_b32 s59, 0
	s_mov_b64 s[50:51], s[34:35]
	s_mov_b64 s[52:53], s[44:45]
	v_mov_b32_e32 v0, 0
	v_mov_b32_e32 v1, v4
.LBB142_19:                             ; =>This Inner Loop Header: Depth=1
	s_load_dwordx8 s[8:15], s[50:51], 0x4
	s_load_dwordx4 s[28:31], s[50:51], 0x24
	s_load_dwordx8 s[0:7], s[52:53], 0x0
	s_add_u32 s50, s50, 48
	s_addc_u32 s51, s51, 0
	s_waitcnt lgkmcnt(0)
	v_mul_hi_u32 v3, s9, v1
	s_add_i32 s59, s59, 4
	s_add_u32 s52, s52, 32
	s_addc_u32 s53, s53, 0
	v_add_u32_e32 v3, v1, v3
	v_lshrrev_b32_e32 v3, s10, v3
	v_mul_lo_u32 v5, v3, s8
	v_mul_hi_u32 v6, s12, v3
	s_cmp_eq_u32 s57, s59
	v_sub_u32_e32 v1, v1, v5
	v_add_u32_e32 v5, v3, v6
	v_mul_lo_u32 v6, v1, s0
	v_mul_lo_u32 v7, v1, s1
	v_lshrrev_b32_e32 v1, s13, v5
	v_mul_lo_u32 v5, v1, s11
	v_mul_hi_u32 v8, s15, v1
	v_sub_u32_e32 v3, v3, v5
	v_add_u32_e32 v5, v1, v8
	v_lshrrev_b32_e32 v5, s28, v5
	v_mul_hi_u32 v9, s30, v5
	v_mul_lo_u32 v10, v5, s14
	v_mul_lo_u32 v8, v3, s2
	;; [unrolled: 1-line block ×3, first 2 shown]
	v_sub_u32_e32 v10, v1, v10
	v_add_u32_e32 v1, v5, v9
	v_lshrrev_b32_e32 v1, s31, v1
	v_mul_lo_u32 v9, v1, s29
	v_mul_lo_u32 v11, v10, s4
	;; [unrolled: 1-line block ×3, first 2 shown]
	v_add3_u32 v0, v6, v0, v8
	v_sub_u32_e32 v5, v5, v9
	v_mul_lo_u32 v9, v5, s6
	v_mul_lo_u32 v5, v5, s7
	v_add3_u32 v2, v7, v2, v3
	v_add3_u32 v0, v11, v0, v9
	;; [unrolled: 1-line block ×3, first 2 shown]
	s_cbranch_scc0 .LBB142_19
	s_branch .LBB142_282
.LBB142_20:
                                        ; implicit-def: $vgpr0
                                        ; implicit-def: $vgpr11
	s_branch .LBB142_28
.LBB142_21:
                                        ; implicit-def: $vgpr0
                                        ; implicit-def: $vgpr2
	s_branch .LBB142_232
.LBB142_22:
                                        ; implicit-def: $vgpr0
                                        ; implicit-def: $vgpr2
	s_branch .LBB142_286
.LBB142_23:
	v_mov_b32_e32 v0, 0
	v_mov_b32_e32 v11, 0
	s_branch .LBB142_27
.LBB142_24:
	v_mov_b32_e32 v0, 0
	v_mov_b32_e32 v11, 0
	;; [unrolled: 1-line block ×3, first 2 shown]
	s_and_b32 s6, s27, 3
	s_cmp_eq_u32 s6, 0
	s_cbranch_scc1 .LBB142_27
.LBB142_25:
	s_lshl_b32 s2, s26, 3
	s_add_u32 s2, s34, s2
	s_addc_u32 s3, s35, 0
	s_add_u32 s2, s2, 0xc4
	s_addc_u32 s3, s3, 0
	s_mul_i32 s4, s26, 12
	s_add_u32 s4, s34, s4
	s_addc_u32 s5, s35, 0
.LBB142_26:                             ; =>This Inner Loop Header: Depth=1
	s_load_dwordx2 s[8:9], s[4:5], 0x4
	s_load_dword s7, s[4:5], 0xc
	s_load_dwordx2 s[10:11], s[2:3], 0x0
	s_add_u32 s4, s4, 12
	s_addc_u32 s5, s5, 0
	s_waitcnt lgkmcnt(0)
	v_mul_hi_u32 v2, s9, v1
	s_add_u32 s2, s2, 8
	s_addc_u32 s3, s3, 0
	s_add_i32 s6, s6, -1
	v_add_u32_e32 v2, v1, v2
	v_lshrrev_b32_e32 v2, s7, v2
	v_mul_lo_u32 v3, v2, s8
	s_cmp_lg_u32 s6, 0
	v_sub_u32_e32 v3, v1, v3
	v_mad_u64_u32 v[0:1], s[8:9], v3, s10, v[0:1]
	v_mad_u64_u32 v[11:12], s[8:9], v3, s11, v[11:12]
	v_mov_b32_e32 v1, v2
	s_cbranch_scc1 .LBB142_26
.LBB142_27:
	s_cbranch_execnz .LBB142_30
.LBB142_28:
	s_load_dwordx4 s[4:7], s[34:35], 0x4
	s_load_dwordx2 s[2:3], s[34:35], 0xc4
	s_cmp_lt_u32 s33, 2
	s_waitcnt lgkmcnt(0)
	v_mul_hi_u32 v0, s5, v4
	v_add_u32_e32 v0, v4, v0
	v_lshrrev_b32_e32 v1, s6, v0
	v_mul_lo_u32 v0, v1, s4
	v_sub_u32_e32 v2, v4, v0
	v_mul_lo_u32 v0, v2, s2
	v_mul_lo_u32 v11, v2, s3
	s_cbranch_scc1 .LBB142_30
; %bb.29:
	s_load_dwordx4 s[4:7], s[34:35], 0x10
	s_load_dwordx2 s[2:3], s[34:35], 0xcc
	s_waitcnt lgkmcnt(0)
	v_mul_hi_u32 v2, s5, v1
	v_add_u32_e32 v2, v1, v2
	v_lshrrev_b32_e32 v2, s6, v2
	v_mul_lo_u32 v2, v2, s4
	v_sub_u32_e32 v2, v1, v2
	v_mad_u64_u32 v[0:1], s[4:5], v2, s2, v[0:1]
	v_mad_u64_u32 v[11:12], s[2:3], v2, s3, v[11:12]
.LBB142_30:
	s_and_b64 vcc, exec, s[0:1]
	v_add_u32_e32 v3, 0x80, v4
	s_cbranch_vccnz .LBB142_36
; %bb.31:
	s_cmp_lg_u32 s33, 0
	s_waitcnt lgkmcnt(0)
	s_mov_b32 s26, 0
	s_cbranch_scc0 .LBB142_37
; %bb.32:
	s_min_u32 s27, s54, 15
	s_add_i32 s27, s27, 1
	s_cmp_eq_u32 s54, 2
	s_cbranch_scc1 .LBB142_38
; %bb.33:
	s_and_b32 s26, s27, 28
	s_add_u32 s2, s34, 0xc4
	s_addc_u32 s3, s35, 0
	v_mov_b32_e32 v9, 0
	s_mov_b32 s28, 0
	s_mov_b64 s[24:25], s[34:35]
	v_mov_b32_e32 v1, 0
	v_mov_b32_e32 v2, v3
.LBB142_34:                             ; =>This Inner Loop Header: Depth=1
	s_load_dwordx8 s[12:19], s[24:25], 0x4
	s_load_dwordx4 s[20:23], s[24:25], 0x24
	s_load_dwordx8 s[4:11], s[2:3], 0x0
	s_add_u32 s24, s24, 48
	s_addc_u32 s25, s25, 0
	s_waitcnt lgkmcnt(0)
	v_mul_hi_u32 v5, s13, v2
	s_add_i32 s28, s28, 4
	s_add_u32 s2, s2, 32
	s_addc_u32 s3, s3, 0
	v_add_u32_e32 v5, v2, v5
	v_lshrrev_b32_e32 v5, s14, v5
	v_mul_lo_u32 v6, v5, s12
	v_mul_hi_u32 v7, s16, v5
	s_cmp_lg_u32 s26, s28
	v_sub_u32_e32 v2, v2, v6
	v_add_u32_e32 v6, v5, v7
	v_mul_lo_u32 v7, v2, s4
	v_mul_lo_u32 v8, v2, s5
	v_lshrrev_b32_e32 v2, s17, v6
	v_mul_lo_u32 v6, v2, s15
	v_mul_hi_u32 v10, s19, v2
	v_sub_u32_e32 v5, v5, v6
	v_add_u32_e32 v6, v2, v10
	v_lshrrev_b32_e32 v6, s20, v6
	v_mul_hi_u32 v12, s22, v6
	v_mul_lo_u32 v14, v6, s18
	v_mul_lo_u32 v10, v5, s6
	;; [unrolled: 1-line block ×3, first 2 shown]
	v_sub_u32_e32 v14, v2, v14
	v_add_u32_e32 v2, v6, v12
	v_lshrrev_b32_e32 v2, s23, v2
	v_mul_lo_u32 v12, v2, s21
	v_mul_lo_u32 v15, v14, s8
	;; [unrolled: 1-line block ×3, first 2 shown]
	v_add3_u32 v1, v7, v1, v10
	v_sub_u32_e32 v6, v6, v12
	v_mul_lo_u32 v12, v6, s10
	v_mul_lo_u32 v6, v6, s11
	v_add3_u32 v5, v8, v9, v5
	v_add3_u32 v1, v15, v1, v12
	;; [unrolled: 1-line block ×3, first 2 shown]
	s_cbranch_scc1 .LBB142_34
; %bb.35:
	s_and_b32 s6, s27, 3
	s_cmp_eq_u32 s6, 0
	s_cbranch_scc0 .LBB142_39
	s_branch .LBB142_41
.LBB142_36:
                                        ; implicit-def: $vgpr1
                                        ; implicit-def: $vgpr9
	s_branch .LBB142_42
.LBB142_37:
	v_mov_b32_e32 v1, 0
	v_mov_b32_e32 v9, 0
	s_branch .LBB142_41
.LBB142_38:
	v_mov_b32_e32 v1, 0
	v_mov_b32_e32 v9, 0
	;; [unrolled: 1-line block ×3, first 2 shown]
	s_and_b32 s6, s27, 3
	s_cmp_eq_u32 s6, 0
	s_cbranch_scc1 .LBB142_41
.LBB142_39:
	s_lshl_b32 s2, s26, 3
	s_add_u32 s2, s34, s2
	s_addc_u32 s3, s35, 0
	s_add_u32 s2, s2, 0xc4
	s_addc_u32 s3, s3, 0
	s_mul_i32 s4, s26, 12
	s_add_u32 s4, s34, s4
	s_addc_u32 s5, s35, 0
.LBB142_40:                             ; =>This Inner Loop Header: Depth=1
	s_load_dwordx2 s[8:9], s[4:5], 0x4
	s_load_dword s7, s[4:5], 0xc
	s_load_dwordx2 s[10:11], s[2:3], 0x0
	s_add_u32 s4, s4, 12
	s_addc_u32 s5, s5, 0
	s_waitcnt lgkmcnt(0)
	v_mul_hi_u32 v5, s9, v2
	s_add_u32 s2, s2, 8
	s_addc_u32 s3, s3, 0
	s_add_i32 s6, s6, -1
	v_add_u32_e32 v5, v2, v5
	v_lshrrev_b32_e32 v5, s7, v5
	v_mul_lo_u32 v6, v5, s8
	s_cmp_lg_u32 s6, 0
	v_sub_u32_e32 v6, v2, v6
	v_mad_u64_u32 v[1:2], s[8:9], v6, s10, v[1:2]
	v_mad_u64_u32 v[9:10], s[8:9], v6, s11, v[9:10]
	v_mov_b32_e32 v2, v5
	s_cbranch_scc1 .LBB142_40
.LBB142_41:
	s_cbranch_execnz .LBB142_44
.LBB142_42:
	s_load_dwordx4 s[4:7], s[34:35], 0x4
	s_load_dwordx2 s[2:3], s[34:35], 0xc4
	s_cmp_lt_u32 s33, 2
	s_waitcnt lgkmcnt(0)
	v_mul_hi_u32 v1, s5, v3
	v_add_u32_e32 v1, v3, v1
	v_lshrrev_b32_e32 v2, s6, v1
	v_mul_lo_u32 v1, v2, s4
	v_sub_u32_e32 v3, v3, v1
	v_mul_lo_u32 v1, v3, s2
	v_mul_lo_u32 v9, v3, s3
	s_cbranch_scc1 .LBB142_44
; %bb.43:
	s_load_dwordx4 s[4:7], s[34:35], 0x10
	s_load_dwordx2 s[2:3], s[34:35], 0xcc
	s_waitcnt lgkmcnt(0)
	v_mul_hi_u32 v3, s5, v2
	v_add_u32_e32 v3, v2, v3
	v_lshrrev_b32_e32 v3, s6, v3
	v_mul_lo_u32 v3, v3, s4
	v_sub_u32_e32 v3, v2, v3
	v_mad_u64_u32 v[1:2], s[4:5], v3, s2, v[1:2]
	v_mad_u64_u32 v[9:10], s[2:3], v3, s3, v[9:10]
.LBB142_44:
	s_and_b64 vcc, exec, s[0:1]
	v_add_u32_e32 v4, 0x100, v4
	s_cbranch_vccnz .LBB142_50
; %bb.45:
	s_cmp_lg_u32 s33, 0
	s_waitcnt lgkmcnt(0)
	s_mov_b32 s26, 0
	s_cbranch_scc0 .LBB142_51
; %bb.46:
	s_min_u32 s27, s54, 15
	s_add_i32 s27, s27, 1
	s_cmp_eq_u32 s54, 2
	s_cbranch_scc1 .LBB142_52
; %bb.47:
	s_and_b32 s26, s27, 28
	s_add_u32 s2, s34, 0xc4
	s_addc_u32 s3, s35, 0
	v_mov_b32_e32 v7, 0
	s_mov_b32 s28, 0
	s_mov_b64 s[24:25], s[34:35]
	v_mov_b32_e32 v2, 0
	v_mov_b32_e32 v3, v4
.LBB142_48:                             ; =>This Inner Loop Header: Depth=1
	s_load_dwordx8 s[12:19], s[24:25], 0x4
	s_load_dwordx4 s[20:23], s[24:25], 0x24
	s_load_dwordx8 s[4:11], s[2:3], 0x0
	s_add_u32 s24, s24, 48
	s_addc_u32 s25, s25, 0
	s_waitcnt lgkmcnt(0)
	v_mul_hi_u32 v5, s13, v3
	s_add_i32 s28, s28, 4
	s_add_u32 s2, s2, 32
	s_addc_u32 s3, s3, 0
	v_add_u32_e32 v5, v3, v5
	v_lshrrev_b32_e32 v5, s14, v5
	v_mul_lo_u32 v6, v5, s12
	v_mul_hi_u32 v8, s16, v5
	s_cmp_lg_u32 s26, s28
	v_sub_u32_e32 v3, v3, v6
	v_add_u32_e32 v6, v5, v8
	v_mul_lo_u32 v8, v3, s4
	v_mul_lo_u32 v10, v3, s5
	v_lshrrev_b32_e32 v3, s17, v6
	v_mul_lo_u32 v6, v3, s15
	v_mul_hi_u32 v12, s19, v3
	v_sub_u32_e32 v5, v5, v6
	v_add_u32_e32 v6, v3, v12
	v_lshrrev_b32_e32 v6, s20, v6
	v_mul_hi_u32 v14, s22, v6
	v_mul_lo_u32 v15, v6, s18
	v_mul_lo_u32 v12, v5, s6
	v_mul_lo_u32 v5, v5, s7
	v_sub_u32_e32 v15, v3, v15
	v_add_u32_e32 v3, v6, v14
	v_lshrrev_b32_e32 v3, s23, v3
	v_mul_lo_u32 v14, v3, s21
	v_mul_lo_u32 v16, v15, s8
	;; [unrolled: 1-line block ×3, first 2 shown]
	v_add3_u32 v2, v8, v2, v12
	v_sub_u32_e32 v6, v6, v14
	v_mul_lo_u32 v14, v6, s10
	v_mul_lo_u32 v6, v6, s11
	v_add3_u32 v5, v10, v7, v5
	v_add3_u32 v2, v16, v2, v14
	;; [unrolled: 1-line block ×3, first 2 shown]
	s_cbranch_scc1 .LBB142_48
; %bb.49:
	s_and_b32 s6, s27, 3
	s_cmp_eq_u32 s6, 0
	s_cbranch_scc0 .LBB142_53
	s_branch .LBB142_55
.LBB142_50:
                                        ; implicit-def: $vgpr2
                                        ; implicit-def: $vgpr7
	s_branch .LBB142_56
.LBB142_51:
	v_mov_b32_e32 v2, 0
	v_mov_b32_e32 v7, 0
	s_branch .LBB142_55
.LBB142_52:
	v_mov_b32_e32 v2, 0
	v_mov_b32_e32 v7, 0
	;; [unrolled: 1-line block ×3, first 2 shown]
	s_and_b32 s6, s27, 3
	s_cmp_eq_u32 s6, 0
	s_cbranch_scc1 .LBB142_55
.LBB142_53:
	s_lshl_b32 s2, s26, 3
	s_add_u32 s2, s34, s2
	s_addc_u32 s3, s35, 0
	s_add_u32 s2, s2, 0xc4
	s_addc_u32 s3, s3, 0
	s_mul_i32 s4, s26, 12
	s_add_u32 s4, s34, s4
	s_addc_u32 s5, s35, 0
.LBB142_54:                             ; =>This Inner Loop Header: Depth=1
	s_load_dwordx2 s[8:9], s[4:5], 0x4
	s_load_dword s7, s[4:5], 0xc
	s_load_dwordx2 s[10:11], s[2:3], 0x0
	s_add_u32 s4, s4, 12
	s_addc_u32 s5, s5, 0
	s_waitcnt lgkmcnt(0)
	v_mul_hi_u32 v5, s9, v3
	s_add_u32 s2, s2, 8
	s_addc_u32 s3, s3, 0
	s_add_i32 s6, s6, -1
	v_add_u32_e32 v5, v3, v5
	v_lshrrev_b32_e32 v5, s7, v5
	v_mul_lo_u32 v6, v5, s8
	s_cmp_lg_u32 s6, 0
	v_sub_u32_e32 v6, v3, v6
	v_mad_u64_u32 v[2:3], s[8:9], v6, s10, v[2:3]
	v_mad_u64_u32 v[7:8], s[8:9], v6, s11, v[7:8]
	v_mov_b32_e32 v3, v5
	s_cbranch_scc1 .LBB142_54
.LBB142_55:
	s_cbranch_execnz .LBB142_58
.LBB142_56:
	s_load_dwordx4 s[4:7], s[34:35], 0x4
	s_load_dwordx2 s[2:3], s[34:35], 0xc4
	s_cmp_lt_u32 s33, 2
	s_waitcnt lgkmcnt(0)
	v_mul_hi_u32 v2, s5, v4
	v_add_u32_e32 v2, v4, v2
	v_lshrrev_b32_e32 v3, s6, v2
	v_mul_lo_u32 v2, v3, s4
	v_sub_u32_e32 v4, v4, v2
	v_mul_lo_u32 v2, v4, s2
	v_mul_lo_u32 v7, v4, s3
	s_cbranch_scc1 .LBB142_58
; %bb.57:
	s_load_dwordx4 s[4:7], s[34:35], 0x10
	s_load_dwordx2 s[2:3], s[34:35], 0xcc
	s_waitcnt lgkmcnt(0)
	v_mul_hi_u32 v4, s5, v3
	v_add_u32_e32 v4, v3, v4
	v_lshrrev_b32_e32 v4, s6, v4
	v_mul_lo_u32 v4, v4, s4
	v_sub_u32_e32 v4, v3, v4
	v_mad_u64_u32 v[2:3], s[4:5], v4, s2, v[2:3]
	v_mad_u64_u32 v[7:8], s[2:3], v4, s3, v[7:8]
.LBB142_58:
	s_and_b64 vcc, exec, s[0:1]
	s_cbranch_vccnz .LBB142_64
; %bb.59:
	s_cmp_lg_u32 s33, 0
	s_waitcnt lgkmcnt(0)
	s_mov_b32 s24, 0
	s_cbranch_scc0 .LBB142_65
; %bb.60:
	s_min_u32 s25, s54, 15
	s_add_i32 s25, s25, 1
	s_cmp_eq_u32 s54, 2
	s_cbranch_scc1 .LBB142_66
; %bb.61:
	s_and_b32 s24, s25, 28
	s_add_u32 s20, s34, 0xc4
	s_addc_u32 s21, s35, 0
	v_mov_b32_e32 v5, 0
	s_mov_b32 s26, 0
	s_mov_b64 s[22:23], s[34:35]
	v_mov_b32_e32 v3, 0
	v_mov_b32_e32 v4, v13
.LBB142_62:                             ; =>This Inner Loop Header: Depth=1
	s_load_dwordx8 s[8:15], s[22:23], 0x4
	s_load_dwordx4 s[16:19], s[22:23], 0x24
	s_load_dwordx8 s[0:7], s[20:21], 0x0
	s_add_u32 s22, s22, 48
	s_addc_u32 s23, s23, 0
	s_waitcnt lgkmcnt(0)
	v_mul_hi_u32 v6, s9, v4
	s_add_i32 s26, s26, 4
	s_add_u32 s20, s20, 32
	s_addc_u32 s21, s21, 0
	v_add_u32_e32 v6, v4, v6
	v_lshrrev_b32_e32 v6, s10, v6
	v_mul_lo_u32 v8, v6, s8
	v_mul_hi_u32 v10, s12, v6
	s_cmp_lg_u32 s24, s26
	v_sub_u32_e32 v4, v4, v8
	v_add_u32_e32 v8, v6, v10
	v_mul_lo_u32 v10, v4, s0
	v_mul_lo_u32 v12, v4, s1
	v_lshrrev_b32_e32 v4, s13, v8
	v_mul_lo_u32 v8, v4, s11
	v_mul_hi_u32 v14, s15, v4
	v_sub_u32_e32 v6, v6, v8
	v_add_u32_e32 v8, v4, v14
	v_lshrrev_b32_e32 v8, s16, v8
	v_mul_hi_u32 v15, s18, v8
	v_mul_lo_u32 v16, v8, s14
	v_mul_lo_u32 v14, v6, s2
	;; [unrolled: 1-line block ×3, first 2 shown]
	v_sub_u32_e32 v16, v4, v16
	v_add_u32_e32 v4, v8, v15
	v_lshrrev_b32_e32 v4, s19, v4
	v_mul_lo_u32 v15, v4, s17
	v_mul_lo_u32 v17, v16, s4
	;; [unrolled: 1-line block ×3, first 2 shown]
	v_add3_u32 v3, v10, v3, v14
	v_sub_u32_e32 v8, v8, v15
	v_mul_lo_u32 v15, v8, s6
	v_mul_lo_u32 v8, v8, s7
	v_add3_u32 v5, v12, v5, v6
	v_add3_u32 v3, v17, v3, v15
	;; [unrolled: 1-line block ×3, first 2 shown]
	s_cbranch_scc1 .LBB142_62
; %bb.63:
	s_and_b32 s4, s25, 3
	s_cmp_eq_u32 s4, 0
	s_cbranch_scc0 .LBB142_67
	s_branch .LBB142_69
.LBB142_64:
                                        ; implicit-def: $vgpr3
                                        ; implicit-def: $vgpr5
	s_branch .LBB142_70
.LBB142_65:
	v_mov_b32_e32 v3, 0
	v_mov_b32_e32 v5, 0
	s_branch .LBB142_69
.LBB142_66:
	v_mov_b32_e32 v3, 0
	v_mov_b32_e32 v5, 0
	;; [unrolled: 1-line block ×3, first 2 shown]
	s_and_b32 s4, s25, 3
	s_cmp_eq_u32 s4, 0
	s_cbranch_scc1 .LBB142_69
.LBB142_67:
	s_lshl_b32 s0, s24, 3
	s_add_u32 s0, s34, s0
	s_addc_u32 s1, s35, 0
	s_add_u32 s0, s0, 0xc4
	s_addc_u32 s1, s1, 0
	s_mul_i32 s2, s24, 12
	s_add_u32 s2, s34, s2
	s_addc_u32 s3, s35, 0
.LBB142_68:                             ; =>This Inner Loop Header: Depth=1
	s_load_dwordx2 s[6:7], s[2:3], 0x4
	s_load_dword s5, s[2:3], 0xc
	s_load_dwordx2 s[8:9], s[0:1], 0x0
	s_add_u32 s2, s2, 12
	s_addc_u32 s3, s3, 0
	s_waitcnt lgkmcnt(0)
	v_mul_hi_u32 v6, s7, v4
	s_add_u32 s0, s0, 8
	s_addc_u32 s1, s1, 0
	s_add_i32 s4, s4, -1
	v_add_u32_e32 v6, v4, v6
	v_lshrrev_b32_e32 v8, s5, v6
	v_mul_lo_u32 v6, v8, s6
	s_cmp_lg_u32 s4, 0
	v_sub_u32_e32 v6, v4, v6
	v_mad_u64_u32 v[3:4], s[6:7], v6, s8, v[3:4]
	v_mad_u64_u32 v[5:6], s[6:7], v6, s9, v[5:6]
	v_mov_b32_e32 v4, v8
	s_cbranch_scc1 .LBB142_68
.LBB142_69:
	s_cbranch_execnz .LBB142_72
.LBB142_70:
	s_load_dwordx4 s[0:3], s[34:35], 0x4
	s_load_dwordx2 s[4:5], s[34:35], 0xc4
	s_cmp_lt_u32 s33, 2
	s_waitcnt lgkmcnt(0)
	v_mul_hi_u32 v3, s1, v13
	v_add_u32_e32 v3, v13, v3
	v_lshrrev_b32_e32 v4, s2, v3
	v_mul_lo_u32 v3, v4, s0
	v_sub_u32_e32 v5, v13, v3
	v_mul_lo_u32 v3, v5, s4
	v_mul_lo_u32 v5, v5, s5
	s_cbranch_scc1 .LBB142_72
; %bb.71:
	s_load_dwordx4 s[0:3], s[34:35], 0x10
	s_load_dwordx2 s[4:5], s[34:35], 0xcc
	s_waitcnt lgkmcnt(0)
	v_mul_hi_u32 v6, s1, v4
	v_add_u32_e32 v6, v4, v6
	v_lshrrev_b32_e32 v6, s2, v6
	v_mul_lo_u32 v6, v6, s0
	v_sub_u32_e32 v6, v4, v6
	v_mad_u64_u32 v[3:4], s[0:1], v6, s4, v[3:4]
	v_mad_u64_u32 v[5:6], s[0:1], v6, s5, v[5:6]
.LBB142_72:
	s_load_dwordx4 s[12:15], s[34:35], 0x148
	s_mov_b32 s0, 0x3c800000
                                        ; implicit-def: $vgpr6
	s_waitcnt lgkmcnt(0)
	global_load_dword v4, v11, s[14:15]
	s_waitcnt vmcnt(0)
	v_and_b32_e32 v8, 0x7fffffff, v4
	v_cmp_nlt_f32_e64 s[0:1], |v4|, s0
	s_and_saveexec_b64 s[2:3], s[0:1]
	s_xor_b64 s[2:3], exec, s[2:3]
	s_cbranch_execz .LBB142_102
; %bb.73:
	v_cmp_nlt_f32_e64 s[0:1], |v4|, 2.0
                                        ; implicit-def: $vgpr6
	s_and_saveexec_b64 s[4:5], s[0:1]
	s_xor_b64 s[4:5], exec, s[4:5]
	s_cbranch_execz .LBB142_83
; %bb.74:
	s_mov_b32 s0, 0x41000000
	v_cmp_nlt_f32_e64 s[0:1], |v4|, s0
                                        ; implicit-def: $vgpr6
	s_and_saveexec_b64 s[6:7], s[0:1]
	s_xor_b64 s[6:7], exec, s[6:7]
	s_cbranch_execz .LBB142_80
; %bb.75:
	s_mov_b32 s0, 0x5c800000
	v_cmp_nlt_f32_e64 s[0:1], |v4|, s0
                                        ; implicit-def: $vgpr6
	s_and_saveexec_b64 s[8:9], s[0:1]
	s_xor_b64 s[8:9], exec, s[8:9]
	s_cbranch_execz .LBB142_77
; %bb.76:
	s_mov_b32 s0, 0x800000
	v_cmp_lt_f32_e64 vcc, |v4|, s0
	v_cndmask_b32_e64 v6, 0, 32, vcc
	v_ldexp_f32 v6, |v4|, v6
	v_log_f32_e32 v6, v6
	s_mov_b32 s0, 0x3f317217
	s_mov_b32 s1, 0x7f800000
	v_mul_f32_e32 v10, 0x3f317217, v6
	v_fma_f32 v11, v6, s0, -v10
	v_fmac_f32_e32 v11, 0x3377d1cf, v6
	v_add_f32_e32 v10, v10, v11
	v_cmp_lt_f32_e64 s[0:1], |v6|, s1
	v_cndmask_b32_e64 v6, v6, v10, s[0:1]
	v_mov_b32_e32 v10, 0x41b17218
	v_cndmask_b32_e32 v10, 0, v10, vcc
	v_sub_f32_e32 v6, v6, v10
	v_fma_f32 v6, |v4|, v6, -|v4|
.LBB142_77:
	s_andn2_saveexec_b64 s[8:9], s[8:9]
	s_cbranch_execz .LBB142_79
; %bb.78:
	v_rcp_f32_e64 v10, |v4|
	v_mov_b32_e32 v6, 0x3a5b3dd2
	v_mov_b32_e32 v11, 0xba1c065c
	;; [unrolled: 1-line block ×3, first 2 shown]
	v_mul_f32_e32 v13, v10, v10
	v_fmac_f32_e32 v6, 0xbad5c4e8, v13
	v_fmac_f32_e32 v11, v13, v6
	s_mov_b32 s0, 0x800000
	v_fmac_f32_e32 v12, v13, v11
	v_mov_b32_e32 v6, 0xbb360b61
	v_cmp_lt_f32_e64 vcc, |v4|, s0
	v_fmac_f32_e32 v6, v13, v12
	v_cndmask_b32_e64 v12, 0, 32, vcc
	v_ldexp_f32 v12, |v4|, v12
	v_log_f32_e32 v12, v12
	v_mov_b32_e32 v11, 0x3daaaaab
	v_fmac_f32_e32 v11, v13, v6
	v_mov_b32_e32 v6, 0x3ed67f1d
	v_fmac_f32_e32 v6, v10, v11
	s_mov_b32 s0, 0x3f317217
	v_mul_f32_e32 v11, 0x3f317217, v12
	v_fma_f32 v13, v12, s0, -v11
	v_fmac_f32_e32 v13, 0x3377d1cf, v12
	s_mov_b32 s0, 0x7f800000
	v_add_f32_e32 v11, v11, v13
	v_cmp_lt_f32_e64 s[0:1], |v12|, s0
	v_cndmask_b32_e64 v11, v12, v11, s[0:1]
	v_mov_b32_e32 v12, 0x41b17218
	v_cndmask_b32_e32 v12, 0, v12, vcc
	v_sub_f32_e32 v11, v11, v12
	v_add_f32_e64 v10, |v4|, -0.5
	v_add_f32_e32 v11, -1.0, v11
	v_fmac_f32_e32 v6, v10, v11
.LBB142_79:
	s_or_b64 exec, exec, s[8:9]
.LBB142_80:
	s_andn2_saveexec_b64 s[6:7], s[6:7]
	s_cbranch_execz .LBB142_82
; %bb.81:
	v_cvt_i32_f32_e32 v6, v8
	v_mov_b32_e32 v10, 0x3af135b4
	v_mov_b32_e32 v11, 0x3cda40e4
	;; [unrolled: 1-line block ×3, first 2 shown]
	v_cvt_f32_i32_e32 v13, v6
	v_mov_b32_e32 v14, 0x3ea6cc7a
	v_mov_b32_e32 v15, 0x3e5c245a
	v_cmp_lt_i32_e32 vcc, 2, v6
	v_sub_f32_e64 v13, |v4|, v13
	v_fmac_f32_e32 v10, 0x3805ff67, v13
	v_fmac_f32_e32 v11, v13, v10
	;; [unrolled: 1-line block ×3, first 2 shown]
	v_mov_b32_e32 v11, 0x3a4beed6
	v_fmac_f32_e32 v14, v13, v12
	v_fmac_f32_e32 v11, 0x36f5d7bd, v13
	v_mov_b32_e32 v12, 0x3c98bf54
	v_fmac_f32_e32 v12, v13, v11
	v_mov_b32_e32 v11, 0x3e300f6e
	;; [unrolled: 2-line block ×4, first 2 shown]
	v_fmac_f32_e32 v11, v13, v12
	v_add_f32_e32 v12, 2.0, v13
	v_mov_b32_e32 v16, 0xbd9e233f
	v_fmac_f32_e32 v15, v13, v14
	v_add_f32_e32 v14, 0x40400000, v13
	v_cndmask_b32_e32 v12, 1.0, v12, vcc
	v_cmp_lt_i32_e32 vcc, 3, v6
	v_fmac_f32_e32 v16, v13, v15
	v_add_f32_e32 v15, 4.0, v13
	v_cndmask_b32_e32 v14, 1.0, v14, vcc
	v_cmp_lt_i32_e32 vcc, 4, v6
	v_mul_f32_e32 v10, v13, v16
	v_add_f32_e32 v16, 0x40a00000, v13
	v_mul_f32_e32 v12, v12, v14
	v_cndmask_b32_e32 v14, 1.0, v15, vcc
	v_cmp_lt_i32_e32 vcc, 5, v6
	v_add_f32_e32 v17, 0x40c00000, v13
	v_mul_f32_e32 v12, v14, v12
	v_cndmask_b32_e32 v14, 1.0, v16, vcc
	v_cmp_lt_i32_e32 vcc, 6, v6
	v_mul_f32_e32 v12, v14, v12
	v_cndmask_b32_e32 v6, 1.0, v17, vcc
	v_mul_f32_e32 v6, v6, v12
	s_mov_b32 s0, 0x800000
	v_cmp_gt_f32_e32 vcc, s0, v6
	v_cndmask_b32_e64 v12, 0, 32, vcc
	v_fma_f32 v11, v13, v11, 1.0
	v_ldexp_f32 v6, v6, v12
	v_rcp_f32_e32 v11, v11
	v_log_f32_e32 v6, v6
	s_mov_b32 s0, 0x3f317217
	v_mul_f32_e32 v10, v10, v11
	v_mul_f32_e32 v11, 0x3f317217, v6
	v_fma_f32 v12, v6, s0, -v11
	v_fmac_f32_e32 v12, 0x3377d1cf, v6
	s_mov_b32 s0, 0x7f800000
	v_add_f32_e32 v11, v11, v12
	v_cmp_lt_f32_e64 s[0:1], |v6|, s0
	v_cndmask_b32_e64 v6, v6, v11, s[0:1]
	v_mov_b32_e32 v11, 0x41b17218
	v_cndmask_b32_e32 v11, 0, v11, vcc
	v_fmac_f32_e32 v10, 0.5, v13
	v_sub_f32_e32 v6, v6, v11
	v_add_f32_e32 v6, v6, v10
.LBB142_82:
	s_or_b64 exec, exec, s[6:7]
.LBB142_83:
	s_andn2_saveexec_b64 s[4:5], s[4:5]
	s_cbranch_execz .LBB142_101
; %bb.84:
	s_mov_b32 s0, 0x3f666666
	v_cmp_le_f32_e64 s[0:1], |v4|, s0
                                        ; implicit-def: $vgpr6
                                        ; implicit-def: $vgpr11
                                        ; implicit-def: $vgpr10
	s_and_saveexec_b64 s[6:7], s[0:1]
	s_xor_b64 s[6:7], exec, s[6:7]
	s_cbranch_execz .LBB142_86
; %bb.85:
	s_mov_b32 s0, 0x800000
	v_cmp_lt_f32_e64 vcc, |v4|, s0
	v_cndmask_b32_e64 v6, 0, 32, vcc
	v_ldexp_f32 v6, |v4|, v6
	v_log_f32_e32 v6, v6
	s_mov_b32 s0, 0x3f317217
	s_mov_b32 s1, 0x7f800000
	v_mul_f32_e32 v10, 0x3f317217, v6
	v_fma_f32 v11, v6, s0, -v10
	v_fmac_f32_e32 v11, 0x3377d1cf, v6
	v_add_f32_e32 v10, v10, v11
	v_cmp_lt_f32_e64 s[0:1], |v6|, s1
	v_cndmask_b32_e64 v6, v6, v10, s[0:1]
	v_mov_b32_e32 v10, 0x41b17218
	v_cndmask_b32_e32 v10, 0, v10, vcc
	s_mov_b32 s0, 0x3f3b4a23
	s_mov_b32 s1, 0xbeec5b0c
	v_sub_f32_e32 v6, v6, v10
	v_sub_f32_e64 v10, 1.0, |v4|
	v_add_f32_e64 v11, |v4|, s1
	v_cmp_lt_f32_e64 vcc, |v4|, s0
	s_mov_b32 s0, 0x3e6d3309
	v_cndmask_b32_e32 v10, v10, v11, vcc
	v_cndmask_b32_e64 v11, 0, 1, vcc
	v_cmp_lt_f32_e64 s[0:1], |v4|, s0
	v_xor_b32_e32 v6, 0x80000000, v6
	v_cndmask_b32_e64 v10, v10, |v4|, s[0:1]
	v_cndmask_b32_e64 v11, v11, 2, s[0:1]
.LBB142_86:
	s_andn2_saveexec_b64 s[0:1], s[6:7]
	s_cbranch_execz .LBB142_88
; %bb.87:
	s_mov_b32 s6, 0x3fdda512
	s_mov_b32 s7, 0xbfbb16c3
	v_sub_f32_e64 v6, 2.0, |v4|
	v_add_f32_e64 v10, |v4|, s7
	v_cmp_lt_f32_e64 vcc, |v4|, s6
	v_cndmask_b32_e32 v10, v6, v10, vcc
	v_cndmask_b32_e64 v6, v6, 1.0, vcc
	v_cvt_i32_f32_e32 v6, v6
	s_mov_b32 s6, 0x3f9d70a4
	v_add_f32_e64 v11, |v4|, -1.0
	v_cmp_lt_f32_e64 vcc, |v4|, s6
	v_cndmask_b32_e32 v10, v10, v11, vcc
	v_cndmask_b32_e64 v11, v6, 2, vcc
	v_mov_b32_e32 v6, 0
.LBB142_88:
	s_or_b64 exec, exec, s[0:1]
	v_cmp_lt_i32_e32 vcc, 0, v11
	s_and_saveexec_b64 s[0:1], vcc
	s_xor_b64 s[0:1], exec, s[0:1]
	s_cbranch_execz .LBB142_96
; %bb.89:
	v_cmp_lt_i32_e32 vcc, 1, v11
	s_and_saveexec_b64 s[6:7], vcc
	s_xor_b64 s[6:7], exec, s[6:7]
	s_cbranch_execz .LBB142_93
; %bb.90:
	v_cmp_eq_u32_e32 vcc, 2, v11
	s_and_saveexec_b64 s[8:9], vcc
	s_cbranch_execz .LBB142_92
; %bb.91:
	v_mov_b32_e32 v11, 0x3e6a7578
	v_fmac_f32_e32 v11, 0x3c5b3c5e, v10
	v_mov_b32_e32 v12, 0x3f7a4bb2
	v_fmac_f32_e32 v12, v10, v11
	;; [unrolled: 2-line block ×8, first 2 shown]
	v_fma_f32 v11, v10, v13, 1.0
	v_rcp_f32_e32 v11, v11
	v_mov_b32_e32 v13, 0xbd9e233f
	v_fmac_f32_e32 v13, v10, v12
	v_mul_f32_e32 v12, v10, v13
	v_mul_f32_e32 v11, v12, v11
	v_fmac_f32_e32 v11, -0.5, v10
	v_add_f32_e32 v6, v6, v11
.LBB142_92:
	s_or_b64 exec, exec, s[8:9]
                                        ; implicit-def: $vgpr10
.LBB142_93:
	s_andn2_saveexec_b64 s[6:7], s[6:7]
	s_cbranch_execz .LBB142_95
; %bb.94:
	v_mul_f32_e32 v11, v10, v10
	v_mul_f32_e32 v12, v10, v11
	v_mov_b32_e32 v13, 0xbab7f476
	v_fmac_f32_e32 v13, 0x39a57b6b, v12
	v_mov_b32_e32 v14, 0x3bc7e707
	v_fmac_f32_e32 v14, v12, v13
	;; [unrolled: 2-line block ×12, first 2 shown]
	v_fmac_f32_e32 v15, v10, v16
	s_mov_b32 s8, 0xa2863e55
	v_fma_f32 v10, v12, -v15, s8
	v_fma_f32 v10, v11, v14, -v10
	v_add_f32_e32 v10, 0xbdf8cdce, v10
	v_add_f32_e32 v6, v6, v10
.LBB142_95:
	s_or_b64 exec, exec, s[6:7]
                                        ; implicit-def: $vgpr11
                                        ; implicit-def: $vgpr10
.LBB142_96:
	s_andn2_saveexec_b64 s[0:1], s[0:1]
	s_cbranch_execz .LBB142_100
; %bb.97:
	v_cmp_eq_u32_e32 vcc, 0, v11
	s_and_saveexec_b64 s[6:7], vcc
	s_cbranch_execz .LBB142_99
; %bb.98:
	v_mul_f32_e32 v11, v10, v10
	v_mov_b32_e32 v12, 0x39679767
	v_fmac_f32_e32 v12, 0x37d383a2, v11
	v_mov_b32_e32 v13, 0x3a9c54a1
	v_fmac_f32_e32 v13, v11, v12
	;; [unrolled: 2-line block ×10, first 2 shown]
	v_mul_f32_e32 v11, v11, v13
	v_fmac_f32_e32 v11, v10, v12
	v_fmac_f32_e32 v11, -0.5, v10
	v_add_f32_e32 v6, v6, v11
.LBB142_99:
	s_or_b64 exec, exec, s[6:7]
.LBB142_100:
	s_or_b64 exec, exec, s[0:1]
.LBB142_101:
	s_or_b64 exec, exec, s[4:5]
.LBB142_102:
	s_andn2_saveexec_b64 s[2:3], s[2:3]
	s_cbranch_execz .LBB142_104
; %bb.103:
	s_mov_b32 s0, 0x3e8a8991
	v_mov_b32_e32 v6, 0xbecd26ab
	v_fma_f32 v6, |v4|, s0, v6
	s_mov_b32 s0, 0x3f528d33
	v_fma_f32 v6, |v4|, v6, s0
	s_mov_b32 s0, 0x800000
	v_cmp_lt_f32_e64 vcc, |v4|, s0
	v_cndmask_b32_e64 v10, 0, 32, vcc
	v_ldexp_f32 v10, |v4|, v10
	v_log_f32_e32 v10, v10
	s_mov_b32 s0, 0xbf13c468
	v_fma_f32 v6, |v4|, v6, s0
	s_mov_b32 s0, 0x3f317217
	v_mul_f32_e32 v11, 0x3f317217, v10
	v_fma_f32 v12, v10, s0, -v11
	v_fmac_f32_e32 v12, 0x3377d1cf, v10
	s_mov_b32 s0, 0x7f800000
	v_add_f32_e32 v11, v11, v12
	v_cmp_lt_f32_e64 s[0:1], |v10|, s0
	v_cndmask_b32_e64 v10, v10, v11, s[0:1]
	v_mov_b32_e32 v11, 0x41b17218
	v_cndmask_b32_e32 v11, 0, v11, vcc
	v_sub_f32_e32 v10, v10, v11
	v_fma_f32 v6, |v4|, v6, -v10
.LBB142_104:
	s_or_b64 exec, exec, s[2:3]
	v_cmp_le_f32_e32 vcc, 0, v4
	v_cmp_nle_f32_e64 s[0:1], 0, v4
	s_and_saveexec_b64 s[2:3], s[0:1]
	s_xor_b64 s[4:5], exec, s[2:3]
	s_cbranch_execz .LBB142_108
; %bb.105:
	s_mov_b32 s0, 0x4b000000
	s_mov_b32 s2, 0x35000000
	v_cmp_lt_f32_e64 s[0:1], |v4|, s0
	v_cmp_gt_f32_e64 s[2:3], |v4|, s2
	s_and_b64 s[0:1], s[0:1], s[2:3]
	s_and_saveexec_b64 s[6:7], s[0:1]
	s_cbranch_execz .LBB142_107
; %bb.106:
	v_mul_f32_e64 v10, |v4|, 0.5
	v_floor_f32_e32 v11, v10
	v_sub_f32_e32 v11, v10, v11
	v_min_f32_e32 v11, 0x3f7fffff, v11
	s_mov_b32 s2, 0x7f800000
	v_add_f32_e32 v11, v11, v11
	v_cmp_neq_f32_e64 s[0:1], s2, v10
	v_cndmask_b32_e64 v10, 0, v11, s[0:1]
	v_cmp_gt_f32_e64 s[0:1], |v4|, 1.0
	v_cndmask_b32_e64 v10, |v4|, v10, s[0:1]
	v_add_f32_e32 v11, v10, v10
	v_rndne_f32_e32 v11, v11
	v_fmac_f32_e32 v10, -0.5, v11
	v_mul_f32_e32 v12, v10, v10
	v_mov_b32_e32 v13, 0xbf1f24be
	v_fmac_f32_e32 v13, 0x3e75aa41, v12
	v_mov_b32_e32 v14, 0x40234736
	v_fmac_f32_e32 v14, v12, v13
	;; [unrolled: 2-line block ×3, first 2 shown]
	v_mul_f32_e32 v14, v10, v12
	v_mul_f32_e32 v13, v14, v13
	v_fmac_f32_e32 v13, 0x40490fdb, v10
	v_mov_b32_e32 v10, 0x3e642e9d
	v_cvt_i32_f32_e32 v11, v11
	v_fmac_f32_e32 v10, 0x3d4be544, v12
	v_mov_b32_e32 v14, 0xbfaad1da
	v_fmac_f32_e32 v14, v12, v10
	v_mov_b32_e32 v10, 0x4081e0d3
	;; [unrolled: 2-line block ×3, first 2 shown]
	v_fmac_f32_e32 v14, v12, v10
	v_fma_f32 v10, v12, v14, 1.0
	v_and_b32_e32 v12, 1, v11
	v_lshlrev_b32_e32 v11, 30, v11
	v_cmp_eq_u32_e64 s[0:1], 0, v12
	v_and_b32_e32 v11, 0x80000000, v11
	v_xor_b32_e32 v8, v8, v4
	v_cndmask_b32_e64 v10, v10, v13, s[0:1]
	v_xor_b32_e32 v8, v8, v11
	v_xor_b32_e32 v8, v8, v10
	v_mul_f32_e32 v8, v4, v8
	v_frexp_mant_f32_e64 v10, |v8|
	v_rcp_f32_e32 v10, v10
	v_frexp_exp_i32_f32_e32 v8, v8
	v_sub_u32_e32 v8, 2, v8
	s_mov_b32 s0, 0x800000
	v_mul_f32_e32 v10, 0x3f490fdb, v10
	v_ldexp_f32 v8, v10, v8
	v_cmp_gt_f32_e64 s[0:1], s0, v8
	v_cndmask_b32_e64 v10, 0, 32, s[0:1]
	v_ldexp_f32 v8, v8, v10
	v_log_f32_e32 v8, v8
	s_mov_b32 s3, 0x3f317217
	v_mul_f32_e32 v10, 0x3f317217, v8
	v_fma_f32 v11, v8, s3, -v10
	v_fmac_f32_e32 v11, 0x3377d1cf, v8
	v_add_f32_e32 v10, v10, v11
	v_cmp_lt_f32_e64 s[2:3], |v8|, s2
	v_cndmask_b32_e64 v8, v8, v10, s[2:3]
	v_mov_b32_e32 v10, 0x41b17218
	v_cndmask_b32_e64 v10, 0, v10, s[0:1]
	v_sub_f32_e32 v8, v8, v10
	v_sub_f32_e32 v6, v8, v6
	v_floor_f32_e32 v8, v4
	v_sub_f32_e32 v8, v4, v8
	v_min_f32_e32 v8, 0x3f7fffff, v8
	v_mov_b32_e32 v10, 0x7f800000
	v_cmp_neq_f32_e64 s[0:1], 0, v8
	v_cndmask_b32_e64 v6, v10, v6, s[0:1]
.LBB142_107:
	s_or_b64 exec, exec, s[6:7]
.LBB142_108:
	s_andn2_saveexec_b64 s[4:5], s[4:5]
; %bb.109:
	v_cmp_eq_f32_e64 s[0:1], 1.0, v4
	v_cmp_eq_f32_e64 s[2:3], 2.0, v4
	s_or_b64 s[0:1], s[0:1], s[2:3]
	v_cndmask_b32_e64 v6, v6, 0, s[0:1]
; %bb.110:
	s_or_b64 exec, exec, s[4:5]
	global_load_dword v8, v9, s[14:15]
	s_mov_b32 s0, 0x3c800000
                                        ; implicit-def: $vgpr9
	s_waitcnt vmcnt(0)
	v_and_b32_e32 v10, 0x7fffffff, v8
	v_cmp_nlt_f32_e64 s[0:1], |v8|, s0
	s_and_saveexec_b64 s[2:3], s[0:1]
	s_xor_b64 s[4:5], exec, s[2:3]
	s_cbranch_execz .LBB142_140
; %bb.111:
	v_cmp_nlt_f32_e64 s[0:1], |v8|, 2.0
                                        ; implicit-def: $vgpr9
	s_and_saveexec_b64 s[2:3], s[0:1]
	s_xor_b64 s[6:7], exec, s[2:3]
	s_cbranch_execz .LBB142_121
; %bb.112:
	s_mov_b32 s0, 0x41000000
	v_cmp_nlt_f32_e64 s[0:1], |v8|, s0
                                        ; implicit-def: $vgpr9
	s_and_saveexec_b64 s[2:3], s[0:1]
	s_xor_b64 s[8:9], exec, s[2:3]
	s_cbranch_execz .LBB142_118
; %bb.113:
	s_mov_b32 s0, 0x5c800000
	v_cmp_nlt_f32_e64 s[0:1], |v8|, s0
                                        ; implicit-def: $vgpr9
	s_and_saveexec_b64 s[2:3], s[0:1]
	s_xor_b64 s[10:11], exec, s[2:3]
	s_cbranch_execz .LBB142_115
; %bb.114:
	s_mov_b32 s0, 0x800000
	v_cmp_lt_f32_e64 s[0:1], |v8|, s0
	v_cndmask_b32_e64 v9, 0, 32, s[0:1]
	v_ldexp_f32 v9, |v8|, v9
	v_log_f32_e32 v9, v9
	s_mov_b32 s2, 0x3f317217
	s_mov_b32 s3, 0x7f800000
	v_mul_f32_e32 v11, 0x3f317217, v9
	v_fma_f32 v12, v9, s2, -v11
	v_fmac_f32_e32 v12, 0x3377d1cf, v9
	v_add_f32_e32 v11, v11, v12
	v_cmp_lt_f32_e64 s[2:3], |v9|, s3
	v_cndmask_b32_e64 v9, v9, v11, s[2:3]
	v_mov_b32_e32 v11, 0x41b17218
	v_cndmask_b32_e64 v11, 0, v11, s[0:1]
	v_sub_f32_e32 v9, v9, v11
	v_fma_f32 v9, |v8|, v9, -|v8|
.LBB142_115:
	s_andn2_saveexec_b64 s[10:11], s[10:11]
	s_cbranch_execz .LBB142_117
; %bb.116:
	v_rcp_f32_e64 v11, |v8|
	v_mov_b32_e32 v9, 0x3a5b3dd2
	v_mov_b32_e32 v12, 0xba1c065c
	v_mov_b32_e32 v13, 0x3a500cfd
	v_mul_f32_e32 v14, v11, v11
	v_fmac_f32_e32 v9, 0xbad5c4e8, v14
	v_fmac_f32_e32 v12, v14, v9
	s_mov_b32 s0, 0x800000
	v_fmac_f32_e32 v13, v14, v12
	v_mov_b32_e32 v9, 0xbb360b61
	v_cmp_lt_f32_e64 s[0:1], |v8|, s0
	v_fmac_f32_e32 v9, v14, v13
	v_cndmask_b32_e64 v13, 0, 32, s[0:1]
	v_ldexp_f32 v13, |v8|, v13
	v_log_f32_e32 v13, v13
	v_mov_b32_e32 v12, 0x3daaaaab
	v_fmac_f32_e32 v12, v14, v9
	v_mov_b32_e32 v9, 0x3ed67f1d
	v_fmac_f32_e32 v9, v11, v12
	s_mov_b32 s2, 0x3f317217
	v_mul_f32_e32 v12, 0x3f317217, v13
	v_fma_f32 v14, v13, s2, -v12
	v_fmac_f32_e32 v14, 0x3377d1cf, v13
	s_mov_b32 s2, 0x7f800000
	v_add_f32_e32 v12, v12, v14
	v_cmp_lt_f32_e64 s[2:3], |v13|, s2
	v_cndmask_b32_e64 v12, v13, v12, s[2:3]
	v_mov_b32_e32 v13, 0x41b17218
	v_cndmask_b32_e64 v13, 0, v13, s[0:1]
	v_sub_f32_e32 v12, v12, v13
	v_add_f32_e64 v11, |v8|, -0.5
	v_add_f32_e32 v12, -1.0, v12
	v_fmac_f32_e32 v9, v11, v12
.LBB142_117:
	s_or_b64 exec, exec, s[10:11]
.LBB142_118:
	s_andn2_saveexec_b64 s[8:9], s[8:9]
	s_cbranch_execz .LBB142_120
; %bb.119:
	v_cvt_i32_f32_e32 v9, v10
	v_mov_b32_e32 v11, 0x3af135b4
	v_mov_b32_e32 v12, 0x3cda40e4
	;; [unrolled: 1-line block ×3, first 2 shown]
	v_cvt_f32_i32_e32 v14, v9
	v_mov_b32_e32 v15, 0x3ea6cc7a
	v_mov_b32_e32 v16, 0x3e5c245a
	v_cmp_lt_i32_e64 s[0:1], 2, v9
	v_sub_f32_e64 v14, |v8|, v14
	v_fmac_f32_e32 v11, 0x3805ff67, v14
	v_fmac_f32_e32 v12, v14, v11
	;; [unrolled: 1-line block ×3, first 2 shown]
	v_mov_b32_e32 v12, 0x3a4beed6
	v_fmac_f32_e32 v15, v14, v13
	v_fmac_f32_e32 v12, 0x36f5d7bd, v14
	v_mov_b32_e32 v13, 0x3c98bf54
	v_fmac_f32_e32 v13, v14, v12
	v_mov_b32_e32 v12, 0x3e300f6e
	;; [unrolled: 2-line block ×4, first 2 shown]
	v_fmac_f32_e32 v12, v14, v13
	v_add_f32_e32 v13, 2.0, v14
	v_mov_b32_e32 v17, 0xbd9e233f
	v_fmac_f32_e32 v16, v14, v15
	v_add_f32_e32 v15, 0x40400000, v14
	v_cndmask_b32_e64 v13, 1.0, v13, s[0:1]
	v_cmp_lt_i32_e64 s[0:1], 3, v9
	v_fmac_f32_e32 v17, v14, v16
	v_add_f32_e32 v16, 4.0, v14
	v_cndmask_b32_e64 v15, 1.0, v15, s[0:1]
	v_cmp_lt_i32_e64 s[0:1], 4, v9
	v_mul_f32_e32 v11, v14, v17
	v_add_f32_e32 v17, 0x40a00000, v14
	v_mul_f32_e32 v13, v13, v15
	v_cndmask_b32_e64 v15, 1.0, v16, s[0:1]
	v_cmp_lt_i32_e64 s[0:1], 5, v9
	v_add_f32_e32 v18, 0x40c00000, v14
	v_mul_f32_e32 v13, v15, v13
	v_cndmask_b32_e64 v15, 1.0, v17, s[0:1]
	v_cmp_lt_i32_e64 s[0:1], 6, v9
	v_mul_f32_e32 v13, v15, v13
	v_cndmask_b32_e64 v9, 1.0, v18, s[0:1]
	v_mul_f32_e32 v9, v9, v13
	s_mov_b32 s0, 0x800000
	v_cmp_gt_f32_e64 s[0:1], s0, v9
	v_cndmask_b32_e64 v13, 0, 32, s[0:1]
	v_fma_f32 v12, v14, v12, 1.0
	v_ldexp_f32 v9, v9, v13
	v_rcp_f32_e32 v12, v12
	v_log_f32_e32 v9, v9
	s_mov_b32 s2, 0x3f317217
	v_mul_f32_e32 v11, v11, v12
	v_mul_f32_e32 v12, 0x3f317217, v9
	v_fma_f32 v13, v9, s2, -v12
	v_fmac_f32_e32 v13, 0x3377d1cf, v9
	s_mov_b32 s2, 0x7f800000
	v_add_f32_e32 v12, v12, v13
	v_cmp_lt_f32_e64 s[2:3], |v9|, s2
	v_cndmask_b32_e64 v9, v9, v12, s[2:3]
	v_mov_b32_e32 v12, 0x41b17218
	v_cndmask_b32_e64 v12, 0, v12, s[0:1]
	v_fmac_f32_e32 v11, 0.5, v14
	v_sub_f32_e32 v9, v9, v12
	v_add_f32_e32 v9, v9, v11
.LBB142_120:
	s_or_b64 exec, exec, s[8:9]
.LBB142_121:
	s_andn2_saveexec_b64 s[6:7], s[6:7]
	s_cbranch_execz .LBB142_139
; %bb.122:
	s_mov_b32 s0, 0x3f666666
	v_cmp_le_f32_e64 s[0:1], |v8|, s0
                                        ; implicit-def: $vgpr9
                                        ; implicit-def: $vgpr12
                                        ; implicit-def: $vgpr11
	s_and_saveexec_b64 s[2:3], s[0:1]
	s_xor_b64 s[8:9], exec, s[2:3]
	s_cbranch_execz .LBB142_124
; %bb.123:
	s_mov_b32 s0, 0x800000
	v_cmp_lt_f32_e64 s[0:1], |v8|, s0
	v_cndmask_b32_e64 v9, 0, 32, s[0:1]
	v_ldexp_f32 v9, |v8|, v9
	v_log_f32_e32 v9, v9
	s_mov_b32 s2, 0x3f317217
	s_mov_b32 s3, 0x7f800000
	v_mul_f32_e32 v11, 0x3f317217, v9
	v_fma_f32 v12, v9, s2, -v11
	v_fmac_f32_e32 v12, 0x3377d1cf, v9
	v_add_f32_e32 v11, v11, v12
	v_cmp_lt_f32_e64 s[2:3], |v9|, s3
	v_cndmask_b32_e64 v9, v9, v11, s[2:3]
	v_mov_b32_e32 v11, 0x41b17218
	v_cndmask_b32_e64 v11, 0, v11, s[0:1]
	s_mov_b32 s0, 0x3f3b4a23
	s_mov_b32 s1, 0xbeec5b0c
	v_sub_f32_e32 v9, v9, v11
	v_sub_f32_e64 v11, 1.0, |v8|
	v_add_f32_e64 v12, |v8|, s1
	v_cmp_lt_f32_e64 s[0:1], |v8|, s0
	v_cndmask_b32_e64 v11, v11, v12, s[0:1]
	v_cndmask_b32_e64 v12, 0, 1, s[0:1]
	s_mov_b32 s0, 0x3e6d3309
	v_cmp_lt_f32_e64 s[0:1], |v8|, s0
	v_xor_b32_e32 v9, 0x80000000, v9
	v_cndmask_b32_e64 v11, v11, |v8|, s[0:1]
	v_cndmask_b32_e64 v12, v12, 2, s[0:1]
.LBB142_124:
	s_andn2_saveexec_b64 s[2:3], s[8:9]
	s_cbranch_execz .LBB142_126
; %bb.125:
	s_mov_b32 s0, 0x3fdda512
	s_mov_b32 s1, 0xbfbb16c3
	v_sub_f32_e64 v9, 2.0, |v8|
	v_add_f32_e64 v11, |v8|, s1
	v_cmp_lt_f32_e64 s[0:1], |v8|, s0
	v_cndmask_b32_e64 v11, v9, v11, s[0:1]
	v_cndmask_b32_e64 v9, v9, 1.0, s[0:1]
	v_cvt_i32_f32_e32 v9, v9
	s_mov_b32 s0, 0x3f9d70a4
	v_add_f32_e64 v12, |v8|, -1.0
	v_cmp_lt_f32_e64 s[0:1], |v8|, s0
	v_cndmask_b32_e64 v11, v11, v12, s[0:1]
	v_cndmask_b32_e64 v12, v9, 2, s[0:1]
	v_mov_b32_e32 v9, 0
.LBB142_126:
	s_or_b64 exec, exec, s[2:3]
	v_cmp_lt_i32_e64 s[0:1], 0, v12
	s_and_saveexec_b64 s[2:3], s[0:1]
	s_xor_b64 s[2:3], exec, s[2:3]
	s_cbranch_execz .LBB142_134
; %bb.127:
	v_cmp_lt_i32_e64 s[0:1], 1, v12
	s_and_saveexec_b64 s[8:9], s[0:1]
	s_xor_b64 s[8:9], exec, s[8:9]
	s_cbranch_execz .LBB142_131
; %bb.128:
	v_cmp_eq_u32_e64 s[0:1], 2, v12
	s_and_saveexec_b64 s[10:11], s[0:1]
	s_cbranch_execz .LBB142_130
; %bb.129:
	v_mov_b32_e32 v12, 0x3e6a7578
	v_fmac_f32_e32 v12, 0x3c5b3c5e, v11
	v_mov_b32_e32 v13, 0x3f7a4bb2
	v_fmac_f32_e32 v13, v11, v12
	;; [unrolled: 2-line block ×8, first 2 shown]
	v_fma_f32 v12, v11, v14, 1.0
	v_rcp_f32_e32 v12, v12
	v_mov_b32_e32 v14, 0xbd9e233f
	v_fmac_f32_e32 v14, v11, v13
	v_mul_f32_e32 v13, v11, v14
	v_mul_f32_e32 v12, v13, v12
	v_fmac_f32_e32 v12, -0.5, v11
	v_add_f32_e32 v9, v9, v12
.LBB142_130:
	s_or_b64 exec, exec, s[10:11]
                                        ; implicit-def: $vgpr11
.LBB142_131:
	s_andn2_saveexec_b64 s[0:1], s[8:9]
	s_cbranch_execz .LBB142_133
; %bb.132:
	v_mul_f32_e32 v12, v11, v11
	v_mul_f32_e32 v13, v11, v12
	v_mov_b32_e32 v14, 0xbab7f476
	v_fmac_f32_e32 v14, 0x39a57b6b, v13
	v_mov_b32_e32 v15, 0x3bc7e707
	v_fmac_f32_e32 v15, v13, v14
	v_mov_b32_e32 v14, 0xbd064d47
	v_fmac_f32_e32 v14, v13, v15
	v_mov_b32_e32 v15, 0x3ef7b95e
	v_fmac_f32_e32 v15, v13, v14
	v_mov_b32_e32 v14, 0x3a66f867
	v_fmac_f32_e32 v14, 0xb9a3f927, v13
	v_mov_b32_e32 v16, 0xbb7177fe
	v_fmac_f32_e32 v16, v13, v14
	v_mov_b32_e32 v14, 0x3c93373d
	v_fmac_f32_e32 v14, v13, v16
	v_mov_b32_e32 v16, 0xbe17213c
	v_fmac_f32_e32 v16, v13, v14
	v_mov_b32_e32 v14, 0xba0d3085
	v_fmac_f32_e32 v14, 0x39afe9f7, v13
	v_mov_b32_e32 v17, 0x3b141699
	v_fmac_f32_e32 v17, v13, v14
	v_mov_b32_e32 v14, 0xbc28fcfe
	v_fmac_f32_e32 v14, v13, v17
	v_mov_b32_e32 v17, 0x3d845a15
	v_fmac_f32_e32 v17, v13, v14
	v_fmac_f32_e32 v16, v11, v17
	s_mov_b32 s8, 0xa2863e55
	v_fma_f32 v11, v13, -v16, s8
	v_fma_f32 v11, v12, v15, -v11
	v_add_f32_e32 v11, 0xbdf8cdce, v11
	v_add_f32_e32 v9, v9, v11
.LBB142_133:
	s_or_b64 exec, exec, s[0:1]
                                        ; implicit-def: $vgpr12
                                        ; implicit-def: $vgpr11
.LBB142_134:
	s_andn2_saveexec_b64 s[2:3], s[2:3]
	s_cbranch_execz .LBB142_138
; %bb.135:
	v_cmp_eq_u32_e64 s[0:1], 0, v12
	s_and_saveexec_b64 s[8:9], s[0:1]
	s_cbranch_execz .LBB142_137
; %bb.136:
	v_mul_f32_e32 v12, v11, v11
	v_mov_b32_e32 v13, 0x39679767
	v_fmac_f32_e32 v13, 0x37d383a2, v12
	v_mov_b32_e32 v14, 0x3a9c54a1
	v_fmac_f32_e32 v14, v12, v13
	;; [unrolled: 2-line block ×10, first 2 shown]
	v_mul_f32_e32 v12, v12, v14
	v_fmac_f32_e32 v12, v11, v13
	v_fmac_f32_e32 v12, -0.5, v11
	v_add_f32_e32 v9, v9, v12
.LBB142_137:
	s_or_b64 exec, exec, s[8:9]
.LBB142_138:
	s_or_b64 exec, exec, s[2:3]
.LBB142_139:
	s_or_b64 exec, exec, s[6:7]
.LBB142_140:
	s_andn2_saveexec_b64 s[4:5], s[4:5]
	s_cbranch_execz .LBB142_142
; %bb.141:
	s_mov_b32 s0, 0x3e8a8991
	v_mov_b32_e32 v9, 0xbecd26ab
	v_fma_f32 v9, |v8|, s0, v9
	s_mov_b32 s0, 0x3f528d33
	v_fma_f32 v9, |v8|, v9, s0
	s_mov_b32 s0, 0x800000
	v_cmp_lt_f32_e64 s[0:1], |v8|, s0
	v_cndmask_b32_e64 v11, 0, 32, s[0:1]
	v_ldexp_f32 v11, |v8|, v11
	v_log_f32_e32 v11, v11
	s_mov_b32 s2, 0xbf13c468
	v_fma_f32 v9, |v8|, v9, s2
	s_mov_b32 s2, 0x3f317217
	v_mul_f32_e32 v12, 0x3f317217, v11
	v_fma_f32 v13, v11, s2, -v12
	v_fmac_f32_e32 v13, 0x3377d1cf, v11
	s_mov_b32 s2, 0x7f800000
	v_add_f32_e32 v12, v12, v13
	v_cmp_lt_f32_e64 s[2:3], |v11|, s2
	v_cndmask_b32_e64 v11, v11, v12, s[2:3]
	v_mov_b32_e32 v12, 0x41b17218
	v_cndmask_b32_e64 v12, 0, v12, s[0:1]
	v_sub_f32_e32 v11, v11, v12
	v_fma_f32 v9, |v8|, v9, -v11
.LBB142_142:
	s_or_b64 exec, exec, s[4:5]
	v_cmp_le_f32_e64 s[0:1], 0, v8
	v_cmp_nle_f32_e64 s[2:3], 0, v8
	s_and_saveexec_b64 s[4:5], s[2:3]
	s_xor_b64 s[6:7], exec, s[4:5]
	s_cbranch_execz .LBB142_146
; %bb.143:
	s_mov_b32 s2, 0x4b000000
	s_mov_b32 s4, 0x35000000
	v_cmp_lt_f32_e64 s[2:3], |v8|, s2
	v_cmp_gt_f32_e64 s[4:5], |v8|, s4
	s_and_b64 s[2:3], s[2:3], s[4:5]
	s_and_saveexec_b64 s[8:9], s[2:3]
	s_cbranch_execz .LBB142_145
; %bb.144:
	v_mul_f32_e64 v11, |v8|, 0.5
	v_floor_f32_e32 v12, v11
	v_sub_f32_e32 v12, v11, v12
	v_min_f32_e32 v12, 0x3f7fffff, v12
	s_mov_b32 s4, 0x7f800000
	v_add_f32_e32 v12, v12, v12
	v_cmp_neq_f32_e64 s[2:3], s4, v11
	v_cndmask_b32_e64 v11, 0, v12, s[2:3]
	v_cmp_gt_f32_e64 s[2:3], |v8|, 1.0
	v_cndmask_b32_e64 v11, |v8|, v11, s[2:3]
	v_add_f32_e32 v12, v11, v11
	v_rndne_f32_e32 v12, v12
	v_fmac_f32_e32 v11, -0.5, v12
	v_mul_f32_e32 v13, v11, v11
	v_mov_b32_e32 v14, 0xbf1f24be
	v_fmac_f32_e32 v14, 0x3e75aa41, v13
	v_mov_b32_e32 v15, 0x40234736
	v_fmac_f32_e32 v15, v13, v14
	;; [unrolled: 2-line block ×3, first 2 shown]
	v_mul_f32_e32 v15, v11, v13
	v_mul_f32_e32 v14, v15, v14
	v_fmac_f32_e32 v14, 0x40490fdb, v11
	v_mov_b32_e32 v11, 0x3e642e9d
	v_cvt_i32_f32_e32 v12, v12
	v_fmac_f32_e32 v11, 0x3d4be544, v13
	v_mov_b32_e32 v15, 0xbfaad1da
	v_fmac_f32_e32 v15, v13, v11
	v_mov_b32_e32 v11, 0x4081e0d3
	;; [unrolled: 2-line block ×3, first 2 shown]
	v_fmac_f32_e32 v15, v13, v11
	v_fma_f32 v11, v13, v15, 1.0
	v_and_b32_e32 v13, 1, v12
	v_lshlrev_b32_e32 v12, 30, v12
	v_cmp_eq_u32_e64 s[2:3], 0, v13
	v_and_b32_e32 v12, 0x80000000, v12
	v_xor_b32_e32 v10, v10, v8
	v_cndmask_b32_e64 v11, v11, v14, s[2:3]
	v_xor_b32_e32 v10, v10, v12
	v_xor_b32_e32 v10, v10, v11
	v_mul_f32_e32 v10, v8, v10
	v_frexp_mant_f32_e64 v11, |v10|
	v_rcp_f32_e32 v11, v11
	v_frexp_exp_i32_f32_e32 v10, v10
	v_sub_u32_e32 v10, 2, v10
	s_mov_b32 s2, 0x800000
	v_mul_f32_e32 v11, 0x3f490fdb, v11
	v_ldexp_f32 v10, v11, v10
	v_cmp_gt_f32_e64 s[2:3], s2, v10
	v_cndmask_b32_e64 v11, 0, 32, s[2:3]
	v_ldexp_f32 v10, v10, v11
	v_log_f32_e32 v10, v10
	s_mov_b32 s5, 0x3f317217
	v_mul_f32_e32 v11, 0x3f317217, v10
	v_fma_f32 v12, v10, s5, -v11
	v_fmac_f32_e32 v12, 0x3377d1cf, v10
	v_add_f32_e32 v11, v11, v12
	v_cmp_lt_f32_e64 s[4:5], |v10|, s4
	v_cndmask_b32_e64 v10, v10, v11, s[4:5]
	v_mov_b32_e32 v11, 0x41b17218
	v_cndmask_b32_e64 v11, 0, v11, s[2:3]
	v_sub_f32_e32 v10, v10, v11
	v_sub_f32_e32 v9, v10, v9
	v_floor_f32_e32 v10, v8
	v_sub_f32_e32 v10, v8, v10
	v_min_f32_e32 v10, 0x3f7fffff, v10
	v_mov_b32_e32 v11, 0x7f800000
	v_cmp_neq_f32_e64 s[2:3], 0, v10
	v_cndmask_b32_e64 v9, v11, v9, s[2:3]
.LBB142_145:
	s_or_b64 exec, exec, s[8:9]
.LBB142_146:
	s_andn2_saveexec_b64 s[6:7], s[6:7]
; %bb.147:
	v_cmp_eq_f32_e64 s[2:3], 1.0, v8
	v_cmp_eq_f32_e64 s[4:5], 2.0, v8
	s_or_b64 s[2:3], s[2:3], s[4:5]
	v_cndmask_b32_e64 v9, v9, 0, s[2:3]
; %bb.148:
	s_or_b64 exec, exec, s[6:7]
	global_load_dword v7, v7, s[14:15]
	s_mov_b32 s2, 0x3c800000
                                        ; implicit-def: $vgpr10
	s_waitcnt vmcnt(0)
	v_and_b32_e32 v11, 0x7fffffff, v7
	v_cmp_nlt_f32_e64 s[2:3], |v7|, s2
	s_and_saveexec_b64 s[4:5], s[2:3]
	s_xor_b64 s[6:7], exec, s[4:5]
	s_cbranch_execz .LBB142_178
; %bb.149:
	v_cmp_nlt_f32_e64 s[2:3], |v7|, 2.0
                                        ; implicit-def: $vgpr10
	s_and_saveexec_b64 s[4:5], s[2:3]
	s_xor_b64 s[8:9], exec, s[4:5]
	s_cbranch_execz .LBB142_159
; %bb.150:
	s_mov_b32 s2, 0x41000000
	v_cmp_nlt_f32_e64 s[2:3], |v7|, s2
                                        ; implicit-def: $vgpr10
	s_and_saveexec_b64 s[4:5], s[2:3]
	s_xor_b64 s[10:11], exec, s[4:5]
	s_cbranch_execz .LBB142_156
; %bb.151:
	s_mov_b32 s2, 0x5c800000
	v_cmp_nlt_f32_e64 s[2:3], |v7|, s2
                                        ; implicit-def: $vgpr10
	s_and_saveexec_b64 s[4:5], s[2:3]
	s_xor_b64 s[16:17], exec, s[4:5]
	s_cbranch_execz .LBB142_153
; %bb.152:
	s_mov_b32 s2, 0x800000
	v_cmp_lt_f32_e64 s[2:3], |v7|, s2
	v_cndmask_b32_e64 v10, 0, 32, s[2:3]
	v_ldexp_f32 v10, |v7|, v10
	v_log_f32_e32 v10, v10
	s_mov_b32 s4, 0x3f317217
	s_mov_b32 s5, 0x7f800000
	v_mul_f32_e32 v12, 0x3f317217, v10
	v_fma_f32 v13, v10, s4, -v12
	v_fmac_f32_e32 v13, 0x3377d1cf, v10
	v_add_f32_e32 v12, v12, v13
	v_cmp_lt_f32_e64 s[4:5], |v10|, s5
	v_cndmask_b32_e64 v10, v10, v12, s[4:5]
	v_mov_b32_e32 v12, 0x41b17218
	v_cndmask_b32_e64 v12, 0, v12, s[2:3]
	v_sub_f32_e32 v10, v10, v12
	v_fma_f32 v10, |v7|, v10, -|v7|
.LBB142_153:
	s_andn2_saveexec_b64 s[16:17], s[16:17]
	s_cbranch_execz .LBB142_155
; %bb.154:
	v_rcp_f32_e64 v12, |v7|
	v_mov_b32_e32 v10, 0x3a5b3dd2
	v_mov_b32_e32 v13, 0xba1c065c
	;; [unrolled: 1-line block ×3, first 2 shown]
	v_mul_f32_e32 v15, v12, v12
	v_fmac_f32_e32 v10, 0xbad5c4e8, v15
	v_fmac_f32_e32 v13, v15, v10
	s_mov_b32 s2, 0x800000
	v_fmac_f32_e32 v14, v15, v13
	v_mov_b32_e32 v10, 0xbb360b61
	v_cmp_lt_f32_e64 s[2:3], |v7|, s2
	v_fmac_f32_e32 v10, v15, v14
	v_cndmask_b32_e64 v14, 0, 32, s[2:3]
	v_ldexp_f32 v14, |v7|, v14
	v_log_f32_e32 v14, v14
	v_mov_b32_e32 v13, 0x3daaaaab
	v_fmac_f32_e32 v13, v15, v10
	v_mov_b32_e32 v10, 0x3ed67f1d
	v_fmac_f32_e32 v10, v12, v13
	s_mov_b32 s4, 0x3f317217
	v_mul_f32_e32 v13, 0x3f317217, v14
	v_fma_f32 v15, v14, s4, -v13
	v_fmac_f32_e32 v15, 0x3377d1cf, v14
	s_mov_b32 s4, 0x7f800000
	v_add_f32_e32 v13, v13, v15
	v_cmp_lt_f32_e64 s[4:5], |v14|, s4
	v_cndmask_b32_e64 v13, v14, v13, s[4:5]
	v_mov_b32_e32 v14, 0x41b17218
	v_cndmask_b32_e64 v14, 0, v14, s[2:3]
	v_sub_f32_e32 v13, v13, v14
	v_add_f32_e64 v12, |v7|, -0.5
	v_add_f32_e32 v13, -1.0, v13
	v_fmac_f32_e32 v10, v12, v13
.LBB142_155:
	s_or_b64 exec, exec, s[16:17]
.LBB142_156:
	s_andn2_saveexec_b64 s[10:11], s[10:11]
	s_cbranch_execz .LBB142_158
; %bb.157:
	v_cvt_i32_f32_e32 v10, v11
	v_mov_b32_e32 v12, 0x3af135b4
	v_mov_b32_e32 v13, 0x3cda40e4
	v_mov_b32_e32 v14, 0x3e15dce6
	v_cvt_f32_i32_e32 v15, v10
	v_mov_b32_e32 v16, 0x3ea6cc7a
	v_mov_b32_e32 v17, 0x3e5c245a
	v_cmp_lt_i32_e64 s[2:3], 2, v10
	v_sub_f32_e64 v15, |v7|, v15
	v_fmac_f32_e32 v12, 0x3805ff67, v15
	v_fmac_f32_e32 v13, v15, v12
	;; [unrolled: 1-line block ×3, first 2 shown]
	v_mov_b32_e32 v13, 0x3a4beed6
	v_fmac_f32_e32 v16, v15, v14
	v_fmac_f32_e32 v13, 0x36f5d7bd, v15
	v_mov_b32_e32 v14, 0x3c98bf54
	v_fmac_f32_e32 v14, v15, v13
	v_mov_b32_e32 v13, 0x3e300f6e
	;; [unrolled: 2-line block ×4, first 2 shown]
	v_fmac_f32_e32 v13, v15, v14
	v_add_f32_e32 v14, 2.0, v15
	v_mov_b32_e32 v18, 0xbd9e233f
	v_fmac_f32_e32 v17, v15, v16
	v_add_f32_e32 v16, 0x40400000, v15
	v_cndmask_b32_e64 v14, 1.0, v14, s[2:3]
	v_cmp_lt_i32_e64 s[2:3], 3, v10
	v_fmac_f32_e32 v18, v15, v17
	v_add_f32_e32 v17, 4.0, v15
	v_cndmask_b32_e64 v16, 1.0, v16, s[2:3]
	v_cmp_lt_i32_e64 s[2:3], 4, v10
	v_mul_f32_e32 v12, v15, v18
	v_add_f32_e32 v18, 0x40a00000, v15
	v_mul_f32_e32 v14, v14, v16
	v_cndmask_b32_e64 v16, 1.0, v17, s[2:3]
	v_cmp_lt_i32_e64 s[2:3], 5, v10
	v_add_f32_e32 v19, 0x40c00000, v15
	v_mul_f32_e32 v14, v16, v14
	v_cndmask_b32_e64 v16, 1.0, v18, s[2:3]
	v_cmp_lt_i32_e64 s[2:3], 6, v10
	v_mul_f32_e32 v14, v16, v14
	v_cndmask_b32_e64 v10, 1.0, v19, s[2:3]
	v_mul_f32_e32 v10, v10, v14
	s_mov_b32 s2, 0x800000
	v_cmp_gt_f32_e64 s[2:3], s2, v10
	v_cndmask_b32_e64 v14, 0, 32, s[2:3]
	v_fma_f32 v13, v15, v13, 1.0
	v_ldexp_f32 v10, v10, v14
	v_rcp_f32_e32 v13, v13
	v_log_f32_e32 v10, v10
	s_mov_b32 s4, 0x3f317217
	v_mul_f32_e32 v12, v12, v13
	v_mul_f32_e32 v13, 0x3f317217, v10
	v_fma_f32 v14, v10, s4, -v13
	v_fmac_f32_e32 v14, 0x3377d1cf, v10
	s_mov_b32 s4, 0x7f800000
	v_add_f32_e32 v13, v13, v14
	v_cmp_lt_f32_e64 s[4:5], |v10|, s4
	v_cndmask_b32_e64 v10, v10, v13, s[4:5]
	v_mov_b32_e32 v13, 0x41b17218
	v_cndmask_b32_e64 v13, 0, v13, s[2:3]
	v_fmac_f32_e32 v12, 0.5, v15
	v_sub_f32_e32 v10, v10, v13
	v_add_f32_e32 v10, v10, v12
.LBB142_158:
	s_or_b64 exec, exec, s[10:11]
.LBB142_159:
	s_andn2_saveexec_b64 s[8:9], s[8:9]
	s_cbranch_execz .LBB142_177
; %bb.160:
	s_mov_b32 s2, 0x3f666666
	v_cmp_le_f32_e64 s[2:3], |v7|, s2
                                        ; implicit-def: $vgpr10
                                        ; implicit-def: $vgpr13
                                        ; implicit-def: $vgpr12
	s_and_saveexec_b64 s[4:5], s[2:3]
	s_xor_b64 s[10:11], exec, s[4:5]
	s_cbranch_execz .LBB142_162
; %bb.161:
	s_mov_b32 s2, 0x800000
	v_cmp_lt_f32_e64 s[2:3], |v7|, s2
	v_cndmask_b32_e64 v10, 0, 32, s[2:3]
	v_ldexp_f32 v10, |v7|, v10
	v_log_f32_e32 v10, v10
	s_mov_b32 s4, 0x3f317217
	s_mov_b32 s5, 0x7f800000
	v_mul_f32_e32 v12, 0x3f317217, v10
	v_fma_f32 v13, v10, s4, -v12
	v_fmac_f32_e32 v13, 0x3377d1cf, v10
	v_add_f32_e32 v12, v12, v13
	v_cmp_lt_f32_e64 s[4:5], |v10|, s5
	v_cndmask_b32_e64 v10, v10, v12, s[4:5]
	v_mov_b32_e32 v12, 0x41b17218
	v_cndmask_b32_e64 v12, 0, v12, s[2:3]
	s_mov_b32 s2, 0x3f3b4a23
	s_mov_b32 s3, 0xbeec5b0c
	v_sub_f32_e32 v10, v10, v12
	v_sub_f32_e64 v12, 1.0, |v7|
	v_add_f32_e64 v13, |v7|, s3
	v_cmp_lt_f32_e64 s[2:3], |v7|, s2
	v_cndmask_b32_e64 v12, v12, v13, s[2:3]
	v_cndmask_b32_e64 v13, 0, 1, s[2:3]
	s_mov_b32 s2, 0x3e6d3309
	v_cmp_lt_f32_e64 s[2:3], |v7|, s2
	v_xor_b32_e32 v10, 0x80000000, v10
	v_cndmask_b32_e64 v12, v12, |v7|, s[2:3]
	v_cndmask_b32_e64 v13, v13, 2, s[2:3]
.LBB142_162:
	s_andn2_saveexec_b64 s[4:5], s[10:11]
	s_cbranch_execz .LBB142_164
; %bb.163:
	s_mov_b32 s2, 0x3fdda512
	s_mov_b32 s3, 0xbfbb16c3
	v_sub_f32_e64 v10, 2.0, |v7|
	v_add_f32_e64 v12, |v7|, s3
	v_cmp_lt_f32_e64 s[2:3], |v7|, s2
	v_cndmask_b32_e64 v12, v10, v12, s[2:3]
	v_cndmask_b32_e64 v10, v10, 1.0, s[2:3]
	v_cvt_i32_f32_e32 v10, v10
	s_mov_b32 s2, 0x3f9d70a4
	v_add_f32_e64 v13, |v7|, -1.0
	v_cmp_lt_f32_e64 s[2:3], |v7|, s2
	v_cndmask_b32_e64 v12, v12, v13, s[2:3]
	v_cndmask_b32_e64 v13, v10, 2, s[2:3]
	v_mov_b32_e32 v10, 0
.LBB142_164:
	s_or_b64 exec, exec, s[4:5]
	v_cmp_lt_i32_e64 s[2:3], 0, v13
	s_and_saveexec_b64 s[4:5], s[2:3]
	s_xor_b64 s[4:5], exec, s[4:5]
	s_cbranch_execz .LBB142_172
; %bb.165:
	v_cmp_lt_i32_e64 s[2:3], 1, v13
	s_and_saveexec_b64 s[10:11], s[2:3]
	s_xor_b64 s[10:11], exec, s[10:11]
	s_cbranch_execz .LBB142_169
; %bb.166:
	v_cmp_eq_u32_e64 s[2:3], 2, v13
	s_and_saveexec_b64 s[16:17], s[2:3]
	s_cbranch_execz .LBB142_168
; %bb.167:
	v_mov_b32_e32 v13, 0x3e6a7578
	v_fmac_f32_e32 v13, 0x3c5b3c5e, v12
	v_mov_b32_e32 v14, 0x3f7a4bb2
	v_fmac_f32_e32 v14, v12, v13
	;; [unrolled: 2-line block ×8, first 2 shown]
	v_fma_f32 v13, v12, v15, 1.0
	v_rcp_f32_e32 v13, v13
	v_mov_b32_e32 v15, 0xbd9e233f
	v_fmac_f32_e32 v15, v12, v14
	v_mul_f32_e32 v14, v12, v15
	v_mul_f32_e32 v13, v14, v13
	v_fmac_f32_e32 v13, -0.5, v12
	v_add_f32_e32 v10, v10, v13
.LBB142_168:
	s_or_b64 exec, exec, s[16:17]
                                        ; implicit-def: $vgpr12
.LBB142_169:
	s_andn2_saveexec_b64 s[2:3], s[10:11]
	s_cbranch_execz .LBB142_171
; %bb.170:
	v_mul_f32_e32 v13, v12, v12
	v_mul_f32_e32 v14, v12, v13
	v_mov_b32_e32 v15, 0xbab7f476
	v_fmac_f32_e32 v15, 0x39a57b6b, v14
	v_mov_b32_e32 v16, 0x3bc7e707
	v_fmac_f32_e32 v16, v14, v15
	;; [unrolled: 2-line block ×12, first 2 shown]
	v_fmac_f32_e32 v17, v12, v18
	s_mov_b32 s10, 0xa2863e55
	v_fma_f32 v12, v14, -v17, s10
	v_fma_f32 v12, v13, v16, -v12
	v_add_f32_e32 v12, 0xbdf8cdce, v12
	v_add_f32_e32 v10, v10, v12
.LBB142_171:
	s_or_b64 exec, exec, s[2:3]
                                        ; implicit-def: $vgpr13
                                        ; implicit-def: $vgpr12
.LBB142_172:
	s_andn2_saveexec_b64 s[4:5], s[4:5]
	s_cbranch_execz .LBB142_176
; %bb.173:
	v_cmp_eq_u32_e64 s[2:3], 0, v13
	s_and_saveexec_b64 s[10:11], s[2:3]
	s_cbranch_execz .LBB142_175
; %bb.174:
	v_mul_f32_e32 v13, v12, v12
	v_mov_b32_e32 v14, 0x39679767
	v_fmac_f32_e32 v14, 0x37d383a2, v13
	v_mov_b32_e32 v15, 0x3a9c54a1
	v_fmac_f32_e32 v15, v13, v14
	;; [unrolled: 2-line block ×10, first 2 shown]
	v_mul_f32_e32 v13, v13, v15
	v_fmac_f32_e32 v13, v12, v14
	v_fmac_f32_e32 v13, -0.5, v12
	v_add_f32_e32 v10, v10, v13
.LBB142_175:
	s_or_b64 exec, exec, s[10:11]
.LBB142_176:
	s_or_b64 exec, exec, s[4:5]
.LBB142_177:
	s_or_b64 exec, exec, s[8:9]
.LBB142_178:
	s_andn2_saveexec_b64 s[6:7], s[6:7]
	s_cbranch_execz .LBB142_180
; %bb.179:
	s_mov_b32 s2, 0x3e8a8991
	v_mov_b32_e32 v10, 0xbecd26ab
	v_fma_f32 v10, |v7|, s2, v10
	s_mov_b32 s2, 0x3f528d33
	v_fma_f32 v10, |v7|, v10, s2
	s_mov_b32 s2, 0x800000
	v_cmp_lt_f32_e64 s[2:3], |v7|, s2
	v_cndmask_b32_e64 v12, 0, 32, s[2:3]
	v_ldexp_f32 v12, |v7|, v12
	v_log_f32_e32 v12, v12
	s_mov_b32 s4, 0xbf13c468
	v_fma_f32 v10, |v7|, v10, s4
	s_mov_b32 s4, 0x3f317217
	v_mul_f32_e32 v13, 0x3f317217, v12
	v_fma_f32 v14, v12, s4, -v13
	v_fmac_f32_e32 v14, 0x3377d1cf, v12
	s_mov_b32 s4, 0x7f800000
	v_add_f32_e32 v13, v13, v14
	v_cmp_lt_f32_e64 s[4:5], |v12|, s4
	v_cndmask_b32_e64 v12, v12, v13, s[4:5]
	v_mov_b32_e32 v13, 0x41b17218
	v_cndmask_b32_e64 v13, 0, v13, s[2:3]
	v_sub_f32_e32 v12, v12, v13
	v_fma_f32 v10, |v7|, v10, -v12
.LBB142_180:
	s_or_b64 exec, exec, s[6:7]
	v_cmp_le_f32_e64 s[2:3], 0, v7
	v_cmp_nle_f32_e64 s[4:5], 0, v7
	s_and_saveexec_b64 s[6:7], s[4:5]
	s_xor_b64 s[8:9], exec, s[6:7]
	s_cbranch_execz .LBB142_184
; %bb.181:
	s_mov_b32 s4, 0x4b000000
	s_mov_b32 s6, 0x35000000
	v_cmp_lt_f32_e64 s[4:5], |v7|, s4
	v_cmp_gt_f32_e64 s[6:7], |v7|, s6
	s_and_b64 s[4:5], s[4:5], s[6:7]
	s_and_saveexec_b64 s[10:11], s[4:5]
	s_cbranch_execz .LBB142_183
; %bb.182:
	v_mul_f32_e64 v12, |v7|, 0.5
	v_floor_f32_e32 v13, v12
	v_sub_f32_e32 v13, v12, v13
	v_min_f32_e32 v13, 0x3f7fffff, v13
	s_mov_b32 s6, 0x7f800000
	v_add_f32_e32 v13, v13, v13
	v_cmp_neq_f32_e64 s[4:5], s6, v12
	v_cndmask_b32_e64 v12, 0, v13, s[4:5]
	v_cmp_gt_f32_e64 s[4:5], |v7|, 1.0
	v_cndmask_b32_e64 v12, |v7|, v12, s[4:5]
	v_add_f32_e32 v13, v12, v12
	v_rndne_f32_e32 v13, v13
	v_fmac_f32_e32 v12, -0.5, v13
	v_mul_f32_e32 v14, v12, v12
	v_mov_b32_e32 v15, 0xbf1f24be
	v_fmac_f32_e32 v15, 0x3e75aa41, v14
	v_mov_b32_e32 v16, 0x40234736
	v_fmac_f32_e32 v16, v14, v15
	;; [unrolled: 2-line block ×3, first 2 shown]
	v_mul_f32_e32 v16, v12, v14
	v_mul_f32_e32 v15, v16, v15
	v_fmac_f32_e32 v15, 0x40490fdb, v12
	v_mov_b32_e32 v12, 0x3e642e9d
	v_cvt_i32_f32_e32 v13, v13
	v_fmac_f32_e32 v12, 0x3d4be544, v14
	v_mov_b32_e32 v16, 0xbfaad1da
	v_fmac_f32_e32 v16, v14, v12
	v_mov_b32_e32 v12, 0x4081e0d3
	;; [unrolled: 2-line block ×3, first 2 shown]
	v_fmac_f32_e32 v16, v14, v12
	v_fma_f32 v12, v14, v16, 1.0
	v_and_b32_e32 v14, 1, v13
	v_lshlrev_b32_e32 v13, 30, v13
	v_cmp_eq_u32_e64 s[4:5], 0, v14
	v_and_b32_e32 v13, 0x80000000, v13
	v_xor_b32_e32 v11, v11, v7
	v_cndmask_b32_e64 v12, v12, v15, s[4:5]
	v_xor_b32_e32 v11, v11, v13
	v_xor_b32_e32 v11, v11, v12
	v_mul_f32_e32 v11, v7, v11
	v_frexp_mant_f32_e64 v12, |v11|
	v_rcp_f32_e32 v12, v12
	v_frexp_exp_i32_f32_e32 v11, v11
	v_sub_u32_e32 v11, 2, v11
	s_mov_b32 s4, 0x800000
	v_mul_f32_e32 v12, 0x3f490fdb, v12
	v_ldexp_f32 v11, v12, v11
	v_cmp_gt_f32_e64 s[4:5], s4, v11
	v_cndmask_b32_e64 v12, 0, 32, s[4:5]
	v_ldexp_f32 v11, v11, v12
	v_log_f32_e32 v11, v11
	s_mov_b32 s7, 0x3f317217
	v_mul_f32_e32 v12, 0x3f317217, v11
	v_fma_f32 v13, v11, s7, -v12
	v_fmac_f32_e32 v13, 0x3377d1cf, v11
	v_add_f32_e32 v12, v12, v13
	v_cmp_lt_f32_e64 s[6:7], |v11|, s6
	v_cndmask_b32_e64 v11, v11, v12, s[6:7]
	v_mov_b32_e32 v12, 0x41b17218
	v_cndmask_b32_e64 v12, 0, v12, s[4:5]
	v_sub_f32_e32 v11, v11, v12
	v_sub_f32_e32 v10, v11, v10
	v_floor_f32_e32 v11, v7
	v_sub_f32_e32 v11, v7, v11
	v_min_f32_e32 v11, 0x3f7fffff, v11
	v_mov_b32_e32 v12, 0x7f800000
	v_cmp_neq_f32_e64 s[4:5], 0, v11
	v_cndmask_b32_e64 v10, v12, v10, s[4:5]
.LBB142_183:
	s_or_b64 exec, exec, s[10:11]
.LBB142_184:
	s_andn2_saveexec_b64 s[8:9], s[8:9]
; %bb.185:
	v_cmp_eq_f32_e64 s[4:5], 1.0, v7
	v_cmp_eq_f32_e64 s[6:7], 2.0, v7
	s_or_b64 s[4:5], s[4:5], s[6:7]
	v_cndmask_b32_e64 v10, v10, 0, s[4:5]
; %bb.186:
	s_or_b64 exec, exec, s[8:9]
	global_load_dword v5, v5, s[14:15]
	s_mov_b32 s4, 0x3c800000
                                        ; implicit-def: $vgpr12
	s_waitcnt vmcnt(0)
	v_and_b32_e32 v11, 0x7fffffff, v5
	v_cmp_nlt_f32_e64 s[4:5], |v5|, s4
	s_and_saveexec_b64 s[6:7], s[4:5]
	s_xor_b64 s[8:9], exec, s[6:7]
	s_cbranch_execz .LBB142_216
; %bb.187:
	v_cmp_nlt_f32_e64 s[4:5], |v5|, 2.0
                                        ; implicit-def: $vgpr12
	s_and_saveexec_b64 s[6:7], s[4:5]
	s_xor_b64 s[10:11], exec, s[6:7]
	s_cbranch_execz .LBB142_197
; %bb.188:
	s_mov_b32 s4, 0x41000000
	v_cmp_nlt_f32_e64 s[4:5], |v5|, s4
                                        ; implicit-def: $vgpr12
	s_and_saveexec_b64 s[6:7], s[4:5]
	s_xor_b64 s[14:15], exec, s[6:7]
	s_cbranch_execz .LBB142_194
; %bb.189:
	s_mov_b32 s4, 0x5c800000
	v_cmp_nlt_f32_e64 s[4:5], |v5|, s4
                                        ; implicit-def: $vgpr12
	s_and_saveexec_b64 s[6:7], s[4:5]
	s_xor_b64 s[16:17], exec, s[6:7]
	s_cbranch_execz .LBB142_191
; %bb.190:
	s_mov_b32 s4, 0x800000
	v_cmp_lt_f32_e64 s[4:5], |v5|, s4
	v_cndmask_b32_e64 v12, 0, 32, s[4:5]
	v_ldexp_f32 v12, |v5|, v12
	v_log_f32_e32 v12, v12
	s_mov_b32 s6, 0x3f317217
	s_mov_b32 s7, 0x7f800000
	v_mul_f32_e32 v13, 0x3f317217, v12
	v_fma_f32 v14, v12, s6, -v13
	v_fmac_f32_e32 v14, 0x3377d1cf, v12
	v_add_f32_e32 v13, v13, v14
	v_cmp_lt_f32_e64 s[6:7], |v12|, s7
	v_cndmask_b32_e64 v12, v12, v13, s[6:7]
	v_mov_b32_e32 v13, 0x41b17218
	v_cndmask_b32_e64 v13, 0, v13, s[4:5]
	v_sub_f32_e32 v12, v12, v13
	v_fma_f32 v12, |v5|, v12, -|v5|
.LBB142_191:
	s_andn2_saveexec_b64 s[16:17], s[16:17]
	s_cbranch_execz .LBB142_193
; %bb.192:
	v_rcp_f32_e64 v13, |v5|
	v_mov_b32_e32 v12, 0x3a5b3dd2
	v_mov_b32_e32 v14, 0xba1c065c
	;; [unrolled: 1-line block ×3, first 2 shown]
	v_mul_f32_e32 v16, v13, v13
	v_fmac_f32_e32 v12, 0xbad5c4e8, v16
	v_fmac_f32_e32 v14, v16, v12
	s_mov_b32 s4, 0x800000
	v_fmac_f32_e32 v15, v16, v14
	v_mov_b32_e32 v12, 0xbb360b61
	v_cmp_lt_f32_e64 s[4:5], |v5|, s4
	v_fmac_f32_e32 v12, v16, v15
	v_cndmask_b32_e64 v15, 0, 32, s[4:5]
	v_ldexp_f32 v15, |v5|, v15
	v_log_f32_e32 v15, v15
	v_mov_b32_e32 v14, 0x3daaaaab
	v_fmac_f32_e32 v14, v16, v12
	v_mov_b32_e32 v12, 0x3ed67f1d
	v_fmac_f32_e32 v12, v13, v14
	s_mov_b32 s6, 0x3f317217
	v_mul_f32_e32 v14, 0x3f317217, v15
	v_fma_f32 v16, v15, s6, -v14
	v_fmac_f32_e32 v16, 0x3377d1cf, v15
	s_mov_b32 s6, 0x7f800000
	v_add_f32_e32 v14, v14, v16
	v_cmp_lt_f32_e64 s[6:7], |v15|, s6
	v_cndmask_b32_e64 v14, v15, v14, s[6:7]
	v_mov_b32_e32 v15, 0x41b17218
	v_cndmask_b32_e64 v15, 0, v15, s[4:5]
	v_sub_f32_e32 v14, v14, v15
	v_add_f32_e64 v13, |v5|, -0.5
	v_add_f32_e32 v14, -1.0, v14
	v_fmac_f32_e32 v12, v13, v14
.LBB142_193:
	s_or_b64 exec, exec, s[16:17]
.LBB142_194:
	s_andn2_saveexec_b64 s[14:15], s[14:15]
	s_cbranch_execz .LBB142_196
; %bb.195:
	v_cvt_i32_f32_e32 v12, v11
	v_mov_b32_e32 v13, 0x3af135b4
	v_mov_b32_e32 v14, 0x3cda40e4
	;; [unrolled: 1-line block ×3, first 2 shown]
	v_cvt_f32_i32_e32 v16, v12
	v_mov_b32_e32 v17, 0x3ea6cc7a
	v_mov_b32_e32 v18, 0x3e5c245a
	v_cmp_lt_i32_e64 s[4:5], 2, v12
	v_sub_f32_e64 v16, |v5|, v16
	v_fmac_f32_e32 v13, 0x3805ff67, v16
	v_fmac_f32_e32 v14, v16, v13
	v_fmac_f32_e32 v15, v16, v14
	v_mov_b32_e32 v14, 0x3a4beed6
	v_fmac_f32_e32 v17, v16, v15
	v_fmac_f32_e32 v14, 0x36f5d7bd, v16
	v_mov_b32_e32 v15, 0x3c98bf54
	v_fmac_f32_e32 v15, v16, v14
	v_mov_b32_e32 v14, 0x3e300f6e
	;; [unrolled: 2-line block ×4, first 2 shown]
	v_fmac_f32_e32 v14, v16, v15
	v_add_f32_e32 v15, 2.0, v16
	v_mov_b32_e32 v19, 0xbd9e233f
	v_fmac_f32_e32 v18, v16, v17
	v_add_f32_e32 v17, 0x40400000, v16
	v_cndmask_b32_e64 v15, 1.0, v15, s[4:5]
	v_cmp_lt_i32_e64 s[4:5], 3, v12
	v_fmac_f32_e32 v19, v16, v18
	v_add_f32_e32 v18, 4.0, v16
	v_cndmask_b32_e64 v17, 1.0, v17, s[4:5]
	v_cmp_lt_i32_e64 s[4:5], 4, v12
	v_mul_f32_e32 v13, v16, v19
	v_add_f32_e32 v19, 0x40a00000, v16
	v_mul_f32_e32 v15, v15, v17
	v_cndmask_b32_e64 v17, 1.0, v18, s[4:5]
	v_cmp_lt_i32_e64 s[4:5], 5, v12
	v_add_f32_e32 v20, 0x40c00000, v16
	v_mul_f32_e32 v15, v17, v15
	v_cndmask_b32_e64 v17, 1.0, v19, s[4:5]
	v_cmp_lt_i32_e64 s[4:5], 6, v12
	v_mul_f32_e32 v15, v17, v15
	v_cndmask_b32_e64 v12, 1.0, v20, s[4:5]
	v_mul_f32_e32 v12, v12, v15
	s_mov_b32 s4, 0x800000
	v_cmp_gt_f32_e64 s[4:5], s4, v12
	v_cndmask_b32_e64 v15, 0, 32, s[4:5]
	v_fma_f32 v14, v16, v14, 1.0
	v_ldexp_f32 v12, v12, v15
	v_rcp_f32_e32 v14, v14
	v_log_f32_e32 v12, v12
	s_mov_b32 s6, 0x3f317217
	v_mul_f32_e32 v13, v13, v14
	v_mul_f32_e32 v14, 0x3f317217, v12
	v_fma_f32 v15, v12, s6, -v14
	v_fmac_f32_e32 v15, 0x3377d1cf, v12
	s_mov_b32 s6, 0x7f800000
	v_add_f32_e32 v14, v14, v15
	v_cmp_lt_f32_e64 s[6:7], |v12|, s6
	v_cndmask_b32_e64 v12, v12, v14, s[6:7]
	v_mov_b32_e32 v14, 0x41b17218
	v_cndmask_b32_e64 v14, 0, v14, s[4:5]
	v_fmac_f32_e32 v13, 0.5, v16
	v_sub_f32_e32 v12, v12, v14
	v_add_f32_e32 v12, v12, v13
.LBB142_196:
	s_or_b64 exec, exec, s[14:15]
.LBB142_197:
	s_andn2_saveexec_b64 s[10:11], s[10:11]
	s_cbranch_execz .LBB142_215
; %bb.198:
	s_mov_b32 s4, 0x3f666666
	v_cmp_le_f32_e64 s[4:5], |v5|, s4
                                        ; implicit-def: $vgpr12
                                        ; implicit-def: $vgpr14
                                        ; implicit-def: $vgpr13
	s_and_saveexec_b64 s[6:7], s[4:5]
	s_xor_b64 s[14:15], exec, s[6:7]
	s_cbranch_execz .LBB142_200
; %bb.199:
	s_mov_b32 s4, 0x800000
	v_cmp_lt_f32_e64 s[4:5], |v5|, s4
	v_cndmask_b32_e64 v12, 0, 32, s[4:5]
	v_ldexp_f32 v12, |v5|, v12
	v_log_f32_e32 v12, v12
	s_mov_b32 s6, 0x3f317217
	s_mov_b32 s7, 0x7f800000
	v_mul_f32_e32 v13, 0x3f317217, v12
	v_fma_f32 v14, v12, s6, -v13
	v_fmac_f32_e32 v14, 0x3377d1cf, v12
	v_add_f32_e32 v13, v13, v14
	v_cmp_lt_f32_e64 s[6:7], |v12|, s7
	v_cndmask_b32_e64 v12, v12, v13, s[6:7]
	v_mov_b32_e32 v13, 0x41b17218
	v_cndmask_b32_e64 v13, 0, v13, s[4:5]
	s_mov_b32 s4, 0x3f3b4a23
	s_mov_b32 s5, 0xbeec5b0c
	v_sub_f32_e32 v12, v12, v13
	v_sub_f32_e64 v13, 1.0, |v5|
	v_add_f32_e64 v14, |v5|, s5
	v_cmp_lt_f32_e64 s[4:5], |v5|, s4
	v_cndmask_b32_e64 v13, v13, v14, s[4:5]
	v_cndmask_b32_e64 v14, 0, 1, s[4:5]
	s_mov_b32 s4, 0x3e6d3309
	v_cmp_lt_f32_e64 s[4:5], |v5|, s4
	v_xor_b32_e32 v12, 0x80000000, v12
	v_cndmask_b32_e64 v13, v13, |v5|, s[4:5]
	v_cndmask_b32_e64 v14, v14, 2, s[4:5]
.LBB142_200:
	s_andn2_saveexec_b64 s[6:7], s[14:15]
	s_cbranch_execz .LBB142_202
; %bb.201:
	s_mov_b32 s4, 0x3fdda512
	s_mov_b32 s5, 0xbfbb16c3
	v_sub_f32_e64 v12, 2.0, |v5|
	v_add_f32_e64 v13, |v5|, s5
	v_cmp_lt_f32_e64 s[4:5], |v5|, s4
	v_cndmask_b32_e64 v13, v12, v13, s[4:5]
	v_cndmask_b32_e64 v12, v12, 1.0, s[4:5]
	v_cvt_i32_f32_e32 v12, v12
	s_mov_b32 s4, 0x3f9d70a4
	v_add_f32_e64 v14, |v5|, -1.0
	v_cmp_lt_f32_e64 s[4:5], |v5|, s4
	v_cndmask_b32_e64 v13, v13, v14, s[4:5]
	v_cndmask_b32_e64 v14, v12, 2, s[4:5]
	v_mov_b32_e32 v12, 0
.LBB142_202:
	s_or_b64 exec, exec, s[6:7]
	v_cmp_lt_i32_e64 s[4:5], 0, v14
	s_and_saveexec_b64 s[6:7], s[4:5]
	s_xor_b64 s[6:7], exec, s[6:7]
	s_cbranch_execz .LBB142_210
; %bb.203:
	v_cmp_lt_i32_e64 s[4:5], 1, v14
	s_and_saveexec_b64 s[14:15], s[4:5]
	s_xor_b64 s[14:15], exec, s[14:15]
	s_cbranch_execz .LBB142_207
; %bb.204:
	v_cmp_eq_u32_e64 s[4:5], 2, v14
	s_and_saveexec_b64 s[16:17], s[4:5]
	s_cbranch_execz .LBB142_206
; %bb.205:
	v_mov_b32_e32 v14, 0x3e6a7578
	v_fmac_f32_e32 v14, 0x3c5b3c5e, v13
	v_mov_b32_e32 v15, 0x3f7a4bb2
	v_fmac_f32_e32 v15, v13, v14
	;; [unrolled: 2-line block ×8, first 2 shown]
	v_fma_f32 v14, v13, v16, 1.0
	v_rcp_f32_e32 v14, v14
	v_mov_b32_e32 v16, 0xbd9e233f
	v_fmac_f32_e32 v16, v13, v15
	v_mul_f32_e32 v15, v13, v16
	v_mul_f32_e32 v14, v15, v14
	v_fmac_f32_e32 v14, -0.5, v13
	v_add_f32_e32 v12, v12, v14
.LBB142_206:
	s_or_b64 exec, exec, s[16:17]
                                        ; implicit-def: $vgpr13
.LBB142_207:
	s_andn2_saveexec_b64 s[4:5], s[14:15]
	s_cbranch_execz .LBB142_209
; %bb.208:
	v_mul_f32_e32 v14, v13, v13
	v_mul_f32_e32 v15, v13, v14
	v_mov_b32_e32 v16, 0xbab7f476
	v_fmac_f32_e32 v16, 0x39a57b6b, v15
	v_mov_b32_e32 v17, 0x3bc7e707
	v_fmac_f32_e32 v17, v15, v16
	;; [unrolled: 2-line block ×12, first 2 shown]
	v_fmac_f32_e32 v18, v13, v19
	s_mov_b32 s14, 0xa2863e55
	v_fma_f32 v13, v15, -v18, s14
	v_fma_f32 v13, v14, v17, -v13
	v_add_f32_e32 v13, 0xbdf8cdce, v13
	v_add_f32_e32 v12, v12, v13
.LBB142_209:
	s_or_b64 exec, exec, s[4:5]
                                        ; implicit-def: $vgpr14
                                        ; implicit-def: $vgpr13
.LBB142_210:
	s_andn2_saveexec_b64 s[6:7], s[6:7]
	s_cbranch_execz .LBB142_214
; %bb.211:
	v_cmp_eq_u32_e64 s[4:5], 0, v14
	s_and_saveexec_b64 s[14:15], s[4:5]
	s_cbranch_execz .LBB142_213
; %bb.212:
	v_mul_f32_e32 v14, v13, v13
	v_mov_b32_e32 v15, 0x39679767
	v_fmac_f32_e32 v15, 0x37d383a2, v14
	v_mov_b32_e32 v16, 0x3a9c54a1
	v_fmac_f32_e32 v16, v14, v15
	;; [unrolled: 2-line block ×10, first 2 shown]
	v_mul_f32_e32 v14, v14, v16
	v_fmac_f32_e32 v14, v13, v15
	v_fmac_f32_e32 v14, -0.5, v13
	v_add_f32_e32 v12, v12, v14
.LBB142_213:
	s_or_b64 exec, exec, s[14:15]
.LBB142_214:
	s_or_b64 exec, exec, s[6:7]
.LBB142_215:
	s_or_b64 exec, exec, s[10:11]
.LBB142_216:
	s_andn2_saveexec_b64 s[8:9], s[8:9]
	s_cbranch_execz .LBB142_218
; %bb.217:
	s_mov_b32 s4, 0x3e8a8991
	v_mov_b32_e32 v12, 0xbecd26ab
	v_fma_f32 v12, |v5|, s4, v12
	s_mov_b32 s4, 0x3f528d33
	v_fma_f32 v12, |v5|, v12, s4
	s_mov_b32 s4, 0x800000
	v_cmp_lt_f32_e64 s[4:5], |v5|, s4
	v_cndmask_b32_e64 v13, 0, 32, s[4:5]
	v_ldexp_f32 v13, |v5|, v13
	v_log_f32_e32 v13, v13
	s_mov_b32 s6, 0xbf13c468
	v_fma_f32 v12, |v5|, v12, s6
	s_mov_b32 s6, 0x3f317217
	v_mul_f32_e32 v14, 0x3f317217, v13
	v_fma_f32 v15, v13, s6, -v14
	v_fmac_f32_e32 v15, 0x3377d1cf, v13
	s_mov_b32 s6, 0x7f800000
	v_add_f32_e32 v14, v14, v15
	v_cmp_lt_f32_e64 s[6:7], |v13|, s6
	v_cndmask_b32_e64 v13, v13, v14, s[6:7]
	v_mov_b32_e32 v14, 0x41b17218
	v_cndmask_b32_e64 v14, 0, v14, s[4:5]
	v_sub_f32_e32 v13, v13, v14
	v_fma_f32 v12, |v5|, v12, -v13
.LBB142_218:
	s_or_b64 exec, exec, s[8:9]
	v_cmp_le_f32_e64 s[4:5], 0, v5
	v_cmp_nle_f32_e64 s[6:7], 0, v5
	s_and_saveexec_b64 s[8:9], s[6:7]
	s_xor_b64 s[10:11], exec, s[8:9]
	s_cbranch_execz .LBB142_222
; %bb.219:
	s_mov_b32 s6, 0x4b000000
	s_mov_b32 s8, 0x35000000
	v_cmp_lt_f32_e64 s[6:7], |v5|, s6
	v_cmp_gt_f32_e64 s[8:9], |v5|, s8
	s_and_b64 s[6:7], s[6:7], s[8:9]
	s_and_saveexec_b64 s[14:15], s[6:7]
	s_cbranch_execz .LBB142_221
; %bb.220:
	v_mul_f32_e64 v13, |v5|, 0.5
	v_floor_f32_e32 v14, v13
	v_sub_f32_e32 v14, v13, v14
	v_min_f32_e32 v14, 0x3f7fffff, v14
	s_mov_b32 s8, 0x7f800000
	v_add_f32_e32 v14, v14, v14
	v_cmp_neq_f32_e64 s[6:7], s8, v13
	v_cndmask_b32_e64 v13, 0, v14, s[6:7]
	v_cmp_gt_f32_e64 s[6:7], |v5|, 1.0
	v_cndmask_b32_e64 v13, |v5|, v13, s[6:7]
	v_add_f32_e32 v14, v13, v13
	v_rndne_f32_e32 v14, v14
	v_fmac_f32_e32 v13, -0.5, v14
	v_mul_f32_e32 v15, v13, v13
	v_mov_b32_e32 v16, 0xbf1f24be
	v_fmac_f32_e32 v16, 0x3e75aa41, v15
	v_mov_b32_e32 v17, 0x40234736
	v_fmac_f32_e32 v17, v15, v16
	;; [unrolled: 2-line block ×3, first 2 shown]
	v_mul_f32_e32 v17, v13, v15
	v_mul_f32_e32 v16, v17, v16
	v_fmac_f32_e32 v16, 0x40490fdb, v13
	v_mov_b32_e32 v13, 0x3e642e9d
	v_cvt_i32_f32_e32 v14, v14
	v_fmac_f32_e32 v13, 0x3d4be544, v15
	v_mov_b32_e32 v17, 0xbfaad1da
	v_fmac_f32_e32 v17, v15, v13
	v_mov_b32_e32 v13, 0x4081e0d3
	;; [unrolled: 2-line block ×3, first 2 shown]
	v_fmac_f32_e32 v17, v15, v13
	v_fma_f32 v13, v15, v17, 1.0
	v_and_b32_e32 v15, 1, v14
	v_lshlrev_b32_e32 v14, 30, v14
	v_cmp_eq_u32_e64 s[6:7], 0, v15
	v_and_b32_e32 v14, 0x80000000, v14
	v_xor_b32_e32 v11, v11, v5
	v_cndmask_b32_e64 v13, v13, v16, s[6:7]
	v_xor_b32_e32 v11, v11, v14
	v_xor_b32_e32 v11, v11, v13
	v_mul_f32_e32 v11, v5, v11
	v_frexp_mant_f32_e64 v13, |v11|
	v_rcp_f32_e32 v13, v13
	v_frexp_exp_i32_f32_e32 v11, v11
	v_sub_u32_e32 v11, 2, v11
	s_mov_b32 s6, 0x800000
	v_mul_f32_e32 v13, 0x3f490fdb, v13
	v_ldexp_f32 v11, v13, v11
	v_cmp_gt_f32_e64 s[6:7], s6, v11
	v_cndmask_b32_e64 v13, 0, 32, s[6:7]
	v_ldexp_f32 v11, v11, v13
	v_log_f32_e32 v11, v11
	s_mov_b32 s9, 0x3f317217
	v_mul_f32_e32 v13, 0x3f317217, v11
	v_fma_f32 v14, v11, s9, -v13
	v_fmac_f32_e32 v14, 0x3377d1cf, v11
	v_add_f32_e32 v13, v13, v14
	v_cmp_lt_f32_e64 s[8:9], |v11|, s8
	v_cndmask_b32_e64 v11, v11, v13, s[8:9]
	v_mov_b32_e32 v13, 0x41b17218
	v_cndmask_b32_e64 v13, 0, v13, s[6:7]
	v_sub_f32_e32 v11, v11, v13
	v_sub_f32_e32 v11, v11, v12
	v_floor_f32_e32 v12, v5
	v_sub_f32_e32 v12, v5, v12
	v_min_f32_e32 v12, 0x3f7fffff, v12
	v_mov_b32_e32 v13, 0x7f800000
	v_cmp_neq_f32_e64 s[6:7], 0, v12
	v_cndmask_b32_e64 v12, v13, v11, s[6:7]
.LBB142_221:
	s_or_b64 exec, exec, s[14:15]
.LBB142_222:
	s_andn2_saveexec_b64 s[10:11], s[10:11]
; %bb.223:
	v_cmp_eq_f32_e64 s[6:7], 1.0, v5
	v_cmp_eq_f32_e64 s[8:9], 2.0, v5
	s_or_b64 s[6:7], s[6:7], s[8:9]
	v_cndmask_b32_e64 v12, v12, 0, s[6:7]
; %bb.224:
	s_or_b64 exec, exec, s[10:11]
	s_mov_b32 s8, 0x4b000000
	v_cmp_lt_f32_e64 s[6:7], |v7|, s8
	v_mov_b32_e32 v11, 0x264
	v_mov_b32_e32 v13, 0x7f800000
	s_or_b64 s[2:3], s[2:3], s[6:7]
	v_cndmask_b32_e64 v10, v13, v10, s[2:3]
	v_cmp_class_f32_e64 s[2:3], v7, v11
	v_cndmask_b32_e64 v10, v10, v13, s[2:3]
	v_cmp_u_f32_e64 s[2:3], v7, v7
	v_cndmask_b32_e64 v7, v10, v7, s[2:3]
	v_cmp_lt_f32_e64 s[2:3], |v8|, s8
	s_or_b64 s[0:1], s[0:1], s[2:3]
	v_cndmask_b32_e64 v9, v13, v9, s[0:1]
	v_cmp_class_f32_e64 s[0:1], v8, v11
	v_cndmask_b32_e64 v9, v9, v13, s[0:1]
	v_cmp_u_f32_e64 s[0:1], v8, v8
	v_cndmask_b32_e64 v8, v9, v8, s[0:1]
	v_cmp_lt_f32_e64 s[0:1], |v4|, s8
	s_or_b64 vcc, vcc, s[0:1]
	v_cndmask_b32_e32 v6, v13, v6, vcc
	v_cmp_class_f32_e32 vcc, v4, v11
	v_cndmask_b32_e32 v6, v6, v13, vcc
	v_cmp_u_f32_e32 vcc, v4, v4
	v_cmp_lt_f32_e64 s[0:1], |v5|, s8
	v_cndmask_b32_e32 v4, v6, v4, vcc
	s_or_b64 vcc, s[4:5], s[0:1]
	v_cndmask_b32_e32 v6, v13, v12, vcc
	v_cmp_class_f32_e32 vcc, v5, v11
	v_cndmask_b32_e32 v6, v6, v13, vcc
	v_cmp_u_f32_e32 vcc, v5, v5
	v_cndmask_b32_e32 v5, v6, v5, vcc
	global_store_dword v0, v4, s[12:13]
	global_store_dword v1, v8, s[12:13]
	;; [unrolled: 1-line block ×4, first 2 shown]
	s_endpgm
.LBB142_225:
	v_mov_b32_e32 v0, 0
	v_mov_b32_e32 v2, 0
	s_branch .LBB142_231
.LBB142_226:
	v_mov_b32_e32 v0, 0
	v_mov_b32_e32 v2, 0
	s_branch .LBB142_285
.LBB142_227:
	s_mov_b32 s57, 0
	v_mov_b32_e32 v0, 0
	v_mov_b32_e32 v2, 0
	;; [unrolled: 1-line block ×3, first 2 shown]
.LBB142_228:
	s_and_b32 s4, s58, 3
	s_cmp_eq_u32 s4, 0
	s_cbranch_scc1 .LBB142_231
; %bb.229:
	s_lshl_b32 s0, s57, 3
	s_add_u32 s0, s34, s0
	s_addc_u32 s1, s35, 0
	s_add_u32 s0, s0, 0xc4
	s_addc_u32 s1, s1, 0
	s_mul_i32 s2, s57, 12
	s_add_u32 s2, s34, s2
	s_addc_u32 s3, s35, 0
.LBB142_230:                            ; =>This Inner Loop Header: Depth=1
	s_load_dwordx2 s[6:7], s[2:3], 0x4
	s_load_dword s5, s[2:3], 0xc
	s_load_dwordx2 s[8:9], s[0:1], 0x0
	s_add_u32 s2, s2, 12
	s_addc_u32 s3, s3, 0
	s_waitcnt lgkmcnt(0)
	v_mul_hi_u32 v3, s7, v1
	s_add_u32 s0, s0, 8
	s_addc_u32 s1, s1, 0
	s_add_i32 s4, s4, -1
	v_add_u32_e32 v3, v1, v3
	v_lshrrev_b32_e32 v5, s5, v3
	v_mul_lo_u32 v3, v5, s6
	s_cmp_lg_u32 s4, 0
	v_sub_u32_e32 v3, v1, v3
	v_mad_u64_u32 v[0:1], s[6:7], v3, s8, v[0:1]
	v_mad_u64_u32 v[2:3], s[6:7], v3, s9, v[2:3]
	v_mov_b32_e32 v1, v5
	s_cbranch_scc1 .LBB142_230
.LBB142_231:
	s_cbranch_execnz .LBB142_234
.LBB142_232:
	s_waitcnt lgkmcnt(0)
	v_mul_hi_u32 v0, s25, v4
	s_andn2_b64 vcc, exec, s[42:43]
	v_add_u32_e32 v0, v4, v0
	v_lshrrev_b32_e32 v1, s26, v0
	v_mul_lo_u32 v0, v1, s24
	v_sub_u32_e32 v2, v4, v0
	v_mul_lo_u32 v0, v2, s20
	v_mul_lo_u32 v2, v2, s21
	s_cbranch_vccnz .LBB142_234
; %bb.233:
	v_mul_hi_u32 v3, s40, v1
	v_add_u32_e32 v3, v1, v3
	v_lshrrev_b32_e32 v3, s41, v3
	v_mul_lo_u32 v3, v3, s27
	v_sub_u32_e32 v3, v1, v3
	v_mad_u64_u32 v[0:1], s[0:1], v3, s22, v[0:1]
	v_mad_u64_u32 v[2:3], s[0:1], v3, s23, v[2:3]
.LBB142_234:
	s_waitcnt lgkmcnt(0)
	global_load_dword v1, v2, s[18:19]
	s_mov_b32 s0, 0x3c800000
                                        ; implicit-def: $vgpr3
	s_waitcnt vmcnt(0)
	v_and_b32_e32 v2, 0x7fffffff, v1
	v_cmp_nlt_f32_e64 s[0:1], |v1|, s0
	s_and_saveexec_b64 s[2:3], s[0:1]
	s_xor_b64 s[2:3], exec, s[2:3]
	s_cbranch_execz .LBB142_264
; %bb.235:
	v_cmp_nlt_f32_e64 s[0:1], |v1|, 2.0
                                        ; implicit-def: $vgpr3
	s_and_saveexec_b64 s[4:5], s[0:1]
	s_xor_b64 s[4:5], exec, s[4:5]
	s_cbranch_execz .LBB142_245
; %bb.236:
	s_mov_b32 s0, 0x41000000
	v_cmp_nlt_f32_e64 s[0:1], |v1|, s0
                                        ; implicit-def: $vgpr3
	s_and_saveexec_b64 s[6:7], s[0:1]
	s_xor_b64 s[6:7], exec, s[6:7]
	s_cbranch_execz .LBB142_242
; %bb.237:
	s_mov_b32 s0, 0x5c800000
	v_cmp_nlt_f32_e64 s[0:1], |v1|, s0
                                        ; implicit-def: $vgpr3
	s_and_saveexec_b64 s[8:9], s[0:1]
	s_xor_b64 s[8:9], exec, s[8:9]
	s_cbranch_execz .LBB142_239
; %bb.238:
	s_mov_b32 s0, 0x800000
	v_cmp_lt_f32_e64 vcc, |v1|, s0
	v_cndmask_b32_e64 v3, 0, 32, vcc
	v_ldexp_f32 v3, |v1|, v3
	v_log_f32_e32 v3, v3
	s_mov_b32 s0, 0x3f317217
	s_mov_b32 s1, 0x7f800000
	v_mul_f32_e32 v5, 0x3f317217, v3
	v_fma_f32 v6, v3, s0, -v5
	v_fmac_f32_e32 v6, 0x3377d1cf, v3
	v_add_f32_e32 v5, v5, v6
	v_cmp_lt_f32_e64 s[0:1], |v3|, s1
	v_cndmask_b32_e64 v3, v3, v5, s[0:1]
	v_mov_b32_e32 v5, 0x41b17218
	v_cndmask_b32_e32 v5, 0, v5, vcc
	v_sub_f32_e32 v3, v3, v5
	v_fma_f32 v3, |v1|, v3, -|v1|
.LBB142_239:
	s_andn2_saveexec_b64 s[8:9], s[8:9]
	s_cbranch_execz .LBB142_241
; %bb.240:
	v_rcp_f32_e64 v5, |v1|
	v_mov_b32_e32 v3, 0x3a5b3dd2
	v_mov_b32_e32 v6, 0xba1c065c
	;; [unrolled: 1-line block ×3, first 2 shown]
	v_mul_f32_e32 v8, v5, v5
	v_fmac_f32_e32 v3, 0xbad5c4e8, v8
	v_fmac_f32_e32 v6, v8, v3
	s_mov_b32 s0, 0x800000
	v_fmac_f32_e32 v7, v8, v6
	v_mov_b32_e32 v3, 0xbb360b61
	v_cmp_lt_f32_e64 vcc, |v1|, s0
	v_fmac_f32_e32 v3, v8, v7
	v_cndmask_b32_e64 v7, 0, 32, vcc
	v_ldexp_f32 v7, |v1|, v7
	v_log_f32_e32 v7, v7
	v_mov_b32_e32 v6, 0x3daaaaab
	v_fmac_f32_e32 v6, v8, v3
	v_mov_b32_e32 v3, 0x3ed67f1d
	v_fmac_f32_e32 v3, v5, v6
	s_mov_b32 s0, 0x3f317217
	v_mul_f32_e32 v6, 0x3f317217, v7
	v_fma_f32 v8, v7, s0, -v6
	v_fmac_f32_e32 v8, 0x3377d1cf, v7
	s_mov_b32 s0, 0x7f800000
	v_add_f32_e32 v6, v6, v8
	v_cmp_lt_f32_e64 s[0:1], |v7|, s0
	v_cndmask_b32_e64 v6, v7, v6, s[0:1]
	v_mov_b32_e32 v7, 0x41b17218
	v_cndmask_b32_e32 v7, 0, v7, vcc
	v_sub_f32_e32 v6, v6, v7
	v_add_f32_e64 v5, |v1|, -0.5
	v_add_f32_e32 v6, -1.0, v6
	v_fmac_f32_e32 v3, v5, v6
.LBB142_241:
	s_or_b64 exec, exec, s[8:9]
.LBB142_242:
	s_andn2_saveexec_b64 s[6:7], s[6:7]
	s_cbranch_execz .LBB142_244
; %bb.243:
	v_cvt_i32_f32_e32 v3, v2
	v_mov_b32_e32 v5, 0x3af135b4
	v_mov_b32_e32 v6, 0x3cda40e4
	;; [unrolled: 1-line block ×3, first 2 shown]
	v_cvt_f32_i32_e32 v8, v3
	v_mov_b32_e32 v9, 0x3ea6cc7a
	v_mov_b32_e32 v10, 0x3e5c245a
	v_cmp_lt_i32_e32 vcc, 2, v3
	v_sub_f32_e64 v8, |v1|, v8
	v_fmac_f32_e32 v5, 0x3805ff67, v8
	v_fmac_f32_e32 v6, v8, v5
	;; [unrolled: 1-line block ×3, first 2 shown]
	v_mov_b32_e32 v6, 0x3a4beed6
	v_fmac_f32_e32 v9, v8, v7
	v_fmac_f32_e32 v6, 0x36f5d7bd, v8
	v_mov_b32_e32 v7, 0x3c98bf54
	v_fmac_f32_e32 v7, v8, v6
	v_mov_b32_e32 v6, 0x3e300f6e
	;; [unrolled: 2-line block ×4, first 2 shown]
	v_fmac_f32_e32 v6, v8, v7
	v_add_f32_e32 v7, 2.0, v8
	v_mov_b32_e32 v11, 0xbd9e233f
	v_fmac_f32_e32 v10, v8, v9
	v_add_f32_e32 v9, 0x40400000, v8
	v_cndmask_b32_e32 v7, 1.0, v7, vcc
	v_cmp_lt_i32_e32 vcc, 3, v3
	v_fmac_f32_e32 v11, v8, v10
	v_add_f32_e32 v10, 4.0, v8
	v_cndmask_b32_e32 v9, 1.0, v9, vcc
	v_cmp_lt_i32_e32 vcc, 4, v3
	v_mul_f32_e32 v5, v8, v11
	v_add_f32_e32 v11, 0x40a00000, v8
	v_mul_f32_e32 v7, v7, v9
	v_cndmask_b32_e32 v9, 1.0, v10, vcc
	v_cmp_lt_i32_e32 vcc, 5, v3
	v_add_f32_e32 v12, 0x40c00000, v8
	v_mul_f32_e32 v7, v9, v7
	v_cndmask_b32_e32 v9, 1.0, v11, vcc
	v_cmp_lt_i32_e32 vcc, 6, v3
	v_mul_f32_e32 v7, v9, v7
	v_cndmask_b32_e32 v3, 1.0, v12, vcc
	v_mul_f32_e32 v3, v3, v7
	s_mov_b32 s0, 0x800000
	v_cmp_gt_f32_e32 vcc, s0, v3
	v_cndmask_b32_e64 v7, 0, 32, vcc
	v_fma_f32 v6, v8, v6, 1.0
	v_ldexp_f32 v3, v3, v7
	v_rcp_f32_e32 v6, v6
	v_log_f32_e32 v3, v3
	s_mov_b32 s0, 0x3f317217
	v_mul_f32_e32 v5, v5, v6
	v_mul_f32_e32 v6, 0x3f317217, v3
	v_fma_f32 v7, v3, s0, -v6
	v_fmac_f32_e32 v7, 0x3377d1cf, v3
	s_mov_b32 s0, 0x7f800000
	v_add_f32_e32 v6, v6, v7
	v_cmp_lt_f32_e64 s[0:1], |v3|, s0
	v_cndmask_b32_e64 v3, v3, v6, s[0:1]
	v_mov_b32_e32 v6, 0x41b17218
	v_cndmask_b32_e32 v6, 0, v6, vcc
	v_fmac_f32_e32 v5, 0.5, v8
	v_sub_f32_e32 v3, v3, v6
	v_add_f32_e32 v3, v3, v5
.LBB142_244:
	s_or_b64 exec, exec, s[6:7]
.LBB142_245:
	s_andn2_saveexec_b64 s[4:5], s[4:5]
	s_cbranch_execz .LBB142_263
; %bb.246:
	s_mov_b32 s0, 0x3f666666
	v_cmp_le_f32_e64 s[0:1], |v1|, s0
                                        ; implicit-def: $vgpr3
                                        ; implicit-def: $vgpr6
                                        ; implicit-def: $vgpr5
	s_and_saveexec_b64 s[6:7], s[0:1]
	s_xor_b64 s[6:7], exec, s[6:7]
	s_cbranch_execz .LBB142_248
; %bb.247:
	s_mov_b32 s0, 0x800000
	v_cmp_lt_f32_e64 vcc, |v1|, s0
	v_cndmask_b32_e64 v3, 0, 32, vcc
	v_ldexp_f32 v3, |v1|, v3
	v_log_f32_e32 v3, v3
	s_mov_b32 s0, 0x3f317217
	s_mov_b32 s1, 0x7f800000
	v_mul_f32_e32 v5, 0x3f317217, v3
	v_fma_f32 v6, v3, s0, -v5
	v_fmac_f32_e32 v6, 0x3377d1cf, v3
	v_add_f32_e32 v5, v5, v6
	v_cmp_lt_f32_e64 s[0:1], |v3|, s1
	v_cndmask_b32_e64 v3, v3, v5, s[0:1]
	v_mov_b32_e32 v5, 0x41b17218
	v_cndmask_b32_e32 v5, 0, v5, vcc
	s_mov_b32 s0, 0x3f3b4a23
	s_mov_b32 s1, 0xbeec5b0c
	v_sub_f32_e32 v3, v3, v5
	v_sub_f32_e64 v5, 1.0, |v1|
	v_add_f32_e64 v6, |v1|, s1
	v_cmp_lt_f32_e64 vcc, |v1|, s0
	s_mov_b32 s0, 0x3e6d3309
	v_cndmask_b32_e32 v5, v5, v6, vcc
	v_cndmask_b32_e64 v6, 0, 1, vcc
	v_cmp_lt_f32_e64 s[0:1], |v1|, s0
	v_xor_b32_e32 v3, 0x80000000, v3
	v_cndmask_b32_e64 v5, v5, |v1|, s[0:1]
	v_cndmask_b32_e64 v6, v6, 2, s[0:1]
.LBB142_248:
	s_andn2_saveexec_b64 s[0:1], s[6:7]
	s_cbranch_execz .LBB142_250
; %bb.249:
	s_mov_b32 s6, 0x3fdda512
	s_mov_b32 s7, 0xbfbb16c3
	v_sub_f32_e64 v3, 2.0, |v1|
	v_add_f32_e64 v5, |v1|, s7
	v_cmp_lt_f32_e64 vcc, |v1|, s6
	v_cndmask_b32_e32 v5, v3, v5, vcc
	v_cndmask_b32_e64 v3, v3, 1.0, vcc
	v_cvt_i32_f32_e32 v3, v3
	s_mov_b32 s6, 0x3f9d70a4
	v_add_f32_e64 v6, |v1|, -1.0
	v_cmp_lt_f32_e64 vcc, |v1|, s6
	v_cndmask_b32_e32 v5, v5, v6, vcc
	v_cndmask_b32_e64 v6, v3, 2, vcc
	v_mov_b32_e32 v3, 0
.LBB142_250:
	s_or_b64 exec, exec, s[0:1]
	v_cmp_lt_i32_e32 vcc, 0, v6
	s_and_saveexec_b64 s[0:1], vcc
	s_xor_b64 s[0:1], exec, s[0:1]
	s_cbranch_execz .LBB142_258
; %bb.251:
	v_cmp_lt_i32_e32 vcc, 1, v6
	s_and_saveexec_b64 s[6:7], vcc
	s_xor_b64 s[6:7], exec, s[6:7]
	s_cbranch_execz .LBB142_255
; %bb.252:
	v_cmp_eq_u32_e32 vcc, 2, v6
	s_and_saveexec_b64 s[8:9], vcc
	s_cbranch_execz .LBB142_254
; %bb.253:
	v_mov_b32_e32 v6, 0x3e6a7578
	v_fmac_f32_e32 v6, 0x3c5b3c5e, v5
	v_mov_b32_e32 v7, 0x3f7a4bb2
	v_fmac_f32_e32 v7, v5, v6
	;; [unrolled: 2-line block ×8, first 2 shown]
	v_fma_f32 v6, v5, v8, 1.0
	v_rcp_f32_e32 v6, v6
	v_mov_b32_e32 v8, 0xbd9e233f
	v_fmac_f32_e32 v8, v5, v7
	v_mul_f32_e32 v7, v5, v8
	v_mul_f32_e32 v6, v7, v6
	v_fmac_f32_e32 v6, -0.5, v5
	v_add_f32_e32 v3, v3, v6
.LBB142_254:
	s_or_b64 exec, exec, s[8:9]
                                        ; implicit-def: $vgpr5
.LBB142_255:
	s_andn2_saveexec_b64 s[6:7], s[6:7]
	s_cbranch_execz .LBB142_257
; %bb.256:
	v_mul_f32_e32 v6, v5, v5
	v_mul_f32_e32 v7, v5, v6
	v_mov_b32_e32 v8, 0xbab7f476
	v_fmac_f32_e32 v8, 0x39a57b6b, v7
	v_mov_b32_e32 v9, 0x3bc7e707
	v_fmac_f32_e32 v9, v7, v8
	;; [unrolled: 2-line block ×12, first 2 shown]
	v_fmac_f32_e32 v10, v5, v11
	s_mov_b32 s8, 0xa2863e55
	v_fma_f32 v5, v7, -v10, s8
	v_fma_f32 v5, v6, v9, -v5
	v_add_f32_e32 v5, 0xbdf8cdce, v5
	v_add_f32_e32 v3, v3, v5
.LBB142_257:
	s_or_b64 exec, exec, s[6:7]
                                        ; implicit-def: $vgpr6
                                        ; implicit-def: $vgpr5
.LBB142_258:
	s_andn2_saveexec_b64 s[0:1], s[0:1]
	s_cbranch_execz .LBB142_262
; %bb.259:
	v_cmp_eq_u32_e32 vcc, 0, v6
	s_and_saveexec_b64 s[6:7], vcc
	s_cbranch_execz .LBB142_261
; %bb.260:
	v_mul_f32_e32 v6, v5, v5
	v_mov_b32_e32 v7, 0x39679767
	v_fmac_f32_e32 v7, 0x37d383a2, v6
	v_mov_b32_e32 v8, 0x3a9c54a1
	v_fmac_f32_e32 v8, v6, v7
	;; [unrolled: 2-line block ×10, first 2 shown]
	v_mul_f32_e32 v6, v6, v8
	v_fmac_f32_e32 v6, v5, v7
	v_fmac_f32_e32 v6, -0.5, v5
	v_add_f32_e32 v3, v3, v6
.LBB142_261:
	s_or_b64 exec, exec, s[6:7]
.LBB142_262:
	s_or_b64 exec, exec, s[0:1]
.LBB142_263:
	s_or_b64 exec, exec, s[4:5]
.LBB142_264:
	s_andn2_saveexec_b64 s[2:3], s[2:3]
	s_cbranch_execz .LBB142_266
; %bb.265:
	s_mov_b32 s0, 0x3e8a8991
	v_mov_b32_e32 v3, 0xbecd26ab
	v_fma_f32 v3, |v1|, s0, v3
	s_mov_b32 s0, 0x3f528d33
	v_fma_f32 v3, |v1|, v3, s0
	s_mov_b32 s0, 0x800000
	v_cmp_lt_f32_e64 vcc, |v1|, s0
	v_cndmask_b32_e64 v5, 0, 32, vcc
	v_ldexp_f32 v5, |v1|, v5
	v_log_f32_e32 v5, v5
	s_mov_b32 s0, 0xbf13c468
	v_fma_f32 v3, |v1|, v3, s0
	s_mov_b32 s0, 0x3f317217
	v_mul_f32_e32 v6, 0x3f317217, v5
	v_fma_f32 v7, v5, s0, -v6
	v_fmac_f32_e32 v7, 0x3377d1cf, v5
	s_mov_b32 s0, 0x7f800000
	v_add_f32_e32 v6, v6, v7
	v_cmp_lt_f32_e64 s[0:1], |v5|, s0
	v_cndmask_b32_e64 v5, v5, v6, s[0:1]
	v_mov_b32_e32 v6, 0x41b17218
	v_cndmask_b32_e32 v6, 0, v6, vcc
	v_sub_f32_e32 v5, v5, v6
	v_fma_f32 v3, |v1|, v3, -v5
.LBB142_266:
	s_or_b64 exec, exec, s[2:3]
	v_cmp_le_f32_e32 vcc, 0, v1
	v_cmp_nle_f32_e64 s[0:1], 0, v1
	s_and_saveexec_b64 s[2:3], s[0:1]
	s_xor_b64 s[4:5], exec, s[2:3]
	s_cbranch_execz .LBB142_270
; %bb.267:
	s_mov_b32 s0, 0x4b000000
	s_mov_b32 s2, 0x35000000
	v_cmp_lt_f32_e64 s[0:1], |v1|, s0
	v_cmp_gt_f32_e64 s[2:3], |v1|, s2
	s_and_b64 s[0:1], s[0:1], s[2:3]
	s_and_saveexec_b64 s[6:7], s[0:1]
	s_cbranch_execz .LBB142_269
; %bb.268:
	v_mul_f32_e64 v5, |v1|, 0.5
	v_floor_f32_e32 v6, v5
	v_sub_f32_e32 v6, v5, v6
	v_min_f32_e32 v6, 0x3f7fffff, v6
	s_mov_b32 s2, 0x7f800000
	v_add_f32_e32 v6, v6, v6
	v_cmp_neq_f32_e64 s[0:1], s2, v5
	v_cndmask_b32_e64 v5, 0, v6, s[0:1]
	v_cmp_gt_f32_e64 s[0:1], |v1|, 1.0
	v_cndmask_b32_e64 v5, |v1|, v5, s[0:1]
	v_add_f32_e32 v6, v5, v5
	v_rndne_f32_e32 v6, v6
	v_fmac_f32_e32 v5, -0.5, v6
	v_mul_f32_e32 v7, v5, v5
	v_mov_b32_e32 v8, 0xbf1f24be
	v_fmac_f32_e32 v8, 0x3e75aa41, v7
	v_mov_b32_e32 v9, 0x40234736
	v_fmac_f32_e32 v9, v7, v8
	;; [unrolled: 2-line block ×3, first 2 shown]
	v_mul_f32_e32 v9, v5, v7
	v_mul_f32_e32 v8, v9, v8
	v_fmac_f32_e32 v8, 0x40490fdb, v5
	v_mov_b32_e32 v5, 0x3e642e9d
	v_cvt_i32_f32_e32 v6, v6
	v_fmac_f32_e32 v5, 0x3d4be544, v7
	v_mov_b32_e32 v9, 0xbfaad1da
	v_fmac_f32_e32 v9, v7, v5
	v_mov_b32_e32 v5, 0x4081e0d3
	;; [unrolled: 2-line block ×3, first 2 shown]
	v_fmac_f32_e32 v9, v7, v5
	v_fma_f32 v5, v7, v9, 1.0
	v_and_b32_e32 v7, 1, v6
	v_lshlrev_b32_e32 v6, 30, v6
	v_cmp_eq_u32_e64 s[0:1], 0, v7
	v_and_b32_e32 v6, 0x80000000, v6
	v_xor_b32_e32 v2, v2, v1
	v_cndmask_b32_e64 v5, v5, v8, s[0:1]
	v_xor_b32_e32 v2, v2, v6
	v_xor_b32_e32 v2, v2, v5
	v_mul_f32_e32 v2, v1, v2
	v_frexp_mant_f32_e64 v5, |v2|
	v_rcp_f32_e32 v5, v5
	v_frexp_exp_i32_f32_e32 v2, v2
	v_sub_u32_e32 v2, 2, v2
	s_mov_b32 s0, 0x800000
	v_mul_f32_e32 v5, 0x3f490fdb, v5
	v_ldexp_f32 v2, v5, v2
	v_cmp_gt_f32_e64 s[0:1], s0, v2
	v_cndmask_b32_e64 v5, 0, 32, s[0:1]
	v_ldexp_f32 v2, v2, v5
	v_log_f32_e32 v2, v2
	s_mov_b32 s3, 0x3f317217
	v_mul_f32_e32 v5, 0x3f317217, v2
	v_fma_f32 v6, v2, s3, -v5
	v_fmac_f32_e32 v6, 0x3377d1cf, v2
	v_add_f32_e32 v5, v5, v6
	v_cmp_lt_f32_e64 s[2:3], |v2|, s2
	v_cndmask_b32_e64 v2, v2, v5, s[2:3]
	v_mov_b32_e32 v5, 0x41b17218
	v_cndmask_b32_e64 v5, 0, v5, s[0:1]
	v_sub_f32_e32 v2, v2, v5
	v_sub_f32_e32 v2, v2, v3
	v_floor_f32_e32 v3, v1
	v_sub_f32_e32 v3, v1, v3
	v_min_f32_e32 v3, 0x3f7fffff, v3
	v_mov_b32_e32 v5, 0x7f800000
	v_cmp_neq_f32_e64 s[0:1], 0, v3
	v_cndmask_b32_e64 v3, v5, v2, s[0:1]
.LBB142_269:
	s_or_b64 exec, exec, s[6:7]
.LBB142_270:
	s_andn2_saveexec_b64 s[4:5], s[4:5]
; %bb.271:
	v_cmp_eq_f32_e64 s[0:1], 1.0, v1
	v_cmp_eq_f32_e64 s[2:3], 2.0, v1
	s_or_b64 s[0:1], s[0:1], s[2:3]
	v_cndmask_b32_e64 v3, v3, 0, s[0:1]
; %bb.272:
	s_or_b64 exec, exec, s[4:5]
	s_mov_b32 s0, 0x4b000000
	v_cmp_lt_f32_e64 s[0:1], |v1|, s0
	v_mov_b32_e32 v2, 0x264
	v_mov_b32_e32 v5, 0x7f800000
	s_or_b64 vcc, vcc, s[0:1]
	v_cndmask_b32_e32 v3, v5, v3, vcc
	v_cmp_class_f32_e32 vcc, v1, v2
	v_cndmask_b32_e32 v2, v3, v5, vcc
	v_cmp_u_f32_e32 vcc, v1, v1
	v_cndmask_b32_e32 v1, v2, v1, vcc
	v_add_u32_e32 v4, 0x80, v4
	global_store_dword v0, v1, s[16:17]
	s_or_b64 exec, exec, s[48:49]
	v_cmp_gt_i32_e32 vcc, s55, v4
	s_and_saveexec_b64 s[48:49], vcc
	s_cbranch_execnz .LBB142_15
.LBB142_273:
	s_or_b64 exec, exec, s[48:49]
	v_cmp_gt_i32_e32 vcc, s55, v4
	s_and_saveexec_b64 s[48:49], vcc
	s_cbranch_execz .LBB142_327
.LBB142_274:
	s_andn2_b64 vcc, exec, s[36:37]
	s_cbranch_vccnz .LBB142_279
; %bb.275:
	s_andn2_b64 vcc, exec, s[46:47]
	s_cbranch_vccnz .LBB142_280
; %bb.276:
	s_add_i32 s58, s56, 1
	s_cmp_eq_u32 s54, 2
	s_cbranch_scc1 .LBB142_330
; %bb.277:
	s_and_b32 s57, s58, 28
	v_mov_b32_e32 v2, 0
	s_mov_b32 s59, 0
	s_mov_b64 s[50:51], s[34:35]
	s_mov_b64 s[52:53], s[44:45]
	v_mov_b32_e32 v0, 0
	v_mov_b32_e32 v1, v4
.LBB142_278:                            ; =>This Inner Loop Header: Depth=1
	s_load_dwordx8 s[8:15], s[50:51], 0x4
	s_load_dwordx4 s[28:31], s[50:51], 0x24
	s_load_dwordx8 s[0:7], s[52:53], 0x0
	s_add_u32 s50, s50, 48
	s_addc_u32 s51, s51, 0
	s_waitcnt lgkmcnt(0)
	v_mul_hi_u32 v3, s9, v1
	s_add_i32 s59, s59, 4
	s_add_u32 s52, s52, 32
	s_addc_u32 s53, s53, 0
	v_add_u32_e32 v3, v1, v3
	v_lshrrev_b32_e32 v3, s10, v3
	v_mul_lo_u32 v5, v3, s8
	v_mul_hi_u32 v6, s12, v3
	s_cmp_eq_u32 s57, s59
	v_sub_u32_e32 v1, v1, v5
	v_add_u32_e32 v5, v3, v6
	v_mul_lo_u32 v6, v1, s0
	v_mul_lo_u32 v7, v1, s1
	v_lshrrev_b32_e32 v1, s13, v5
	v_mul_lo_u32 v5, v1, s11
	v_mul_hi_u32 v8, s15, v1
	v_sub_u32_e32 v3, v3, v5
	v_add_u32_e32 v5, v1, v8
	v_lshrrev_b32_e32 v5, s28, v5
	v_mul_hi_u32 v9, s30, v5
	v_mul_lo_u32 v10, v5, s14
	v_mul_lo_u32 v8, v3, s2
	;; [unrolled: 1-line block ×3, first 2 shown]
	v_sub_u32_e32 v10, v1, v10
	v_add_u32_e32 v1, v5, v9
	v_lshrrev_b32_e32 v1, s31, v1
	v_mul_lo_u32 v9, v1, s29
	v_mul_lo_u32 v11, v10, s4
	;; [unrolled: 1-line block ×3, first 2 shown]
	v_add3_u32 v0, v6, v0, v8
	v_sub_u32_e32 v5, v5, v9
	v_mul_lo_u32 v9, v5, s6
	v_mul_lo_u32 v5, v5, s7
	v_add3_u32 v2, v7, v2, v3
	v_add3_u32 v0, v11, v0, v9
	;; [unrolled: 1-line block ×3, first 2 shown]
	s_cbranch_scc0 .LBB142_278
	s_branch .LBB142_331
.LBB142_279:
                                        ; implicit-def: $vgpr0
                                        ; implicit-def: $vgpr2
	s_branch .LBB142_335
.LBB142_280:
	v_mov_b32_e32 v0, 0
	v_mov_b32_e32 v2, 0
	s_branch .LBB142_334
.LBB142_281:
	s_mov_b32 s57, 0
	v_mov_b32_e32 v0, 0
	v_mov_b32_e32 v2, 0
	;; [unrolled: 1-line block ×3, first 2 shown]
.LBB142_282:
	s_and_b32 s4, s58, 3
	s_cmp_eq_u32 s4, 0
	s_cbranch_scc1 .LBB142_285
; %bb.283:
	s_lshl_b32 s0, s57, 3
	s_add_u32 s0, s34, s0
	s_addc_u32 s1, s35, 0
	s_add_u32 s0, s0, 0xc4
	s_addc_u32 s1, s1, 0
	s_mul_i32 s2, s57, 12
	s_add_u32 s2, s34, s2
	s_addc_u32 s3, s35, 0
.LBB142_284:                            ; =>This Inner Loop Header: Depth=1
	s_load_dwordx2 s[6:7], s[2:3], 0x4
	s_load_dword s5, s[2:3], 0xc
	s_load_dwordx2 s[8:9], s[0:1], 0x0
	s_add_u32 s2, s2, 12
	s_addc_u32 s3, s3, 0
	s_waitcnt lgkmcnt(0)
	v_mul_hi_u32 v3, s7, v1
	s_add_u32 s0, s0, 8
	s_addc_u32 s1, s1, 0
	s_add_i32 s4, s4, -1
	v_add_u32_e32 v3, v1, v3
	v_lshrrev_b32_e32 v5, s5, v3
	v_mul_lo_u32 v3, v5, s6
	s_cmp_lg_u32 s4, 0
	v_sub_u32_e32 v3, v1, v3
	v_mad_u64_u32 v[0:1], s[6:7], v3, s8, v[0:1]
	v_mad_u64_u32 v[2:3], s[6:7], v3, s9, v[2:3]
	v_mov_b32_e32 v1, v5
	s_cbranch_scc1 .LBB142_284
.LBB142_285:
	s_cbranch_execnz .LBB142_288
.LBB142_286:
	s_waitcnt lgkmcnt(0)
	v_mul_hi_u32 v0, s25, v4
	s_andn2_b64 vcc, exec, s[42:43]
	v_add_u32_e32 v0, v4, v0
	v_lshrrev_b32_e32 v1, s26, v0
	v_mul_lo_u32 v0, v1, s24
	v_sub_u32_e32 v2, v4, v0
	v_mul_lo_u32 v0, v2, s20
	v_mul_lo_u32 v2, v2, s21
	s_cbranch_vccnz .LBB142_288
; %bb.287:
	v_mul_hi_u32 v3, s40, v1
	v_add_u32_e32 v3, v1, v3
	v_lshrrev_b32_e32 v3, s41, v3
	v_mul_lo_u32 v3, v3, s27
	v_sub_u32_e32 v3, v1, v3
	v_mad_u64_u32 v[0:1], s[0:1], v3, s22, v[0:1]
	v_mad_u64_u32 v[2:3], s[0:1], v3, s23, v[2:3]
.LBB142_288:
	s_waitcnt lgkmcnt(0)
	global_load_dword v1, v2, s[18:19]
	s_mov_b32 s0, 0x3c800000
                                        ; implicit-def: $vgpr3
	s_waitcnt vmcnt(0)
	v_and_b32_e32 v2, 0x7fffffff, v1
	v_cmp_nlt_f32_e64 s[0:1], |v1|, s0
	s_and_saveexec_b64 s[2:3], s[0:1]
	s_xor_b64 s[2:3], exec, s[2:3]
	s_cbranch_execz .LBB142_318
; %bb.289:
	v_cmp_nlt_f32_e64 s[0:1], |v1|, 2.0
                                        ; implicit-def: $vgpr3
	s_and_saveexec_b64 s[4:5], s[0:1]
	s_xor_b64 s[4:5], exec, s[4:5]
	s_cbranch_execz .LBB142_299
; %bb.290:
	s_mov_b32 s0, 0x41000000
	v_cmp_nlt_f32_e64 s[0:1], |v1|, s0
                                        ; implicit-def: $vgpr3
	s_and_saveexec_b64 s[6:7], s[0:1]
	s_xor_b64 s[6:7], exec, s[6:7]
	s_cbranch_execz .LBB142_296
; %bb.291:
	s_mov_b32 s0, 0x5c800000
	v_cmp_nlt_f32_e64 s[0:1], |v1|, s0
                                        ; implicit-def: $vgpr3
	s_and_saveexec_b64 s[8:9], s[0:1]
	s_xor_b64 s[8:9], exec, s[8:9]
	s_cbranch_execz .LBB142_293
; %bb.292:
	s_mov_b32 s0, 0x800000
	v_cmp_lt_f32_e64 vcc, |v1|, s0
	v_cndmask_b32_e64 v3, 0, 32, vcc
	v_ldexp_f32 v3, |v1|, v3
	v_log_f32_e32 v3, v3
	s_mov_b32 s0, 0x3f317217
	s_mov_b32 s1, 0x7f800000
	v_mul_f32_e32 v5, 0x3f317217, v3
	v_fma_f32 v6, v3, s0, -v5
	v_fmac_f32_e32 v6, 0x3377d1cf, v3
	v_add_f32_e32 v5, v5, v6
	v_cmp_lt_f32_e64 s[0:1], |v3|, s1
	v_cndmask_b32_e64 v3, v3, v5, s[0:1]
	v_mov_b32_e32 v5, 0x41b17218
	v_cndmask_b32_e32 v5, 0, v5, vcc
	v_sub_f32_e32 v3, v3, v5
	v_fma_f32 v3, |v1|, v3, -|v1|
.LBB142_293:
	s_andn2_saveexec_b64 s[8:9], s[8:9]
	s_cbranch_execz .LBB142_295
; %bb.294:
	v_rcp_f32_e64 v5, |v1|
	v_mov_b32_e32 v3, 0x3a5b3dd2
	v_mov_b32_e32 v6, 0xba1c065c
	v_mov_b32_e32 v7, 0x3a500cfd
	v_mul_f32_e32 v8, v5, v5
	v_fmac_f32_e32 v3, 0xbad5c4e8, v8
	v_fmac_f32_e32 v6, v8, v3
	s_mov_b32 s0, 0x800000
	v_fmac_f32_e32 v7, v8, v6
	v_mov_b32_e32 v3, 0xbb360b61
	v_cmp_lt_f32_e64 vcc, |v1|, s0
	v_fmac_f32_e32 v3, v8, v7
	v_cndmask_b32_e64 v7, 0, 32, vcc
	v_ldexp_f32 v7, |v1|, v7
	v_log_f32_e32 v7, v7
	v_mov_b32_e32 v6, 0x3daaaaab
	v_fmac_f32_e32 v6, v8, v3
	v_mov_b32_e32 v3, 0x3ed67f1d
	v_fmac_f32_e32 v3, v5, v6
	s_mov_b32 s0, 0x3f317217
	v_mul_f32_e32 v6, 0x3f317217, v7
	v_fma_f32 v8, v7, s0, -v6
	v_fmac_f32_e32 v8, 0x3377d1cf, v7
	s_mov_b32 s0, 0x7f800000
	v_add_f32_e32 v6, v6, v8
	v_cmp_lt_f32_e64 s[0:1], |v7|, s0
	v_cndmask_b32_e64 v6, v7, v6, s[0:1]
	v_mov_b32_e32 v7, 0x41b17218
	v_cndmask_b32_e32 v7, 0, v7, vcc
	v_sub_f32_e32 v6, v6, v7
	v_add_f32_e64 v5, |v1|, -0.5
	v_add_f32_e32 v6, -1.0, v6
	v_fmac_f32_e32 v3, v5, v6
.LBB142_295:
	s_or_b64 exec, exec, s[8:9]
.LBB142_296:
	s_andn2_saveexec_b64 s[6:7], s[6:7]
	s_cbranch_execz .LBB142_298
; %bb.297:
	v_cvt_i32_f32_e32 v3, v2
	v_mov_b32_e32 v5, 0x3af135b4
	v_mov_b32_e32 v6, 0x3cda40e4
	;; [unrolled: 1-line block ×3, first 2 shown]
	v_cvt_f32_i32_e32 v8, v3
	v_mov_b32_e32 v9, 0x3ea6cc7a
	v_mov_b32_e32 v10, 0x3e5c245a
	v_cmp_lt_i32_e32 vcc, 2, v3
	v_sub_f32_e64 v8, |v1|, v8
	v_fmac_f32_e32 v5, 0x3805ff67, v8
	v_fmac_f32_e32 v6, v8, v5
	v_fmac_f32_e32 v7, v8, v6
	v_mov_b32_e32 v6, 0x3a4beed6
	v_fmac_f32_e32 v9, v8, v7
	v_fmac_f32_e32 v6, 0x36f5d7bd, v8
	v_mov_b32_e32 v7, 0x3c98bf54
	v_fmac_f32_e32 v7, v8, v6
	v_mov_b32_e32 v6, 0x3e300f6e
	;; [unrolled: 2-line block ×4, first 2 shown]
	v_fmac_f32_e32 v6, v8, v7
	v_add_f32_e32 v7, 2.0, v8
	v_mov_b32_e32 v11, 0xbd9e233f
	v_fmac_f32_e32 v10, v8, v9
	v_add_f32_e32 v9, 0x40400000, v8
	v_cndmask_b32_e32 v7, 1.0, v7, vcc
	v_cmp_lt_i32_e32 vcc, 3, v3
	v_fmac_f32_e32 v11, v8, v10
	v_add_f32_e32 v10, 4.0, v8
	v_cndmask_b32_e32 v9, 1.0, v9, vcc
	v_cmp_lt_i32_e32 vcc, 4, v3
	v_mul_f32_e32 v5, v8, v11
	v_add_f32_e32 v11, 0x40a00000, v8
	v_mul_f32_e32 v7, v7, v9
	v_cndmask_b32_e32 v9, 1.0, v10, vcc
	v_cmp_lt_i32_e32 vcc, 5, v3
	v_add_f32_e32 v12, 0x40c00000, v8
	v_mul_f32_e32 v7, v9, v7
	v_cndmask_b32_e32 v9, 1.0, v11, vcc
	v_cmp_lt_i32_e32 vcc, 6, v3
	v_mul_f32_e32 v7, v9, v7
	v_cndmask_b32_e32 v3, 1.0, v12, vcc
	v_mul_f32_e32 v3, v3, v7
	s_mov_b32 s0, 0x800000
	v_cmp_gt_f32_e32 vcc, s0, v3
	v_cndmask_b32_e64 v7, 0, 32, vcc
	v_fma_f32 v6, v8, v6, 1.0
	v_ldexp_f32 v3, v3, v7
	v_rcp_f32_e32 v6, v6
	v_log_f32_e32 v3, v3
	s_mov_b32 s0, 0x3f317217
	v_mul_f32_e32 v5, v5, v6
	v_mul_f32_e32 v6, 0x3f317217, v3
	v_fma_f32 v7, v3, s0, -v6
	v_fmac_f32_e32 v7, 0x3377d1cf, v3
	s_mov_b32 s0, 0x7f800000
	v_add_f32_e32 v6, v6, v7
	v_cmp_lt_f32_e64 s[0:1], |v3|, s0
	v_cndmask_b32_e64 v3, v3, v6, s[0:1]
	v_mov_b32_e32 v6, 0x41b17218
	v_cndmask_b32_e32 v6, 0, v6, vcc
	v_fmac_f32_e32 v5, 0.5, v8
	v_sub_f32_e32 v3, v3, v6
	v_add_f32_e32 v3, v3, v5
.LBB142_298:
	s_or_b64 exec, exec, s[6:7]
.LBB142_299:
	s_andn2_saveexec_b64 s[4:5], s[4:5]
	s_cbranch_execz .LBB142_317
; %bb.300:
	s_mov_b32 s0, 0x3f666666
	v_cmp_le_f32_e64 s[0:1], |v1|, s0
                                        ; implicit-def: $vgpr3
                                        ; implicit-def: $vgpr6
                                        ; implicit-def: $vgpr5
	s_and_saveexec_b64 s[6:7], s[0:1]
	s_xor_b64 s[6:7], exec, s[6:7]
	s_cbranch_execz .LBB142_302
; %bb.301:
	s_mov_b32 s0, 0x800000
	v_cmp_lt_f32_e64 vcc, |v1|, s0
	v_cndmask_b32_e64 v3, 0, 32, vcc
	v_ldexp_f32 v3, |v1|, v3
	v_log_f32_e32 v3, v3
	s_mov_b32 s0, 0x3f317217
	s_mov_b32 s1, 0x7f800000
	v_mul_f32_e32 v5, 0x3f317217, v3
	v_fma_f32 v6, v3, s0, -v5
	v_fmac_f32_e32 v6, 0x3377d1cf, v3
	v_add_f32_e32 v5, v5, v6
	v_cmp_lt_f32_e64 s[0:1], |v3|, s1
	v_cndmask_b32_e64 v3, v3, v5, s[0:1]
	v_mov_b32_e32 v5, 0x41b17218
	v_cndmask_b32_e32 v5, 0, v5, vcc
	s_mov_b32 s0, 0x3f3b4a23
	s_mov_b32 s1, 0xbeec5b0c
	v_sub_f32_e32 v3, v3, v5
	v_sub_f32_e64 v5, 1.0, |v1|
	v_add_f32_e64 v6, |v1|, s1
	v_cmp_lt_f32_e64 vcc, |v1|, s0
	s_mov_b32 s0, 0x3e6d3309
	v_cndmask_b32_e32 v5, v5, v6, vcc
	v_cndmask_b32_e64 v6, 0, 1, vcc
	v_cmp_lt_f32_e64 s[0:1], |v1|, s0
	v_xor_b32_e32 v3, 0x80000000, v3
	v_cndmask_b32_e64 v5, v5, |v1|, s[0:1]
	v_cndmask_b32_e64 v6, v6, 2, s[0:1]
.LBB142_302:
	s_andn2_saveexec_b64 s[0:1], s[6:7]
	s_cbranch_execz .LBB142_304
; %bb.303:
	s_mov_b32 s6, 0x3fdda512
	s_mov_b32 s7, 0xbfbb16c3
	v_sub_f32_e64 v3, 2.0, |v1|
	v_add_f32_e64 v5, |v1|, s7
	v_cmp_lt_f32_e64 vcc, |v1|, s6
	v_cndmask_b32_e32 v5, v3, v5, vcc
	v_cndmask_b32_e64 v3, v3, 1.0, vcc
	v_cvt_i32_f32_e32 v3, v3
	s_mov_b32 s6, 0x3f9d70a4
	v_add_f32_e64 v6, |v1|, -1.0
	v_cmp_lt_f32_e64 vcc, |v1|, s6
	v_cndmask_b32_e32 v5, v5, v6, vcc
	v_cndmask_b32_e64 v6, v3, 2, vcc
	v_mov_b32_e32 v3, 0
.LBB142_304:
	s_or_b64 exec, exec, s[0:1]
	v_cmp_lt_i32_e32 vcc, 0, v6
	s_and_saveexec_b64 s[0:1], vcc
	s_xor_b64 s[0:1], exec, s[0:1]
	s_cbranch_execz .LBB142_312
; %bb.305:
	v_cmp_lt_i32_e32 vcc, 1, v6
	s_and_saveexec_b64 s[6:7], vcc
	s_xor_b64 s[6:7], exec, s[6:7]
	s_cbranch_execz .LBB142_309
; %bb.306:
	v_cmp_eq_u32_e32 vcc, 2, v6
	s_and_saveexec_b64 s[8:9], vcc
	s_cbranch_execz .LBB142_308
; %bb.307:
	v_mov_b32_e32 v6, 0x3e6a7578
	v_fmac_f32_e32 v6, 0x3c5b3c5e, v5
	v_mov_b32_e32 v7, 0x3f7a4bb2
	v_fmac_f32_e32 v7, v5, v6
	;; [unrolled: 2-line block ×8, first 2 shown]
	v_fma_f32 v6, v5, v8, 1.0
	v_rcp_f32_e32 v6, v6
	v_mov_b32_e32 v8, 0xbd9e233f
	v_fmac_f32_e32 v8, v5, v7
	v_mul_f32_e32 v7, v5, v8
	v_mul_f32_e32 v6, v7, v6
	v_fmac_f32_e32 v6, -0.5, v5
	v_add_f32_e32 v3, v3, v6
.LBB142_308:
	s_or_b64 exec, exec, s[8:9]
                                        ; implicit-def: $vgpr5
.LBB142_309:
	s_andn2_saveexec_b64 s[6:7], s[6:7]
	s_cbranch_execz .LBB142_311
; %bb.310:
	v_mul_f32_e32 v6, v5, v5
	v_mul_f32_e32 v7, v5, v6
	v_mov_b32_e32 v8, 0xbab7f476
	v_fmac_f32_e32 v8, 0x39a57b6b, v7
	v_mov_b32_e32 v9, 0x3bc7e707
	v_fmac_f32_e32 v9, v7, v8
	v_mov_b32_e32 v8, 0xbd064d47
	v_fmac_f32_e32 v8, v7, v9
	v_mov_b32_e32 v9, 0x3ef7b95e
	v_fmac_f32_e32 v9, v7, v8
	v_mov_b32_e32 v8, 0x3a66f867
	v_fmac_f32_e32 v8, 0xb9a3f927, v7
	v_mov_b32_e32 v10, 0xbb7177fe
	v_fmac_f32_e32 v10, v7, v8
	v_mov_b32_e32 v8, 0x3c93373d
	v_fmac_f32_e32 v8, v7, v10
	v_mov_b32_e32 v10, 0xbe17213c
	v_fmac_f32_e32 v10, v7, v8
	v_mov_b32_e32 v8, 0xba0d3085
	v_fmac_f32_e32 v8, 0x39afe9f7, v7
	v_mov_b32_e32 v11, 0x3b141699
	v_fmac_f32_e32 v11, v7, v8
	v_mov_b32_e32 v8, 0xbc28fcfe
	v_fmac_f32_e32 v8, v7, v11
	v_mov_b32_e32 v11, 0x3d845a15
	v_fmac_f32_e32 v11, v7, v8
	v_fmac_f32_e32 v10, v5, v11
	s_mov_b32 s8, 0xa2863e55
	v_fma_f32 v5, v7, -v10, s8
	v_fma_f32 v5, v6, v9, -v5
	v_add_f32_e32 v5, 0xbdf8cdce, v5
	v_add_f32_e32 v3, v3, v5
.LBB142_311:
	s_or_b64 exec, exec, s[6:7]
                                        ; implicit-def: $vgpr6
                                        ; implicit-def: $vgpr5
.LBB142_312:
	s_andn2_saveexec_b64 s[0:1], s[0:1]
	s_cbranch_execz .LBB142_316
; %bb.313:
	v_cmp_eq_u32_e32 vcc, 0, v6
	s_and_saveexec_b64 s[6:7], vcc
	s_cbranch_execz .LBB142_315
; %bb.314:
	v_mul_f32_e32 v6, v5, v5
	v_mov_b32_e32 v7, 0x39679767
	v_fmac_f32_e32 v7, 0x37d383a2, v6
	v_mov_b32_e32 v8, 0x3a9c54a1
	v_fmac_f32_e32 v8, v6, v7
	;; [unrolled: 2-line block ×10, first 2 shown]
	v_mul_f32_e32 v6, v6, v8
	v_fmac_f32_e32 v6, v5, v7
	v_fmac_f32_e32 v6, -0.5, v5
	v_add_f32_e32 v3, v3, v6
.LBB142_315:
	s_or_b64 exec, exec, s[6:7]
.LBB142_316:
	s_or_b64 exec, exec, s[0:1]
.LBB142_317:
	s_or_b64 exec, exec, s[4:5]
.LBB142_318:
	s_andn2_saveexec_b64 s[2:3], s[2:3]
	s_cbranch_execz .LBB142_320
; %bb.319:
	s_mov_b32 s0, 0x3e8a8991
	v_mov_b32_e32 v3, 0xbecd26ab
	v_fma_f32 v3, |v1|, s0, v3
	s_mov_b32 s0, 0x3f528d33
	v_fma_f32 v3, |v1|, v3, s0
	s_mov_b32 s0, 0x800000
	v_cmp_lt_f32_e64 vcc, |v1|, s0
	v_cndmask_b32_e64 v5, 0, 32, vcc
	v_ldexp_f32 v5, |v1|, v5
	v_log_f32_e32 v5, v5
	s_mov_b32 s0, 0xbf13c468
	v_fma_f32 v3, |v1|, v3, s0
	s_mov_b32 s0, 0x3f317217
	v_mul_f32_e32 v6, 0x3f317217, v5
	v_fma_f32 v7, v5, s0, -v6
	v_fmac_f32_e32 v7, 0x3377d1cf, v5
	s_mov_b32 s0, 0x7f800000
	v_add_f32_e32 v6, v6, v7
	v_cmp_lt_f32_e64 s[0:1], |v5|, s0
	v_cndmask_b32_e64 v5, v5, v6, s[0:1]
	v_mov_b32_e32 v6, 0x41b17218
	v_cndmask_b32_e32 v6, 0, v6, vcc
	v_sub_f32_e32 v5, v5, v6
	v_fma_f32 v3, |v1|, v3, -v5
.LBB142_320:
	s_or_b64 exec, exec, s[2:3]
	v_cmp_le_f32_e32 vcc, 0, v1
	v_cmp_nle_f32_e64 s[0:1], 0, v1
	s_and_saveexec_b64 s[2:3], s[0:1]
	s_xor_b64 s[4:5], exec, s[2:3]
	s_cbranch_execz .LBB142_324
; %bb.321:
	s_mov_b32 s0, 0x4b000000
	s_mov_b32 s2, 0x35000000
	v_cmp_lt_f32_e64 s[0:1], |v1|, s0
	v_cmp_gt_f32_e64 s[2:3], |v1|, s2
	s_and_b64 s[0:1], s[0:1], s[2:3]
	s_and_saveexec_b64 s[6:7], s[0:1]
	s_cbranch_execz .LBB142_323
; %bb.322:
	v_mul_f32_e64 v5, |v1|, 0.5
	v_floor_f32_e32 v6, v5
	v_sub_f32_e32 v6, v5, v6
	v_min_f32_e32 v6, 0x3f7fffff, v6
	s_mov_b32 s2, 0x7f800000
	v_add_f32_e32 v6, v6, v6
	v_cmp_neq_f32_e64 s[0:1], s2, v5
	v_cndmask_b32_e64 v5, 0, v6, s[0:1]
	v_cmp_gt_f32_e64 s[0:1], |v1|, 1.0
	v_cndmask_b32_e64 v5, |v1|, v5, s[0:1]
	v_add_f32_e32 v6, v5, v5
	v_rndne_f32_e32 v6, v6
	v_fmac_f32_e32 v5, -0.5, v6
	v_mul_f32_e32 v7, v5, v5
	v_mov_b32_e32 v8, 0xbf1f24be
	v_fmac_f32_e32 v8, 0x3e75aa41, v7
	v_mov_b32_e32 v9, 0x40234736
	v_fmac_f32_e32 v9, v7, v8
	;; [unrolled: 2-line block ×3, first 2 shown]
	v_mul_f32_e32 v9, v5, v7
	v_mul_f32_e32 v8, v9, v8
	v_fmac_f32_e32 v8, 0x40490fdb, v5
	v_mov_b32_e32 v5, 0x3e642e9d
	v_cvt_i32_f32_e32 v6, v6
	v_fmac_f32_e32 v5, 0x3d4be544, v7
	v_mov_b32_e32 v9, 0xbfaad1da
	v_fmac_f32_e32 v9, v7, v5
	v_mov_b32_e32 v5, 0x4081e0d3
	;; [unrolled: 2-line block ×3, first 2 shown]
	v_fmac_f32_e32 v9, v7, v5
	v_fma_f32 v5, v7, v9, 1.0
	v_and_b32_e32 v7, 1, v6
	v_lshlrev_b32_e32 v6, 30, v6
	v_cmp_eq_u32_e64 s[0:1], 0, v7
	v_and_b32_e32 v6, 0x80000000, v6
	v_xor_b32_e32 v2, v2, v1
	v_cndmask_b32_e64 v5, v5, v8, s[0:1]
	v_xor_b32_e32 v2, v2, v6
	v_xor_b32_e32 v2, v2, v5
	v_mul_f32_e32 v2, v1, v2
	v_frexp_mant_f32_e64 v5, |v2|
	v_rcp_f32_e32 v5, v5
	v_frexp_exp_i32_f32_e32 v2, v2
	v_sub_u32_e32 v2, 2, v2
	s_mov_b32 s0, 0x800000
	v_mul_f32_e32 v5, 0x3f490fdb, v5
	v_ldexp_f32 v2, v5, v2
	v_cmp_gt_f32_e64 s[0:1], s0, v2
	v_cndmask_b32_e64 v5, 0, 32, s[0:1]
	v_ldexp_f32 v2, v2, v5
	v_log_f32_e32 v2, v2
	s_mov_b32 s3, 0x3f317217
	v_mul_f32_e32 v5, 0x3f317217, v2
	v_fma_f32 v6, v2, s3, -v5
	v_fmac_f32_e32 v6, 0x3377d1cf, v2
	v_add_f32_e32 v5, v5, v6
	v_cmp_lt_f32_e64 s[2:3], |v2|, s2
	v_cndmask_b32_e64 v2, v2, v5, s[2:3]
	v_mov_b32_e32 v5, 0x41b17218
	v_cndmask_b32_e64 v5, 0, v5, s[0:1]
	v_sub_f32_e32 v2, v2, v5
	v_sub_f32_e32 v2, v2, v3
	v_floor_f32_e32 v3, v1
	v_sub_f32_e32 v3, v1, v3
	v_min_f32_e32 v3, 0x3f7fffff, v3
	v_mov_b32_e32 v5, 0x7f800000
	v_cmp_neq_f32_e64 s[0:1], 0, v3
	v_cndmask_b32_e64 v3, v5, v2, s[0:1]
.LBB142_323:
	s_or_b64 exec, exec, s[6:7]
.LBB142_324:
	s_andn2_saveexec_b64 s[4:5], s[4:5]
; %bb.325:
	v_cmp_eq_f32_e64 s[0:1], 1.0, v1
	v_cmp_eq_f32_e64 s[2:3], 2.0, v1
	s_or_b64 s[0:1], s[0:1], s[2:3]
	v_cndmask_b32_e64 v3, v3, 0, s[0:1]
; %bb.326:
	s_or_b64 exec, exec, s[4:5]
	s_mov_b32 s0, 0x4b000000
	v_cmp_lt_f32_e64 s[0:1], |v1|, s0
	v_mov_b32_e32 v2, 0x264
	v_mov_b32_e32 v5, 0x7f800000
	s_or_b64 vcc, vcc, s[0:1]
	v_cndmask_b32_e32 v3, v5, v3, vcc
	v_cmp_class_f32_e32 vcc, v1, v2
	v_cndmask_b32_e32 v2, v3, v5, vcc
	v_cmp_u_f32_e32 vcc, v1, v1
	v_cndmask_b32_e32 v1, v2, v1, vcc
	v_add_u32_e32 v4, 0x80, v4
	global_store_dword v0, v1, s[16:17]
	s_or_b64 exec, exec, s[48:49]
	v_cmp_gt_i32_e32 vcc, s55, v4
	s_and_saveexec_b64 s[48:49], vcc
	s_cbranch_execnz .LBB142_274
.LBB142_327:
	s_or_b64 exec, exec, s[48:49]
	v_cmp_gt_i32_e32 vcc, s55, v4
	s_and_saveexec_b64 s[48:49], vcc
	s_cbranch_execnz .LBB142_376
.LBB142_328:
	s_or_b64 exec, exec, s[48:49]
                                        ; implicit-def: $vgpr13
                                        ; implicit-def: $vgpr4
	s_andn2_saveexec_b64 s[0:1], s[38:39]
	s_cbranch_execnz .LBB142_8
.LBB142_329:
	s_endpgm
.LBB142_330:
	s_mov_b32 s57, 0
	v_mov_b32_e32 v0, 0
	v_mov_b32_e32 v2, 0
	;; [unrolled: 1-line block ×3, first 2 shown]
.LBB142_331:
	s_and_b32 s4, s58, 3
	s_cmp_eq_u32 s4, 0
	s_cbranch_scc1 .LBB142_334
; %bb.332:
	s_lshl_b32 s0, s57, 3
	s_add_u32 s0, s34, s0
	s_addc_u32 s1, s35, 0
	s_add_u32 s0, s0, 0xc4
	s_addc_u32 s1, s1, 0
	s_mul_i32 s2, s57, 12
	s_add_u32 s2, s34, s2
	s_addc_u32 s3, s35, 0
.LBB142_333:                            ; =>This Inner Loop Header: Depth=1
	s_load_dwordx2 s[6:7], s[2:3], 0x4
	s_load_dword s5, s[2:3], 0xc
	s_load_dwordx2 s[8:9], s[0:1], 0x0
	s_add_u32 s2, s2, 12
	s_addc_u32 s3, s3, 0
	s_waitcnt lgkmcnt(0)
	v_mul_hi_u32 v3, s7, v1
	s_add_u32 s0, s0, 8
	s_addc_u32 s1, s1, 0
	s_add_i32 s4, s4, -1
	v_add_u32_e32 v3, v1, v3
	v_lshrrev_b32_e32 v5, s5, v3
	v_mul_lo_u32 v3, v5, s6
	s_cmp_lg_u32 s4, 0
	v_sub_u32_e32 v3, v1, v3
	v_mad_u64_u32 v[0:1], s[6:7], v3, s8, v[0:1]
	v_mad_u64_u32 v[2:3], s[6:7], v3, s9, v[2:3]
	v_mov_b32_e32 v1, v5
	s_cbranch_scc1 .LBB142_333
.LBB142_334:
	s_cbranch_execnz .LBB142_337
.LBB142_335:
	s_waitcnt lgkmcnt(0)
	v_mul_hi_u32 v0, s25, v4
	s_andn2_b64 vcc, exec, s[42:43]
	v_add_u32_e32 v0, v4, v0
	v_lshrrev_b32_e32 v1, s26, v0
	v_mul_lo_u32 v0, v1, s24
	v_sub_u32_e32 v2, v4, v0
	v_mul_lo_u32 v0, v2, s20
	v_mul_lo_u32 v2, v2, s21
	s_cbranch_vccnz .LBB142_337
; %bb.336:
	v_mul_hi_u32 v3, s40, v1
	v_add_u32_e32 v3, v1, v3
	v_lshrrev_b32_e32 v3, s41, v3
	v_mul_lo_u32 v3, v3, s27
	v_sub_u32_e32 v3, v1, v3
	v_mad_u64_u32 v[0:1], s[0:1], v3, s22, v[0:1]
	v_mad_u64_u32 v[2:3], s[0:1], v3, s23, v[2:3]
.LBB142_337:
	s_waitcnt lgkmcnt(0)
	global_load_dword v1, v2, s[18:19]
	s_mov_b32 s0, 0x3c800000
                                        ; implicit-def: $vgpr3
	s_waitcnt vmcnt(0)
	v_and_b32_e32 v2, 0x7fffffff, v1
	v_cmp_nlt_f32_e64 s[0:1], |v1|, s0
	s_and_saveexec_b64 s[2:3], s[0:1]
	s_xor_b64 s[2:3], exec, s[2:3]
	s_cbranch_execz .LBB142_367
; %bb.338:
	v_cmp_nlt_f32_e64 s[0:1], |v1|, 2.0
                                        ; implicit-def: $vgpr3
	s_and_saveexec_b64 s[4:5], s[0:1]
	s_xor_b64 s[4:5], exec, s[4:5]
	s_cbranch_execz .LBB142_348
; %bb.339:
	s_mov_b32 s0, 0x41000000
	v_cmp_nlt_f32_e64 s[0:1], |v1|, s0
                                        ; implicit-def: $vgpr3
	s_and_saveexec_b64 s[6:7], s[0:1]
	s_xor_b64 s[6:7], exec, s[6:7]
	s_cbranch_execz .LBB142_345
; %bb.340:
	s_mov_b32 s0, 0x5c800000
	v_cmp_nlt_f32_e64 s[0:1], |v1|, s0
                                        ; implicit-def: $vgpr3
	s_and_saveexec_b64 s[8:9], s[0:1]
	s_xor_b64 s[8:9], exec, s[8:9]
	s_cbranch_execz .LBB142_342
; %bb.341:
	s_mov_b32 s0, 0x800000
	v_cmp_lt_f32_e64 vcc, |v1|, s0
	v_cndmask_b32_e64 v3, 0, 32, vcc
	v_ldexp_f32 v3, |v1|, v3
	v_log_f32_e32 v3, v3
	s_mov_b32 s0, 0x3f317217
	s_mov_b32 s1, 0x7f800000
	v_mul_f32_e32 v5, 0x3f317217, v3
	v_fma_f32 v6, v3, s0, -v5
	v_fmac_f32_e32 v6, 0x3377d1cf, v3
	v_add_f32_e32 v5, v5, v6
	v_cmp_lt_f32_e64 s[0:1], |v3|, s1
	v_cndmask_b32_e64 v3, v3, v5, s[0:1]
	v_mov_b32_e32 v5, 0x41b17218
	v_cndmask_b32_e32 v5, 0, v5, vcc
	v_sub_f32_e32 v3, v3, v5
	v_fma_f32 v3, |v1|, v3, -|v1|
.LBB142_342:
	s_andn2_saveexec_b64 s[8:9], s[8:9]
	s_cbranch_execz .LBB142_344
; %bb.343:
	v_rcp_f32_e64 v5, |v1|
	v_mov_b32_e32 v3, 0x3a5b3dd2
	v_mov_b32_e32 v6, 0xba1c065c
	;; [unrolled: 1-line block ×3, first 2 shown]
	v_mul_f32_e32 v8, v5, v5
	v_fmac_f32_e32 v3, 0xbad5c4e8, v8
	v_fmac_f32_e32 v6, v8, v3
	s_mov_b32 s0, 0x800000
	v_fmac_f32_e32 v7, v8, v6
	v_mov_b32_e32 v3, 0xbb360b61
	v_cmp_lt_f32_e64 vcc, |v1|, s0
	v_fmac_f32_e32 v3, v8, v7
	v_cndmask_b32_e64 v7, 0, 32, vcc
	v_ldexp_f32 v7, |v1|, v7
	v_log_f32_e32 v7, v7
	v_mov_b32_e32 v6, 0x3daaaaab
	v_fmac_f32_e32 v6, v8, v3
	v_mov_b32_e32 v3, 0x3ed67f1d
	v_fmac_f32_e32 v3, v5, v6
	s_mov_b32 s0, 0x3f317217
	v_mul_f32_e32 v6, 0x3f317217, v7
	v_fma_f32 v8, v7, s0, -v6
	v_fmac_f32_e32 v8, 0x3377d1cf, v7
	s_mov_b32 s0, 0x7f800000
	v_add_f32_e32 v6, v6, v8
	v_cmp_lt_f32_e64 s[0:1], |v7|, s0
	v_cndmask_b32_e64 v6, v7, v6, s[0:1]
	v_mov_b32_e32 v7, 0x41b17218
	v_cndmask_b32_e32 v7, 0, v7, vcc
	v_sub_f32_e32 v6, v6, v7
	v_add_f32_e64 v5, |v1|, -0.5
	v_add_f32_e32 v6, -1.0, v6
	v_fmac_f32_e32 v3, v5, v6
.LBB142_344:
	s_or_b64 exec, exec, s[8:9]
.LBB142_345:
	s_andn2_saveexec_b64 s[6:7], s[6:7]
	s_cbranch_execz .LBB142_347
; %bb.346:
	v_cvt_i32_f32_e32 v3, v2
	v_mov_b32_e32 v5, 0x3af135b4
	v_mov_b32_e32 v6, 0x3cda40e4
	;; [unrolled: 1-line block ×3, first 2 shown]
	v_cvt_f32_i32_e32 v8, v3
	v_mov_b32_e32 v9, 0x3ea6cc7a
	v_mov_b32_e32 v10, 0x3e5c245a
	v_cmp_lt_i32_e32 vcc, 2, v3
	v_sub_f32_e64 v8, |v1|, v8
	v_fmac_f32_e32 v5, 0x3805ff67, v8
	v_fmac_f32_e32 v6, v8, v5
	;; [unrolled: 1-line block ×3, first 2 shown]
	v_mov_b32_e32 v6, 0x3a4beed6
	v_fmac_f32_e32 v9, v8, v7
	v_fmac_f32_e32 v6, 0x36f5d7bd, v8
	v_mov_b32_e32 v7, 0x3c98bf54
	v_fmac_f32_e32 v7, v8, v6
	v_mov_b32_e32 v6, 0x3e300f6e
	;; [unrolled: 2-line block ×4, first 2 shown]
	v_fmac_f32_e32 v6, v8, v7
	v_add_f32_e32 v7, 2.0, v8
	v_mov_b32_e32 v11, 0xbd9e233f
	v_fmac_f32_e32 v10, v8, v9
	v_add_f32_e32 v9, 0x40400000, v8
	v_cndmask_b32_e32 v7, 1.0, v7, vcc
	v_cmp_lt_i32_e32 vcc, 3, v3
	v_fmac_f32_e32 v11, v8, v10
	v_add_f32_e32 v10, 4.0, v8
	v_cndmask_b32_e32 v9, 1.0, v9, vcc
	v_cmp_lt_i32_e32 vcc, 4, v3
	v_mul_f32_e32 v5, v8, v11
	v_add_f32_e32 v11, 0x40a00000, v8
	v_mul_f32_e32 v7, v7, v9
	v_cndmask_b32_e32 v9, 1.0, v10, vcc
	v_cmp_lt_i32_e32 vcc, 5, v3
	v_add_f32_e32 v12, 0x40c00000, v8
	v_mul_f32_e32 v7, v9, v7
	v_cndmask_b32_e32 v9, 1.0, v11, vcc
	v_cmp_lt_i32_e32 vcc, 6, v3
	v_mul_f32_e32 v7, v9, v7
	v_cndmask_b32_e32 v3, 1.0, v12, vcc
	v_mul_f32_e32 v3, v3, v7
	s_mov_b32 s0, 0x800000
	v_cmp_gt_f32_e32 vcc, s0, v3
	v_cndmask_b32_e64 v7, 0, 32, vcc
	v_fma_f32 v6, v8, v6, 1.0
	v_ldexp_f32 v3, v3, v7
	v_rcp_f32_e32 v6, v6
	v_log_f32_e32 v3, v3
	s_mov_b32 s0, 0x3f317217
	v_mul_f32_e32 v5, v5, v6
	v_mul_f32_e32 v6, 0x3f317217, v3
	v_fma_f32 v7, v3, s0, -v6
	v_fmac_f32_e32 v7, 0x3377d1cf, v3
	s_mov_b32 s0, 0x7f800000
	v_add_f32_e32 v6, v6, v7
	v_cmp_lt_f32_e64 s[0:1], |v3|, s0
	v_cndmask_b32_e64 v3, v3, v6, s[0:1]
	v_mov_b32_e32 v6, 0x41b17218
	v_cndmask_b32_e32 v6, 0, v6, vcc
	v_fmac_f32_e32 v5, 0.5, v8
	v_sub_f32_e32 v3, v3, v6
	v_add_f32_e32 v3, v3, v5
.LBB142_347:
	s_or_b64 exec, exec, s[6:7]
.LBB142_348:
	s_andn2_saveexec_b64 s[4:5], s[4:5]
	s_cbranch_execz .LBB142_366
; %bb.349:
	s_mov_b32 s0, 0x3f666666
	v_cmp_le_f32_e64 s[0:1], |v1|, s0
                                        ; implicit-def: $vgpr3
                                        ; implicit-def: $vgpr6
                                        ; implicit-def: $vgpr5
	s_and_saveexec_b64 s[6:7], s[0:1]
	s_xor_b64 s[6:7], exec, s[6:7]
	s_cbranch_execz .LBB142_351
; %bb.350:
	s_mov_b32 s0, 0x800000
	v_cmp_lt_f32_e64 vcc, |v1|, s0
	v_cndmask_b32_e64 v3, 0, 32, vcc
	v_ldexp_f32 v3, |v1|, v3
	v_log_f32_e32 v3, v3
	s_mov_b32 s0, 0x3f317217
	s_mov_b32 s1, 0x7f800000
	v_mul_f32_e32 v5, 0x3f317217, v3
	v_fma_f32 v6, v3, s0, -v5
	v_fmac_f32_e32 v6, 0x3377d1cf, v3
	v_add_f32_e32 v5, v5, v6
	v_cmp_lt_f32_e64 s[0:1], |v3|, s1
	v_cndmask_b32_e64 v3, v3, v5, s[0:1]
	v_mov_b32_e32 v5, 0x41b17218
	v_cndmask_b32_e32 v5, 0, v5, vcc
	s_mov_b32 s0, 0x3f3b4a23
	s_mov_b32 s1, 0xbeec5b0c
	v_sub_f32_e32 v3, v3, v5
	v_sub_f32_e64 v5, 1.0, |v1|
	v_add_f32_e64 v6, |v1|, s1
	v_cmp_lt_f32_e64 vcc, |v1|, s0
	s_mov_b32 s0, 0x3e6d3309
	v_cndmask_b32_e32 v5, v5, v6, vcc
	v_cndmask_b32_e64 v6, 0, 1, vcc
	v_cmp_lt_f32_e64 s[0:1], |v1|, s0
	v_xor_b32_e32 v3, 0x80000000, v3
	v_cndmask_b32_e64 v5, v5, |v1|, s[0:1]
	v_cndmask_b32_e64 v6, v6, 2, s[0:1]
.LBB142_351:
	s_andn2_saveexec_b64 s[0:1], s[6:7]
	s_cbranch_execz .LBB142_353
; %bb.352:
	s_mov_b32 s6, 0x3fdda512
	s_mov_b32 s7, 0xbfbb16c3
	v_sub_f32_e64 v3, 2.0, |v1|
	v_add_f32_e64 v5, |v1|, s7
	v_cmp_lt_f32_e64 vcc, |v1|, s6
	v_cndmask_b32_e32 v5, v3, v5, vcc
	v_cndmask_b32_e64 v3, v3, 1.0, vcc
	v_cvt_i32_f32_e32 v3, v3
	s_mov_b32 s6, 0x3f9d70a4
	v_add_f32_e64 v6, |v1|, -1.0
	v_cmp_lt_f32_e64 vcc, |v1|, s6
	v_cndmask_b32_e32 v5, v5, v6, vcc
	v_cndmask_b32_e64 v6, v3, 2, vcc
	v_mov_b32_e32 v3, 0
.LBB142_353:
	s_or_b64 exec, exec, s[0:1]
	v_cmp_lt_i32_e32 vcc, 0, v6
	s_and_saveexec_b64 s[0:1], vcc
	s_xor_b64 s[0:1], exec, s[0:1]
	s_cbranch_execz .LBB142_361
; %bb.354:
	v_cmp_lt_i32_e32 vcc, 1, v6
	s_and_saveexec_b64 s[6:7], vcc
	s_xor_b64 s[6:7], exec, s[6:7]
	s_cbranch_execz .LBB142_358
; %bb.355:
	v_cmp_eq_u32_e32 vcc, 2, v6
	s_and_saveexec_b64 s[8:9], vcc
	s_cbranch_execz .LBB142_357
; %bb.356:
	v_mov_b32_e32 v6, 0x3e6a7578
	v_fmac_f32_e32 v6, 0x3c5b3c5e, v5
	v_mov_b32_e32 v7, 0x3f7a4bb2
	v_fmac_f32_e32 v7, v5, v6
	;; [unrolled: 2-line block ×8, first 2 shown]
	v_fma_f32 v6, v5, v8, 1.0
	v_rcp_f32_e32 v6, v6
	v_mov_b32_e32 v8, 0xbd9e233f
	v_fmac_f32_e32 v8, v5, v7
	v_mul_f32_e32 v7, v5, v8
	v_mul_f32_e32 v6, v7, v6
	v_fmac_f32_e32 v6, -0.5, v5
	v_add_f32_e32 v3, v3, v6
.LBB142_357:
	s_or_b64 exec, exec, s[8:9]
                                        ; implicit-def: $vgpr5
.LBB142_358:
	s_andn2_saveexec_b64 s[6:7], s[6:7]
	s_cbranch_execz .LBB142_360
; %bb.359:
	v_mul_f32_e32 v6, v5, v5
	v_mul_f32_e32 v7, v5, v6
	v_mov_b32_e32 v8, 0xbab7f476
	v_fmac_f32_e32 v8, 0x39a57b6b, v7
	v_mov_b32_e32 v9, 0x3bc7e707
	v_fmac_f32_e32 v9, v7, v8
	;; [unrolled: 2-line block ×12, first 2 shown]
	v_fmac_f32_e32 v10, v5, v11
	s_mov_b32 s8, 0xa2863e55
	v_fma_f32 v5, v7, -v10, s8
	v_fma_f32 v5, v6, v9, -v5
	v_add_f32_e32 v5, 0xbdf8cdce, v5
	v_add_f32_e32 v3, v3, v5
.LBB142_360:
	s_or_b64 exec, exec, s[6:7]
                                        ; implicit-def: $vgpr6
                                        ; implicit-def: $vgpr5
.LBB142_361:
	s_andn2_saveexec_b64 s[0:1], s[0:1]
	s_cbranch_execz .LBB142_365
; %bb.362:
	v_cmp_eq_u32_e32 vcc, 0, v6
	s_and_saveexec_b64 s[6:7], vcc
	s_cbranch_execz .LBB142_364
; %bb.363:
	v_mul_f32_e32 v6, v5, v5
	v_mov_b32_e32 v7, 0x39679767
	v_fmac_f32_e32 v7, 0x37d383a2, v6
	v_mov_b32_e32 v8, 0x3a9c54a1
	v_fmac_f32_e32 v8, v6, v7
	;; [unrolled: 2-line block ×10, first 2 shown]
	v_mul_f32_e32 v6, v6, v8
	v_fmac_f32_e32 v6, v5, v7
	v_fmac_f32_e32 v6, -0.5, v5
	v_add_f32_e32 v3, v3, v6
.LBB142_364:
	s_or_b64 exec, exec, s[6:7]
.LBB142_365:
	s_or_b64 exec, exec, s[0:1]
.LBB142_366:
	s_or_b64 exec, exec, s[4:5]
.LBB142_367:
	s_andn2_saveexec_b64 s[2:3], s[2:3]
	s_cbranch_execz .LBB142_369
; %bb.368:
	s_mov_b32 s0, 0x3e8a8991
	v_mov_b32_e32 v3, 0xbecd26ab
	v_fma_f32 v3, |v1|, s0, v3
	s_mov_b32 s0, 0x3f528d33
	v_fma_f32 v3, |v1|, v3, s0
	s_mov_b32 s0, 0x800000
	v_cmp_lt_f32_e64 vcc, |v1|, s0
	v_cndmask_b32_e64 v5, 0, 32, vcc
	v_ldexp_f32 v5, |v1|, v5
	v_log_f32_e32 v5, v5
	s_mov_b32 s0, 0xbf13c468
	v_fma_f32 v3, |v1|, v3, s0
	s_mov_b32 s0, 0x3f317217
	v_mul_f32_e32 v6, 0x3f317217, v5
	v_fma_f32 v7, v5, s0, -v6
	v_fmac_f32_e32 v7, 0x3377d1cf, v5
	s_mov_b32 s0, 0x7f800000
	v_add_f32_e32 v6, v6, v7
	v_cmp_lt_f32_e64 s[0:1], |v5|, s0
	v_cndmask_b32_e64 v5, v5, v6, s[0:1]
	v_mov_b32_e32 v6, 0x41b17218
	v_cndmask_b32_e32 v6, 0, v6, vcc
	v_sub_f32_e32 v5, v5, v6
	v_fma_f32 v3, |v1|, v3, -v5
.LBB142_369:
	s_or_b64 exec, exec, s[2:3]
	v_cmp_le_f32_e32 vcc, 0, v1
	v_cmp_nle_f32_e64 s[0:1], 0, v1
	s_and_saveexec_b64 s[2:3], s[0:1]
	s_xor_b64 s[4:5], exec, s[2:3]
	s_cbranch_execz .LBB142_373
; %bb.370:
	s_mov_b32 s0, 0x4b000000
	s_mov_b32 s2, 0x35000000
	v_cmp_lt_f32_e64 s[0:1], |v1|, s0
	v_cmp_gt_f32_e64 s[2:3], |v1|, s2
	s_and_b64 s[0:1], s[0:1], s[2:3]
	s_and_saveexec_b64 s[6:7], s[0:1]
	s_cbranch_execz .LBB142_372
; %bb.371:
	v_mul_f32_e64 v5, |v1|, 0.5
	v_floor_f32_e32 v6, v5
	v_sub_f32_e32 v6, v5, v6
	v_min_f32_e32 v6, 0x3f7fffff, v6
	s_mov_b32 s2, 0x7f800000
	v_add_f32_e32 v6, v6, v6
	v_cmp_neq_f32_e64 s[0:1], s2, v5
	v_cndmask_b32_e64 v5, 0, v6, s[0:1]
	v_cmp_gt_f32_e64 s[0:1], |v1|, 1.0
	v_cndmask_b32_e64 v5, |v1|, v5, s[0:1]
	v_add_f32_e32 v6, v5, v5
	v_rndne_f32_e32 v6, v6
	v_fmac_f32_e32 v5, -0.5, v6
	v_mul_f32_e32 v7, v5, v5
	v_mov_b32_e32 v8, 0xbf1f24be
	v_fmac_f32_e32 v8, 0x3e75aa41, v7
	v_mov_b32_e32 v9, 0x40234736
	v_fmac_f32_e32 v9, v7, v8
	;; [unrolled: 2-line block ×3, first 2 shown]
	v_mul_f32_e32 v9, v5, v7
	v_mul_f32_e32 v8, v9, v8
	v_fmac_f32_e32 v8, 0x40490fdb, v5
	v_mov_b32_e32 v5, 0x3e642e9d
	v_cvt_i32_f32_e32 v6, v6
	v_fmac_f32_e32 v5, 0x3d4be544, v7
	v_mov_b32_e32 v9, 0xbfaad1da
	v_fmac_f32_e32 v9, v7, v5
	v_mov_b32_e32 v5, 0x4081e0d3
	;; [unrolled: 2-line block ×3, first 2 shown]
	v_fmac_f32_e32 v9, v7, v5
	v_fma_f32 v5, v7, v9, 1.0
	v_and_b32_e32 v7, 1, v6
	v_lshlrev_b32_e32 v6, 30, v6
	v_cmp_eq_u32_e64 s[0:1], 0, v7
	v_and_b32_e32 v6, 0x80000000, v6
	v_xor_b32_e32 v2, v2, v1
	v_cndmask_b32_e64 v5, v5, v8, s[0:1]
	v_xor_b32_e32 v2, v2, v6
	v_xor_b32_e32 v2, v2, v5
	v_mul_f32_e32 v2, v1, v2
	v_frexp_mant_f32_e64 v5, |v2|
	v_rcp_f32_e32 v5, v5
	v_frexp_exp_i32_f32_e32 v2, v2
	v_sub_u32_e32 v2, 2, v2
	s_mov_b32 s0, 0x800000
	v_mul_f32_e32 v5, 0x3f490fdb, v5
	v_ldexp_f32 v2, v5, v2
	v_cmp_gt_f32_e64 s[0:1], s0, v2
	v_cndmask_b32_e64 v5, 0, 32, s[0:1]
	v_ldexp_f32 v2, v2, v5
	v_log_f32_e32 v2, v2
	s_mov_b32 s3, 0x3f317217
	v_mul_f32_e32 v5, 0x3f317217, v2
	v_fma_f32 v6, v2, s3, -v5
	v_fmac_f32_e32 v6, 0x3377d1cf, v2
	v_add_f32_e32 v5, v5, v6
	v_cmp_lt_f32_e64 s[2:3], |v2|, s2
	v_cndmask_b32_e64 v2, v2, v5, s[2:3]
	v_mov_b32_e32 v5, 0x41b17218
	v_cndmask_b32_e64 v5, 0, v5, s[0:1]
	v_sub_f32_e32 v2, v2, v5
	v_sub_f32_e32 v2, v2, v3
	v_floor_f32_e32 v3, v1
	v_sub_f32_e32 v3, v1, v3
	v_min_f32_e32 v3, 0x3f7fffff, v3
	v_mov_b32_e32 v5, 0x7f800000
	v_cmp_neq_f32_e64 s[0:1], 0, v3
	v_cndmask_b32_e64 v3, v5, v2, s[0:1]
.LBB142_372:
	s_or_b64 exec, exec, s[6:7]
.LBB142_373:
	s_andn2_saveexec_b64 s[4:5], s[4:5]
; %bb.374:
	v_cmp_eq_f32_e64 s[0:1], 1.0, v1
	v_cmp_eq_f32_e64 s[2:3], 2.0, v1
	s_or_b64 s[0:1], s[0:1], s[2:3]
	v_cndmask_b32_e64 v3, v3, 0, s[0:1]
; %bb.375:
	s_or_b64 exec, exec, s[4:5]
	s_mov_b32 s0, 0x4b000000
	v_cmp_lt_f32_e64 s[0:1], |v1|, s0
	v_mov_b32_e32 v2, 0x264
	v_mov_b32_e32 v5, 0x7f800000
	s_or_b64 vcc, vcc, s[0:1]
	v_cndmask_b32_e32 v3, v5, v3, vcc
	v_cmp_class_f32_e32 vcc, v1, v2
	v_cndmask_b32_e32 v2, v3, v5, vcc
	v_cmp_u_f32_e32 vcc, v1, v1
	v_cndmask_b32_e32 v1, v2, v1, vcc
	v_add_u32_e32 v4, 0x80, v4
	global_store_dword v0, v1, s[16:17]
	s_or_b64 exec, exec, s[48:49]
	v_cmp_gt_i32_e32 vcc, s55, v4
	s_and_saveexec_b64 s[48:49], vcc
	s_cbranch_execz .LBB142_328
.LBB142_376:
	s_andn2_b64 vcc, exec, s[36:37]
	s_cbranch_vccnz .LBB142_381
; %bb.377:
	s_andn2_b64 vcc, exec, s[46:47]
	s_cbranch_vccnz .LBB142_382
; %bb.378:
	s_add_i32 s56, s56, 1
	s_cmp_eq_u32 s54, 2
	s_cbranch_scc1 .LBB142_383
; %bb.379:
	s_and_b32 s50, s56, 28
	v_mov_b32_e32 v2, 0
	s_mov_b32 s51, 0
	s_mov_b64 s[46:47], s[34:35]
	v_mov_b32_e32 v0, 0
	v_mov_b32_e32 v1, v4
.LBB142_380:                            ; =>This Inner Loop Header: Depth=1
	s_load_dwordx8 s[8:15], s[46:47], 0x4
	s_load_dwordx4 s[28:31], s[46:47], 0x24
	s_load_dwordx8 s[0:7], s[44:45], 0x0
	s_add_u32 s46, s46, 48
	s_addc_u32 s47, s47, 0
	s_waitcnt lgkmcnt(0)
	v_mul_hi_u32 v3, s9, v1
	s_add_i32 s51, s51, 4
	s_add_u32 s44, s44, 32
	s_addc_u32 s45, s45, 0
	v_add_u32_e32 v3, v1, v3
	v_lshrrev_b32_e32 v3, s10, v3
	v_mul_lo_u32 v5, v3, s8
	v_mul_hi_u32 v6, s12, v3
	s_cmp_eq_u32 s50, s51
	v_sub_u32_e32 v1, v1, v5
	v_add_u32_e32 v5, v3, v6
	v_mul_lo_u32 v6, v1, s0
	v_mul_lo_u32 v7, v1, s1
	v_lshrrev_b32_e32 v1, s13, v5
	v_mul_lo_u32 v5, v1, s11
	v_mul_hi_u32 v8, s15, v1
	v_sub_u32_e32 v3, v3, v5
	v_add_u32_e32 v5, v1, v8
	v_lshrrev_b32_e32 v5, s28, v5
	v_mul_hi_u32 v9, s30, v5
	v_mul_lo_u32 v10, v5, s14
	v_mul_lo_u32 v8, v3, s2
	;; [unrolled: 1-line block ×3, first 2 shown]
	v_sub_u32_e32 v10, v1, v10
	v_add_u32_e32 v1, v5, v9
	v_lshrrev_b32_e32 v1, s31, v1
	v_mul_lo_u32 v9, v1, s29
	v_mul_lo_u32 v11, v10, s4
	;; [unrolled: 1-line block ×3, first 2 shown]
	v_add3_u32 v0, v6, v0, v8
	v_sub_u32_e32 v5, v5, v9
	v_mul_lo_u32 v9, v5, s6
	v_mul_lo_u32 v5, v5, s7
	v_add3_u32 v2, v7, v2, v3
	v_add3_u32 v0, v11, v0, v9
	;; [unrolled: 1-line block ×3, first 2 shown]
	s_cbranch_scc0 .LBB142_380
	s_branch .LBB142_384
.LBB142_381:
                                        ; implicit-def: $vgpr0
                                        ; implicit-def: $vgpr2
	s_branch .LBB142_388
.LBB142_382:
	v_mov_b32_e32 v0, 0
	v_mov_b32_e32 v2, 0
	s_branch .LBB142_387
.LBB142_383:
	s_mov_b32 s50, 0
	v_mov_b32_e32 v0, 0
	v_mov_b32_e32 v2, 0
	;; [unrolled: 1-line block ×3, first 2 shown]
.LBB142_384:
	s_and_b32 s4, s56, 3
	s_cmp_eq_u32 s4, 0
	s_cbranch_scc1 .LBB142_387
; %bb.385:
	s_lshl_b32 s0, s50, 3
	s_add_u32 s0, s34, s0
	s_addc_u32 s1, s35, 0
	s_add_u32 s0, s0, 0xc4
	s_addc_u32 s1, s1, 0
	s_mul_i32 s2, s50, 12
	s_add_u32 s2, s34, s2
	s_addc_u32 s3, s35, 0
.LBB142_386:                            ; =>This Inner Loop Header: Depth=1
	s_load_dwordx2 s[6:7], s[2:3], 0x4
	s_load_dword s5, s[2:3], 0xc
	s_load_dwordx2 s[8:9], s[0:1], 0x0
	s_add_u32 s2, s2, 12
	s_addc_u32 s3, s3, 0
	s_waitcnt lgkmcnt(0)
	v_mul_hi_u32 v3, s7, v1
	s_add_u32 s0, s0, 8
	s_addc_u32 s1, s1, 0
	s_add_i32 s4, s4, -1
	v_add_u32_e32 v3, v1, v3
	v_lshrrev_b32_e32 v5, s5, v3
	v_mul_lo_u32 v3, v5, s6
	s_cmp_lg_u32 s4, 0
	v_sub_u32_e32 v3, v1, v3
	v_mad_u64_u32 v[0:1], s[6:7], v3, s8, v[0:1]
	v_mad_u64_u32 v[2:3], s[6:7], v3, s9, v[2:3]
	v_mov_b32_e32 v1, v5
	s_cbranch_scc1 .LBB142_386
.LBB142_387:
	s_cbranch_execnz .LBB142_390
.LBB142_388:
	s_waitcnt lgkmcnt(0)
	v_mul_hi_u32 v0, s25, v4
	s_andn2_b64 vcc, exec, s[42:43]
	v_add_u32_e32 v0, v4, v0
	v_lshrrev_b32_e32 v1, s26, v0
	v_mul_lo_u32 v0, v1, s24
	v_sub_u32_e32 v2, v4, v0
	v_mul_lo_u32 v0, v2, s20
	v_mul_lo_u32 v2, v2, s21
	s_cbranch_vccnz .LBB142_390
; %bb.389:
	v_mul_hi_u32 v3, s40, v1
	v_add_u32_e32 v3, v1, v3
	v_lshrrev_b32_e32 v3, s41, v3
	v_mul_lo_u32 v3, v3, s27
	v_sub_u32_e32 v3, v1, v3
	v_mad_u64_u32 v[0:1], s[0:1], v3, s22, v[0:1]
	v_mad_u64_u32 v[2:3], s[0:1], v3, s23, v[2:3]
.LBB142_390:
	s_waitcnt lgkmcnt(0)
	global_load_dword v1, v2, s[18:19]
	s_mov_b32 s0, 0x3c800000
                                        ; implicit-def: $vgpr3
	s_waitcnt vmcnt(0)
	v_and_b32_e32 v2, 0x7fffffff, v1
	v_cmp_nlt_f32_e64 s[0:1], |v1|, s0
	s_and_saveexec_b64 s[2:3], s[0:1]
	s_xor_b64 s[2:3], exec, s[2:3]
	s_cbranch_execz .LBB142_420
; %bb.391:
	v_cmp_nlt_f32_e64 s[0:1], |v1|, 2.0
                                        ; implicit-def: $vgpr3
	s_and_saveexec_b64 s[4:5], s[0:1]
	s_xor_b64 s[4:5], exec, s[4:5]
	s_cbranch_execz .LBB142_401
; %bb.392:
	s_mov_b32 s0, 0x41000000
	v_cmp_nlt_f32_e64 s[0:1], |v1|, s0
                                        ; implicit-def: $vgpr3
	s_and_saveexec_b64 s[6:7], s[0:1]
	s_xor_b64 s[6:7], exec, s[6:7]
	s_cbranch_execz .LBB142_398
; %bb.393:
	s_mov_b32 s0, 0x5c800000
	v_cmp_nlt_f32_e64 s[0:1], |v1|, s0
                                        ; implicit-def: $vgpr3
	s_and_saveexec_b64 s[8:9], s[0:1]
	s_xor_b64 s[8:9], exec, s[8:9]
	s_cbranch_execz .LBB142_395
; %bb.394:
	s_mov_b32 s0, 0x800000
	v_cmp_lt_f32_e64 vcc, |v1|, s0
	v_cndmask_b32_e64 v3, 0, 32, vcc
	v_ldexp_f32 v3, |v1|, v3
	v_log_f32_e32 v3, v3
	s_mov_b32 s0, 0x3f317217
	s_mov_b32 s1, 0x7f800000
	v_mul_f32_e32 v4, 0x3f317217, v3
	v_fma_f32 v5, v3, s0, -v4
	v_fmac_f32_e32 v5, 0x3377d1cf, v3
	v_add_f32_e32 v4, v4, v5
	v_cmp_lt_f32_e64 s[0:1], |v3|, s1
	v_cndmask_b32_e64 v3, v3, v4, s[0:1]
	v_mov_b32_e32 v4, 0x41b17218
	v_cndmask_b32_e32 v4, 0, v4, vcc
	v_sub_f32_e32 v3, v3, v4
	v_fma_f32 v3, |v1|, v3, -|v1|
.LBB142_395:
	s_andn2_saveexec_b64 s[8:9], s[8:9]
	s_cbranch_execz .LBB142_397
; %bb.396:
	v_rcp_f32_e64 v4, |v1|
	v_mov_b32_e32 v3, 0x3a5b3dd2
	v_mov_b32_e32 v5, 0xba1c065c
	;; [unrolled: 1-line block ×3, first 2 shown]
	v_mul_f32_e32 v7, v4, v4
	v_fmac_f32_e32 v3, 0xbad5c4e8, v7
	v_fmac_f32_e32 v5, v7, v3
	s_mov_b32 s0, 0x800000
	v_fmac_f32_e32 v6, v7, v5
	v_mov_b32_e32 v3, 0xbb360b61
	v_cmp_lt_f32_e64 vcc, |v1|, s0
	v_fmac_f32_e32 v3, v7, v6
	v_cndmask_b32_e64 v6, 0, 32, vcc
	v_ldexp_f32 v6, |v1|, v6
	v_log_f32_e32 v6, v6
	v_mov_b32_e32 v5, 0x3daaaaab
	v_fmac_f32_e32 v5, v7, v3
	v_mov_b32_e32 v3, 0x3ed67f1d
	v_fmac_f32_e32 v3, v4, v5
	s_mov_b32 s0, 0x3f317217
	v_mul_f32_e32 v5, 0x3f317217, v6
	v_fma_f32 v7, v6, s0, -v5
	v_fmac_f32_e32 v7, 0x3377d1cf, v6
	s_mov_b32 s0, 0x7f800000
	v_add_f32_e32 v5, v5, v7
	v_cmp_lt_f32_e64 s[0:1], |v6|, s0
	v_cndmask_b32_e64 v5, v6, v5, s[0:1]
	v_mov_b32_e32 v6, 0x41b17218
	v_cndmask_b32_e32 v6, 0, v6, vcc
	v_sub_f32_e32 v5, v5, v6
	v_add_f32_e64 v4, |v1|, -0.5
	v_add_f32_e32 v5, -1.0, v5
	v_fmac_f32_e32 v3, v4, v5
.LBB142_397:
	s_or_b64 exec, exec, s[8:9]
.LBB142_398:
	s_andn2_saveexec_b64 s[6:7], s[6:7]
	s_cbranch_execz .LBB142_400
; %bb.399:
	v_cvt_i32_f32_e32 v3, v2
	v_mov_b32_e32 v4, 0x3af135b4
	v_mov_b32_e32 v5, 0x3cda40e4
	;; [unrolled: 1-line block ×3, first 2 shown]
	v_cvt_f32_i32_e32 v7, v3
	v_mov_b32_e32 v8, 0x3ea6cc7a
	v_mov_b32_e32 v9, 0x3e5c245a
	v_cmp_lt_i32_e32 vcc, 2, v3
	v_sub_f32_e64 v7, |v1|, v7
	v_fmac_f32_e32 v4, 0x3805ff67, v7
	v_fmac_f32_e32 v5, v7, v4
	;; [unrolled: 1-line block ×3, first 2 shown]
	v_mov_b32_e32 v5, 0x3a4beed6
	v_fmac_f32_e32 v8, v7, v6
	v_fmac_f32_e32 v5, 0x36f5d7bd, v7
	v_mov_b32_e32 v6, 0x3c98bf54
	v_fmac_f32_e32 v6, v7, v5
	v_mov_b32_e32 v5, 0x3e300f6e
	;; [unrolled: 2-line block ×4, first 2 shown]
	v_fmac_f32_e32 v5, v7, v6
	v_add_f32_e32 v6, 2.0, v7
	v_mov_b32_e32 v10, 0xbd9e233f
	v_fmac_f32_e32 v9, v7, v8
	v_add_f32_e32 v8, 0x40400000, v7
	v_cndmask_b32_e32 v6, 1.0, v6, vcc
	v_cmp_lt_i32_e32 vcc, 3, v3
	v_fmac_f32_e32 v10, v7, v9
	v_add_f32_e32 v9, 4.0, v7
	v_cndmask_b32_e32 v8, 1.0, v8, vcc
	v_cmp_lt_i32_e32 vcc, 4, v3
	v_mul_f32_e32 v4, v7, v10
	v_add_f32_e32 v10, 0x40a00000, v7
	v_mul_f32_e32 v6, v6, v8
	v_cndmask_b32_e32 v8, 1.0, v9, vcc
	v_cmp_lt_i32_e32 vcc, 5, v3
	v_add_f32_e32 v11, 0x40c00000, v7
	v_mul_f32_e32 v6, v8, v6
	v_cndmask_b32_e32 v8, 1.0, v10, vcc
	v_cmp_lt_i32_e32 vcc, 6, v3
	v_mul_f32_e32 v6, v8, v6
	v_cndmask_b32_e32 v3, 1.0, v11, vcc
	v_mul_f32_e32 v3, v3, v6
	s_mov_b32 s0, 0x800000
	v_cmp_gt_f32_e32 vcc, s0, v3
	v_cndmask_b32_e64 v6, 0, 32, vcc
	v_fma_f32 v5, v7, v5, 1.0
	v_ldexp_f32 v3, v3, v6
	v_rcp_f32_e32 v5, v5
	v_log_f32_e32 v3, v3
	s_mov_b32 s0, 0x3f317217
	v_mul_f32_e32 v4, v4, v5
	v_mul_f32_e32 v5, 0x3f317217, v3
	v_fma_f32 v6, v3, s0, -v5
	v_fmac_f32_e32 v6, 0x3377d1cf, v3
	s_mov_b32 s0, 0x7f800000
	v_add_f32_e32 v5, v5, v6
	v_cmp_lt_f32_e64 s[0:1], |v3|, s0
	v_cndmask_b32_e64 v3, v3, v5, s[0:1]
	v_mov_b32_e32 v5, 0x41b17218
	v_cndmask_b32_e32 v5, 0, v5, vcc
	v_fmac_f32_e32 v4, 0.5, v7
	v_sub_f32_e32 v3, v3, v5
	v_add_f32_e32 v3, v3, v4
.LBB142_400:
	s_or_b64 exec, exec, s[6:7]
.LBB142_401:
	s_andn2_saveexec_b64 s[4:5], s[4:5]
	s_cbranch_execz .LBB142_419
; %bb.402:
	s_mov_b32 s0, 0x3f666666
	v_cmp_le_f32_e64 s[0:1], |v1|, s0
                                        ; implicit-def: $vgpr3
                                        ; implicit-def: $vgpr5
                                        ; implicit-def: $vgpr4
	s_and_saveexec_b64 s[6:7], s[0:1]
	s_xor_b64 s[6:7], exec, s[6:7]
	s_cbranch_execz .LBB142_404
; %bb.403:
	s_mov_b32 s0, 0x800000
	v_cmp_lt_f32_e64 vcc, |v1|, s0
	v_cndmask_b32_e64 v3, 0, 32, vcc
	v_ldexp_f32 v3, |v1|, v3
	v_log_f32_e32 v3, v3
	s_mov_b32 s0, 0x3f317217
	s_mov_b32 s1, 0x7f800000
	v_mul_f32_e32 v4, 0x3f317217, v3
	v_fma_f32 v5, v3, s0, -v4
	v_fmac_f32_e32 v5, 0x3377d1cf, v3
	v_add_f32_e32 v4, v4, v5
	v_cmp_lt_f32_e64 s[0:1], |v3|, s1
	v_cndmask_b32_e64 v3, v3, v4, s[0:1]
	v_mov_b32_e32 v4, 0x41b17218
	v_cndmask_b32_e32 v4, 0, v4, vcc
	s_mov_b32 s0, 0x3f3b4a23
	s_mov_b32 s1, 0xbeec5b0c
	v_sub_f32_e32 v3, v3, v4
	v_sub_f32_e64 v4, 1.0, |v1|
	v_add_f32_e64 v5, |v1|, s1
	v_cmp_lt_f32_e64 vcc, |v1|, s0
	s_mov_b32 s0, 0x3e6d3309
	v_cndmask_b32_e32 v4, v4, v5, vcc
	v_cndmask_b32_e64 v5, 0, 1, vcc
	v_cmp_lt_f32_e64 s[0:1], |v1|, s0
	v_xor_b32_e32 v3, 0x80000000, v3
	v_cndmask_b32_e64 v4, v4, |v1|, s[0:1]
	v_cndmask_b32_e64 v5, v5, 2, s[0:1]
.LBB142_404:
	s_andn2_saveexec_b64 s[0:1], s[6:7]
	s_cbranch_execz .LBB142_406
; %bb.405:
	s_mov_b32 s6, 0x3fdda512
	s_mov_b32 s7, 0xbfbb16c3
	v_sub_f32_e64 v3, 2.0, |v1|
	v_add_f32_e64 v4, |v1|, s7
	v_cmp_lt_f32_e64 vcc, |v1|, s6
	v_cndmask_b32_e32 v4, v3, v4, vcc
	v_cndmask_b32_e64 v3, v3, 1.0, vcc
	v_cvt_i32_f32_e32 v3, v3
	s_mov_b32 s6, 0x3f9d70a4
	v_add_f32_e64 v5, |v1|, -1.0
	v_cmp_lt_f32_e64 vcc, |v1|, s6
	v_cndmask_b32_e32 v4, v4, v5, vcc
	v_cndmask_b32_e64 v5, v3, 2, vcc
	v_mov_b32_e32 v3, 0
.LBB142_406:
	s_or_b64 exec, exec, s[0:1]
	v_cmp_lt_i32_e32 vcc, 0, v5
	s_and_saveexec_b64 s[0:1], vcc
	s_xor_b64 s[0:1], exec, s[0:1]
	s_cbranch_execz .LBB142_414
; %bb.407:
	v_cmp_lt_i32_e32 vcc, 1, v5
	s_and_saveexec_b64 s[6:7], vcc
	s_xor_b64 s[6:7], exec, s[6:7]
	s_cbranch_execz .LBB142_411
; %bb.408:
	v_cmp_eq_u32_e32 vcc, 2, v5
	s_and_saveexec_b64 s[8:9], vcc
	s_cbranch_execz .LBB142_410
; %bb.409:
	v_mov_b32_e32 v5, 0x3e6a7578
	v_fmac_f32_e32 v5, 0x3c5b3c5e, v4
	v_mov_b32_e32 v6, 0x3f7a4bb2
	v_fmac_f32_e32 v6, v4, v5
	;; [unrolled: 2-line block ×8, first 2 shown]
	v_fma_f32 v5, v4, v7, 1.0
	v_rcp_f32_e32 v5, v5
	v_mov_b32_e32 v7, 0xbd9e233f
	v_fmac_f32_e32 v7, v4, v6
	v_mul_f32_e32 v6, v4, v7
	v_mul_f32_e32 v5, v6, v5
	v_fmac_f32_e32 v5, -0.5, v4
	v_add_f32_e32 v3, v3, v5
.LBB142_410:
	s_or_b64 exec, exec, s[8:9]
                                        ; implicit-def: $vgpr4
.LBB142_411:
	s_andn2_saveexec_b64 s[6:7], s[6:7]
	s_cbranch_execz .LBB142_413
; %bb.412:
	v_mul_f32_e32 v5, v4, v4
	v_mul_f32_e32 v6, v4, v5
	v_mov_b32_e32 v7, 0xbab7f476
	v_fmac_f32_e32 v7, 0x39a57b6b, v6
	v_mov_b32_e32 v8, 0x3bc7e707
	v_fmac_f32_e32 v8, v6, v7
	v_mov_b32_e32 v7, 0xbd064d47
	v_fmac_f32_e32 v7, v6, v8
	v_mov_b32_e32 v8, 0x3ef7b95e
	v_fmac_f32_e32 v8, v6, v7
	v_mov_b32_e32 v7, 0x3a66f867
	v_fmac_f32_e32 v7, 0xb9a3f927, v6
	v_mov_b32_e32 v9, 0xbb7177fe
	v_fmac_f32_e32 v9, v6, v7
	v_mov_b32_e32 v7, 0x3c93373d
	v_fmac_f32_e32 v7, v6, v9
	v_mov_b32_e32 v9, 0xbe17213c
	v_fmac_f32_e32 v9, v6, v7
	v_mov_b32_e32 v7, 0xba0d3085
	v_fmac_f32_e32 v7, 0x39afe9f7, v6
	v_mov_b32_e32 v10, 0x3b141699
	v_fmac_f32_e32 v10, v6, v7
	v_mov_b32_e32 v7, 0xbc28fcfe
	v_fmac_f32_e32 v7, v6, v10
	v_mov_b32_e32 v10, 0x3d845a15
	v_fmac_f32_e32 v10, v6, v7
	v_fmac_f32_e32 v9, v4, v10
	s_mov_b32 s8, 0xa2863e55
	v_fma_f32 v4, v6, -v9, s8
	v_fma_f32 v4, v5, v8, -v4
	v_add_f32_e32 v4, 0xbdf8cdce, v4
	v_add_f32_e32 v3, v3, v4
.LBB142_413:
	s_or_b64 exec, exec, s[6:7]
                                        ; implicit-def: $vgpr5
                                        ; implicit-def: $vgpr4
.LBB142_414:
	s_andn2_saveexec_b64 s[0:1], s[0:1]
	s_cbranch_execz .LBB142_418
; %bb.415:
	v_cmp_eq_u32_e32 vcc, 0, v5
	s_and_saveexec_b64 s[6:7], vcc
	s_cbranch_execz .LBB142_417
; %bb.416:
	v_mul_f32_e32 v5, v4, v4
	v_mov_b32_e32 v6, 0x39679767
	v_fmac_f32_e32 v6, 0x37d383a2, v5
	v_mov_b32_e32 v7, 0x3a9c54a1
	v_fmac_f32_e32 v7, v5, v6
	;; [unrolled: 2-line block ×10, first 2 shown]
	v_mul_f32_e32 v5, v5, v7
	v_fmac_f32_e32 v5, v4, v6
	v_fmac_f32_e32 v5, -0.5, v4
	v_add_f32_e32 v3, v3, v5
.LBB142_417:
	s_or_b64 exec, exec, s[6:7]
.LBB142_418:
	s_or_b64 exec, exec, s[0:1]
.LBB142_419:
	s_or_b64 exec, exec, s[4:5]
.LBB142_420:
	s_andn2_saveexec_b64 s[2:3], s[2:3]
	s_cbranch_execz .LBB142_422
; %bb.421:
	s_mov_b32 s0, 0x3e8a8991
	v_mov_b32_e32 v3, 0xbecd26ab
	v_fma_f32 v3, |v1|, s0, v3
	s_mov_b32 s0, 0x3f528d33
	v_fma_f32 v3, |v1|, v3, s0
	s_mov_b32 s0, 0x800000
	v_cmp_lt_f32_e64 vcc, |v1|, s0
	v_cndmask_b32_e64 v4, 0, 32, vcc
	v_ldexp_f32 v4, |v1|, v4
	v_log_f32_e32 v4, v4
	s_mov_b32 s0, 0xbf13c468
	v_fma_f32 v3, |v1|, v3, s0
	s_mov_b32 s0, 0x3f317217
	v_mul_f32_e32 v5, 0x3f317217, v4
	v_fma_f32 v6, v4, s0, -v5
	v_fmac_f32_e32 v6, 0x3377d1cf, v4
	s_mov_b32 s0, 0x7f800000
	v_add_f32_e32 v5, v5, v6
	v_cmp_lt_f32_e64 s[0:1], |v4|, s0
	v_cndmask_b32_e64 v4, v4, v5, s[0:1]
	v_mov_b32_e32 v5, 0x41b17218
	v_cndmask_b32_e32 v5, 0, v5, vcc
	v_sub_f32_e32 v4, v4, v5
	v_fma_f32 v3, |v1|, v3, -v4
.LBB142_422:
	s_or_b64 exec, exec, s[2:3]
	v_cmp_le_f32_e32 vcc, 0, v1
	v_cmp_nle_f32_e64 s[0:1], 0, v1
	s_and_saveexec_b64 s[2:3], s[0:1]
	s_xor_b64 s[4:5], exec, s[2:3]
	s_cbranch_execz .LBB142_426
; %bb.423:
	s_mov_b32 s0, 0x4b000000
	s_mov_b32 s2, 0x35000000
	v_cmp_lt_f32_e64 s[0:1], |v1|, s0
	v_cmp_gt_f32_e64 s[2:3], |v1|, s2
	s_and_b64 s[0:1], s[0:1], s[2:3]
	s_and_saveexec_b64 s[6:7], s[0:1]
	s_cbranch_execz .LBB142_425
; %bb.424:
	v_mul_f32_e64 v4, |v1|, 0.5
	v_floor_f32_e32 v5, v4
	v_sub_f32_e32 v5, v4, v5
	v_min_f32_e32 v5, 0x3f7fffff, v5
	s_mov_b32 s2, 0x7f800000
	v_add_f32_e32 v5, v5, v5
	v_cmp_neq_f32_e64 s[0:1], s2, v4
	v_cndmask_b32_e64 v4, 0, v5, s[0:1]
	v_cmp_gt_f32_e64 s[0:1], |v1|, 1.0
	v_cndmask_b32_e64 v4, |v1|, v4, s[0:1]
	v_add_f32_e32 v5, v4, v4
	v_rndne_f32_e32 v5, v5
	v_fmac_f32_e32 v4, -0.5, v5
	v_mul_f32_e32 v6, v4, v4
	v_mov_b32_e32 v7, 0xbf1f24be
	v_fmac_f32_e32 v7, 0x3e75aa41, v6
	v_mov_b32_e32 v8, 0x40234736
	v_fmac_f32_e32 v8, v6, v7
	;; [unrolled: 2-line block ×3, first 2 shown]
	v_mul_f32_e32 v8, v4, v6
	v_mul_f32_e32 v7, v8, v7
	v_fmac_f32_e32 v7, 0x40490fdb, v4
	v_mov_b32_e32 v4, 0x3e642e9d
	v_cvt_i32_f32_e32 v5, v5
	v_fmac_f32_e32 v4, 0x3d4be544, v6
	v_mov_b32_e32 v8, 0xbfaad1da
	v_fmac_f32_e32 v8, v6, v4
	v_mov_b32_e32 v4, 0x4081e0d3
	;; [unrolled: 2-line block ×3, first 2 shown]
	v_fmac_f32_e32 v8, v6, v4
	v_fma_f32 v4, v6, v8, 1.0
	v_and_b32_e32 v6, 1, v5
	v_lshlrev_b32_e32 v5, 30, v5
	v_cmp_eq_u32_e64 s[0:1], 0, v6
	v_and_b32_e32 v5, 0x80000000, v5
	v_xor_b32_e32 v2, v2, v1
	v_cndmask_b32_e64 v4, v4, v7, s[0:1]
	v_xor_b32_e32 v2, v2, v5
	v_xor_b32_e32 v2, v2, v4
	v_mul_f32_e32 v2, v1, v2
	v_frexp_mant_f32_e64 v4, |v2|
	v_rcp_f32_e32 v4, v4
	v_frexp_exp_i32_f32_e32 v2, v2
	v_sub_u32_e32 v2, 2, v2
	s_mov_b32 s0, 0x800000
	v_mul_f32_e32 v4, 0x3f490fdb, v4
	v_ldexp_f32 v2, v4, v2
	v_cmp_gt_f32_e64 s[0:1], s0, v2
	v_cndmask_b32_e64 v4, 0, 32, s[0:1]
	v_ldexp_f32 v2, v2, v4
	v_log_f32_e32 v2, v2
	s_mov_b32 s3, 0x3f317217
	v_mul_f32_e32 v4, 0x3f317217, v2
	v_fma_f32 v5, v2, s3, -v4
	v_fmac_f32_e32 v5, 0x3377d1cf, v2
	v_add_f32_e32 v4, v4, v5
	v_cmp_lt_f32_e64 s[2:3], |v2|, s2
	v_cndmask_b32_e64 v2, v2, v4, s[2:3]
	v_mov_b32_e32 v4, 0x41b17218
	v_cndmask_b32_e64 v4, 0, v4, s[0:1]
	v_sub_f32_e32 v2, v2, v4
	v_sub_f32_e32 v2, v2, v3
	v_floor_f32_e32 v3, v1
	v_sub_f32_e32 v3, v1, v3
	v_min_f32_e32 v3, 0x3f7fffff, v3
	v_mov_b32_e32 v4, 0x7f800000
	v_cmp_neq_f32_e64 s[0:1], 0, v3
	v_cndmask_b32_e64 v3, v4, v2, s[0:1]
.LBB142_425:
	s_or_b64 exec, exec, s[6:7]
.LBB142_426:
	s_andn2_saveexec_b64 s[4:5], s[4:5]
; %bb.427:
	v_cmp_eq_f32_e64 s[0:1], 1.0, v1
	v_cmp_eq_f32_e64 s[2:3], 2.0, v1
	s_or_b64 s[0:1], s[0:1], s[2:3]
	v_cndmask_b32_e64 v3, v3, 0, s[0:1]
; %bb.428:
	s_or_b64 exec, exec, s[4:5]
	s_mov_b32 s0, 0x4b000000
	v_cmp_lt_f32_e64 s[0:1], |v1|, s0
	v_mov_b32_e32 v2, 0x264
	v_mov_b32_e32 v4, 0x7f800000
	s_or_b64 vcc, vcc, s[0:1]
	v_cndmask_b32_e32 v3, v4, v3, vcc
	v_cmp_class_f32_e32 vcc, v1, v2
	v_cndmask_b32_e32 v2, v3, v4, vcc
	v_cmp_u_f32_e32 vcc, v1, v1
	v_cndmask_b32_e32 v1, v2, v1, vcc
	global_store_dword v0, v1, s[16:17]
	s_or_b64 exec, exec, s[48:49]
                                        ; implicit-def: $vgpr13
                                        ; implicit-def: $vgpr4
	s_andn2_saveexec_b64 s[0:1], s[38:39]
	s_cbranch_execz .LBB142_329
	s_branch .LBB142_8
	.section	.rodata,"a",@progbits
	.p2align	6, 0x0
	.amdhsa_kernel _ZN2at6native32elementwise_kernel_manual_unrollILi128ELi4EZNS0_22gpu_kernel_impl_nocastIZZZNS0_18lgamma_kernel_cudaERNS_18TensorIteratorBaseEENKUlvE_clEvENKUlvE0_clEvEUlfE_EEvS4_RKT_EUlibE_EEviT1_
		.amdhsa_group_segment_fixed_size 0
		.amdhsa_private_segment_fixed_size 0
		.amdhsa_kernarg_size 360
		.amdhsa_user_sgpr_count 6
		.amdhsa_user_sgpr_private_segment_buffer 1
		.amdhsa_user_sgpr_dispatch_ptr 0
		.amdhsa_user_sgpr_queue_ptr 0
		.amdhsa_user_sgpr_kernarg_segment_ptr 1
		.amdhsa_user_sgpr_dispatch_id 0
		.amdhsa_user_sgpr_flat_scratch_init 0
		.amdhsa_user_sgpr_private_segment_size 0
		.amdhsa_uses_dynamic_stack 0
		.amdhsa_system_sgpr_private_segment_wavefront_offset 0
		.amdhsa_system_sgpr_workgroup_id_x 1
		.amdhsa_system_sgpr_workgroup_id_y 0
		.amdhsa_system_sgpr_workgroup_id_z 0
		.amdhsa_system_sgpr_workgroup_info 0
		.amdhsa_system_vgpr_workitem_id 0
		.amdhsa_next_free_vgpr 21
		.amdhsa_next_free_sgpr 60
		.amdhsa_reserve_vcc 1
		.amdhsa_reserve_flat_scratch 0
		.amdhsa_float_round_mode_32 0
		.amdhsa_float_round_mode_16_64 0
		.amdhsa_float_denorm_mode_32 3
		.amdhsa_float_denorm_mode_16_64 3
		.amdhsa_dx10_clamp 1
		.amdhsa_ieee_mode 1
		.amdhsa_fp16_overflow 0
		.amdhsa_exception_fp_ieee_invalid_op 0
		.amdhsa_exception_fp_denorm_src 0
		.amdhsa_exception_fp_ieee_div_zero 0
		.amdhsa_exception_fp_ieee_overflow 0
		.amdhsa_exception_fp_ieee_underflow 0
		.amdhsa_exception_fp_ieee_inexact 0
		.amdhsa_exception_int_div_zero 0
	.end_amdhsa_kernel
	.section	.text._ZN2at6native32elementwise_kernel_manual_unrollILi128ELi4EZNS0_22gpu_kernel_impl_nocastIZZZNS0_18lgamma_kernel_cudaERNS_18TensorIteratorBaseEENKUlvE_clEvENKUlvE0_clEvEUlfE_EEvS4_RKT_EUlibE_EEviT1_,"axG",@progbits,_ZN2at6native32elementwise_kernel_manual_unrollILi128ELi4EZNS0_22gpu_kernel_impl_nocastIZZZNS0_18lgamma_kernel_cudaERNS_18TensorIteratorBaseEENKUlvE_clEvENKUlvE0_clEvEUlfE_EEvS4_RKT_EUlibE_EEviT1_,comdat
.Lfunc_end142:
	.size	_ZN2at6native32elementwise_kernel_manual_unrollILi128ELi4EZNS0_22gpu_kernel_impl_nocastIZZZNS0_18lgamma_kernel_cudaERNS_18TensorIteratorBaseEENKUlvE_clEvENKUlvE0_clEvEUlfE_EEvS4_RKT_EUlibE_EEviT1_, .Lfunc_end142-_ZN2at6native32elementwise_kernel_manual_unrollILi128ELi4EZNS0_22gpu_kernel_impl_nocastIZZZNS0_18lgamma_kernel_cudaERNS_18TensorIteratorBaseEENKUlvE_clEvENKUlvE0_clEvEUlfE_EEvS4_RKT_EUlibE_EEviT1_
                                        ; -- End function
	.set _ZN2at6native32elementwise_kernel_manual_unrollILi128ELi4EZNS0_22gpu_kernel_impl_nocastIZZZNS0_18lgamma_kernel_cudaERNS_18TensorIteratorBaseEENKUlvE_clEvENKUlvE0_clEvEUlfE_EEvS4_RKT_EUlibE_EEviT1_.num_vgpr, 21
	.set _ZN2at6native32elementwise_kernel_manual_unrollILi128ELi4EZNS0_22gpu_kernel_impl_nocastIZZZNS0_18lgamma_kernel_cudaERNS_18TensorIteratorBaseEENKUlvE_clEvENKUlvE0_clEvEUlfE_EEvS4_RKT_EUlibE_EEviT1_.num_agpr, 0
	.set _ZN2at6native32elementwise_kernel_manual_unrollILi128ELi4EZNS0_22gpu_kernel_impl_nocastIZZZNS0_18lgamma_kernel_cudaERNS_18TensorIteratorBaseEENKUlvE_clEvENKUlvE0_clEvEUlfE_EEvS4_RKT_EUlibE_EEviT1_.numbered_sgpr, 60
	.set _ZN2at6native32elementwise_kernel_manual_unrollILi128ELi4EZNS0_22gpu_kernel_impl_nocastIZZZNS0_18lgamma_kernel_cudaERNS_18TensorIteratorBaseEENKUlvE_clEvENKUlvE0_clEvEUlfE_EEvS4_RKT_EUlibE_EEviT1_.num_named_barrier, 0
	.set _ZN2at6native32elementwise_kernel_manual_unrollILi128ELi4EZNS0_22gpu_kernel_impl_nocastIZZZNS0_18lgamma_kernel_cudaERNS_18TensorIteratorBaseEENKUlvE_clEvENKUlvE0_clEvEUlfE_EEvS4_RKT_EUlibE_EEviT1_.private_seg_size, 0
	.set _ZN2at6native32elementwise_kernel_manual_unrollILi128ELi4EZNS0_22gpu_kernel_impl_nocastIZZZNS0_18lgamma_kernel_cudaERNS_18TensorIteratorBaseEENKUlvE_clEvENKUlvE0_clEvEUlfE_EEvS4_RKT_EUlibE_EEviT1_.uses_vcc, 1
	.set _ZN2at6native32elementwise_kernel_manual_unrollILi128ELi4EZNS0_22gpu_kernel_impl_nocastIZZZNS0_18lgamma_kernel_cudaERNS_18TensorIteratorBaseEENKUlvE_clEvENKUlvE0_clEvEUlfE_EEvS4_RKT_EUlibE_EEviT1_.uses_flat_scratch, 0
	.set _ZN2at6native32elementwise_kernel_manual_unrollILi128ELi4EZNS0_22gpu_kernel_impl_nocastIZZZNS0_18lgamma_kernel_cudaERNS_18TensorIteratorBaseEENKUlvE_clEvENKUlvE0_clEvEUlfE_EEvS4_RKT_EUlibE_EEviT1_.has_dyn_sized_stack, 0
	.set _ZN2at6native32elementwise_kernel_manual_unrollILi128ELi4EZNS0_22gpu_kernel_impl_nocastIZZZNS0_18lgamma_kernel_cudaERNS_18TensorIteratorBaseEENKUlvE_clEvENKUlvE0_clEvEUlfE_EEvS4_RKT_EUlibE_EEviT1_.has_recursion, 0
	.set _ZN2at6native32elementwise_kernel_manual_unrollILi128ELi4EZNS0_22gpu_kernel_impl_nocastIZZZNS0_18lgamma_kernel_cudaERNS_18TensorIteratorBaseEENKUlvE_clEvENKUlvE0_clEvEUlfE_EEvS4_RKT_EUlibE_EEviT1_.has_indirect_call, 0
	.section	.AMDGPU.csdata,"",@progbits
; Kernel info:
; codeLenInByte = 26576
; TotalNumSgprs: 64
; NumVgprs: 21
; ScratchSize: 0
; MemoryBound: 0
; FloatMode: 240
; IeeeMode: 1
; LDSByteSize: 0 bytes/workgroup (compile time only)
; SGPRBlocks: 7
; VGPRBlocks: 5
; NumSGPRsForWavesPerEU: 64
; NumVGPRsForWavesPerEU: 21
; Occupancy: 10
; WaveLimiterHint : 1
; COMPUTE_PGM_RSRC2:SCRATCH_EN: 0
; COMPUTE_PGM_RSRC2:USER_SGPR: 6
; COMPUTE_PGM_RSRC2:TRAP_HANDLER: 0
; COMPUTE_PGM_RSRC2:TGID_X_EN: 1
; COMPUTE_PGM_RSRC2:TGID_Y_EN: 0
; COMPUTE_PGM_RSRC2:TGID_Z_EN: 0
; COMPUTE_PGM_RSRC2:TIDIG_COMP_CNT: 0
	.section	.text._ZN2at6native32elementwise_kernel_manual_unrollILi128ELi4EZNS0_15gpu_kernel_implIZZZNS0_18lgamma_kernel_cudaERNS_18TensorIteratorBaseEENKUlvE_clEvENKUlvE0_clEvEUlfE_EEvS4_RKT_EUlibE_EEviT1_,"axG",@progbits,_ZN2at6native32elementwise_kernel_manual_unrollILi128ELi4EZNS0_15gpu_kernel_implIZZZNS0_18lgamma_kernel_cudaERNS_18TensorIteratorBaseEENKUlvE_clEvENKUlvE0_clEvEUlfE_EEvS4_RKT_EUlibE_EEviT1_,comdat
	.globl	_ZN2at6native32elementwise_kernel_manual_unrollILi128ELi4EZNS0_15gpu_kernel_implIZZZNS0_18lgamma_kernel_cudaERNS_18TensorIteratorBaseEENKUlvE_clEvENKUlvE0_clEvEUlfE_EEvS4_RKT_EUlibE_EEviT1_ ; -- Begin function _ZN2at6native32elementwise_kernel_manual_unrollILi128ELi4EZNS0_15gpu_kernel_implIZZZNS0_18lgamma_kernel_cudaERNS_18TensorIteratorBaseEENKUlvE_clEvENKUlvE0_clEvEUlfE_EEvS4_RKT_EUlibE_EEviT1_
	.p2align	8
	.type	_ZN2at6native32elementwise_kernel_manual_unrollILi128ELi4EZNS0_15gpu_kernel_implIZZZNS0_18lgamma_kernel_cudaERNS_18TensorIteratorBaseEENKUlvE_clEvENKUlvE0_clEvEUlfE_EEvS4_RKT_EUlibE_EEviT1_,@function
_ZN2at6native32elementwise_kernel_manual_unrollILi128ELi4EZNS0_15gpu_kernel_implIZZZNS0_18lgamma_kernel_cudaERNS_18TensorIteratorBaseEENKUlvE_clEvENKUlvE0_clEvEUlfE_EEvS4_RKT_EUlibE_EEviT1_: ; @_ZN2at6native32elementwise_kernel_manual_unrollILi128ELi4EZNS0_15gpu_kernel_implIZZZNS0_18lgamma_kernel_cudaERNS_18TensorIteratorBaseEENKUlvE_clEvENKUlvE0_clEvEUlfE_EEvS4_RKT_EUlibE_EEviT1_
; %bb.0:
	v_mov_b32_e32 v1, 0
	global_load_ushort v1, v1, s[4:5] offset:33
	s_load_dwordx4 s[12:15], s[4:5], 0x8
	s_load_dwordx2 s[10:11], s[4:5], 0x18
	s_load_dword s38, s[4:5], 0x0
	v_lshl_or_b32 v4, s6, 9, v0
	v_or_b32_e32 v0, 0x180, v4
	s_mov_b64 s[8:9], 0
	s_mov_b64 s[16:17], 0
	s_waitcnt lgkmcnt(0)
	v_cmp_le_i32_e32 vcc, s38, v0
	s_waitcnt vmcnt(0)
	v_readfirstlane_b32 s33, v1
	s_and_b32 s0, 0xffff, s33
	s_lshr_b32 s42, s0, 8
	s_and_saveexec_b64 s[0:1], vcc
	s_xor_b64 s[4:5], exec, s[0:1]
	s_cbranch_execz .LBB143_1178
; %bb.1:
	v_cmp_gt_i32_e32 vcc, s38, v4
	s_mov_b64 s[2:3], -1
	s_mov_b64 s[22:23], 0
	s_mov_b64 s[6:7], 0
	s_and_saveexec_b64 s[18:19], vcc
	s_cbranch_execz .LBB143_289
; %bb.2:
	v_mul_lo_u32 v0, v4, s11
	v_mov_b32_e32 v1, s15
	s_and_b32 s20, 0xffff, s42
	s_cmp_lt_i32 s20, 11
	v_ashrrev_i32_e32 v2, 31, v0
	v_add_co_u32_e32 v0, vcc, s14, v0
	v_addc_co_u32_e32 v1, vcc, v1, v2, vcc
	s_cbranch_scc1 .LBB143_9
; %bb.3:
	s_cmp_gt_i32 s20, 25
	s_cbranch_scc0 .LBB143_56
; %bb.4:
	s_cmp_gt_i32 s20, 28
	s_cbranch_scc0 .LBB143_60
	;; [unrolled: 3-line block ×4, first 2 shown]
; %bb.7:
	s_cmp_eq_u32 s20, 46
	s_mov_b64 s[2:3], 0
	s_cbranch_scc0 .LBB143_65
; %bb.8:
	global_load_dword v2, v[0:1], off
	s_mov_b64 s[0:1], -1
	s_waitcnt vmcnt(0)
	v_lshlrev_b32_e32 v2, 16, v2
	s_branch .LBB143_67
.LBB143_9:
                                        ; implicit-def: $vgpr2
	s_mov_b64 s[0:1], 0
	s_and_b64 vcc, exec, s[2:3]
	s_cbranch_vccnz .LBB143_240
.LBB143_10:
	s_andn2_b64 vcc, exec, s[0:1]
	s_cbranch_vccnz .LBB143_287
.LBB143_11:
	s_mov_b32 s0, 0x3c800000
	s_waitcnt vmcnt(0)
	v_and_b32_e32 v0, 0x7fffffff, v2
	v_cmp_nlt_f32_e64 s[0:1], |v2|, s0
                                        ; implicit-def: $vgpr1
	s_and_saveexec_b64 s[2:3], s[0:1]
	s_xor_b64 s[2:3], exec, s[2:3]
	s_cbranch_execz .LBB143_41
; %bb.12:
	v_cmp_nlt_f32_e64 s[0:1], |v2|, 2.0
                                        ; implicit-def: $vgpr1
	s_and_saveexec_b64 s[6:7], s[0:1]
	s_xor_b64 s[6:7], exec, s[6:7]
	s_cbranch_execz .LBB143_22
; %bb.13:
	s_mov_b32 s0, 0x41000000
	v_cmp_nlt_f32_e64 s[0:1], |v2|, s0
                                        ; implicit-def: $vgpr1
	s_and_saveexec_b64 s[20:21], s[0:1]
	s_xor_b64 s[20:21], exec, s[20:21]
	s_cbranch_execz .LBB143_19
; %bb.14:
	s_mov_b32 s0, 0x5c800000
	v_cmp_nlt_f32_e64 s[0:1], |v2|, s0
                                        ; implicit-def: $vgpr1
	s_and_saveexec_b64 s[24:25], s[0:1]
	s_xor_b64 s[24:25], exec, s[24:25]
	s_cbranch_execz .LBB143_16
; %bb.15:
	s_mov_b32 s0, 0x800000
	v_cmp_lt_f32_e64 vcc, |v2|, s0
	v_cndmask_b32_e64 v1, 0, 32, vcc
	v_ldexp_f32 v1, |v2|, v1
	v_log_f32_e32 v1, v1
	s_mov_b32 s0, 0x3f317217
	s_mov_b32 s1, 0x7f800000
	v_mul_f32_e32 v3, 0x3f317217, v1
	v_fma_f32 v5, v1, s0, -v3
	v_fmac_f32_e32 v5, 0x3377d1cf, v1
	v_add_f32_e32 v3, v3, v5
	v_cmp_lt_f32_e64 s[0:1], |v1|, s1
	v_cndmask_b32_e64 v1, v1, v3, s[0:1]
	v_mov_b32_e32 v3, 0x41b17218
	v_cndmask_b32_e32 v3, 0, v3, vcc
	v_sub_f32_e32 v1, v1, v3
	v_fma_f32 v1, |v2|, v1, -|v2|
.LBB143_16:
	s_andn2_saveexec_b64 s[24:25], s[24:25]
	s_cbranch_execz .LBB143_18
; %bb.17:
	v_rcp_f32_e64 v3, |v2|
	v_mov_b32_e32 v1, 0x3a5b3dd2
	v_mov_b32_e32 v5, 0xba1c065c
	;; [unrolled: 1-line block ×3, first 2 shown]
	v_mul_f32_e32 v7, v3, v3
	v_fmac_f32_e32 v1, 0xbad5c4e8, v7
	v_fmac_f32_e32 v5, v7, v1
	s_mov_b32 s0, 0x800000
	v_fmac_f32_e32 v6, v7, v5
	v_mov_b32_e32 v1, 0xbb360b61
	v_cmp_lt_f32_e64 vcc, |v2|, s0
	v_fmac_f32_e32 v1, v7, v6
	v_cndmask_b32_e64 v6, 0, 32, vcc
	v_ldexp_f32 v6, |v2|, v6
	v_log_f32_e32 v6, v6
	v_mov_b32_e32 v5, 0x3daaaaab
	v_fmac_f32_e32 v5, v7, v1
	v_mov_b32_e32 v1, 0x3ed67f1d
	v_fmac_f32_e32 v1, v3, v5
	s_mov_b32 s0, 0x3f317217
	v_mul_f32_e32 v5, 0x3f317217, v6
	v_fma_f32 v7, v6, s0, -v5
	v_fmac_f32_e32 v7, 0x3377d1cf, v6
	s_mov_b32 s0, 0x7f800000
	v_add_f32_e32 v5, v5, v7
	v_cmp_lt_f32_e64 s[0:1], |v6|, s0
	v_cndmask_b32_e64 v5, v6, v5, s[0:1]
	v_mov_b32_e32 v6, 0x41b17218
	v_cndmask_b32_e32 v6, 0, v6, vcc
	v_sub_f32_e32 v5, v5, v6
	v_add_f32_e64 v3, |v2|, -0.5
	v_add_f32_e32 v5, -1.0, v5
	v_fmac_f32_e32 v1, v3, v5
.LBB143_18:
	s_or_b64 exec, exec, s[24:25]
.LBB143_19:
	s_andn2_saveexec_b64 s[20:21], s[20:21]
	s_cbranch_execz .LBB143_21
; %bb.20:
	v_cvt_i32_f32_e32 v1, v0
	v_mov_b32_e32 v3, 0x3af135b4
	v_mov_b32_e32 v5, 0x3cda40e4
	;; [unrolled: 1-line block ×3, first 2 shown]
	v_cvt_f32_i32_e32 v7, v1
	v_mov_b32_e32 v8, 0x3ea6cc7a
	v_mov_b32_e32 v9, 0x3e5c245a
	v_cmp_lt_i32_e32 vcc, 2, v1
	v_sub_f32_e64 v7, |v2|, v7
	v_fmac_f32_e32 v3, 0x3805ff67, v7
	v_fmac_f32_e32 v5, v7, v3
	v_fmac_f32_e32 v6, v7, v5
	v_mov_b32_e32 v5, 0x3a4beed6
	v_fmac_f32_e32 v8, v7, v6
	v_fmac_f32_e32 v5, 0x36f5d7bd, v7
	v_mov_b32_e32 v6, 0x3c98bf54
	v_fmac_f32_e32 v6, v7, v5
	v_mov_b32_e32 v5, 0x3e300f6e
	;; [unrolled: 2-line block ×4, first 2 shown]
	v_fmac_f32_e32 v5, v7, v6
	v_add_f32_e32 v6, 2.0, v7
	v_mov_b32_e32 v10, 0xbd9e233f
	v_fmac_f32_e32 v9, v7, v8
	v_add_f32_e32 v8, 0x40400000, v7
	v_cndmask_b32_e32 v6, 1.0, v6, vcc
	v_cmp_lt_i32_e32 vcc, 3, v1
	v_fmac_f32_e32 v10, v7, v9
	v_add_f32_e32 v9, 4.0, v7
	v_cndmask_b32_e32 v8, 1.0, v8, vcc
	v_cmp_lt_i32_e32 vcc, 4, v1
	v_mul_f32_e32 v3, v7, v10
	v_add_f32_e32 v10, 0x40a00000, v7
	v_mul_f32_e32 v6, v6, v8
	v_cndmask_b32_e32 v8, 1.0, v9, vcc
	v_cmp_lt_i32_e32 vcc, 5, v1
	v_add_f32_e32 v11, 0x40c00000, v7
	v_mul_f32_e32 v6, v8, v6
	v_cndmask_b32_e32 v8, 1.0, v10, vcc
	v_cmp_lt_i32_e32 vcc, 6, v1
	v_mul_f32_e32 v6, v8, v6
	v_cndmask_b32_e32 v1, 1.0, v11, vcc
	v_mul_f32_e32 v1, v1, v6
	s_mov_b32 s0, 0x800000
	v_cmp_gt_f32_e32 vcc, s0, v1
	v_cndmask_b32_e64 v6, 0, 32, vcc
	v_fma_f32 v5, v7, v5, 1.0
	v_ldexp_f32 v1, v1, v6
	v_rcp_f32_e32 v5, v5
	v_log_f32_e32 v1, v1
	s_mov_b32 s0, 0x3f317217
	v_mul_f32_e32 v3, v3, v5
	v_mul_f32_e32 v5, 0x3f317217, v1
	v_fma_f32 v6, v1, s0, -v5
	v_fmac_f32_e32 v6, 0x3377d1cf, v1
	s_mov_b32 s0, 0x7f800000
	v_add_f32_e32 v5, v5, v6
	v_cmp_lt_f32_e64 s[0:1], |v1|, s0
	v_cndmask_b32_e64 v1, v1, v5, s[0:1]
	v_mov_b32_e32 v5, 0x41b17218
	v_cndmask_b32_e32 v5, 0, v5, vcc
	v_fmac_f32_e32 v3, 0.5, v7
	v_sub_f32_e32 v1, v1, v5
	v_add_f32_e32 v1, v1, v3
.LBB143_21:
	s_or_b64 exec, exec, s[20:21]
.LBB143_22:
	s_andn2_saveexec_b64 s[6:7], s[6:7]
	s_cbranch_execz .LBB143_40
; %bb.23:
	s_mov_b32 s0, 0x3f666666
	v_cmp_le_f32_e64 s[0:1], |v2|, s0
                                        ; implicit-def: $vgpr1
                                        ; implicit-def: $vgpr5
                                        ; implicit-def: $vgpr3
	s_and_saveexec_b64 s[20:21], s[0:1]
	s_xor_b64 s[20:21], exec, s[20:21]
	s_cbranch_execz .LBB143_25
; %bb.24:
	s_mov_b32 s0, 0x800000
	v_cmp_lt_f32_e64 vcc, |v2|, s0
	v_cndmask_b32_e64 v1, 0, 32, vcc
	v_ldexp_f32 v1, |v2|, v1
	v_log_f32_e32 v1, v1
	s_mov_b32 s0, 0x3f317217
	s_mov_b32 s1, 0x7f800000
	v_mul_f32_e32 v3, 0x3f317217, v1
	v_fma_f32 v5, v1, s0, -v3
	v_fmac_f32_e32 v5, 0x3377d1cf, v1
	v_add_f32_e32 v3, v3, v5
	v_cmp_lt_f32_e64 s[0:1], |v1|, s1
	v_cndmask_b32_e64 v1, v1, v3, s[0:1]
	v_mov_b32_e32 v3, 0x41b17218
	v_cndmask_b32_e32 v3, 0, v3, vcc
	s_mov_b32 s0, 0x3f3b4a23
	s_mov_b32 s1, 0xbeec5b0c
	v_sub_f32_e32 v1, v1, v3
	v_sub_f32_e64 v3, 1.0, |v2|
	v_add_f32_e64 v5, |v2|, s1
	v_cmp_lt_f32_e64 vcc, |v2|, s0
	s_mov_b32 s0, 0x3e6d3309
	v_cndmask_b32_e32 v3, v3, v5, vcc
	v_cndmask_b32_e64 v5, 0, 1, vcc
	v_cmp_lt_f32_e64 s[0:1], |v2|, s0
	v_xor_b32_e32 v1, 0x80000000, v1
	v_cndmask_b32_e64 v3, v3, |v2|, s[0:1]
	v_cndmask_b32_e64 v5, v5, 2, s[0:1]
.LBB143_25:
	s_andn2_saveexec_b64 s[0:1], s[20:21]
	s_cbranch_execz .LBB143_27
; %bb.26:
	s_mov_b32 s20, 0x3fdda512
	s_mov_b32 s21, 0xbfbb16c3
	v_sub_f32_e64 v1, 2.0, |v2|
	v_add_f32_e64 v3, |v2|, s21
	v_cmp_lt_f32_e64 vcc, |v2|, s20
	v_cndmask_b32_e32 v3, v1, v3, vcc
	v_cndmask_b32_e64 v1, v1, 1.0, vcc
	v_cvt_i32_f32_e32 v1, v1
	s_mov_b32 s20, 0x3f9d70a4
	v_add_f32_e64 v5, |v2|, -1.0
	v_cmp_lt_f32_e64 vcc, |v2|, s20
	v_cndmask_b32_e32 v3, v3, v5, vcc
	v_cndmask_b32_e64 v5, v1, 2, vcc
	v_mov_b32_e32 v1, 0
.LBB143_27:
	s_or_b64 exec, exec, s[0:1]
	v_cmp_lt_i32_e32 vcc, 0, v5
	s_and_saveexec_b64 s[0:1], vcc
	s_xor_b64 s[0:1], exec, s[0:1]
	s_cbranch_execz .LBB143_35
; %bb.28:
	v_cmp_lt_i32_e32 vcc, 1, v5
	s_and_saveexec_b64 s[20:21], vcc
	s_xor_b64 s[20:21], exec, s[20:21]
	s_cbranch_execz .LBB143_32
; %bb.29:
	v_cmp_eq_u32_e32 vcc, 2, v5
	s_and_saveexec_b64 s[24:25], vcc
	s_cbranch_execz .LBB143_31
; %bb.30:
	v_mov_b32_e32 v5, 0x3e6a7578
	v_fmac_f32_e32 v5, 0x3c5b3c5e, v3
	v_mov_b32_e32 v6, 0x3f7a4bb2
	v_fmac_f32_e32 v6, v3, v5
	;; [unrolled: 2-line block ×8, first 2 shown]
	v_fma_f32 v5, v3, v7, 1.0
	v_rcp_f32_e32 v5, v5
	v_mov_b32_e32 v7, 0xbd9e233f
	v_fmac_f32_e32 v7, v3, v6
	v_mul_f32_e32 v6, v3, v7
	v_mul_f32_e32 v5, v6, v5
	v_fmac_f32_e32 v5, -0.5, v3
	v_add_f32_e32 v1, v1, v5
.LBB143_31:
	s_or_b64 exec, exec, s[24:25]
                                        ; implicit-def: $vgpr3
.LBB143_32:
	s_andn2_saveexec_b64 s[20:21], s[20:21]
	s_cbranch_execz .LBB143_34
; %bb.33:
	v_mul_f32_e32 v5, v3, v3
	v_mul_f32_e32 v6, v3, v5
	v_mov_b32_e32 v7, 0xbab7f476
	v_fmac_f32_e32 v7, 0x39a57b6b, v6
	v_mov_b32_e32 v8, 0x3bc7e707
	v_fmac_f32_e32 v8, v6, v7
	;; [unrolled: 2-line block ×12, first 2 shown]
	v_fmac_f32_e32 v9, v3, v10
	s_mov_b32 s24, 0xa2863e55
	v_fma_f32 v3, v6, -v9, s24
	v_fma_f32 v3, v5, v8, -v3
	v_add_f32_e32 v3, 0xbdf8cdce, v3
	v_add_f32_e32 v1, v1, v3
.LBB143_34:
	s_or_b64 exec, exec, s[20:21]
                                        ; implicit-def: $vgpr5
                                        ; implicit-def: $vgpr3
.LBB143_35:
	s_andn2_saveexec_b64 s[0:1], s[0:1]
	s_cbranch_execz .LBB143_39
; %bb.36:
	v_cmp_eq_u32_e32 vcc, 0, v5
	s_and_saveexec_b64 s[20:21], vcc
	s_cbranch_execz .LBB143_38
; %bb.37:
	v_mul_f32_e32 v5, v3, v3
	v_mov_b32_e32 v6, 0x39679767
	v_fmac_f32_e32 v6, 0x37d383a2, v5
	v_mov_b32_e32 v7, 0x3a9c54a1
	v_fmac_f32_e32 v7, v5, v6
	;; [unrolled: 2-line block ×10, first 2 shown]
	v_mul_f32_e32 v5, v5, v7
	v_fmac_f32_e32 v5, v3, v6
	v_fmac_f32_e32 v5, -0.5, v3
	v_add_f32_e32 v1, v1, v5
.LBB143_38:
	s_or_b64 exec, exec, s[20:21]
.LBB143_39:
	s_or_b64 exec, exec, s[0:1]
.LBB143_40:
	s_or_b64 exec, exec, s[6:7]
.LBB143_41:
	s_andn2_saveexec_b64 s[2:3], s[2:3]
	s_cbranch_execz .LBB143_43
; %bb.42:
	s_mov_b32 s0, 0x3e8a8991
	v_mov_b32_e32 v1, 0xbecd26ab
	v_fma_f32 v1, |v2|, s0, v1
	s_mov_b32 s0, 0x3f528d33
	v_fma_f32 v1, |v2|, v1, s0
	s_mov_b32 s0, 0x800000
	v_cmp_lt_f32_e64 vcc, |v2|, s0
	v_cndmask_b32_e64 v3, 0, 32, vcc
	v_ldexp_f32 v3, |v2|, v3
	v_log_f32_e32 v3, v3
	s_mov_b32 s0, 0xbf13c468
	v_fma_f32 v1, |v2|, v1, s0
	s_mov_b32 s0, 0x3f317217
	v_mul_f32_e32 v5, 0x3f317217, v3
	v_fma_f32 v6, v3, s0, -v5
	v_fmac_f32_e32 v6, 0x3377d1cf, v3
	s_mov_b32 s0, 0x7f800000
	v_add_f32_e32 v5, v5, v6
	v_cmp_lt_f32_e64 s[0:1], |v3|, s0
	v_cndmask_b32_e64 v3, v3, v5, s[0:1]
	v_mov_b32_e32 v5, 0x41b17218
	v_cndmask_b32_e32 v5, 0, v5, vcc
	v_sub_f32_e32 v3, v3, v5
	v_fma_f32 v1, |v2|, v1, -v3
.LBB143_43:
	s_or_b64 exec, exec, s[2:3]
	v_cmp_le_f32_e32 vcc, 0, v2
	v_cmp_nle_f32_e64 s[0:1], 0, v2
	s_and_saveexec_b64 s[2:3], s[0:1]
	s_xor_b64 s[6:7], exec, s[2:3]
	s_cbranch_execz .LBB143_47
; %bb.44:
	s_mov_b32 s0, 0x4b000000
	s_mov_b32 s2, 0x35000000
	v_cmp_lt_f32_e64 s[0:1], |v2|, s0
	v_cmp_gt_f32_e64 s[2:3], |v2|, s2
	s_and_b64 s[0:1], s[0:1], s[2:3]
	s_and_saveexec_b64 s[20:21], s[0:1]
	s_cbranch_execz .LBB143_46
; %bb.45:
	v_mul_f32_e64 v3, |v2|, 0.5
	v_floor_f32_e32 v5, v3
	v_sub_f32_e32 v5, v3, v5
	v_min_f32_e32 v5, 0x3f7fffff, v5
	s_mov_b32 s2, 0x7f800000
	v_add_f32_e32 v5, v5, v5
	v_cmp_neq_f32_e64 s[0:1], s2, v3
	v_cndmask_b32_e64 v3, 0, v5, s[0:1]
	v_cmp_gt_f32_e64 s[0:1], |v2|, 1.0
	v_cndmask_b32_e64 v3, |v2|, v3, s[0:1]
	v_add_f32_e32 v5, v3, v3
	v_rndne_f32_e32 v5, v5
	v_fmac_f32_e32 v3, -0.5, v5
	v_mul_f32_e32 v6, v3, v3
	v_mov_b32_e32 v7, 0xbf1f24be
	v_fmac_f32_e32 v7, 0x3e75aa41, v6
	v_mov_b32_e32 v8, 0x40234736
	v_fmac_f32_e32 v8, v6, v7
	;; [unrolled: 2-line block ×3, first 2 shown]
	v_mul_f32_e32 v8, v3, v6
	v_mul_f32_e32 v7, v8, v7
	v_fmac_f32_e32 v7, 0x40490fdb, v3
	v_mov_b32_e32 v3, 0x3e642e9d
	v_cvt_i32_f32_e32 v5, v5
	v_fmac_f32_e32 v3, 0x3d4be544, v6
	v_mov_b32_e32 v8, 0xbfaad1da
	v_fmac_f32_e32 v8, v6, v3
	v_mov_b32_e32 v3, 0x4081e0d3
	;; [unrolled: 2-line block ×3, first 2 shown]
	v_fmac_f32_e32 v8, v6, v3
	v_fma_f32 v3, v6, v8, 1.0
	v_and_b32_e32 v6, 1, v5
	v_lshlrev_b32_e32 v5, 30, v5
	v_cmp_eq_u32_e64 s[0:1], 0, v6
	v_and_b32_e32 v5, 0x80000000, v5
	v_xor_b32_e32 v0, v0, v2
	v_cndmask_b32_e64 v3, v3, v7, s[0:1]
	v_xor_b32_e32 v0, v0, v5
	v_xor_b32_e32 v0, v0, v3
	v_mul_f32_e32 v0, v2, v0
	v_frexp_mant_f32_e64 v3, |v0|
	v_rcp_f32_e32 v3, v3
	v_frexp_exp_i32_f32_e32 v0, v0
	v_sub_u32_e32 v0, 2, v0
	s_mov_b32 s0, 0x800000
	v_mul_f32_e32 v3, 0x3f490fdb, v3
	v_ldexp_f32 v0, v3, v0
	v_cmp_gt_f32_e64 s[0:1], s0, v0
	v_cndmask_b32_e64 v3, 0, 32, s[0:1]
	v_ldexp_f32 v0, v0, v3
	v_log_f32_e32 v0, v0
	s_mov_b32 s3, 0x3f317217
	v_mul_f32_e32 v3, 0x3f317217, v0
	v_fma_f32 v5, v0, s3, -v3
	v_fmac_f32_e32 v5, 0x3377d1cf, v0
	v_add_f32_e32 v3, v3, v5
	v_cmp_lt_f32_e64 s[2:3], |v0|, s2
	v_cndmask_b32_e64 v0, v0, v3, s[2:3]
	v_mov_b32_e32 v3, 0x41b17218
	v_cndmask_b32_e64 v3, 0, v3, s[0:1]
	v_sub_f32_e32 v0, v0, v3
	v_sub_f32_e32 v0, v0, v1
	v_floor_f32_e32 v1, v2
	v_sub_f32_e32 v1, v2, v1
	v_min_f32_e32 v1, 0x3f7fffff, v1
	v_mov_b32_e32 v3, 0x7f800000
	v_cmp_neq_f32_e64 s[0:1], 0, v1
	v_cndmask_b32_e64 v1, v3, v0, s[0:1]
.LBB143_46:
	s_or_b64 exec, exec, s[20:21]
.LBB143_47:
	s_andn2_saveexec_b64 s[6:7], s[6:7]
; %bb.48:
	v_cmp_eq_f32_e64 s[0:1], 1.0, v2
	v_cmp_eq_f32_e64 s[2:3], 2.0, v2
	s_or_b64 s[0:1], s[0:1], s[2:3]
	v_cndmask_b32_e64 v1, v1, 0, s[0:1]
; %bb.49:
	s_or_b64 exec, exec, s[6:7]
	s_mov_b32 s0, 0x4b000000
	v_cmp_lt_f32_e64 s[0:1], |v2|, s0
	v_mul_lo_u32 v5, v4, s10
	v_mov_b32_e32 v0, 0x264
	v_mov_b32_e32 v3, 0x7f800000
	s_or_b64 vcc, vcc, s[0:1]
	v_cndmask_b32_e32 v1, v3, v1, vcc
	v_cmp_class_f32_e32 vcc, v2, v0
	v_cndmask_b32_e32 v0, v1, v3, vcc
	v_cmp_u_f32_e32 vcc, v2, v2
	v_cndmask_b32_e32 v2, v0, v2, vcc
	v_ashrrev_i32_e32 v1, 31, v5
	v_mov_b32_e32 v3, s13
	s_and_b32 s24, s33, 0xff
	v_add_co_u32_e32 v0, vcc, s12, v5
	s_cmp_lt_i32 s24, 11
	v_addc_co_u32_e32 v1, vcc, v3, v1, vcc
	s_cbranch_scc1 .LBB143_57
; %bb.50:
	s_and_b32 s25, 0xffff, s24
	s_cmp_gt_i32 s25, 25
	s_cbranch_scc0 .LBB143_61
; %bb.51:
	s_cmp_gt_i32 s25, 28
	s_cbranch_scc0 .LBB143_63
; %bb.52:
	;; [unrolled: 3-line block ×4, first 2 shown]
	s_mov_b64 s[6:7], 0
	s_mov_b64 s[0:1], -1
	s_cmp_eq_u32 s25, 46
	s_mov_b64 s[2:3], 0
	s_cbranch_scc0 .LBB143_71
; %bb.55:
	v_bfe_u32 v3, v2, 16, 1
	s_movk_i32 s0, 0x7fff
	v_add3_u32 v3, v2, v3, s0
	v_cmp_o_f32_e32 vcc, v2, v2
	v_mov_b32_e32 v5, 0x7fc0
	v_cndmask_b32_sdwa v3, v5, v3, vcc dst_sel:DWORD dst_unused:UNUSED_PAD src0_sel:DWORD src1_sel:WORD_1
	global_store_dword v[0:1], v3, off
	s_mov_b64 s[2:3], -1
	s_mov_b64 s[0:1], 0
	s_branch .LBB143_71
.LBB143_56:
	s_mov_b64 s[0:1], 0
                                        ; implicit-def: $vgpr2
	s_and_b64 vcc, exec, s[2:3]
	s_cbranch_vccnz .LBB143_205
	s_branch .LBB143_239
.LBB143_57:
	s_mov_b64 s[0:1], 0
	s_mov_b64 s[2:3], 0
	s_cbranch_execnz .LBB143_140
.LBB143_58:
	s_andn2_b64 vcc, exec, s[2:3]
	s_cbranch_vccnz .LBB143_178
.LBB143_59:
	v_add_u32_e32 v4, 0x80, v4
	s_mov_b64 s[2:3], -1
	s_branch .LBB143_288
.LBB143_60:
	s_mov_b64 s[0:1], 0
                                        ; implicit-def: $vgpr2
	s_branch .LBB143_186
.LBB143_61:
	s_mov_b64 s[6:7], -1
	s_mov_b64 s[0:1], 0
	s_mov_b64 s[2:3], 0
	s_branch .LBB143_98
.LBB143_62:
	s_mov_b64 s[0:1], 0
                                        ; implicit-def: $vgpr2
	s_branch .LBB143_181
.LBB143_63:
	s_mov_b64 s[6:7], -1
	s_mov_b64 s[0:1], 0
	s_mov_b64 s[2:3], 0
	s_branch .LBB143_81
.LBB143_64:
	s_mov_b64 s[6:7], -1
	s_mov_b64 s[0:1], 0
	s_mov_b64 s[2:3], 0
	s_branch .LBB143_77
.LBB143_65:
	s_mov_b64 s[16:17], -1
.LBB143_66:
	s_mov_b64 s[0:1], 0
                                        ; implicit-def: $vgpr2
.LBB143_67:
	s_and_b64 vcc, exec, s[2:3]
	s_cbranch_vccz .LBB143_180
; %bb.68:
	s_cmp_eq_u32 s20, 44
	s_cbranch_scc0 .LBB143_179
; %bb.69:
	global_load_ubyte v2, v[0:1], off
	s_movk_i32 s2, 0xff
	v_mov_b32_e32 v3, 0x7f800001
	v_mov_b32_e32 v5, 0x400000
	s_mov_b64 s[0:1], -1
	s_mov_b64 s[16:17], 0
	s_waitcnt vmcnt(0)
	v_lshlrev_b32_e32 v6, 23, v2
	v_cmp_ne_u32_e32 vcc, s2, v2
	v_cndmask_b32_e32 v3, v3, v6, vcc
	v_cmp_ne_u32_e32 vcc, 0, v2
	v_cndmask_b32_e32 v2, v5, v3, vcc
	s_branch .LBB143_180
.LBB143_70:
	s_mov_b64 s[6:7], -1
	s_mov_b64 s[0:1], 0
	s_mov_b64 s[2:3], 0
.LBB143_71:
	s_and_b64 vcc, exec, s[6:7]
	s_cbranch_vccz .LBB143_76
; %bb.72:
	s_cmp_eq_u32 s25, 44
	s_mov_b64 s[0:1], -1
	s_cbranch_scc0 .LBB143_76
; %bb.73:
	v_bfe_u32 v3, v2, 23, 8
	s_movk_i32 s0, 0xff
	v_cmp_ne_u32_e32 vcc, s0, v3
	v_mov_b32_e32 v5, 0xff
	s_and_saveexec_b64 s[2:3], vcc
; %bb.74:
	s_mov_b32 s0, 0x3fffff
	v_and_b32_e32 v6, 0x400000, v2
	v_and_or_b32 v3, v2, s0, v3
	v_cmp_ne_u32_e32 vcc, 0, v6
	v_cmp_ne_u32_e64 s[0:1], 0, v3
	s_and_b64 s[0:1], vcc, s[0:1]
	v_lshrrev_b32_e32 v5, 23, v2
	v_cndmask_b32_e64 v3, 0, 1, s[0:1]
	v_add_u32_e32 v5, v5, v3
; %bb.75:
	s_or_b64 exec, exec, s[2:3]
	s_mov_b64 s[2:3], -1
	s_mov_b64 s[0:1], 0
	global_store_byte v[0:1], v5, off
.LBB143_76:
	s_mov_b64 s[6:7], 0
.LBB143_77:
	s_and_b64 vcc, exec, s[6:7]
	s_cbranch_vccz .LBB143_80
; %bb.78:
	s_cmp_eq_u32 s25, 29
	s_mov_b64 s[0:1], -1
	s_cbranch_scc0 .LBB143_80
; %bb.79:
	v_trunc_f32_e32 v3, v2
	v_mul_f32_e32 v5, 0x2f800000, v3
	v_floor_f32_e32 v5, v5
	v_fmac_f32_e32 v3, 0xcf800000, v5
	v_cvt_u32_f32_e32 v6, v5
	v_cvt_u32_f32_e32 v5, v3
	s_mov_b64 s[2:3], -1
	s_mov_b64 s[0:1], 0
	s_mov_b64 s[6:7], 0
	global_store_dwordx2 v[0:1], v[5:6], off
	s_branch .LBB143_81
.LBB143_80:
	s_mov_b64 s[6:7], 0
.LBB143_81:
	s_and_b64 vcc, exec, s[6:7]
	s_cbranch_vccz .LBB143_97
; %bb.82:
	s_cmp_lt_i32 s25, 27
	s_mov_b64 s[2:3], -1
	s_cbranch_scc1 .LBB143_88
; %bb.83:
	v_cvt_u32_f32_e32 v3, v2
	s_cmp_gt_i32 s25, 27
	s_cbranch_scc0 .LBB143_85
; %bb.84:
	s_mov_b64 s[2:3], 0
	global_store_dword v[0:1], v3, off
.LBB143_85:
	s_andn2_b64 vcc, exec, s[2:3]
	s_cbranch_vccnz .LBB143_87
; %bb.86:
	global_store_short v[0:1], v3, off
.LBB143_87:
	s_mov_b64 s[2:3], 0
.LBB143_88:
	s_andn2_b64 vcc, exec, s[2:3]
	s_cbranch_vccnz .LBB143_96
; %bb.89:
	v_and_b32_e32 v3, 0x7fffffff, v2
	s_mov_b32 s2, 0x43800000
	v_cmp_gt_u32_e32 vcc, s2, v3
	v_mov_b32_e32 v5, 0x80
	s_and_saveexec_b64 s[2:3], vcc
	s_cbranch_execz .LBB143_95
; %bb.90:
	s_mov_b32 s6, 0x3bffffff
	v_cmp_lt_u32_e32 vcc, s6, v3
	s_mov_b64 s[6:7], 0
                                        ; implicit-def: $vgpr3
	s_and_saveexec_b64 s[20:21], vcc
	s_xor_b64 s[20:21], exec, s[20:21]
	s_cbranch_execz .LBB143_354
; %bb.91:
	v_bfe_u32 v3, v2, 20, 1
	s_mov_b32 s26, 0x487ffff
	v_add3_u32 v3, v2, v3, s26
	s_mov_b64 s[6:7], exec
	v_lshrrev_b32_e32 v3, 20, v3
	s_andn2_saveexec_b64 s[20:21], s[20:21]
	s_cbranch_execnz .LBB143_355
.LBB143_92:
	s_or_b64 exec, exec, s[20:21]
	v_mov_b32_e32 v5, 0
	s_and_saveexec_b64 s[20:21], s[6:7]
.LBB143_93:
	v_lshrrev_b32_e32 v5, 24, v2
	s_movk_i32 s6, 0x80
	v_and_or_b32 v5, v5, s6, v3
.LBB143_94:
	s_or_b64 exec, exec, s[20:21]
.LBB143_95:
	s_or_b64 exec, exec, s[2:3]
	global_store_byte v[0:1], v5, off
.LBB143_96:
	s_mov_b64 s[2:3], -1
.LBB143_97:
	s_mov_b64 s[6:7], 0
.LBB143_98:
	s_and_b64 vcc, exec, s[6:7]
	s_cbranch_vccz .LBB143_139
; %bb.99:
	s_cmp_gt_i32 s25, 22
	s_mov_b64 s[6:7], -1
	s_cbranch_scc0 .LBB143_131
; %bb.100:
	s_cmp_lt_i32 s25, 24
	s_mov_b64 s[2:3], -1
	s_cbranch_scc1 .LBB143_120
; %bb.101:
	s_cmp_gt_i32 s25, 24
	s_cbranch_scc0 .LBB143_109
; %bb.102:
	v_and_b32_e32 v3, 0x7fffffff, v2
	s_mov_b32 s2, 0x47800000
	v_cmp_gt_u32_e32 vcc, s2, v3
	v_mov_b32_e32 v5, 0x80
	s_and_saveexec_b64 s[2:3], vcc
	s_cbranch_execz .LBB143_108
; %bb.103:
	s_mov_b32 s6, 0x37ffffff
	v_cmp_lt_u32_e32 vcc, s6, v3
	s_mov_b64 s[6:7], 0
                                        ; implicit-def: $vgpr3
	s_and_saveexec_b64 s[20:21], vcc
	s_xor_b64 s[20:21], exec, s[20:21]
	s_cbranch_execz .LBB143_358
; %bb.104:
	v_bfe_u32 v3, v2, 21, 1
	s_mov_b32 s26, 0x88fffff
	v_add3_u32 v3, v2, v3, s26
	s_mov_b64 s[6:7], exec
	v_lshrrev_b32_e32 v3, 21, v3
	s_andn2_saveexec_b64 s[20:21], s[20:21]
	s_cbranch_execnz .LBB143_359
.LBB143_105:
	s_or_b64 exec, exec, s[20:21]
	v_mov_b32_e32 v5, 0
	s_and_saveexec_b64 s[20:21], s[6:7]
.LBB143_106:
	v_lshrrev_b32_e32 v5, 24, v2
	s_movk_i32 s6, 0x80
	v_and_or_b32 v5, v5, s6, v3
.LBB143_107:
	s_or_b64 exec, exec, s[20:21]
.LBB143_108:
	s_or_b64 exec, exec, s[2:3]
	s_mov_b64 s[2:3], 0
	global_store_byte v[0:1], v5, off
.LBB143_109:
	s_and_b64 vcc, exec, s[2:3]
	s_cbranch_vccz .LBB143_119
; %bb.110:
	v_and_b32_e32 v5, 0x7fffffff, v2
	s_mov_b32 s2, 0x43f00000
	v_cmp_gt_u32_e32 vcc, s2, v5
                                        ; implicit-def: $vgpr3
	s_and_saveexec_b64 s[2:3], vcc
	s_xor_b64 s[2:3], exec, s[2:3]
	s_cbranch_execz .LBB143_116
; %bb.111:
	s_mov_b32 s6, 0x3c7fffff
	v_cmp_lt_u32_e32 vcc, s6, v5
                                        ; implicit-def: $vgpr3
	s_and_saveexec_b64 s[6:7], vcc
	s_xor_b64 s[6:7], exec, s[6:7]
; %bb.112:
	v_bfe_u32 v3, v2, 20, 1
	s_mov_b32 s20, 0x407ffff
	v_add3_u32 v3, v2, v3, s20
	v_lshrrev_b32_e32 v5, 20, v3
	v_and_b32_e32 v3, 0xff00000, v3
	s_mov_b32 s20, 0x7f00000
	v_mov_b32_e32 v6, 0x7e
	v_cmp_ne_u32_e32 vcc, s20, v3
	v_cndmask_b32_e32 v3, v6, v5, vcc
; %bb.113:
	s_andn2_saveexec_b64 s[6:7], s[6:7]
; %bb.114:
	s_mov_b32 s20, 0x46800000
	v_add_f32_e64 v3, |v2|, s20
; %bb.115:
	s_or_b64 exec, exec, s[6:7]
                                        ; implicit-def: $vgpr5
.LBB143_116:
	s_andn2_saveexec_b64 s[2:3], s[2:3]
; %bb.117:
	s_mov_b32 s6, 0x7f800000
	v_mov_b32_e32 v3, 0x7e
	v_mov_b32_e32 v6, 0x7f
	v_cmp_lt_u32_e32 vcc, s6, v5
	v_cndmask_b32_e32 v3, v3, v6, vcc
; %bb.118:
	s_or_b64 exec, exec, s[2:3]
	v_lshrrev_b32_e32 v5, 24, v2
	s_movk_i32 s2, 0x80
	v_and_or_b32 v3, v5, s2, v3
	global_store_byte v[0:1], v3, off
.LBB143_119:
	s_mov_b64 s[2:3], 0
.LBB143_120:
	s_andn2_b64 vcc, exec, s[2:3]
	s_cbranch_vccnz .LBB143_130
; %bb.121:
	v_and_b32_e32 v5, 0x7fffffff, v2
	s_mov_b32 s2, 0x47800000
	v_cmp_gt_u32_e32 vcc, s2, v5
                                        ; implicit-def: $vgpr3
	s_and_saveexec_b64 s[2:3], vcc
	s_xor_b64 s[2:3], exec, s[2:3]
	s_cbranch_execz .LBB143_127
; %bb.122:
	s_mov_b32 s6, 0x387fffff
	v_cmp_lt_u32_e32 vcc, s6, v5
                                        ; implicit-def: $vgpr3
	s_and_saveexec_b64 s[6:7], vcc
	s_xor_b64 s[6:7], exec, s[6:7]
; %bb.123:
	v_bfe_u32 v3, v2, 21, 1
	s_mov_b32 s20, 0x80fffff
	v_add3_u32 v3, v2, v3, s20
	v_lshrrev_b32_e32 v3, 21, v3
; %bb.124:
	s_andn2_saveexec_b64 s[6:7], s[6:7]
; %bb.125:
	s_mov_b32 s20, 0x43000000
	v_add_f32_e64 v3, |v2|, s20
; %bb.126:
	s_or_b64 exec, exec, s[6:7]
                                        ; implicit-def: $vgpr5
.LBB143_127:
	s_andn2_saveexec_b64 s[2:3], s[2:3]
; %bb.128:
	s_mov_b32 s6, 0x7f800000
	v_mov_b32_e32 v3, 0x7c
	v_mov_b32_e32 v6, 0x7f
	v_cmp_lt_u32_e32 vcc, s6, v5
	v_cndmask_b32_e32 v3, v3, v6, vcc
; %bb.129:
	s_or_b64 exec, exec, s[2:3]
	v_lshrrev_b32_e32 v5, 24, v2
	s_movk_i32 s2, 0x80
	v_and_or_b32 v3, v5, s2, v3
	global_store_byte v[0:1], v3, off
.LBB143_130:
	s_mov_b64 s[6:7], 0
	s_mov_b64 s[2:3], -1
.LBB143_131:
	s_andn2_b64 vcc, exec, s[6:7]
	s_cbranch_vccnz .LBB143_139
; %bb.132:
	s_cmp_gt_i32 s25, 14
	s_mov_b64 s[6:7], -1
	s_cbranch_scc0 .LBB143_136
; %bb.133:
	s_cmp_eq_u32 s25, 15
	s_mov_b64 s[0:1], -1
	s_cbranch_scc0 .LBB143_135
; %bb.134:
	v_bfe_u32 v3, v2, 16, 1
	s_movk_i32 s0, 0x7fff
	v_add3_u32 v3, v2, v3, s0
	v_cmp_o_f32_e32 vcc, v2, v2
	v_mov_b32_e32 v5, 0x7fc0
	v_cndmask_b32_sdwa v3, v5, v3, vcc dst_sel:DWORD dst_unused:UNUSED_PAD src0_sel:DWORD src1_sel:WORD_1
	global_store_short v[0:1], v3, off
	s_mov_b64 s[2:3], -1
	s_mov_b64 s[0:1], 0
.LBB143_135:
	s_mov_b64 s[6:7], 0
.LBB143_136:
	s_and_b64 vcc, exec, s[6:7]
	s_cbranch_vccz .LBB143_139
; %bb.137:
	s_cmp_eq_u32 s25, 11
	s_mov_b64 s[0:1], -1
	s_cbranch_scc0 .LBB143_139
; %bb.138:
	v_cmp_neq_f32_e32 vcc, 0, v2
	v_cndmask_b32_e64 v3, 0, 1, vcc
	s_mov_b64 s[2:3], -1
	s_mov_b64 s[0:1], 0
	global_store_byte v[0:1], v3, off
.LBB143_139:
	s_branch .LBB143_58
.LBB143_140:
	s_and_b32 s6, 0xffff, s24
	s_cmp_lt_i32 s6, 5
	s_mov_b64 s[2:3], -1
	s_cbranch_scc1 .LBB143_161
; %bb.141:
	s_cmp_lt_i32 s6, 8
	s_cbranch_scc1 .LBB143_151
; %bb.142:
	s_cmp_lt_i32 s6, 9
	s_cbranch_scc1 .LBB143_148
; %bb.143:
	s_cmp_gt_i32 s6, 9
	s_cbranch_scc0 .LBB143_145
; %bb.144:
	v_cvt_f64_f32_e32 v[5:6], v2
	v_mov_b32_e32 v7, 0
	v_mov_b32_e32 v8, v7
	s_mov_b64 s[2:3], 0
	global_store_dwordx4 v[0:1], v[5:8], off
.LBB143_145:
	s_andn2_b64 vcc, exec, s[2:3]
	s_cbranch_vccnz .LBB143_147
; %bb.146:
	v_mov_b32_e32 v3, 0
	global_store_dwordx2 v[0:1], v[2:3], off
.LBB143_147:
	s_mov_b64 s[2:3], 0
.LBB143_148:
	s_andn2_b64 vcc, exec, s[2:3]
	s_cbranch_vccnz .LBB143_150
; %bb.149:
	v_cvt_f16_f32_e32 v3, v2
	global_store_dword v[0:1], v3, off
.LBB143_150:
	s_mov_b64 s[2:3], 0
.LBB143_151:
	s_andn2_b64 vcc, exec, s[2:3]
	s_cbranch_vccnz .LBB143_160
; %bb.152:
	s_cmp_lt_i32 s6, 6
	s_mov_b64 s[2:3], -1
	s_cbranch_scc1 .LBB143_158
; %bb.153:
	s_cmp_gt_i32 s6, 6
	s_cbranch_scc0 .LBB143_155
; %bb.154:
	v_cvt_f64_f32_e32 v[5:6], v2
	s_mov_b64 s[2:3], 0
	global_store_dwordx2 v[0:1], v[5:6], off
.LBB143_155:
	s_andn2_b64 vcc, exec, s[2:3]
	s_cbranch_vccnz .LBB143_157
; %bb.156:
	global_store_dword v[0:1], v2, off
.LBB143_157:
	s_mov_b64 s[2:3], 0
.LBB143_158:
	s_andn2_b64 vcc, exec, s[2:3]
	s_cbranch_vccnz .LBB143_160
; %bb.159:
	v_cvt_f16_f32_e32 v3, v2
	global_store_short v[0:1], v3, off
.LBB143_160:
	s_mov_b64 s[2:3], 0
.LBB143_161:
	s_andn2_b64 vcc, exec, s[2:3]
	s_cbranch_vccnz .LBB143_177
; %bb.162:
	s_cmp_lt_i32 s6, 2
	s_mov_b64 s[2:3], -1
	s_cbranch_scc1 .LBB143_172
; %bb.163:
	s_cmp_lt_i32 s6, 3
	s_cbranch_scc1 .LBB143_169
; %bb.164:
	s_cmp_gt_i32 s6, 3
	s_cbranch_scc0 .LBB143_166
; %bb.165:
	v_trunc_f32_e32 v3, v2
	s_mov_b32 s2, 0x2f800000
	v_mul_f32_e64 v5, |v3|, s2
	v_floor_f32_e32 v5, v5
	s_mov_b32 s2, 0xcf800000
	v_cvt_u32_f32_e32 v6, v5
	v_fma_f32 v5, v5, s2, |v3|
	v_cvt_u32_f32_e32 v5, v5
	v_ashrrev_i32_e32 v3, 31, v3
	v_xor_b32_e32 v6, v6, v3
	s_mov_b64 s[2:3], 0
	v_xor_b32_e32 v5, v5, v3
	v_sub_co_u32_e32 v5, vcc, v5, v3
	v_subb_co_u32_e32 v6, vcc, v6, v3, vcc
	global_store_dwordx2 v[0:1], v[5:6], off
.LBB143_166:
	s_andn2_b64 vcc, exec, s[2:3]
	s_cbranch_vccnz .LBB143_168
; %bb.167:
	v_cvt_i32_f32_e32 v3, v2
	global_store_dword v[0:1], v3, off
.LBB143_168:
	s_mov_b64 s[2:3], 0
.LBB143_169:
	s_andn2_b64 vcc, exec, s[2:3]
	s_cbranch_vccnz .LBB143_171
; %bb.170:
	v_cvt_i32_f32_e32 v3, v2
	global_store_short v[0:1], v3, off
.LBB143_171:
	s_mov_b64 s[2:3], 0
.LBB143_172:
	s_andn2_b64 vcc, exec, s[2:3]
	s_cbranch_vccnz .LBB143_177
; %bb.173:
	s_cmp_gt_i32 s6, 0
	s_mov_b64 s[2:3], -1
	s_cbranch_scc0 .LBB143_175
; %bb.174:
	v_cvt_i32_f32_e32 v3, v2
	s_mov_b64 s[2:3], 0
	global_store_byte v[0:1], v3, off
.LBB143_175:
	s_andn2_b64 vcc, exec, s[2:3]
	s_cbranch_vccnz .LBB143_177
; %bb.176:
	v_trunc_f32_e32 v2, v2
	s_mov_b32 s2, 0x2f800000
	v_mul_f32_e64 v3, |v2|, s2
	v_floor_f32_e32 v3, v3
	s_mov_b32 s2, 0xcf800000
	v_fma_f32 v3, v3, s2, |v2|
	v_cvt_u32_f32_e32 v3, v3
	v_ashrrev_i32_e32 v2, 31, v2
	v_xor_b32_e32 v3, v3, v2
	v_sub_u32_e32 v2, v3, v2
	global_store_byte v[0:1], v2, off
.LBB143_177:
	s_branch .LBB143_59
.LBB143_178:
	s_mov_b64 s[2:3], 0
                                        ; implicit-def: $vgpr4
	s_branch .LBB143_288
.LBB143_179:
	s_mov_b64 s[16:17], -1
                                        ; implicit-def: $vgpr2
.LBB143_180:
	s_mov_b64 s[2:3], 0
.LBB143_181:
	s_and_b64 vcc, exec, s[2:3]
	s_cbranch_vccz .LBB143_185
; %bb.182:
	s_cmp_eq_u32 s20, 29
	s_cbranch_scc0 .LBB143_184
; %bb.183:
	global_load_dwordx2 v[2:3], v[0:1], off
	s_mov_b64 s[0:1], -1
	s_mov_b64 s[16:17], 0
	s_mov_b64 s[2:3], 0
	s_waitcnt vmcnt(0)
	v_ffbh_u32_e32 v5, v3
	v_min_u32_e32 v5, 32, v5
	v_lshlrev_b64 v[2:3], v5, v[2:3]
	v_min_u32_e32 v2, 1, v2
	v_or_b32_e32 v2, v3, v2
	v_cvt_f32_u32_e32 v2, v2
	v_sub_u32_e32 v3, 32, v5
	v_ldexp_f32 v2, v2, v3
	s_branch .LBB143_186
.LBB143_184:
	s_mov_b64 s[16:17], -1
                                        ; implicit-def: $vgpr2
.LBB143_185:
	s_mov_b64 s[2:3], 0
.LBB143_186:
	s_and_b64 vcc, exec, s[2:3]
	s_cbranch_vccz .LBB143_204
; %bb.187:
	s_cmp_lt_i32 s20, 27
	s_cbranch_scc1 .LBB143_190
; %bb.188:
	s_cmp_gt_i32 s20, 27
	s_cbranch_scc0 .LBB143_191
; %bb.189:
	global_load_dword v2, v[0:1], off
	s_mov_b64 s[0:1], 0
	s_waitcnt vmcnt(0)
	v_cvt_f32_u32_e32 v2, v2
	s_branch .LBB143_192
.LBB143_190:
	s_mov_b64 s[0:1], -1
                                        ; implicit-def: $vgpr2
	s_branch .LBB143_195
.LBB143_191:
	s_mov_b64 s[0:1], -1
                                        ; implicit-def: $vgpr2
.LBB143_192:
	s_andn2_b64 vcc, exec, s[0:1]
	s_cbranch_vccnz .LBB143_194
; %bb.193:
	global_load_ushort v2, v[0:1], off
	s_waitcnt vmcnt(0)
	v_cvt_f32_u32_e32 v2, v2
.LBB143_194:
	s_mov_b64 s[0:1], 0
.LBB143_195:
	s_andn2_b64 vcc, exec, s[0:1]
	s_cbranch_vccnz .LBB143_203
; %bb.196:
	global_load_ubyte v3, v[0:1], off
	s_movk_i32 s0, 0x7f
	s_waitcnt vmcnt(0)
	v_cmp_lt_i16_e32 vcc, s0, v3
	s_mov_b64 s[0:1], 0
	s_and_saveexec_b64 s[2:3], vcc
	s_xor_b64 s[2:3], exec, s[2:3]
	s_cbranch_execz .LBB143_216
; %bb.197:
	s_movk_i32 s0, 0x80
	v_cmp_eq_u16_e32 vcc, s0, v3
	s_mov_b64 s[0:1], -1
	s_and_saveexec_b64 s[6:7], vcc
; %bb.198:
	s_xor_b64 s[0:1], exec, -1
; %bb.199:
	s_or_b64 exec, exec, s[6:7]
	s_and_b64 s[0:1], s[0:1], exec
	s_or_saveexec_b64 s[2:3], s[2:3]
	v_mov_b32_e32 v2, 0x7f800001
	s_xor_b64 exec, exec, s[2:3]
	s_cbranch_execnz .LBB143_217
.LBB143_200:
	s_or_b64 exec, exec, s[2:3]
	s_and_saveexec_b64 s[2:3], s[0:1]
	s_cbranch_execz .LBB143_202
.LBB143_201:
	v_lshlrev_b32_e32 v2, 24, v3
	v_and_b32_e32 v3, 0xffff, v3
	v_and_b32_e32 v5, 7, v3
	v_ffbh_u32_e32 v7, v5
	v_min_u32_e32 v7, 32, v7
	v_subrev_u32_e32 v8, 28, v7
	v_bfe_u32 v6, v3, 3, 4
	v_lshlrev_b32_e32 v3, v8, v3
	v_sub_u32_e32 v7, 29, v7
	v_and_b32_e32 v3, 7, v3
	v_cmp_eq_u32_e32 vcc, 0, v6
	v_cndmask_b32_e32 v6, v6, v7, vcc
	v_cndmask_b32_e32 v3, v5, v3, vcc
	v_mov_b32_e32 v5, 0x3b800000
	v_lshlrev_b32_e32 v3, 20, v3
	v_and_b32_e32 v2, 0x80000000, v2
	v_lshl_add_u32 v5, v6, 23, v5
	v_or3_b32 v2, v2, v5, v3
.LBB143_202:
	s_or_b64 exec, exec, s[2:3]
.LBB143_203:
	s_mov_b64 s[0:1], -1
.LBB143_204:
	s_branch .LBB143_239
.LBB143_205:
	s_cmp_gt_i32 s20, 22
	s_cbranch_scc0 .LBB143_215
; %bb.206:
	s_cmp_lt_i32 s20, 24
	s_cbranch_scc1 .LBB143_218
; %bb.207:
	s_cmp_gt_i32 s20, 24
	s_cbranch_scc0 .LBB143_219
; %bb.208:
	global_load_ubyte v3, v[0:1], off
	s_movk_i32 s0, 0x7f
	s_waitcnt vmcnt(0)
	v_cmp_lt_i16_e32 vcc, s0, v3
	s_mov_b64 s[0:1], 0
	s_and_saveexec_b64 s[2:3], vcc
	s_xor_b64 s[2:3], exec, s[2:3]
	s_cbranch_execz .LBB143_231
; %bb.209:
	s_movk_i32 s0, 0x80
	v_cmp_eq_u16_e32 vcc, s0, v3
	s_mov_b64 s[0:1], -1
	s_and_saveexec_b64 s[6:7], vcc
; %bb.210:
	s_xor_b64 s[0:1], exec, -1
; %bb.211:
	s_or_b64 exec, exec, s[6:7]
	s_and_b64 s[0:1], s[0:1], exec
	s_or_saveexec_b64 s[2:3], s[2:3]
	v_mov_b32_e32 v2, 0x7f800001
	s_xor_b64 exec, exec, s[2:3]
	s_cbranch_execnz .LBB143_232
.LBB143_212:
	s_or_b64 exec, exec, s[2:3]
	s_and_saveexec_b64 s[2:3], s[0:1]
	s_cbranch_execz .LBB143_214
.LBB143_213:
	v_lshlrev_b32_e32 v2, 24, v3
	v_and_b32_e32 v3, 0xffff, v3
	v_and_b32_e32 v5, 3, v3
	v_ffbh_u32_e32 v7, v5
	v_min_u32_e32 v7, 32, v7
	v_subrev_u32_e32 v8, 29, v7
	v_bfe_u32 v6, v3, 2, 5
	v_lshlrev_b32_e32 v3, v8, v3
	v_sub_u32_e32 v7, 30, v7
	v_and_b32_e32 v3, 3, v3
	v_cmp_eq_u32_e32 vcc, 0, v6
	v_cndmask_b32_e32 v6, v6, v7, vcc
	v_cndmask_b32_e32 v3, v5, v3, vcc
	v_mov_b32_e32 v5, 0x37800000
	v_lshlrev_b32_e32 v3, 21, v3
	v_and_b32_e32 v2, 0x80000000, v2
	v_lshl_add_u32 v5, v6, 23, v5
	v_or3_b32 v2, v2, v5, v3
.LBB143_214:
	s_or_b64 exec, exec, s[2:3]
	s_mov_b64 s[0:1], 0
	s_branch .LBB143_220
.LBB143_215:
	s_mov_b64 s[2:3], -1
                                        ; implicit-def: $vgpr2
	s_branch .LBB143_226
.LBB143_216:
	s_or_saveexec_b64 s[2:3], s[2:3]
	v_mov_b32_e32 v2, 0x7f800001
	s_xor_b64 exec, exec, s[2:3]
	s_cbranch_execz .LBB143_200
.LBB143_217:
	v_cmp_ne_u16_e32 vcc, 0, v3
	s_andn2_b64 s[0:1], s[0:1], exec
	s_and_b64 s[6:7], vcc, exec
	v_mov_b32_e32 v2, 0
	s_or_b64 s[0:1], s[0:1], s[6:7]
	s_or_b64 exec, exec, s[2:3]
	s_and_saveexec_b64 s[2:3], s[0:1]
	s_cbranch_execnz .LBB143_201
	s_branch .LBB143_202
.LBB143_218:
	s_mov_b64 s[0:1], -1
                                        ; implicit-def: $vgpr2
	s_branch .LBB143_223
.LBB143_219:
	s_mov_b64 s[0:1], -1
                                        ; implicit-def: $vgpr2
.LBB143_220:
	s_and_b64 vcc, exec, s[0:1]
	s_cbranch_vccz .LBB143_222
; %bb.221:
	global_load_ubyte v2, v[0:1], off
	s_mov_b32 s0, 0x7f800000
	s_waitcnt vmcnt(0)
	v_lshlrev_b32_e32 v2, 24, v2
	v_and_b32_e32 v3, 0x7f000000, v2
	v_ffbh_u32_e32 v5, v3
	v_min_u32_e32 v5, 32, v5
	v_sub_u32_e64 v5, v5, 4 clamp
	v_lshlrev_b32_e32 v7, v5, v3
	v_lshlrev_b32_e32 v5, 23, v5
	v_lshrrev_b32_e32 v7, 4, v7
	v_add_u32_e32 v6, 0x1000000, v3
	v_sub_u32_e32 v5, v7, v5
	v_ashrrev_i32_e32 v6, 8, v6
	v_add_u32_e32 v5, 0x3c000000, v5
	v_and_or_b32 v5, v6, s0, v5
	v_cmp_ne_u32_e32 vcc, 0, v3
	v_cndmask_b32_e32 v3, 0, v5, vcc
	s_brev_b32 s0, 1
	v_and_or_b32 v2, v2, s0, v3
.LBB143_222:
	s_mov_b64 s[0:1], 0
.LBB143_223:
	s_andn2_b64 vcc, exec, s[0:1]
	s_cbranch_vccnz .LBB143_225
; %bb.224:
	global_load_ubyte v2, v[0:1], off
	s_movk_i32 s0, 0x7f00
	s_brev_b32 s1, 16
	s_waitcnt vmcnt(0)
	v_lshlrev_b16_e32 v3, 8, v2
	v_lshlrev_b32_e32 v2, 25, v2
	v_lshrrev_b32_e32 v5, 4, v2
	v_and_or_b32 v6, v3, s0, 0.5
	v_or_b32_e32 v5, 0x70000000, v5
	v_add_f32_e32 v6, -0.5, v6
	v_mul_f32_e32 v5, 0x7800000, v5
	v_cmp_gt_u32_e32 vcc, s1, v2
	v_bfe_i32 v3, v3, 0, 16
	v_cndmask_b32_e32 v2, v5, v6, vcc
	s_brev_b32 s0, 1
	v_and_or_b32 v2, v3, s0, v2
.LBB143_225:
	s_mov_b64 s[2:3], 0
	s_mov_b64 s[0:1], -1
.LBB143_226:
	s_andn2_b64 vcc, exec, s[2:3]
	s_cbranch_vccnz .LBB143_239
; %bb.227:
	s_cmp_gt_i32 s20, 14
	s_cbranch_scc0 .LBB143_230
; %bb.228:
	s_cmp_eq_u32 s20, 15
	s_cbranch_scc0 .LBB143_233
; %bb.229:
	global_load_ushort v2, v[0:1], off
	s_mov_b64 s[0:1], -1
	s_mov_b64 s[16:17], 0
	s_waitcnt vmcnt(0)
	v_lshlrev_b32_e32 v2, 16, v2
	s_branch .LBB143_234
.LBB143_230:
	s_mov_b64 s[2:3], -1
                                        ; implicit-def: $vgpr2
	s_branch .LBB143_235
.LBB143_231:
	s_or_saveexec_b64 s[2:3], s[2:3]
	v_mov_b32_e32 v2, 0x7f800001
	s_xor_b64 exec, exec, s[2:3]
	s_cbranch_execz .LBB143_212
.LBB143_232:
	v_cmp_ne_u16_e32 vcc, 0, v3
	s_andn2_b64 s[0:1], s[0:1], exec
	s_and_b64 s[6:7], vcc, exec
	v_mov_b32_e32 v2, 0
	s_or_b64 s[0:1], s[0:1], s[6:7]
	s_or_b64 exec, exec, s[2:3]
	s_and_saveexec_b64 s[2:3], s[0:1]
	s_cbranch_execnz .LBB143_213
	s_branch .LBB143_214
.LBB143_233:
	s_mov_b64 s[16:17], -1
                                        ; implicit-def: $vgpr2
.LBB143_234:
	s_mov_b64 s[2:3], 0
.LBB143_235:
	s_and_b64 vcc, exec, s[2:3]
	s_cbranch_vccz .LBB143_239
; %bb.236:
	s_cmp_eq_u32 s20, 11
	s_cbranch_scc0 .LBB143_238
; %bb.237:
	global_load_ubyte v2, v[0:1], off
	s_mov_b64 s[0:1], -1
	s_mov_b64 s[16:17], 0
	s_waitcnt vmcnt(0)
	v_cmp_ne_u16_e32 vcc, 0, v2
	v_cndmask_b32_e64 v2, 0, 1.0, vcc
	s_branch .LBB143_239
.LBB143_238:
	s_mov_b64 s[16:17], -1
                                        ; implicit-def: $vgpr2
.LBB143_239:
	s_branch .LBB143_10
.LBB143_240:
	s_cmp_lt_i32 s20, 5
	s_cbranch_scc1 .LBB143_245
; %bb.241:
	s_cmp_lt_i32 s20, 8
	s_cbranch_scc1 .LBB143_246
; %bb.242:
	s_cmp_lt_i32 s20, 9
	s_cbranch_scc1 .LBB143_247
; %bb.243:
	s_cmp_gt_i32 s20, 9
	s_cbranch_scc0 .LBB143_248
; %bb.244:
	global_load_dwordx2 v[2:3], v[0:1], off
	s_mov_b64 s[0:1], 0
	s_waitcnt vmcnt(0)
	v_cvt_f32_f64_e32 v2, v[2:3]
	s_branch .LBB143_249
.LBB143_245:
                                        ; implicit-def: $vgpr2
	s_branch .LBB143_267
.LBB143_246:
	s_mov_b64 s[0:1], -1
                                        ; implicit-def: $vgpr2
	s_branch .LBB143_255
.LBB143_247:
	s_mov_b64 s[0:1], -1
                                        ; implicit-def: $vgpr2
	s_branch .LBB143_252
.LBB143_248:
	s_mov_b64 s[0:1], -1
                                        ; implicit-def: $vgpr2
.LBB143_249:
	s_andn2_b64 vcc, exec, s[0:1]
	s_cbranch_vccnz .LBB143_251
; %bb.250:
	global_load_dword v2, v[0:1], off
.LBB143_251:
	s_mov_b64 s[0:1], 0
.LBB143_252:
	s_andn2_b64 vcc, exec, s[0:1]
	s_cbranch_vccnz .LBB143_254
; %bb.253:
	global_load_dword v2, v[0:1], off
	s_waitcnt vmcnt(0)
	v_cvt_f32_f16_e32 v2, v2
.LBB143_254:
	s_mov_b64 s[0:1], 0
.LBB143_255:
	s_andn2_b64 vcc, exec, s[0:1]
	s_cbranch_vccnz .LBB143_266
; %bb.256:
	s_cmp_lt_i32 s20, 6
	s_cbranch_scc1 .LBB143_259
; %bb.257:
	s_cmp_gt_i32 s20, 6
	s_cbranch_scc0 .LBB143_260
; %bb.258:
	global_load_dwordx2 v[2:3], v[0:1], off
	s_mov_b64 s[0:1], 0
	s_waitcnt vmcnt(0)
	v_cvt_f32_f64_e32 v2, v[2:3]
	s_branch .LBB143_261
.LBB143_259:
	s_mov_b64 s[0:1], -1
                                        ; implicit-def: $vgpr2
	s_branch .LBB143_264
.LBB143_260:
	s_mov_b64 s[0:1], -1
                                        ; implicit-def: $vgpr2
.LBB143_261:
	s_andn2_b64 vcc, exec, s[0:1]
	s_cbranch_vccnz .LBB143_263
; %bb.262:
	global_load_dword v2, v[0:1], off
.LBB143_263:
	s_mov_b64 s[0:1], 0
.LBB143_264:
	s_andn2_b64 vcc, exec, s[0:1]
	s_cbranch_vccnz .LBB143_266
; %bb.265:
	global_load_ushort v2, v[0:1], off
	s_waitcnt vmcnt(0)
	v_cvt_f32_f16_e32 v2, v2
.LBB143_266:
	s_cbranch_execnz .LBB143_286
.LBB143_267:
	s_cmp_lt_i32 s20, 2
	s_cbranch_scc1 .LBB143_271
; %bb.268:
	s_cmp_lt_i32 s20, 3
	s_cbranch_scc1 .LBB143_272
; %bb.269:
	s_cmp_gt_i32 s20, 3
	s_cbranch_scc0 .LBB143_273
; %bb.270:
	global_load_dwordx2 v[2:3], v[0:1], off
	s_mov_b64 s[0:1], 0
	s_waitcnt vmcnt(0)
	v_xor_b32_e32 v6, v2, v3
	v_ffbh_i32_e32 v5, v3
	v_ashrrev_i32_e32 v6, 31, v6
	v_add_u32_e32 v5, -1, v5
	v_add_u32_e32 v6, 32, v6
	v_min_u32_e32 v5, v5, v6
	v_lshlrev_b64 v[2:3], v5, v[2:3]
	v_min_u32_e32 v2, 1, v2
	v_or_b32_e32 v2, v3, v2
	v_cvt_f32_i32_e32 v2, v2
	v_sub_u32_e32 v3, 32, v5
	v_ldexp_f32 v2, v2, v3
	s_branch .LBB143_274
.LBB143_271:
	s_mov_b64 s[0:1], -1
                                        ; implicit-def: $vgpr2
	s_branch .LBB143_280
.LBB143_272:
	s_mov_b64 s[0:1], -1
                                        ; implicit-def: $vgpr2
	s_branch .LBB143_277
.LBB143_273:
	s_mov_b64 s[0:1], -1
                                        ; implicit-def: $vgpr2
.LBB143_274:
	s_andn2_b64 vcc, exec, s[0:1]
	s_cbranch_vccnz .LBB143_276
; %bb.275:
	global_load_dword v2, v[0:1], off
	s_waitcnt vmcnt(0)
	v_cvt_f32_i32_e32 v2, v2
.LBB143_276:
	s_mov_b64 s[0:1], 0
.LBB143_277:
	s_andn2_b64 vcc, exec, s[0:1]
	s_cbranch_vccnz .LBB143_279
; %bb.278:
	global_load_sshort v2, v[0:1], off
	s_waitcnt vmcnt(0)
	v_cvt_f32_i32_e32 v2, v2
.LBB143_279:
	s_mov_b64 s[0:1], 0
.LBB143_280:
	s_andn2_b64 vcc, exec, s[0:1]
	s_cbranch_vccnz .LBB143_286
; %bb.281:
	s_cmp_gt_i32 s20, 0
	s_cbranch_scc0 .LBB143_283
; %bb.282:
	global_load_sbyte v2, v[0:1], off
	s_mov_b64 s[0:1], 0
	s_waitcnt vmcnt(0)
	v_cvt_f32_i32_e32 v2, v2
	s_branch .LBB143_284
.LBB143_283:
	s_mov_b64 s[0:1], -1
                                        ; implicit-def: $vgpr2
.LBB143_284:
	s_andn2_b64 vcc, exec, s[0:1]
	s_cbranch_vccnz .LBB143_286
; %bb.285:
	global_load_ubyte v0, v[0:1], off
	s_waitcnt vmcnt(0)
	v_cvt_f32_ubyte0_e32 v2, v0
.LBB143_286:
	s_branch .LBB143_11
.LBB143_287:
	s_mov_b64 s[0:1], 0
                                        ; implicit-def: $vgpr4
	s_mov_b64 s[2:3], 0
.LBB143_288:
	s_and_b64 s[6:7], s[0:1], exec
	s_and_b64 s[16:17], s[16:17], exec
	s_orn2_b64 s[2:3], s[2:3], exec
.LBB143_289:
	s_or_b64 exec, exec, s[18:19]
	s_mov_b64 s[24:25], 0
	s_mov_b64 s[0:1], 0
                                        ; implicit-def: $vgpr0_vgpr1
                                        ; implicit-def: $vgpr3
	s_and_saveexec_b64 s[18:19], s[2:3]
	s_cbranch_execz .LBB143_298
; %bb.290:
	v_cmp_gt_i32_e32 vcc, s38, v4
	s_mov_b64 s[0:1], -1
	s_mov_b64 s[20:21], s[16:17]
	s_mov_b64 s[22:23], s[6:7]
	s_and_saveexec_b64 s[24:25], vcc
	s_cbranch_execz .LBB143_588
; %bb.291:
	v_mul_lo_u32 v0, v4, s11
	v_mov_b32_e32 v1, s15
	s_and_b32 s26, 0xffff, s42
	s_cmp_lt_i32 s26, 11
	s_waitcnt vmcnt(0)
	v_ashrrev_i32_e32 v2, 31, v0
	v_add_co_u32_e32 v0, vcc, s14, v0
	v_addc_co_u32_e32 v1, vcc, v1, v2, vcc
	s_cbranch_scc1 .LBB143_301
; %bb.292:
	s_cmp_gt_i32 s26, 25
	s_cbranch_scc0 .LBB143_348
; %bb.293:
	s_cmp_gt_i32 s26, 28
	s_cbranch_scc0 .LBB143_350
	;; [unrolled: 3-line block ×4, first 2 shown]
; %bb.296:
	s_cmp_eq_u32 s26, 46
	s_mov_b64 s[2:3], 0
	s_cbranch_scc0 .LBB143_360
; %bb.297:
	global_load_dword v2, v[0:1], off
	s_mov_b64 s[20:21], 0
	s_waitcnt vmcnt(0)
	v_lshlrev_b32_e32 v2, 16, v2
	s_branch .LBB143_361
.LBB143_298:
	s_or_b64 exec, exec, s[18:19]
	s_mov_b64 s[18:19], 0
	s_and_saveexec_b64 s[2:3], s[16:17]
	s_cbranch_execnz .LBB143_972
.LBB143_299:
	s_or_b64 exec, exec, s[2:3]
	s_and_saveexec_b64 s[2:3], s[22:23]
	s_xor_b64 s[2:3], exec, s[2:3]
	s_cbranch_execz .LBB143_973
.LBB143_300:
	global_load_ubyte v2, v[0:1], off
	s_or_b64 s[0:1], s[0:1], exec
	s_waitcnt vmcnt(0)
	v_cmp_ne_u16_e32 vcc, 0, v2
	v_cndmask_b32_e64 v3, 0, 1.0, vcc
	s_or_b64 exec, exec, s[2:3]
	s_and_saveexec_b64 s[2:3], s[24:25]
	s_cbranch_execz .LBB143_1019
	s_branch .LBB143_974
.LBB143_301:
	s_mov_b64 s[0:1], 0
                                        ; implicit-def: $vgpr2
	s_mov_b64 s[20:21], s[16:17]
	s_cbranch_execnz .LBB143_538
.LBB143_302:
	s_andn2_b64 vcc, exec, s[0:1]
	s_cbranch_vccnz .LBB143_586
.LBB143_303:
	s_mov_b32 s0, 0x3c800000
	s_waitcnt vmcnt(0)
	v_and_b32_e32 v0, 0x7fffffff, v2
	v_cmp_nlt_f32_e64 s[0:1], |v2|, s0
                                        ; implicit-def: $vgpr1
	s_and_saveexec_b64 s[2:3], s[0:1]
	s_xor_b64 s[2:3], exec, s[2:3]
	s_cbranch_execz .LBB143_333
; %bb.304:
	v_cmp_nlt_f32_e64 s[0:1], |v2|, 2.0
                                        ; implicit-def: $vgpr1
	s_and_saveexec_b64 s[22:23], s[0:1]
	s_xor_b64 s[22:23], exec, s[22:23]
	s_cbranch_execz .LBB143_314
; %bb.305:
	s_mov_b32 s0, 0x41000000
	v_cmp_nlt_f32_e64 s[0:1], |v2|, s0
                                        ; implicit-def: $vgpr1
	s_and_saveexec_b64 s[26:27], s[0:1]
	s_xor_b64 s[26:27], exec, s[26:27]
	s_cbranch_execz .LBB143_311
; %bb.306:
	s_mov_b32 s0, 0x5c800000
	v_cmp_nlt_f32_e64 s[0:1], |v2|, s0
                                        ; implicit-def: $vgpr1
	s_and_saveexec_b64 s[28:29], s[0:1]
	s_xor_b64 s[28:29], exec, s[28:29]
	s_cbranch_execz .LBB143_308
; %bb.307:
	s_mov_b32 s0, 0x800000
	v_cmp_lt_f32_e64 vcc, |v2|, s0
	v_cndmask_b32_e64 v1, 0, 32, vcc
	v_ldexp_f32 v1, |v2|, v1
	v_log_f32_e32 v1, v1
	s_mov_b32 s0, 0x3f317217
	s_mov_b32 s1, 0x7f800000
	v_mul_f32_e32 v3, 0x3f317217, v1
	v_fma_f32 v5, v1, s0, -v3
	v_fmac_f32_e32 v5, 0x3377d1cf, v1
	v_add_f32_e32 v3, v3, v5
	v_cmp_lt_f32_e64 s[0:1], |v1|, s1
	v_cndmask_b32_e64 v1, v1, v3, s[0:1]
	v_mov_b32_e32 v3, 0x41b17218
	v_cndmask_b32_e32 v3, 0, v3, vcc
	v_sub_f32_e32 v1, v1, v3
	v_fma_f32 v1, |v2|, v1, -|v2|
.LBB143_308:
	s_andn2_saveexec_b64 s[28:29], s[28:29]
	s_cbranch_execz .LBB143_310
; %bb.309:
	v_rcp_f32_e64 v3, |v2|
	v_mov_b32_e32 v1, 0x3a5b3dd2
	v_mov_b32_e32 v5, 0xba1c065c
	;; [unrolled: 1-line block ×3, first 2 shown]
	v_mul_f32_e32 v7, v3, v3
	v_fmac_f32_e32 v1, 0xbad5c4e8, v7
	v_fmac_f32_e32 v5, v7, v1
	s_mov_b32 s0, 0x800000
	v_fmac_f32_e32 v6, v7, v5
	v_mov_b32_e32 v1, 0xbb360b61
	v_cmp_lt_f32_e64 vcc, |v2|, s0
	v_fmac_f32_e32 v1, v7, v6
	v_cndmask_b32_e64 v6, 0, 32, vcc
	v_ldexp_f32 v6, |v2|, v6
	v_log_f32_e32 v6, v6
	v_mov_b32_e32 v5, 0x3daaaaab
	v_fmac_f32_e32 v5, v7, v1
	v_mov_b32_e32 v1, 0x3ed67f1d
	v_fmac_f32_e32 v1, v3, v5
	s_mov_b32 s0, 0x3f317217
	v_mul_f32_e32 v5, 0x3f317217, v6
	v_fma_f32 v7, v6, s0, -v5
	v_fmac_f32_e32 v7, 0x3377d1cf, v6
	s_mov_b32 s0, 0x7f800000
	v_add_f32_e32 v5, v5, v7
	v_cmp_lt_f32_e64 s[0:1], |v6|, s0
	v_cndmask_b32_e64 v5, v6, v5, s[0:1]
	v_mov_b32_e32 v6, 0x41b17218
	v_cndmask_b32_e32 v6, 0, v6, vcc
	v_sub_f32_e32 v5, v5, v6
	v_add_f32_e64 v3, |v2|, -0.5
	v_add_f32_e32 v5, -1.0, v5
	v_fmac_f32_e32 v1, v3, v5
.LBB143_310:
	s_or_b64 exec, exec, s[28:29]
.LBB143_311:
	s_andn2_saveexec_b64 s[26:27], s[26:27]
	s_cbranch_execz .LBB143_313
; %bb.312:
	v_cvt_i32_f32_e32 v1, v0
	v_mov_b32_e32 v3, 0x3af135b4
	v_mov_b32_e32 v5, 0x3cda40e4
	v_mov_b32_e32 v6, 0x3e15dce6
	v_cvt_f32_i32_e32 v7, v1
	v_mov_b32_e32 v8, 0x3ea6cc7a
	v_mov_b32_e32 v9, 0x3e5c245a
	v_cmp_lt_i32_e32 vcc, 2, v1
	v_sub_f32_e64 v7, |v2|, v7
	v_fmac_f32_e32 v3, 0x3805ff67, v7
	v_fmac_f32_e32 v5, v7, v3
	;; [unrolled: 1-line block ×3, first 2 shown]
	v_mov_b32_e32 v5, 0x3a4beed6
	v_fmac_f32_e32 v8, v7, v6
	v_fmac_f32_e32 v5, 0x36f5d7bd, v7
	v_mov_b32_e32 v6, 0x3c98bf54
	v_fmac_f32_e32 v6, v7, v5
	v_mov_b32_e32 v5, 0x3e300f6e
	;; [unrolled: 2-line block ×4, first 2 shown]
	v_fmac_f32_e32 v5, v7, v6
	v_add_f32_e32 v6, 2.0, v7
	v_mov_b32_e32 v10, 0xbd9e233f
	v_fmac_f32_e32 v9, v7, v8
	v_add_f32_e32 v8, 0x40400000, v7
	v_cndmask_b32_e32 v6, 1.0, v6, vcc
	v_cmp_lt_i32_e32 vcc, 3, v1
	v_fmac_f32_e32 v10, v7, v9
	v_add_f32_e32 v9, 4.0, v7
	v_cndmask_b32_e32 v8, 1.0, v8, vcc
	v_cmp_lt_i32_e32 vcc, 4, v1
	v_mul_f32_e32 v3, v7, v10
	v_add_f32_e32 v10, 0x40a00000, v7
	v_mul_f32_e32 v6, v6, v8
	v_cndmask_b32_e32 v8, 1.0, v9, vcc
	v_cmp_lt_i32_e32 vcc, 5, v1
	v_add_f32_e32 v11, 0x40c00000, v7
	v_mul_f32_e32 v6, v8, v6
	v_cndmask_b32_e32 v8, 1.0, v10, vcc
	v_cmp_lt_i32_e32 vcc, 6, v1
	v_mul_f32_e32 v6, v8, v6
	v_cndmask_b32_e32 v1, 1.0, v11, vcc
	v_mul_f32_e32 v1, v1, v6
	s_mov_b32 s0, 0x800000
	v_cmp_gt_f32_e32 vcc, s0, v1
	v_cndmask_b32_e64 v6, 0, 32, vcc
	v_fma_f32 v5, v7, v5, 1.0
	v_ldexp_f32 v1, v1, v6
	v_rcp_f32_e32 v5, v5
	v_log_f32_e32 v1, v1
	s_mov_b32 s0, 0x3f317217
	v_mul_f32_e32 v3, v3, v5
	v_mul_f32_e32 v5, 0x3f317217, v1
	v_fma_f32 v6, v1, s0, -v5
	v_fmac_f32_e32 v6, 0x3377d1cf, v1
	s_mov_b32 s0, 0x7f800000
	v_add_f32_e32 v5, v5, v6
	v_cmp_lt_f32_e64 s[0:1], |v1|, s0
	v_cndmask_b32_e64 v1, v1, v5, s[0:1]
	v_mov_b32_e32 v5, 0x41b17218
	v_cndmask_b32_e32 v5, 0, v5, vcc
	v_fmac_f32_e32 v3, 0.5, v7
	v_sub_f32_e32 v1, v1, v5
	v_add_f32_e32 v1, v1, v3
.LBB143_313:
	s_or_b64 exec, exec, s[26:27]
.LBB143_314:
	s_andn2_saveexec_b64 s[22:23], s[22:23]
	s_cbranch_execz .LBB143_332
; %bb.315:
	s_mov_b32 s0, 0x3f666666
	v_cmp_le_f32_e64 s[0:1], |v2|, s0
                                        ; implicit-def: $vgpr1
                                        ; implicit-def: $vgpr5
                                        ; implicit-def: $vgpr3
	s_and_saveexec_b64 s[26:27], s[0:1]
	s_xor_b64 s[26:27], exec, s[26:27]
	s_cbranch_execz .LBB143_317
; %bb.316:
	s_mov_b32 s0, 0x800000
	v_cmp_lt_f32_e64 vcc, |v2|, s0
	v_cndmask_b32_e64 v1, 0, 32, vcc
	v_ldexp_f32 v1, |v2|, v1
	v_log_f32_e32 v1, v1
	s_mov_b32 s0, 0x3f317217
	s_mov_b32 s1, 0x7f800000
	v_mul_f32_e32 v3, 0x3f317217, v1
	v_fma_f32 v5, v1, s0, -v3
	v_fmac_f32_e32 v5, 0x3377d1cf, v1
	v_add_f32_e32 v3, v3, v5
	v_cmp_lt_f32_e64 s[0:1], |v1|, s1
	v_cndmask_b32_e64 v1, v1, v3, s[0:1]
	v_mov_b32_e32 v3, 0x41b17218
	v_cndmask_b32_e32 v3, 0, v3, vcc
	s_mov_b32 s0, 0x3f3b4a23
	s_mov_b32 s1, 0xbeec5b0c
	v_sub_f32_e32 v1, v1, v3
	v_sub_f32_e64 v3, 1.0, |v2|
	v_add_f32_e64 v5, |v2|, s1
	v_cmp_lt_f32_e64 vcc, |v2|, s0
	s_mov_b32 s0, 0x3e6d3309
	v_cndmask_b32_e32 v3, v3, v5, vcc
	v_cndmask_b32_e64 v5, 0, 1, vcc
	v_cmp_lt_f32_e64 s[0:1], |v2|, s0
	v_xor_b32_e32 v1, 0x80000000, v1
	v_cndmask_b32_e64 v3, v3, |v2|, s[0:1]
	v_cndmask_b32_e64 v5, v5, 2, s[0:1]
.LBB143_317:
	s_andn2_saveexec_b64 s[0:1], s[26:27]
	s_cbranch_execz .LBB143_319
; %bb.318:
	s_mov_b32 s26, 0x3fdda512
	s_mov_b32 s27, 0xbfbb16c3
	v_sub_f32_e64 v1, 2.0, |v2|
	v_add_f32_e64 v3, |v2|, s27
	v_cmp_lt_f32_e64 vcc, |v2|, s26
	v_cndmask_b32_e32 v3, v1, v3, vcc
	v_cndmask_b32_e64 v1, v1, 1.0, vcc
	v_cvt_i32_f32_e32 v1, v1
	s_mov_b32 s26, 0x3f9d70a4
	v_add_f32_e64 v5, |v2|, -1.0
	v_cmp_lt_f32_e64 vcc, |v2|, s26
	v_cndmask_b32_e32 v3, v3, v5, vcc
	v_cndmask_b32_e64 v5, v1, 2, vcc
	v_mov_b32_e32 v1, 0
.LBB143_319:
	s_or_b64 exec, exec, s[0:1]
	v_cmp_lt_i32_e32 vcc, 0, v5
	s_and_saveexec_b64 s[0:1], vcc
	s_xor_b64 s[0:1], exec, s[0:1]
	s_cbranch_execz .LBB143_327
; %bb.320:
	v_cmp_lt_i32_e32 vcc, 1, v5
	s_and_saveexec_b64 s[26:27], vcc
	s_xor_b64 s[26:27], exec, s[26:27]
	s_cbranch_execz .LBB143_324
; %bb.321:
	v_cmp_eq_u32_e32 vcc, 2, v5
	s_and_saveexec_b64 s[28:29], vcc
	s_cbranch_execz .LBB143_323
; %bb.322:
	v_mov_b32_e32 v5, 0x3e6a7578
	v_fmac_f32_e32 v5, 0x3c5b3c5e, v3
	v_mov_b32_e32 v6, 0x3f7a4bb2
	v_fmac_f32_e32 v6, v3, v5
	;; [unrolled: 2-line block ×8, first 2 shown]
	v_fma_f32 v5, v3, v7, 1.0
	v_rcp_f32_e32 v5, v5
	v_mov_b32_e32 v7, 0xbd9e233f
	v_fmac_f32_e32 v7, v3, v6
	v_mul_f32_e32 v6, v3, v7
	v_mul_f32_e32 v5, v6, v5
	v_fmac_f32_e32 v5, -0.5, v3
	v_add_f32_e32 v1, v1, v5
.LBB143_323:
	s_or_b64 exec, exec, s[28:29]
                                        ; implicit-def: $vgpr3
.LBB143_324:
	s_andn2_saveexec_b64 s[26:27], s[26:27]
	s_cbranch_execz .LBB143_326
; %bb.325:
	v_mul_f32_e32 v5, v3, v3
	v_mul_f32_e32 v6, v3, v5
	v_mov_b32_e32 v7, 0xbab7f476
	v_fmac_f32_e32 v7, 0x39a57b6b, v6
	v_mov_b32_e32 v8, 0x3bc7e707
	v_fmac_f32_e32 v8, v6, v7
	;; [unrolled: 2-line block ×12, first 2 shown]
	v_fmac_f32_e32 v9, v3, v10
	s_mov_b32 s28, 0xa2863e55
	v_fma_f32 v3, v6, -v9, s28
	v_fma_f32 v3, v5, v8, -v3
	v_add_f32_e32 v3, 0xbdf8cdce, v3
	v_add_f32_e32 v1, v1, v3
.LBB143_326:
	s_or_b64 exec, exec, s[26:27]
                                        ; implicit-def: $vgpr5
                                        ; implicit-def: $vgpr3
.LBB143_327:
	s_andn2_saveexec_b64 s[0:1], s[0:1]
	s_cbranch_execz .LBB143_331
; %bb.328:
	v_cmp_eq_u32_e32 vcc, 0, v5
	s_and_saveexec_b64 s[26:27], vcc
	s_cbranch_execz .LBB143_330
; %bb.329:
	v_mul_f32_e32 v5, v3, v3
	v_mov_b32_e32 v6, 0x39679767
	v_fmac_f32_e32 v6, 0x37d383a2, v5
	v_mov_b32_e32 v7, 0x3a9c54a1
	v_fmac_f32_e32 v7, v5, v6
	;; [unrolled: 2-line block ×10, first 2 shown]
	v_mul_f32_e32 v5, v5, v7
	v_fmac_f32_e32 v5, v3, v6
	v_fmac_f32_e32 v5, -0.5, v3
	v_add_f32_e32 v1, v1, v5
.LBB143_330:
	s_or_b64 exec, exec, s[26:27]
.LBB143_331:
	s_or_b64 exec, exec, s[0:1]
.LBB143_332:
	s_or_b64 exec, exec, s[22:23]
.LBB143_333:
	s_andn2_saveexec_b64 s[2:3], s[2:3]
	s_cbranch_execz .LBB143_335
; %bb.334:
	s_mov_b32 s0, 0x3e8a8991
	v_mov_b32_e32 v1, 0xbecd26ab
	v_fma_f32 v1, |v2|, s0, v1
	s_mov_b32 s0, 0x3f528d33
	v_fma_f32 v1, |v2|, v1, s0
	s_mov_b32 s0, 0x800000
	v_cmp_lt_f32_e64 vcc, |v2|, s0
	v_cndmask_b32_e64 v3, 0, 32, vcc
	v_ldexp_f32 v3, |v2|, v3
	v_log_f32_e32 v3, v3
	s_mov_b32 s0, 0xbf13c468
	v_fma_f32 v1, |v2|, v1, s0
	s_mov_b32 s0, 0x3f317217
	v_mul_f32_e32 v5, 0x3f317217, v3
	v_fma_f32 v6, v3, s0, -v5
	v_fmac_f32_e32 v6, 0x3377d1cf, v3
	s_mov_b32 s0, 0x7f800000
	v_add_f32_e32 v5, v5, v6
	v_cmp_lt_f32_e64 s[0:1], |v3|, s0
	v_cndmask_b32_e64 v3, v3, v5, s[0:1]
	v_mov_b32_e32 v5, 0x41b17218
	v_cndmask_b32_e32 v5, 0, v5, vcc
	v_sub_f32_e32 v3, v3, v5
	v_fma_f32 v1, |v2|, v1, -v3
.LBB143_335:
	s_or_b64 exec, exec, s[2:3]
	v_cmp_le_f32_e32 vcc, 0, v2
	v_cmp_nle_f32_e64 s[0:1], 0, v2
	s_and_saveexec_b64 s[2:3], s[0:1]
	s_xor_b64 s[22:23], exec, s[2:3]
	s_cbranch_execz .LBB143_339
; %bb.336:
	s_mov_b32 s0, 0x4b000000
	s_mov_b32 s2, 0x35000000
	v_cmp_lt_f32_e64 s[0:1], |v2|, s0
	v_cmp_gt_f32_e64 s[2:3], |v2|, s2
	s_and_b64 s[0:1], s[0:1], s[2:3]
	s_and_saveexec_b64 s[26:27], s[0:1]
	s_cbranch_execz .LBB143_338
; %bb.337:
	v_mul_f32_e64 v3, |v2|, 0.5
	v_floor_f32_e32 v5, v3
	v_sub_f32_e32 v5, v3, v5
	v_min_f32_e32 v5, 0x3f7fffff, v5
	s_mov_b32 s2, 0x7f800000
	v_add_f32_e32 v5, v5, v5
	v_cmp_neq_f32_e64 s[0:1], s2, v3
	v_cndmask_b32_e64 v3, 0, v5, s[0:1]
	v_cmp_gt_f32_e64 s[0:1], |v2|, 1.0
	v_cndmask_b32_e64 v3, |v2|, v3, s[0:1]
	v_add_f32_e32 v5, v3, v3
	v_rndne_f32_e32 v5, v5
	v_fmac_f32_e32 v3, -0.5, v5
	v_mul_f32_e32 v6, v3, v3
	v_mov_b32_e32 v7, 0xbf1f24be
	v_fmac_f32_e32 v7, 0x3e75aa41, v6
	v_mov_b32_e32 v8, 0x40234736
	v_fmac_f32_e32 v8, v6, v7
	;; [unrolled: 2-line block ×3, first 2 shown]
	v_mul_f32_e32 v8, v3, v6
	v_mul_f32_e32 v7, v8, v7
	v_fmac_f32_e32 v7, 0x40490fdb, v3
	v_mov_b32_e32 v3, 0x3e642e9d
	v_cvt_i32_f32_e32 v5, v5
	v_fmac_f32_e32 v3, 0x3d4be544, v6
	v_mov_b32_e32 v8, 0xbfaad1da
	v_fmac_f32_e32 v8, v6, v3
	v_mov_b32_e32 v3, 0x4081e0d3
	;; [unrolled: 2-line block ×3, first 2 shown]
	v_fmac_f32_e32 v8, v6, v3
	v_fma_f32 v3, v6, v8, 1.0
	v_and_b32_e32 v6, 1, v5
	v_lshlrev_b32_e32 v5, 30, v5
	v_cmp_eq_u32_e64 s[0:1], 0, v6
	v_and_b32_e32 v5, 0x80000000, v5
	v_xor_b32_e32 v0, v0, v2
	v_cndmask_b32_e64 v3, v3, v7, s[0:1]
	v_xor_b32_e32 v0, v0, v5
	v_xor_b32_e32 v0, v0, v3
	v_mul_f32_e32 v0, v2, v0
	v_frexp_mant_f32_e64 v3, |v0|
	v_rcp_f32_e32 v3, v3
	v_frexp_exp_i32_f32_e32 v0, v0
	v_sub_u32_e32 v0, 2, v0
	s_mov_b32 s0, 0x800000
	v_mul_f32_e32 v3, 0x3f490fdb, v3
	v_ldexp_f32 v0, v3, v0
	v_cmp_gt_f32_e64 s[0:1], s0, v0
	v_cndmask_b32_e64 v3, 0, 32, s[0:1]
	v_ldexp_f32 v0, v0, v3
	v_log_f32_e32 v0, v0
	s_mov_b32 s3, 0x3f317217
	v_mul_f32_e32 v3, 0x3f317217, v0
	v_fma_f32 v5, v0, s3, -v3
	v_fmac_f32_e32 v5, 0x3377d1cf, v0
	v_add_f32_e32 v3, v3, v5
	v_cmp_lt_f32_e64 s[2:3], |v0|, s2
	v_cndmask_b32_e64 v0, v0, v3, s[2:3]
	v_mov_b32_e32 v3, 0x41b17218
	v_cndmask_b32_e64 v3, 0, v3, s[0:1]
	v_sub_f32_e32 v0, v0, v3
	v_sub_f32_e32 v0, v0, v1
	v_floor_f32_e32 v1, v2
	v_sub_f32_e32 v1, v2, v1
	v_min_f32_e32 v1, 0x3f7fffff, v1
	v_mov_b32_e32 v3, 0x7f800000
	v_cmp_neq_f32_e64 s[0:1], 0, v1
	v_cndmask_b32_e64 v1, v3, v0, s[0:1]
.LBB143_338:
	s_or_b64 exec, exec, s[26:27]
.LBB143_339:
	s_andn2_saveexec_b64 s[22:23], s[22:23]
; %bb.340:
	v_cmp_eq_f32_e64 s[0:1], 1.0, v2
	v_cmp_eq_f32_e64 s[2:3], 2.0, v2
	s_or_b64 s[0:1], s[0:1], s[2:3]
	v_cndmask_b32_e64 v1, v1, 0, s[0:1]
; %bb.341:
	s_or_b64 exec, exec, s[22:23]
	s_mov_b32 s0, 0x4b000000
	v_cmp_lt_f32_e64 s[0:1], |v2|, s0
	v_mul_lo_u32 v5, v4, s10
	v_mov_b32_e32 v0, 0x264
	v_mov_b32_e32 v3, 0x7f800000
	s_or_b64 vcc, vcc, s[0:1]
	v_cndmask_b32_e32 v1, v3, v1, vcc
	v_cmp_class_f32_e32 vcc, v2, v0
	v_cndmask_b32_e32 v0, v1, v3, vcc
	v_cmp_u_f32_e32 vcc, v2, v2
	v_cndmask_b32_e32 v2, v0, v2, vcc
	v_ashrrev_i32_e32 v1, 31, v5
	v_mov_b32_e32 v3, s13
	s_and_b32 s28, s33, 0xff
	v_add_co_u32_e32 v0, vcc, s12, v5
	s_cmp_lt_i32 s28, 11
	v_addc_co_u32_e32 v1, vcc, v3, v1, vcc
	s_cbranch_scc1 .LBB143_349
; %bb.342:
	s_and_b32 s29, 0xffff, s28
	s_cmp_gt_i32 s29, 25
	s_cbranch_scc0 .LBB143_351
; %bb.343:
	s_cmp_gt_i32 s29, 28
	s_cbranch_scc0 .LBB143_353
; %bb.344:
	;; [unrolled: 3-line block ×4, first 2 shown]
	s_mov_b64 s[22:23], 0
	s_mov_b64 s[0:1], -1
	s_cmp_eq_u32 s29, 46
	s_mov_b64 s[2:3], 0
	s_cbranch_scc0 .LBB143_365
; %bb.347:
	v_bfe_u32 v3, v2, 16, 1
	s_movk_i32 s0, 0x7fff
	v_add3_u32 v3, v2, v3, s0
	v_cmp_o_f32_e32 vcc, v2, v2
	v_mov_b32_e32 v5, 0x7fc0
	v_cndmask_b32_sdwa v3, v5, v3, vcc dst_sel:DWORD dst_unused:UNUSED_PAD src0_sel:DWORD src1_sel:WORD_1
	global_store_dword v[0:1], v3, off
	s_mov_b64 s[2:3], -1
	s_mov_b64 s[0:1], 0
	s_branch .LBB143_365
.LBB143_348:
	s_mov_b64 s[2:3], -1
	s_mov_b64 s[0:1], 0
	s_mov_b64 s[20:21], s[16:17]
                                        ; implicit-def: $vgpr2
	s_branch .LBB143_502
.LBB143_349:
	s_mov_b64 s[22:23], -1
	s_mov_b64 s[2:3], 0
	s_mov_b64 s[0:1], s[6:7]
	s_branch .LBB143_434
.LBB143_350:
	s_mov_b64 s[2:3], -1
	s_mov_b64 s[0:1], 0
	s_mov_b64 s[20:21], s[16:17]
                                        ; implicit-def: $vgpr2
	s_branch .LBB143_483
.LBB143_351:
	s_mov_b64 s[22:23], -1
	s_mov_b64 s[2:3], 0
	s_mov_b64 s[0:1], s[6:7]
	s_branch .LBB143_392
.LBB143_352:
	s_mov_b64 s[2:3], -1
	s_mov_b64 s[0:1], 0
	s_mov_b64 s[20:21], s[16:17]
                                        ; implicit-def: $vgpr2
	s_branch .LBB143_478
.LBB143_353:
	s_mov_b64 s[22:23], -1
	s_mov_b64 s[2:3], 0
	s_mov_b64 s[0:1], s[6:7]
	s_branch .LBB143_375
.LBB143_354:
	s_andn2_saveexec_b64 s[20:21], s[20:21]
	s_cbranch_execz .LBB143_92
.LBB143_355:
	s_mov_b32 s26, 0x46000000
	v_add_f32_e64 v3, |v2|, s26
	v_and_b32_e32 v3, 0xff, v3
	v_cmp_ne_u32_e32 vcc, 0, v3
	s_andn2_b64 s[6:7], s[6:7], exec
	s_and_b64 s[26:27], vcc, exec
	s_or_b64 s[6:7], s[6:7], s[26:27]
	s_or_b64 exec, exec, s[20:21]
	v_mov_b32_e32 v5, 0
	s_and_saveexec_b64 s[20:21], s[6:7]
	s_cbranch_execnz .LBB143_93
	s_branch .LBB143_94
.LBB143_356:
	s_mov_b64 s[2:3], -1
	s_mov_b64 s[0:1], 0
	s_mov_b64 s[20:21], s[16:17]
                                        ; implicit-def: $vgpr2
	s_branch .LBB143_361
.LBB143_357:
	s_mov_b64 s[22:23], -1
	s_mov_b64 s[2:3], 0
	s_mov_b64 s[0:1], s[6:7]
	s_branch .LBB143_371
.LBB143_358:
	s_andn2_saveexec_b64 s[20:21], s[20:21]
	s_cbranch_execz .LBB143_105
.LBB143_359:
	s_mov_b32 s26, 0x42800000
	v_add_f32_e64 v3, |v2|, s26
	v_and_b32_e32 v3, 0xff, v3
	v_cmp_ne_u32_e32 vcc, 0, v3
	s_andn2_b64 s[6:7], s[6:7], exec
	s_and_b64 s[26:27], vcc, exec
	s_or_b64 s[6:7], s[6:7], s[26:27]
	s_or_b64 exec, exec, s[20:21]
	v_mov_b32_e32 v5, 0
	s_and_saveexec_b64 s[20:21], s[6:7]
	s_cbranch_execnz .LBB143_106
	s_branch .LBB143_107
.LBB143_360:
	s_mov_b64 s[20:21], -1
                                        ; implicit-def: $vgpr2
	s_mov_b64 s[0:1], 0
.LBB143_361:
	s_and_b64 vcc, exec, s[2:3]
	s_cbranch_vccz .LBB143_477
; %bb.362:
	s_cmp_eq_u32 s26, 44
	s_cbranch_scc0 .LBB143_476
; %bb.363:
	global_load_ubyte v2, v[0:1], off
	s_movk_i32 s2, 0xff
	v_mov_b32_e32 v3, 0x7f800001
	v_mov_b32_e32 v5, 0x400000
	s_mov_b64 s[0:1], -1
	s_mov_b64 s[20:21], 0
	s_waitcnt vmcnt(0)
	v_lshlrev_b32_e32 v6, 23, v2
	v_cmp_ne_u32_e32 vcc, s2, v2
	v_cndmask_b32_e32 v3, v3, v6, vcc
	v_cmp_ne_u32_e32 vcc, 0, v2
	v_cndmask_b32_e32 v2, v5, v3, vcc
	s_branch .LBB143_477
.LBB143_364:
	s_mov_b64 s[22:23], -1
	s_mov_b64 s[2:3], 0
	s_mov_b64 s[0:1], s[6:7]
.LBB143_365:
	s_and_b64 vcc, exec, s[22:23]
	s_cbranch_vccz .LBB143_370
; %bb.366:
	s_cmp_eq_u32 s29, 44
	s_mov_b64 s[0:1], -1
	s_cbranch_scc0 .LBB143_370
; %bb.367:
	v_bfe_u32 v3, v2, 23, 8
	s_movk_i32 s0, 0xff
	v_cmp_ne_u32_e32 vcc, s0, v3
	v_mov_b32_e32 v5, 0xff
	s_and_saveexec_b64 s[2:3], vcc
; %bb.368:
	s_mov_b32 s0, 0x3fffff
	v_and_b32_e32 v6, 0x400000, v2
	v_and_or_b32 v3, v2, s0, v3
	v_cmp_ne_u32_e32 vcc, 0, v6
	v_cmp_ne_u32_e64 s[0:1], 0, v3
	s_and_b64 s[0:1], vcc, s[0:1]
	v_lshrrev_b32_e32 v5, 23, v2
	v_cndmask_b32_e64 v3, 0, 1, s[0:1]
	v_add_u32_e32 v5, v5, v3
; %bb.369:
	s_or_b64 exec, exec, s[2:3]
	s_mov_b64 s[2:3], -1
	s_mov_b64 s[0:1], 0
	global_store_byte v[0:1], v5, off
.LBB143_370:
	s_mov_b64 s[22:23], 0
.LBB143_371:
	s_and_b64 vcc, exec, s[22:23]
	s_cbranch_vccz .LBB143_374
; %bb.372:
	s_cmp_eq_u32 s29, 29
	s_mov_b64 s[0:1], -1
	s_cbranch_scc0 .LBB143_374
; %bb.373:
	v_trunc_f32_e32 v3, v2
	v_mul_f32_e32 v5, 0x2f800000, v3
	v_floor_f32_e32 v5, v5
	v_fmac_f32_e32 v3, 0xcf800000, v5
	v_cvt_u32_f32_e32 v6, v5
	v_cvt_u32_f32_e32 v5, v3
	s_mov_b64 s[2:3], -1
	s_mov_b64 s[0:1], 0
	s_mov_b64 s[22:23], 0
	global_store_dwordx2 v[0:1], v[5:6], off
	s_branch .LBB143_375
.LBB143_374:
	s_mov_b64 s[22:23], 0
.LBB143_375:
	s_and_b64 vcc, exec, s[22:23]
	s_cbranch_vccz .LBB143_391
; %bb.376:
	s_cmp_lt_i32 s29, 27
	s_mov_b64 s[2:3], -1
	s_cbranch_scc1 .LBB143_382
; %bb.377:
	v_cvt_u32_f32_e32 v3, v2
	s_cmp_gt_i32 s29, 27
	s_cbranch_scc0 .LBB143_379
; %bb.378:
	s_mov_b64 s[2:3], 0
	global_store_dword v[0:1], v3, off
.LBB143_379:
	s_andn2_b64 vcc, exec, s[2:3]
	s_cbranch_vccnz .LBB143_381
; %bb.380:
	global_store_short v[0:1], v3, off
.LBB143_381:
	s_mov_b64 s[2:3], 0
.LBB143_382:
	s_andn2_b64 vcc, exec, s[2:3]
	s_cbranch_vccnz .LBB143_390
; %bb.383:
	v_and_b32_e32 v3, 0x7fffffff, v2
	s_mov_b32 s2, 0x43800000
	v_cmp_gt_u32_e32 vcc, s2, v3
	v_mov_b32_e32 v5, 0x80
	s_and_saveexec_b64 s[2:3], vcc
	s_cbranch_execz .LBB143_389
; %bb.384:
	s_mov_b32 s22, 0x3bffffff
	v_cmp_lt_u32_e32 vcc, s22, v3
	s_mov_b64 s[22:23], 0
                                        ; implicit-def: $vgpr3
	s_and_saveexec_b64 s[26:27], vcc
	s_xor_b64 s[26:27], exec, s[26:27]
	s_cbranch_execz .LBB143_601
; %bb.385:
	v_bfe_u32 v3, v2, 20, 1
	s_mov_b32 s30, 0x487ffff
	v_add3_u32 v3, v2, v3, s30
	s_mov_b64 s[22:23], exec
	v_lshrrev_b32_e32 v3, 20, v3
	s_andn2_saveexec_b64 s[26:27], s[26:27]
	s_cbranch_execnz .LBB143_602
.LBB143_386:
	s_or_b64 exec, exec, s[26:27]
	v_mov_b32_e32 v5, 0
	s_and_saveexec_b64 s[26:27], s[22:23]
.LBB143_387:
	v_lshrrev_b32_e32 v5, 24, v2
	s_movk_i32 s22, 0x80
	v_and_or_b32 v5, v5, s22, v3
.LBB143_388:
	s_or_b64 exec, exec, s[26:27]
.LBB143_389:
	s_or_b64 exec, exec, s[2:3]
	global_store_byte v[0:1], v5, off
.LBB143_390:
	s_mov_b64 s[2:3], -1
.LBB143_391:
	s_mov_b64 s[22:23], 0
.LBB143_392:
	s_and_b64 vcc, exec, s[22:23]
	s_cbranch_vccz .LBB143_433
; %bb.393:
	s_cmp_gt_i32 s29, 22
	s_mov_b64 s[22:23], -1
	s_cbranch_scc0 .LBB143_425
; %bb.394:
	s_cmp_lt_i32 s29, 24
	s_mov_b64 s[2:3], -1
	s_cbranch_scc1 .LBB143_414
; %bb.395:
	s_cmp_gt_i32 s29, 24
	s_cbranch_scc0 .LBB143_403
; %bb.396:
	v_and_b32_e32 v3, 0x7fffffff, v2
	s_mov_b32 s2, 0x47800000
	v_cmp_gt_u32_e32 vcc, s2, v3
	v_mov_b32_e32 v5, 0x80
	s_and_saveexec_b64 s[2:3], vcc
	s_cbranch_execz .LBB143_402
; %bb.397:
	s_mov_b32 s22, 0x37ffffff
	v_cmp_lt_u32_e32 vcc, s22, v3
	s_mov_b64 s[22:23], 0
                                        ; implicit-def: $vgpr3
	s_and_saveexec_b64 s[26:27], vcc
	s_xor_b64 s[26:27], exec, s[26:27]
	s_cbranch_execz .LBB143_604
; %bb.398:
	v_bfe_u32 v3, v2, 21, 1
	s_mov_b32 s30, 0x88fffff
	v_add3_u32 v3, v2, v3, s30
	s_mov_b64 s[22:23], exec
	v_lshrrev_b32_e32 v3, 21, v3
	s_andn2_saveexec_b64 s[26:27], s[26:27]
	s_cbranch_execnz .LBB143_605
.LBB143_399:
	s_or_b64 exec, exec, s[26:27]
	v_mov_b32_e32 v5, 0
	s_and_saveexec_b64 s[26:27], s[22:23]
.LBB143_400:
	v_lshrrev_b32_e32 v5, 24, v2
	s_movk_i32 s22, 0x80
	v_and_or_b32 v5, v5, s22, v3
.LBB143_401:
	s_or_b64 exec, exec, s[26:27]
.LBB143_402:
	s_or_b64 exec, exec, s[2:3]
	s_mov_b64 s[2:3], 0
	global_store_byte v[0:1], v5, off
.LBB143_403:
	s_and_b64 vcc, exec, s[2:3]
	s_cbranch_vccz .LBB143_413
; %bb.404:
	v_and_b32_e32 v5, 0x7fffffff, v2
	s_mov_b32 s2, 0x43f00000
	v_cmp_gt_u32_e32 vcc, s2, v5
                                        ; implicit-def: $vgpr3
	s_and_saveexec_b64 s[2:3], vcc
	s_xor_b64 s[2:3], exec, s[2:3]
	s_cbranch_execz .LBB143_410
; %bb.405:
	s_mov_b32 s22, 0x3c7fffff
	v_cmp_lt_u32_e32 vcc, s22, v5
                                        ; implicit-def: $vgpr3
	s_and_saveexec_b64 s[22:23], vcc
	s_xor_b64 s[22:23], exec, s[22:23]
; %bb.406:
	v_bfe_u32 v3, v2, 20, 1
	s_mov_b32 s26, 0x407ffff
	v_add3_u32 v3, v2, v3, s26
	v_lshrrev_b32_e32 v5, 20, v3
	v_and_b32_e32 v3, 0xff00000, v3
	s_mov_b32 s26, 0x7f00000
	v_mov_b32_e32 v6, 0x7e
	v_cmp_ne_u32_e32 vcc, s26, v3
	v_cndmask_b32_e32 v3, v6, v5, vcc
; %bb.407:
	s_andn2_saveexec_b64 s[22:23], s[22:23]
; %bb.408:
	s_mov_b32 s26, 0x46800000
	v_add_f32_e64 v3, |v2|, s26
; %bb.409:
	s_or_b64 exec, exec, s[22:23]
                                        ; implicit-def: $vgpr5
.LBB143_410:
	s_andn2_saveexec_b64 s[2:3], s[2:3]
; %bb.411:
	s_mov_b32 s22, 0x7f800000
	v_mov_b32_e32 v3, 0x7e
	v_mov_b32_e32 v6, 0x7f
	v_cmp_lt_u32_e32 vcc, s22, v5
	v_cndmask_b32_e32 v3, v3, v6, vcc
; %bb.412:
	s_or_b64 exec, exec, s[2:3]
	v_lshrrev_b32_e32 v5, 24, v2
	s_movk_i32 s2, 0x80
	v_and_or_b32 v3, v5, s2, v3
	global_store_byte v[0:1], v3, off
.LBB143_413:
	s_mov_b64 s[2:3], 0
.LBB143_414:
	s_andn2_b64 vcc, exec, s[2:3]
	s_cbranch_vccnz .LBB143_424
; %bb.415:
	v_and_b32_e32 v5, 0x7fffffff, v2
	s_mov_b32 s2, 0x47800000
	v_cmp_gt_u32_e32 vcc, s2, v5
                                        ; implicit-def: $vgpr3
	s_and_saveexec_b64 s[2:3], vcc
	s_xor_b64 s[2:3], exec, s[2:3]
	s_cbranch_execz .LBB143_421
; %bb.416:
	s_mov_b32 s22, 0x387fffff
	v_cmp_lt_u32_e32 vcc, s22, v5
                                        ; implicit-def: $vgpr3
	s_and_saveexec_b64 s[22:23], vcc
	s_xor_b64 s[22:23], exec, s[22:23]
; %bb.417:
	v_bfe_u32 v3, v2, 21, 1
	s_mov_b32 s26, 0x80fffff
	v_add3_u32 v3, v2, v3, s26
	v_lshrrev_b32_e32 v3, 21, v3
; %bb.418:
	s_andn2_saveexec_b64 s[22:23], s[22:23]
; %bb.419:
	s_mov_b32 s26, 0x43000000
	v_add_f32_e64 v3, |v2|, s26
; %bb.420:
	s_or_b64 exec, exec, s[22:23]
                                        ; implicit-def: $vgpr5
.LBB143_421:
	s_andn2_saveexec_b64 s[2:3], s[2:3]
; %bb.422:
	s_mov_b32 s22, 0x7f800000
	v_mov_b32_e32 v3, 0x7c
	v_mov_b32_e32 v6, 0x7f
	v_cmp_lt_u32_e32 vcc, s22, v5
	v_cndmask_b32_e32 v3, v3, v6, vcc
; %bb.423:
	s_or_b64 exec, exec, s[2:3]
	v_lshrrev_b32_e32 v5, 24, v2
	s_movk_i32 s2, 0x80
	v_and_or_b32 v3, v5, s2, v3
	global_store_byte v[0:1], v3, off
.LBB143_424:
	s_mov_b64 s[22:23], 0
	s_mov_b64 s[2:3], -1
.LBB143_425:
	s_andn2_b64 vcc, exec, s[22:23]
	s_cbranch_vccnz .LBB143_433
; %bb.426:
	s_cmp_gt_i32 s29, 14
	s_mov_b64 s[22:23], -1
	s_cbranch_scc0 .LBB143_430
; %bb.427:
	s_cmp_eq_u32 s29, 15
	s_mov_b64 s[0:1], -1
	s_cbranch_scc0 .LBB143_429
; %bb.428:
	v_bfe_u32 v3, v2, 16, 1
	s_movk_i32 s0, 0x7fff
	v_add3_u32 v3, v2, v3, s0
	v_cmp_o_f32_e32 vcc, v2, v2
	v_mov_b32_e32 v5, 0x7fc0
	v_cndmask_b32_sdwa v3, v5, v3, vcc dst_sel:DWORD dst_unused:UNUSED_PAD src0_sel:DWORD src1_sel:WORD_1
	global_store_short v[0:1], v3, off
	s_mov_b64 s[2:3], -1
	s_mov_b64 s[0:1], 0
.LBB143_429:
	s_mov_b64 s[22:23], 0
.LBB143_430:
	s_and_b64 vcc, exec, s[22:23]
	s_cbranch_vccz .LBB143_433
; %bb.431:
	s_cmp_eq_u32 s29, 11
	s_mov_b64 s[0:1], -1
	s_cbranch_scc0 .LBB143_433
; %bb.432:
	v_cmp_neq_f32_e32 vcc, 0, v2
	v_cndmask_b32_e64 v3, 0, 1, vcc
	s_mov_b64 s[2:3], -1
	s_mov_b64 s[0:1], 0
	global_store_byte v[0:1], v3, off
.LBB143_433:
	s_mov_b64 s[22:23], 0
.LBB143_434:
	s_and_b64 vcc, exec, s[22:23]
	s_cbranch_vccz .LBB143_473
; %bb.435:
	s_and_b32 s22, 0xffff, s28
	s_cmp_lt_i32 s22, 5
	s_mov_b64 s[2:3], -1
	s_cbranch_scc1 .LBB143_456
; %bb.436:
	s_cmp_lt_i32 s22, 8
	s_cbranch_scc1 .LBB143_446
; %bb.437:
	s_cmp_lt_i32 s22, 9
	s_cbranch_scc1 .LBB143_443
; %bb.438:
	s_cmp_gt_i32 s22, 9
	s_cbranch_scc0 .LBB143_440
; %bb.439:
	v_cvt_f64_f32_e32 v[5:6], v2
	v_mov_b32_e32 v7, 0
	v_mov_b32_e32 v8, v7
	s_mov_b64 s[2:3], 0
	global_store_dwordx4 v[0:1], v[5:8], off
.LBB143_440:
	s_andn2_b64 vcc, exec, s[2:3]
	s_cbranch_vccnz .LBB143_442
; %bb.441:
	v_mov_b32_e32 v3, 0
	global_store_dwordx2 v[0:1], v[2:3], off
.LBB143_442:
	s_mov_b64 s[2:3], 0
.LBB143_443:
	s_andn2_b64 vcc, exec, s[2:3]
	s_cbranch_vccnz .LBB143_445
; %bb.444:
	v_cvt_f16_f32_e32 v3, v2
	global_store_dword v[0:1], v3, off
.LBB143_445:
	s_mov_b64 s[2:3], 0
.LBB143_446:
	s_andn2_b64 vcc, exec, s[2:3]
	s_cbranch_vccnz .LBB143_455
; %bb.447:
	s_cmp_lt_i32 s22, 6
	s_mov_b64 s[2:3], -1
	s_cbranch_scc1 .LBB143_453
; %bb.448:
	s_cmp_gt_i32 s22, 6
	s_cbranch_scc0 .LBB143_450
; %bb.449:
	v_cvt_f64_f32_e32 v[5:6], v2
	s_mov_b64 s[2:3], 0
	global_store_dwordx2 v[0:1], v[5:6], off
.LBB143_450:
	s_andn2_b64 vcc, exec, s[2:3]
	s_cbranch_vccnz .LBB143_452
; %bb.451:
	global_store_dword v[0:1], v2, off
.LBB143_452:
	s_mov_b64 s[2:3], 0
.LBB143_453:
	s_andn2_b64 vcc, exec, s[2:3]
	s_cbranch_vccnz .LBB143_455
; %bb.454:
	v_cvt_f16_f32_e32 v3, v2
	global_store_short v[0:1], v3, off
.LBB143_455:
	s_mov_b64 s[2:3], 0
.LBB143_456:
	s_andn2_b64 vcc, exec, s[2:3]
	s_cbranch_vccnz .LBB143_472
; %bb.457:
	s_cmp_lt_i32 s22, 2
	s_mov_b64 s[2:3], -1
	s_cbranch_scc1 .LBB143_467
; %bb.458:
	s_cmp_lt_i32 s22, 3
	s_cbranch_scc1 .LBB143_464
; %bb.459:
	s_cmp_gt_i32 s22, 3
	s_cbranch_scc0 .LBB143_461
; %bb.460:
	v_trunc_f32_e32 v3, v2
	s_mov_b32 s2, 0x2f800000
	v_mul_f32_e64 v5, |v3|, s2
	v_floor_f32_e32 v5, v5
	s_mov_b32 s2, 0xcf800000
	v_cvt_u32_f32_e32 v6, v5
	v_fma_f32 v5, v5, s2, |v3|
	v_cvt_u32_f32_e32 v5, v5
	v_ashrrev_i32_e32 v3, 31, v3
	v_xor_b32_e32 v6, v6, v3
	s_mov_b64 s[2:3], 0
	v_xor_b32_e32 v5, v5, v3
	v_sub_co_u32_e32 v5, vcc, v5, v3
	v_subb_co_u32_e32 v6, vcc, v6, v3, vcc
	global_store_dwordx2 v[0:1], v[5:6], off
.LBB143_461:
	s_andn2_b64 vcc, exec, s[2:3]
	s_cbranch_vccnz .LBB143_463
; %bb.462:
	v_cvt_i32_f32_e32 v3, v2
	global_store_dword v[0:1], v3, off
.LBB143_463:
	s_mov_b64 s[2:3], 0
.LBB143_464:
	s_andn2_b64 vcc, exec, s[2:3]
	s_cbranch_vccnz .LBB143_466
; %bb.465:
	v_cvt_i32_f32_e32 v3, v2
	global_store_short v[0:1], v3, off
.LBB143_466:
	s_mov_b64 s[2:3], 0
.LBB143_467:
	s_andn2_b64 vcc, exec, s[2:3]
	s_cbranch_vccnz .LBB143_472
; %bb.468:
	s_cmp_gt_i32 s22, 0
	s_mov_b64 s[2:3], -1
	s_cbranch_scc0 .LBB143_470
; %bb.469:
	v_cvt_i32_f32_e32 v3, v2
	s_mov_b64 s[2:3], 0
	global_store_byte v[0:1], v3, off
.LBB143_470:
	s_andn2_b64 vcc, exec, s[2:3]
	s_cbranch_vccnz .LBB143_472
; %bb.471:
	v_trunc_f32_e32 v2, v2
	s_mov_b32 s2, 0x2f800000
	v_mul_f32_e64 v3, |v2|, s2
	v_floor_f32_e32 v3, v3
	s_mov_b32 s2, 0xcf800000
	v_fma_f32 v3, v3, s2, |v2|
	v_cvt_u32_f32_e32 v3, v3
	v_ashrrev_i32_e32 v2, 31, v2
	v_xor_b32_e32 v3, v3, v2
	v_sub_u32_e32 v2, v3, v2
	global_store_byte v[0:1], v2, off
.LBB143_472:
	s_mov_b64 s[2:3], -1
.LBB143_473:
	s_andn2_b64 vcc, exec, s[2:3]
	s_cbranch_vccnz .LBB143_475
; %bb.474:
	v_add_u32_e32 v4, 0x80, v4
	s_mov_b64 s[2:3], -1
	s_branch .LBB143_587
.LBB143_475:
	s_mov_b64 s[2:3], 0
                                        ; implicit-def: $vgpr4
	s_branch .LBB143_587
.LBB143_476:
	s_mov_b64 s[20:21], -1
                                        ; implicit-def: $vgpr2
.LBB143_477:
	s_mov_b64 s[2:3], 0
.LBB143_478:
	s_and_b64 vcc, exec, s[2:3]
	s_cbranch_vccz .LBB143_482
; %bb.479:
	s_cmp_eq_u32 s26, 29
	s_cbranch_scc0 .LBB143_481
; %bb.480:
	global_load_dwordx2 v[2:3], v[0:1], off
	s_mov_b64 s[0:1], -1
	s_mov_b64 s[20:21], 0
	s_mov_b64 s[2:3], 0
	s_waitcnt vmcnt(0)
	v_ffbh_u32_e32 v5, v3
	v_min_u32_e32 v5, 32, v5
	v_lshlrev_b64 v[2:3], v5, v[2:3]
	v_min_u32_e32 v2, 1, v2
	v_or_b32_e32 v2, v3, v2
	v_cvt_f32_u32_e32 v2, v2
	v_sub_u32_e32 v3, 32, v5
	v_ldexp_f32 v2, v2, v3
	s_branch .LBB143_483
.LBB143_481:
	s_mov_b64 s[20:21], -1
                                        ; implicit-def: $vgpr2
.LBB143_482:
	s_mov_b64 s[2:3], 0
.LBB143_483:
	s_and_b64 vcc, exec, s[2:3]
	s_cbranch_vccz .LBB143_501
; %bb.484:
	s_cmp_lt_i32 s26, 27
	s_cbranch_scc1 .LBB143_487
; %bb.485:
	s_cmp_gt_i32 s26, 27
	s_cbranch_scc0 .LBB143_488
; %bb.486:
	global_load_dword v2, v[0:1], off
	s_mov_b64 s[0:1], 0
	s_waitcnt vmcnt(0)
	v_cvt_f32_u32_e32 v2, v2
	s_branch .LBB143_489
.LBB143_487:
	s_mov_b64 s[0:1], -1
                                        ; implicit-def: $vgpr2
	s_branch .LBB143_492
.LBB143_488:
	s_mov_b64 s[0:1], -1
                                        ; implicit-def: $vgpr2
.LBB143_489:
	s_andn2_b64 vcc, exec, s[0:1]
	s_cbranch_vccnz .LBB143_491
; %bb.490:
	global_load_ushort v2, v[0:1], off
	s_waitcnt vmcnt(0)
	v_cvt_f32_u32_e32 v2, v2
.LBB143_491:
	s_mov_b64 s[0:1], 0
.LBB143_492:
	s_andn2_b64 vcc, exec, s[0:1]
	s_cbranch_vccnz .LBB143_500
; %bb.493:
	global_load_ubyte v3, v[0:1], off
	s_movk_i32 s0, 0x7f
	s_waitcnt vmcnt(0)
	v_cmp_lt_i16_e32 vcc, s0, v3
	s_mov_b64 s[0:1], 0
	s_and_saveexec_b64 s[2:3], vcc
	s_xor_b64 s[2:3], exec, s[2:3]
	s_cbranch_execz .LBB143_514
; %bb.494:
	s_movk_i32 s0, 0x80
	v_cmp_eq_u16_e32 vcc, s0, v3
	s_mov_b64 s[0:1], -1
	s_and_saveexec_b64 s[22:23], vcc
; %bb.495:
	s_xor_b64 s[0:1], exec, -1
; %bb.496:
	s_or_b64 exec, exec, s[22:23]
	s_and_b64 s[0:1], s[0:1], exec
	s_or_saveexec_b64 s[2:3], s[2:3]
	v_mov_b32_e32 v2, 0x7f800001
	s_xor_b64 exec, exec, s[2:3]
	s_cbranch_execnz .LBB143_515
.LBB143_497:
	s_or_b64 exec, exec, s[2:3]
	s_and_saveexec_b64 s[2:3], s[0:1]
	s_cbranch_execz .LBB143_499
.LBB143_498:
	v_lshlrev_b32_e32 v2, 24, v3
	v_and_b32_e32 v3, 0xffff, v3
	v_and_b32_e32 v5, 7, v3
	v_ffbh_u32_e32 v7, v5
	v_min_u32_e32 v7, 32, v7
	v_subrev_u32_e32 v8, 28, v7
	v_bfe_u32 v6, v3, 3, 4
	v_lshlrev_b32_e32 v3, v8, v3
	v_sub_u32_e32 v7, 29, v7
	v_and_b32_e32 v3, 7, v3
	v_cmp_eq_u32_e32 vcc, 0, v6
	v_cndmask_b32_e32 v6, v6, v7, vcc
	v_cndmask_b32_e32 v3, v5, v3, vcc
	v_mov_b32_e32 v5, 0x3b800000
	v_lshlrev_b32_e32 v3, 20, v3
	v_and_b32_e32 v2, 0x80000000, v2
	v_lshl_add_u32 v5, v6, 23, v5
	v_or3_b32 v2, v2, v5, v3
.LBB143_499:
	s_or_b64 exec, exec, s[2:3]
.LBB143_500:
	s_mov_b64 s[0:1], -1
.LBB143_501:
	s_mov_b64 s[2:3], 0
.LBB143_502:
	s_and_b64 vcc, exec, s[2:3]
	s_cbranch_vccz .LBB143_537
; %bb.503:
	s_cmp_gt_i32 s26, 22
	s_cbranch_scc0 .LBB143_513
; %bb.504:
	s_cmp_lt_i32 s26, 24
	s_cbranch_scc1 .LBB143_516
; %bb.505:
	s_cmp_gt_i32 s26, 24
	s_cbranch_scc0 .LBB143_517
; %bb.506:
	global_load_ubyte v3, v[0:1], off
	s_movk_i32 s0, 0x7f
	s_waitcnt vmcnt(0)
	v_cmp_lt_i16_e32 vcc, s0, v3
	s_mov_b64 s[0:1], 0
	s_and_saveexec_b64 s[2:3], vcc
	s_xor_b64 s[2:3], exec, s[2:3]
	s_cbranch_execz .LBB143_529
; %bb.507:
	s_movk_i32 s0, 0x80
	v_cmp_eq_u16_e32 vcc, s0, v3
	s_mov_b64 s[0:1], -1
	s_and_saveexec_b64 s[22:23], vcc
; %bb.508:
	s_xor_b64 s[0:1], exec, -1
; %bb.509:
	s_or_b64 exec, exec, s[22:23]
	s_and_b64 s[0:1], s[0:1], exec
	s_or_saveexec_b64 s[2:3], s[2:3]
	v_mov_b32_e32 v2, 0x7f800001
	s_xor_b64 exec, exec, s[2:3]
	s_cbranch_execnz .LBB143_530
.LBB143_510:
	s_or_b64 exec, exec, s[2:3]
	s_and_saveexec_b64 s[2:3], s[0:1]
	s_cbranch_execz .LBB143_512
.LBB143_511:
	v_lshlrev_b32_e32 v2, 24, v3
	v_and_b32_e32 v3, 0xffff, v3
	v_and_b32_e32 v5, 3, v3
	v_ffbh_u32_e32 v7, v5
	v_min_u32_e32 v7, 32, v7
	v_subrev_u32_e32 v8, 29, v7
	v_bfe_u32 v6, v3, 2, 5
	v_lshlrev_b32_e32 v3, v8, v3
	v_sub_u32_e32 v7, 30, v7
	v_and_b32_e32 v3, 3, v3
	v_cmp_eq_u32_e32 vcc, 0, v6
	v_cndmask_b32_e32 v6, v6, v7, vcc
	v_cndmask_b32_e32 v3, v5, v3, vcc
	v_mov_b32_e32 v5, 0x37800000
	v_lshlrev_b32_e32 v3, 21, v3
	v_and_b32_e32 v2, 0x80000000, v2
	v_lshl_add_u32 v5, v6, 23, v5
	v_or3_b32 v2, v2, v5, v3
.LBB143_512:
	s_or_b64 exec, exec, s[2:3]
	s_mov_b64 s[0:1], 0
	s_branch .LBB143_518
.LBB143_513:
	s_mov_b64 s[2:3], -1
                                        ; implicit-def: $vgpr2
	s_branch .LBB143_524
.LBB143_514:
	s_or_saveexec_b64 s[2:3], s[2:3]
	v_mov_b32_e32 v2, 0x7f800001
	s_xor_b64 exec, exec, s[2:3]
	s_cbranch_execz .LBB143_497
.LBB143_515:
	v_cmp_ne_u16_e32 vcc, 0, v3
	s_andn2_b64 s[0:1], s[0:1], exec
	s_and_b64 s[22:23], vcc, exec
	v_mov_b32_e32 v2, 0
	s_or_b64 s[0:1], s[0:1], s[22:23]
	s_or_b64 exec, exec, s[2:3]
	s_and_saveexec_b64 s[2:3], s[0:1]
	s_cbranch_execnz .LBB143_498
	s_branch .LBB143_499
.LBB143_516:
	s_mov_b64 s[0:1], -1
                                        ; implicit-def: $vgpr2
	s_branch .LBB143_521
.LBB143_517:
	s_mov_b64 s[0:1], -1
                                        ; implicit-def: $vgpr2
.LBB143_518:
	s_and_b64 vcc, exec, s[0:1]
	s_cbranch_vccz .LBB143_520
; %bb.519:
	global_load_ubyte v2, v[0:1], off
	s_mov_b32 s0, 0x7f800000
	s_waitcnt vmcnt(0)
	v_lshlrev_b32_e32 v2, 24, v2
	v_and_b32_e32 v3, 0x7f000000, v2
	v_ffbh_u32_e32 v5, v3
	v_min_u32_e32 v5, 32, v5
	v_sub_u32_e64 v5, v5, 4 clamp
	v_lshlrev_b32_e32 v7, v5, v3
	v_lshlrev_b32_e32 v5, 23, v5
	v_lshrrev_b32_e32 v7, 4, v7
	v_add_u32_e32 v6, 0x1000000, v3
	v_sub_u32_e32 v5, v7, v5
	v_ashrrev_i32_e32 v6, 8, v6
	v_add_u32_e32 v5, 0x3c000000, v5
	v_and_or_b32 v5, v6, s0, v5
	v_cmp_ne_u32_e32 vcc, 0, v3
	v_cndmask_b32_e32 v3, 0, v5, vcc
	s_brev_b32 s0, 1
	v_and_or_b32 v2, v2, s0, v3
.LBB143_520:
	s_mov_b64 s[0:1], 0
.LBB143_521:
	s_andn2_b64 vcc, exec, s[0:1]
	s_cbranch_vccnz .LBB143_523
; %bb.522:
	global_load_ubyte v2, v[0:1], off
	s_movk_i32 s0, 0x7f00
	s_brev_b32 s1, 16
	s_waitcnt vmcnt(0)
	v_lshlrev_b16_e32 v3, 8, v2
	v_lshlrev_b32_e32 v2, 25, v2
	v_lshrrev_b32_e32 v5, 4, v2
	v_and_or_b32 v6, v3, s0, 0.5
	v_or_b32_e32 v5, 0x70000000, v5
	v_add_f32_e32 v6, -0.5, v6
	v_mul_f32_e32 v5, 0x7800000, v5
	v_cmp_gt_u32_e32 vcc, s1, v2
	v_bfe_i32 v3, v3, 0, 16
	v_cndmask_b32_e32 v2, v5, v6, vcc
	s_brev_b32 s0, 1
	v_and_or_b32 v2, v3, s0, v2
.LBB143_523:
	s_mov_b64 s[2:3], 0
	s_mov_b64 s[0:1], -1
.LBB143_524:
	s_andn2_b64 vcc, exec, s[2:3]
	s_cbranch_vccnz .LBB143_537
; %bb.525:
	s_cmp_gt_i32 s26, 14
	s_cbranch_scc0 .LBB143_528
; %bb.526:
	s_cmp_eq_u32 s26, 15
	s_cbranch_scc0 .LBB143_531
; %bb.527:
	global_load_ushort v2, v[0:1], off
	s_mov_b64 s[0:1], -1
	s_mov_b64 s[20:21], 0
	s_waitcnt vmcnt(0)
	v_lshlrev_b32_e32 v2, 16, v2
	s_branch .LBB143_532
.LBB143_528:
	s_mov_b64 s[2:3], -1
                                        ; implicit-def: $vgpr2
	s_branch .LBB143_533
.LBB143_529:
	s_or_saveexec_b64 s[2:3], s[2:3]
	v_mov_b32_e32 v2, 0x7f800001
	s_xor_b64 exec, exec, s[2:3]
	s_cbranch_execz .LBB143_510
.LBB143_530:
	v_cmp_ne_u16_e32 vcc, 0, v3
	s_andn2_b64 s[0:1], s[0:1], exec
	s_and_b64 s[22:23], vcc, exec
	v_mov_b32_e32 v2, 0
	s_or_b64 s[0:1], s[0:1], s[22:23]
	s_or_b64 exec, exec, s[2:3]
	s_and_saveexec_b64 s[2:3], s[0:1]
	s_cbranch_execnz .LBB143_511
	s_branch .LBB143_512
.LBB143_531:
	s_mov_b64 s[20:21], -1
                                        ; implicit-def: $vgpr2
.LBB143_532:
	s_mov_b64 s[2:3], 0
.LBB143_533:
	s_and_b64 vcc, exec, s[2:3]
	s_cbranch_vccz .LBB143_537
; %bb.534:
	s_cmp_eq_u32 s26, 11
	s_cbranch_scc0 .LBB143_536
; %bb.535:
	global_load_ubyte v2, v[0:1], off
	s_mov_b64 s[0:1], -1
	s_mov_b64 s[20:21], 0
	s_waitcnt vmcnt(0)
	v_cmp_ne_u16_e32 vcc, 0, v2
	v_cndmask_b32_e64 v2, 0, 1.0, vcc
	s_branch .LBB143_537
.LBB143_536:
	s_mov_b64 s[20:21], -1
                                        ; implicit-def: $vgpr2
.LBB143_537:
	s_branch .LBB143_302
.LBB143_538:
	s_cmp_lt_i32 s26, 5
	s_cbranch_scc1 .LBB143_543
; %bb.539:
	s_cmp_lt_i32 s26, 8
	s_cbranch_scc1 .LBB143_544
; %bb.540:
	;; [unrolled: 3-line block ×3, first 2 shown]
	s_cmp_gt_i32 s26, 9
	s_cbranch_scc0 .LBB143_546
; %bb.542:
	global_load_dwordx2 v[2:3], v[0:1], off
	s_mov_b64 s[0:1], 0
	s_waitcnt vmcnt(0)
	v_cvt_f32_f64_e32 v2, v[2:3]
	s_branch .LBB143_547
.LBB143_543:
	s_mov_b64 s[0:1], -1
                                        ; implicit-def: $vgpr2
	s_branch .LBB143_565
.LBB143_544:
	s_mov_b64 s[0:1], -1
                                        ; implicit-def: $vgpr2
	s_branch .LBB143_553
.LBB143_545:
	s_mov_b64 s[0:1], -1
                                        ; implicit-def: $vgpr2
	s_branch .LBB143_550
.LBB143_546:
	s_mov_b64 s[0:1], -1
                                        ; implicit-def: $vgpr2
.LBB143_547:
	s_andn2_b64 vcc, exec, s[0:1]
	s_cbranch_vccnz .LBB143_549
; %bb.548:
	global_load_dword v2, v[0:1], off
.LBB143_549:
	s_mov_b64 s[0:1], 0
.LBB143_550:
	s_andn2_b64 vcc, exec, s[0:1]
	s_cbranch_vccnz .LBB143_552
; %bb.551:
	global_load_dword v2, v[0:1], off
	s_waitcnt vmcnt(0)
	v_cvt_f32_f16_e32 v2, v2
.LBB143_552:
	s_mov_b64 s[0:1], 0
.LBB143_553:
	s_andn2_b64 vcc, exec, s[0:1]
	s_cbranch_vccnz .LBB143_564
; %bb.554:
	s_cmp_lt_i32 s26, 6
	s_cbranch_scc1 .LBB143_557
; %bb.555:
	s_cmp_gt_i32 s26, 6
	s_cbranch_scc0 .LBB143_558
; %bb.556:
	global_load_dwordx2 v[2:3], v[0:1], off
	s_mov_b64 s[0:1], 0
	s_waitcnt vmcnt(0)
	v_cvt_f32_f64_e32 v2, v[2:3]
	s_branch .LBB143_559
.LBB143_557:
	s_mov_b64 s[0:1], -1
                                        ; implicit-def: $vgpr2
	s_branch .LBB143_562
.LBB143_558:
	s_mov_b64 s[0:1], -1
                                        ; implicit-def: $vgpr2
.LBB143_559:
	s_andn2_b64 vcc, exec, s[0:1]
	s_cbranch_vccnz .LBB143_561
; %bb.560:
	global_load_dword v2, v[0:1], off
.LBB143_561:
	s_mov_b64 s[0:1], 0
.LBB143_562:
	s_andn2_b64 vcc, exec, s[0:1]
	s_cbranch_vccnz .LBB143_564
; %bb.563:
	global_load_ushort v2, v[0:1], off
	s_waitcnt vmcnt(0)
	v_cvt_f32_f16_e32 v2, v2
.LBB143_564:
	s_mov_b64 s[0:1], 0
.LBB143_565:
	s_andn2_b64 vcc, exec, s[0:1]
	s_cbranch_vccnz .LBB143_585
; %bb.566:
	s_cmp_lt_i32 s26, 2
	s_cbranch_scc1 .LBB143_570
; %bb.567:
	s_cmp_lt_i32 s26, 3
	s_cbranch_scc1 .LBB143_571
; %bb.568:
	s_cmp_gt_i32 s26, 3
	s_cbranch_scc0 .LBB143_572
; %bb.569:
	global_load_dwordx2 v[2:3], v[0:1], off
	s_mov_b64 s[0:1], 0
	s_waitcnt vmcnt(0)
	v_xor_b32_e32 v6, v2, v3
	v_ffbh_i32_e32 v5, v3
	v_ashrrev_i32_e32 v6, 31, v6
	v_add_u32_e32 v5, -1, v5
	v_add_u32_e32 v6, 32, v6
	v_min_u32_e32 v5, v5, v6
	v_lshlrev_b64 v[2:3], v5, v[2:3]
	v_min_u32_e32 v2, 1, v2
	v_or_b32_e32 v2, v3, v2
	v_cvt_f32_i32_e32 v2, v2
	v_sub_u32_e32 v3, 32, v5
	v_ldexp_f32 v2, v2, v3
	s_branch .LBB143_573
.LBB143_570:
	s_mov_b64 s[0:1], -1
                                        ; implicit-def: $vgpr2
	s_branch .LBB143_579
.LBB143_571:
	s_mov_b64 s[0:1], -1
                                        ; implicit-def: $vgpr2
	s_branch .LBB143_576
.LBB143_572:
	s_mov_b64 s[0:1], -1
                                        ; implicit-def: $vgpr2
.LBB143_573:
	s_andn2_b64 vcc, exec, s[0:1]
	s_cbranch_vccnz .LBB143_575
; %bb.574:
	global_load_dword v2, v[0:1], off
	s_waitcnt vmcnt(0)
	v_cvt_f32_i32_e32 v2, v2
.LBB143_575:
	s_mov_b64 s[0:1], 0
.LBB143_576:
	s_andn2_b64 vcc, exec, s[0:1]
	s_cbranch_vccnz .LBB143_578
; %bb.577:
	global_load_sshort v2, v[0:1], off
	s_waitcnt vmcnt(0)
	v_cvt_f32_i32_e32 v2, v2
.LBB143_578:
	s_mov_b64 s[0:1], 0
.LBB143_579:
	s_andn2_b64 vcc, exec, s[0:1]
	s_cbranch_vccnz .LBB143_585
; %bb.580:
	s_cmp_gt_i32 s26, 0
	s_cbranch_scc0 .LBB143_582
; %bb.581:
	global_load_sbyte v2, v[0:1], off
	s_mov_b64 s[0:1], 0
	s_waitcnt vmcnt(0)
	v_cvt_f32_i32_e32 v2, v2
	s_branch .LBB143_583
.LBB143_582:
	s_mov_b64 s[0:1], -1
                                        ; implicit-def: $vgpr2
.LBB143_583:
	s_andn2_b64 vcc, exec, s[0:1]
	s_cbranch_vccnz .LBB143_585
; %bb.584:
	global_load_ubyte v0, v[0:1], off
	s_waitcnt vmcnt(0)
	v_cvt_f32_ubyte0_e32 v2, v0
.LBB143_585:
	s_branch .LBB143_303
.LBB143_586:
	s_mov_b64 s[2:3], 0
                                        ; implicit-def: $vgpr4
	s_mov_b64 s[0:1], s[6:7]
.LBB143_587:
	s_andn2_b64 s[22:23], s[6:7], exec
	s_and_b64 s[0:1], s[0:1], exec
	s_or_b64 s[22:23], s[22:23], s[0:1]
	s_andn2_b64 s[0:1], s[16:17], exec
	s_and_b64 s[20:21], s[20:21], exec
	s_or_b64 s[20:21], s[0:1], s[20:21]
	s_orn2_b64 s[0:1], s[2:3], exec
.LBB143_588:
	s_or_b64 exec, exec, s[24:25]
	s_mov_b64 s[2:3], 0
	s_mov_b64 s[26:27], 0
	;; [unrolled: 1-line block ×3, first 2 shown]
                                        ; implicit-def: $vgpr0_vgpr1
                                        ; implicit-def: $vgpr3
	s_and_saveexec_b64 s[24:25], s[0:1]
	s_cbranch_execz .LBB143_971
; %bb.589:
	v_cmp_gt_i32_e32 vcc, s38, v4
	s_mov_b64 s[34:35], -1
	s_mov_b64 s[0:1], s[20:21]
	s_mov_b64 s[2:3], s[22:23]
	s_and_saveexec_b64 s[26:27], vcc
	s_cbranch_execz .LBB143_885
; %bb.590:
	v_mul_lo_u32 v0, v4, s11
	v_mov_b32_e32 v1, s15
	s_and_b32 s34, 0xffff, s42
	s_cmp_lt_i32 s34, 11
	s_waitcnt vmcnt(0)
	v_ashrrev_i32_e32 v2, 31, v0
	v_add_co_u32_e32 v0, vcc, s14, v0
	v_addc_co_u32_e32 v1, vcc, v1, v2, vcc
	s_cbranch_scc1 .LBB143_597
; %bb.591:
	s_cmp_gt_i32 s34, 25
	s_cbranch_scc0 .LBB143_598
; %bb.592:
	s_cmp_gt_i32 s34, 28
	s_cbranch_scc0 .LBB143_599
	;; [unrolled: 3-line block ×4, first 2 shown]
; %bb.595:
	s_cmp_eq_u32 s34, 46
	s_mov_b64 s[2:3], 0
	s_cbranch_scc0 .LBB143_606
; %bb.596:
	global_load_dword v2, v[0:1], off
	s_mov_b64 s[0:1], -1
	s_waitcnt vmcnt(0)
	v_lshlrev_b32_e32 v2, 16, v2
	s_branch .LBB143_607
.LBB143_597:
	s_mov_b64 s[2:3], -1
	s_mov_b64 s[0:1], 0
                                        ; implicit-def: $vgpr2
	s_mov_b64 s[28:29], s[20:21]
	s_branch .LBB143_672
.LBB143_598:
	s_mov_b64 s[2:3], -1
	s_mov_b64 s[0:1], 0
	s_mov_b64 s[28:29], s[20:21]
                                        ; implicit-def: $vgpr2
	s_branch .LBB143_636
.LBB143_599:
	s_mov_b64 s[2:3], -1
	s_mov_b64 s[0:1], 0
	s_mov_b64 s[28:29], s[20:21]
                                        ; implicit-def: $vgpr2
	s_branch .LBB143_617
.LBB143_600:
	s_mov_b64 s[2:3], -1
	s_mov_b64 s[0:1], 0
	s_mov_b64 s[28:29], s[20:21]
                                        ; implicit-def: $vgpr2
	s_branch .LBB143_612
.LBB143_601:
	s_andn2_saveexec_b64 s[26:27], s[26:27]
	s_cbranch_execz .LBB143_386
.LBB143_602:
	s_mov_b32 s30, 0x46000000
	v_add_f32_e64 v3, |v2|, s30
	v_and_b32_e32 v3, 0xff, v3
	v_cmp_ne_u32_e32 vcc, 0, v3
	s_andn2_b64 s[22:23], s[22:23], exec
	s_and_b64 s[30:31], vcc, exec
	s_or_b64 s[22:23], s[22:23], s[30:31]
	s_or_b64 exec, exec, s[26:27]
	v_mov_b32_e32 v5, 0
	s_and_saveexec_b64 s[26:27], s[22:23]
	s_cbranch_execnz .LBB143_387
	s_branch .LBB143_388
.LBB143_603:
	s_mov_b64 s[2:3], -1
	s_mov_b64 s[0:1], 0
	s_mov_b64 s[28:29], s[20:21]
                                        ; implicit-def: $vgpr2
	s_branch .LBB143_607
.LBB143_604:
	s_andn2_saveexec_b64 s[26:27], s[26:27]
	s_cbranch_execz .LBB143_399
.LBB143_605:
	s_mov_b32 s30, 0x42800000
	v_add_f32_e64 v3, |v2|, s30
	v_and_b32_e32 v3, 0xff, v3
	v_cmp_ne_u32_e32 vcc, 0, v3
	s_andn2_b64 s[22:23], s[22:23], exec
	s_and_b64 s[30:31], vcc, exec
	s_or_b64 s[22:23], s[22:23], s[30:31]
	s_or_b64 exec, exec, s[26:27]
	v_mov_b32_e32 v5, 0
	s_and_saveexec_b64 s[26:27], s[22:23]
	s_cbranch_execnz .LBB143_400
	s_branch .LBB143_401
.LBB143_606:
	s_mov_b64 s[28:29], -1
                                        ; implicit-def: $vgpr2
	s_mov_b64 s[0:1], 0
.LBB143_607:
	s_and_b64 vcc, exec, s[2:3]
	s_cbranch_vccz .LBB143_611
; %bb.608:
	s_cmp_eq_u32 s34, 44
	s_cbranch_scc0 .LBB143_610
; %bb.609:
	global_load_ubyte v2, v[0:1], off
	s_movk_i32 s2, 0xff
	v_mov_b32_e32 v3, 0x7f800001
	v_mov_b32_e32 v5, 0x400000
	s_mov_b64 s[0:1], -1
	s_mov_b64 s[28:29], 0
	s_waitcnt vmcnt(0)
	v_lshlrev_b32_e32 v6, 23, v2
	v_cmp_ne_u32_e32 vcc, s2, v2
	v_cndmask_b32_e32 v3, v3, v6, vcc
	v_cmp_ne_u32_e32 vcc, 0, v2
	v_cndmask_b32_e32 v2, v5, v3, vcc
	s_branch .LBB143_611
.LBB143_610:
	s_mov_b64 s[28:29], -1
                                        ; implicit-def: $vgpr2
.LBB143_611:
	s_mov_b64 s[2:3], 0
.LBB143_612:
	s_and_b64 vcc, exec, s[2:3]
	s_cbranch_vccz .LBB143_616
; %bb.613:
	s_cmp_eq_u32 s34, 29
	s_cbranch_scc0 .LBB143_615
; %bb.614:
	global_load_dwordx2 v[2:3], v[0:1], off
	s_mov_b64 s[0:1], -1
	s_mov_b64 s[28:29], 0
	s_mov_b64 s[2:3], 0
	s_waitcnt vmcnt(0)
	v_ffbh_u32_e32 v5, v3
	v_min_u32_e32 v5, 32, v5
	v_lshlrev_b64 v[2:3], v5, v[2:3]
	v_min_u32_e32 v2, 1, v2
	v_or_b32_e32 v2, v3, v2
	v_cvt_f32_u32_e32 v2, v2
	v_sub_u32_e32 v3, 32, v5
	v_ldexp_f32 v2, v2, v3
	s_branch .LBB143_617
.LBB143_615:
	s_mov_b64 s[28:29], -1
                                        ; implicit-def: $vgpr2
.LBB143_616:
	s_mov_b64 s[2:3], 0
.LBB143_617:
	s_and_b64 vcc, exec, s[2:3]
	s_cbranch_vccz .LBB143_635
; %bb.618:
	s_cmp_lt_i32 s34, 27
	s_cbranch_scc1 .LBB143_621
; %bb.619:
	s_cmp_gt_i32 s34, 27
	s_cbranch_scc0 .LBB143_622
; %bb.620:
	global_load_dword v2, v[0:1], off
	s_mov_b64 s[0:1], 0
	s_waitcnt vmcnt(0)
	v_cvt_f32_u32_e32 v2, v2
	s_branch .LBB143_623
.LBB143_621:
	s_mov_b64 s[0:1], -1
                                        ; implicit-def: $vgpr2
	s_branch .LBB143_626
.LBB143_622:
	s_mov_b64 s[0:1], -1
                                        ; implicit-def: $vgpr2
.LBB143_623:
	s_andn2_b64 vcc, exec, s[0:1]
	s_cbranch_vccnz .LBB143_625
; %bb.624:
	global_load_ushort v2, v[0:1], off
	s_waitcnt vmcnt(0)
	v_cvt_f32_u32_e32 v2, v2
.LBB143_625:
	s_mov_b64 s[0:1], 0
.LBB143_626:
	s_andn2_b64 vcc, exec, s[0:1]
	s_cbranch_vccnz .LBB143_634
; %bb.627:
	global_load_ubyte v3, v[0:1], off
	s_movk_i32 s0, 0x7f
	s_waitcnt vmcnt(0)
	v_cmp_lt_i16_e32 vcc, s0, v3
	s_mov_b64 s[0:1], 0
	s_and_saveexec_b64 s[2:3], vcc
	s_xor_b64 s[2:3], exec, s[2:3]
	s_cbranch_execz .LBB143_648
; %bb.628:
	s_movk_i32 s0, 0x80
	v_cmp_eq_u16_e32 vcc, s0, v3
	s_mov_b64 s[0:1], -1
	s_and_saveexec_b64 s[30:31], vcc
; %bb.629:
	s_xor_b64 s[0:1], exec, -1
; %bb.630:
	s_or_b64 exec, exec, s[30:31]
	s_and_b64 s[0:1], s[0:1], exec
	s_or_saveexec_b64 s[2:3], s[2:3]
	v_mov_b32_e32 v2, 0x7f800001
	s_xor_b64 exec, exec, s[2:3]
	s_cbranch_execnz .LBB143_649
.LBB143_631:
	s_or_b64 exec, exec, s[2:3]
	s_and_saveexec_b64 s[2:3], s[0:1]
	s_cbranch_execz .LBB143_633
.LBB143_632:
	v_lshlrev_b32_e32 v2, 24, v3
	v_and_b32_e32 v3, 0xffff, v3
	v_and_b32_e32 v5, 7, v3
	v_ffbh_u32_e32 v7, v5
	v_min_u32_e32 v7, 32, v7
	v_subrev_u32_e32 v8, 28, v7
	v_bfe_u32 v6, v3, 3, 4
	v_lshlrev_b32_e32 v3, v8, v3
	v_sub_u32_e32 v7, 29, v7
	v_and_b32_e32 v3, 7, v3
	v_cmp_eq_u32_e32 vcc, 0, v6
	v_cndmask_b32_e32 v6, v6, v7, vcc
	v_cndmask_b32_e32 v3, v5, v3, vcc
	v_mov_b32_e32 v5, 0x3b800000
	v_lshlrev_b32_e32 v3, 20, v3
	v_and_b32_e32 v2, 0x80000000, v2
	v_lshl_add_u32 v5, v6, 23, v5
	v_or3_b32 v2, v2, v5, v3
.LBB143_633:
	s_or_b64 exec, exec, s[2:3]
.LBB143_634:
	s_mov_b64 s[0:1], -1
.LBB143_635:
	s_mov_b64 s[2:3], 0
.LBB143_636:
	s_and_b64 vcc, exec, s[2:3]
	s_cbranch_vccz .LBB143_671
; %bb.637:
	s_cmp_gt_i32 s34, 22
	s_cbranch_scc0 .LBB143_647
; %bb.638:
	s_cmp_lt_i32 s34, 24
	s_cbranch_scc1 .LBB143_650
; %bb.639:
	s_cmp_gt_i32 s34, 24
	s_cbranch_scc0 .LBB143_651
; %bb.640:
	global_load_ubyte v3, v[0:1], off
	s_movk_i32 s0, 0x7f
	s_waitcnt vmcnt(0)
	v_cmp_lt_i16_e32 vcc, s0, v3
	s_mov_b64 s[0:1], 0
	s_and_saveexec_b64 s[2:3], vcc
	s_xor_b64 s[2:3], exec, s[2:3]
	s_cbranch_execz .LBB143_663
; %bb.641:
	s_movk_i32 s0, 0x80
	v_cmp_eq_u16_e32 vcc, s0, v3
	s_mov_b64 s[0:1], -1
	s_and_saveexec_b64 s[30:31], vcc
; %bb.642:
	s_xor_b64 s[0:1], exec, -1
; %bb.643:
	s_or_b64 exec, exec, s[30:31]
	s_and_b64 s[0:1], s[0:1], exec
	s_or_saveexec_b64 s[2:3], s[2:3]
	v_mov_b32_e32 v2, 0x7f800001
	s_xor_b64 exec, exec, s[2:3]
	s_cbranch_execnz .LBB143_664
.LBB143_644:
	s_or_b64 exec, exec, s[2:3]
	s_and_saveexec_b64 s[2:3], s[0:1]
	s_cbranch_execz .LBB143_646
.LBB143_645:
	v_lshlrev_b32_e32 v2, 24, v3
	v_and_b32_e32 v3, 0xffff, v3
	v_and_b32_e32 v5, 3, v3
	v_ffbh_u32_e32 v7, v5
	v_min_u32_e32 v7, 32, v7
	v_subrev_u32_e32 v8, 29, v7
	v_bfe_u32 v6, v3, 2, 5
	v_lshlrev_b32_e32 v3, v8, v3
	v_sub_u32_e32 v7, 30, v7
	v_and_b32_e32 v3, 3, v3
	v_cmp_eq_u32_e32 vcc, 0, v6
	v_cndmask_b32_e32 v6, v6, v7, vcc
	v_cndmask_b32_e32 v3, v5, v3, vcc
	v_mov_b32_e32 v5, 0x37800000
	v_lshlrev_b32_e32 v3, 21, v3
	v_and_b32_e32 v2, 0x80000000, v2
	v_lshl_add_u32 v5, v6, 23, v5
	v_or3_b32 v2, v2, v5, v3
.LBB143_646:
	s_or_b64 exec, exec, s[2:3]
	s_mov_b64 s[0:1], 0
	s_branch .LBB143_652
.LBB143_647:
	s_mov_b64 s[2:3], -1
                                        ; implicit-def: $vgpr2
	s_branch .LBB143_658
.LBB143_648:
	s_or_saveexec_b64 s[2:3], s[2:3]
	v_mov_b32_e32 v2, 0x7f800001
	s_xor_b64 exec, exec, s[2:3]
	s_cbranch_execz .LBB143_631
.LBB143_649:
	v_cmp_ne_u16_e32 vcc, 0, v3
	s_andn2_b64 s[0:1], s[0:1], exec
	s_and_b64 s[30:31], vcc, exec
	v_mov_b32_e32 v2, 0
	s_or_b64 s[0:1], s[0:1], s[30:31]
	s_or_b64 exec, exec, s[2:3]
	s_and_saveexec_b64 s[2:3], s[0:1]
	s_cbranch_execnz .LBB143_632
	s_branch .LBB143_633
.LBB143_650:
	s_mov_b64 s[0:1], -1
                                        ; implicit-def: $vgpr2
	s_branch .LBB143_655
.LBB143_651:
	s_mov_b64 s[0:1], -1
                                        ; implicit-def: $vgpr2
.LBB143_652:
	s_and_b64 vcc, exec, s[0:1]
	s_cbranch_vccz .LBB143_654
; %bb.653:
	global_load_ubyte v2, v[0:1], off
	s_mov_b32 s0, 0x7f800000
	s_waitcnt vmcnt(0)
	v_lshlrev_b32_e32 v2, 24, v2
	v_and_b32_e32 v3, 0x7f000000, v2
	v_ffbh_u32_e32 v5, v3
	v_min_u32_e32 v5, 32, v5
	v_sub_u32_e64 v5, v5, 4 clamp
	v_lshlrev_b32_e32 v7, v5, v3
	v_lshlrev_b32_e32 v5, 23, v5
	v_lshrrev_b32_e32 v7, 4, v7
	v_add_u32_e32 v6, 0x1000000, v3
	v_sub_u32_e32 v5, v7, v5
	v_ashrrev_i32_e32 v6, 8, v6
	v_add_u32_e32 v5, 0x3c000000, v5
	v_and_or_b32 v5, v6, s0, v5
	v_cmp_ne_u32_e32 vcc, 0, v3
	v_cndmask_b32_e32 v3, 0, v5, vcc
	s_brev_b32 s0, 1
	v_and_or_b32 v2, v2, s0, v3
.LBB143_654:
	s_mov_b64 s[0:1], 0
.LBB143_655:
	s_andn2_b64 vcc, exec, s[0:1]
	s_cbranch_vccnz .LBB143_657
; %bb.656:
	global_load_ubyte v2, v[0:1], off
	s_movk_i32 s0, 0x7f00
	s_brev_b32 s1, 16
	s_waitcnt vmcnt(0)
	v_lshlrev_b16_e32 v3, 8, v2
	v_lshlrev_b32_e32 v2, 25, v2
	v_lshrrev_b32_e32 v5, 4, v2
	v_and_or_b32 v6, v3, s0, 0.5
	v_or_b32_e32 v5, 0x70000000, v5
	v_add_f32_e32 v6, -0.5, v6
	v_mul_f32_e32 v5, 0x7800000, v5
	v_cmp_gt_u32_e32 vcc, s1, v2
	v_bfe_i32 v3, v3, 0, 16
	v_cndmask_b32_e32 v2, v5, v6, vcc
	s_brev_b32 s0, 1
	v_and_or_b32 v2, v3, s0, v2
.LBB143_657:
	s_mov_b64 s[2:3], 0
	s_mov_b64 s[0:1], -1
.LBB143_658:
	s_andn2_b64 vcc, exec, s[2:3]
	s_cbranch_vccnz .LBB143_671
; %bb.659:
	s_cmp_gt_i32 s34, 14
	s_cbranch_scc0 .LBB143_662
; %bb.660:
	s_cmp_eq_u32 s34, 15
	s_cbranch_scc0 .LBB143_665
; %bb.661:
	global_load_ushort v2, v[0:1], off
	s_mov_b64 s[0:1], -1
	s_mov_b64 s[28:29], 0
	s_waitcnt vmcnt(0)
	v_lshlrev_b32_e32 v2, 16, v2
	s_branch .LBB143_666
.LBB143_662:
	s_mov_b64 s[2:3], -1
                                        ; implicit-def: $vgpr2
	s_branch .LBB143_667
.LBB143_663:
	s_or_saveexec_b64 s[2:3], s[2:3]
	v_mov_b32_e32 v2, 0x7f800001
	s_xor_b64 exec, exec, s[2:3]
	s_cbranch_execz .LBB143_644
.LBB143_664:
	v_cmp_ne_u16_e32 vcc, 0, v3
	s_andn2_b64 s[0:1], s[0:1], exec
	s_and_b64 s[30:31], vcc, exec
	v_mov_b32_e32 v2, 0
	s_or_b64 s[0:1], s[0:1], s[30:31]
	s_or_b64 exec, exec, s[2:3]
	s_and_saveexec_b64 s[2:3], s[0:1]
	s_cbranch_execnz .LBB143_645
	s_branch .LBB143_646
.LBB143_665:
	s_mov_b64 s[28:29], -1
                                        ; implicit-def: $vgpr2
.LBB143_666:
	s_mov_b64 s[2:3], 0
.LBB143_667:
	s_and_b64 vcc, exec, s[2:3]
	s_cbranch_vccz .LBB143_671
; %bb.668:
	s_cmp_eq_u32 s34, 11
	s_cbranch_scc0 .LBB143_670
; %bb.669:
	global_load_ubyte v2, v[0:1], off
	s_mov_b64 s[0:1], -1
	s_mov_b64 s[28:29], 0
	s_waitcnt vmcnt(0)
	v_cmp_ne_u16_e32 vcc, 0, v2
	v_cndmask_b32_e64 v2, 0, 1.0, vcc
	s_branch .LBB143_671
.LBB143_670:
	s_mov_b64 s[28:29], -1
                                        ; implicit-def: $vgpr2
.LBB143_671:
	s_mov_b64 s[2:3], 0
.LBB143_672:
	s_and_b64 vcc, exec, s[2:3]
	s_cbranch_vccz .LBB143_721
; %bb.673:
	s_cmp_lt_i32 s34, 5
	s_cbranch_scc1 .LBB143_678
; %bb.674:
	s_cmp_lt_i32 s34, 8
	s_cbranch_scc1 .LBB143_679
; %bb.675:
	s_cmp_lt_i32 s34, 9
	s_cbranch_scc1 .LBB143_680
; %bb.676:
	s_cmp_gt_i32 s34, 9
	s_cbranch_scc0 .LBB143_681
; %bb.677:
	global_load_dwordx2 v[2:3], v[0:1], off
	s_mov_b64 s[0:1], 0
	s_waitcnt vmcnt(0)
	v_cvt_f32_f64_e32 v2, v[2:3]
	s_branch .LBB143_682
.LBB143_678:
	s_mov_b64 s[0:1], -1
                                        ; implicit-def: $vgpr2
	s_branch .LBB143_700
.LBB143_679:
	s_mov_b64 s[0:1], -1
                                        ; implicit-def: $vgpr2
	s_branch .LBB143_688
.LBB143_680:
	s_mov_b64 s[0:1], -1
                                        ; implicit-def: $vgpr2
	s_branch .LBB143_685
.LBB143_681:
	s_mov_b64 s[0:1], -1
                                        ; implicit-def: $vgpr2
.LBB143_682:
	s_andn2_b64 vcc, exec, s[0:1]
	s_cbranch_vccnz .LBB143_684
; %bb.683:
	global_load_dword v2, v[0:1], off
.LBB143_684:
	s_mov_b64 s[0:1], 0
.LBB143_685:
	s_andn2_b64 vcc, exec, s[0:1]
	s_cbranch_vccnz .LBB143_687
; %bb.686:
	global_load_dword v2, v[0:1], off
	s_waitcnt vmcnt(0)
	v_cvt_f32_f16_e32 v2, v2
.LBB143_687:
	s_mov_b64 s[0:1], 0
.LBB143_688:
	s_andn2_b64 vcc, exec, s[0:1]
	s_cbranch_vccnz .LBB143_699
; %bb.689:
	s_cmp_lt_i32 s34, 6
	s_cbranch_scc1 .LBB143_692
; %bb.690:
	s_cmp_gt_i32 s34, 6
	s_cbranch_scc0 .LBB143_693
; %bb.691:
	global_load_dwordx2 v[2:3], v[0:1], off
	s_mov_b64 s[0:1], 0
	s_waitcnt vmcnt(0)
	v_cvt_f32_f64_e32 v2, v[2:3]
	s_branch .LBB143_694
.LBB143_692:
	s_mov_b64 s[0:1], -1
                                        ; implicit-def: $vgpr2
	s_branch .LBB143_697
.LBB143_693:
	s_mov_b64 s[0:1], -1
                                        ; implicit-def: $vgpr2
.LBB143_694:
	s_andn2_b64 vcc, exec, s[0:1]
	s_cbranch_vccnz .LBB143_696
; %bb.695:
	global_load_dword v2, v[0:1], off
.LBB143_696:
	s_mov_b64 s[0:1], 0
.LBB143_697:
	s_andn2_b64 vcc, exec, s[0:1]
	s_cbranch_vccnz .LBB143_699
; %bb.698:
	global_load_ushort v2, v[0:1], off
	s_waitcnt vmcnt(0)
	v_cvt_f32_f16_e32 v2, v2
.LBB143_699:
	s_mov_b64 s[0:1], 0
.LBB143_700:
	s_andn2_b64 vcc, exec, s[0:1]
	s_cbranch_vccnz .LBB143_720
; %bb.701:
	s_cmp_lt_i32 s34, 2
	s_cbranch_scc1 .LBB143_705
; %bb.702:
	s_cmp_lt_i32 s34, 3
	s_cbranch_scc1 .LBB143_706
; %bb.703:
	s_cmp_gt_i32 s34, 3
	s_cbranch_scc0 .LBB143_707
; %bb.704:
	global_load_dwordx2 v[2:3], v[0:1], off
	s_mov_b64 s[0:1], 0
	s_waitcnt vmcnt(0)
	v_xor_b32_e32 v6, v2, v3
	v_ffbh_i32_e32 v5, v3
	v_ashrrev_i32_e32 v6, 31, v6
	v_add_u32_e32 v5, -1, v5
	v_add_u32_e32 v6, 32, v6
	v_min_u32_e32 v5, v5, v6
	v_lshlrev_b64 v[2:3], v5, v[2:3]
	v_min_u32_e32 v2, 1, v2
	v_or_b32_e32 v2, v3, v2
	v_cvt_f32_i32_e32 v2, v2
	v_sub_u32_e32 v3, 32, v5
	v_ldexp_f32 v2, v2, v3
	s_branch .LBB143_708
.LBB143_705:
	s_mov_b64 s[0:1], -1
                                        ; implicit-def: $vgpr2
	s_branch .LBB143_714
.LBB143_706:
	s_mov_b64 s[0:1], -1
                                        ; implicit-def: $vgpr2
	s_branch .LBB143_711
.LBB143_707:
	s_mov_b64 s[0:1], -1
                                        ; implicit-def: $vgpr2
.LBB143_708:
	s_andn2_b64 vcc, exec, s[0:1]
	s_cbranch_vccnz .LBB143_710
; %bb.709:
	global_load_dword v2, v[0:1], off
	s_waitcnt vmcnt(0)
	v_cvt_f32_i32_e32 v2, v2
.LBB143_710:
	s_mov_b64 s[0:1], 0
.LBB143_711:
	s_andn2_b64 vcc, exec, s[0:1]
	s_cbranch_vccnz .LBB143_713
; %bb.712:
	global_load_sshort v2, v[0:1], off
	s_waitcnt vmcnt(0)
	v_cvt_f32_i32_e32 v2, v2
.LBB143_713:
	s_mov_b64 s[0:1], 0
.LBB143_714:
	s_andn2_b64 vcc, exec, s[0:1]
	s_cbranch_vccnz .LBB143_720
; %bb.715:
	s_cmp_gt_i32 s34, 0
	s_cbranch_scc0 .LBB143_717
; %bb.716:
	global_load_sbyte v2, v[0:1], off
	s_mov_b64 s[0:1], 0
	s_waitcnt vmcnt(0)
	v_cvt_f32_i32_e32 v2, v2
	s_branch .LBB143_718
.LBB143_717:
	s_mov_b64 s[0:1], -1
                                        ; implicit-def: $vgpr2
.LBB143_718:
	s_andn2_b64 vcc, exec, s[0:1]
	s_cbranch_vccnz .LBB143_720
; %bb.719:
	global_load_ubyte v0, v[0:1], off
	s_waitcnt vmcnt(0)
	v_cvt_f32_ubyte0_e32 v2, v0
.LBB143_720:
	s_mov_b64 s[0:1], -1
.LBB143_721:
	s_andn2_b64 vcc, exec, s[0:1]
	s_cbranch_vccnz .LBB143_767
; %bb.722:
	s_mov_b32 s0, 0x3c800000
	s_waitcnt vmcnt(0)
	v_and_b32_e32 v0, 0x7fffffff, v2
	v_cmp_nlt_f32_e64 s[0:1], |v2|, s0
                                        ; implicit-def: $vgpr1
	s_and_saveexec_b64 s[2:3], s[0:1]
	s_xor_b64 s[2:3], exec, s[2:3]
	s_cbranch_execz .LBB143_752
; %bb.723:
	v_cmp_nlt_f32_e64 s[0:1], |v2|, 2.0
                                        ; implicit-def: $vgpr1
	s_and_saveexec_b64 s[30:31], s[0:1]
	s_xor_b64 s[30:31], exec, s[30:31]
	s_cbranch_execz .LBB143_733
; %bb.724:
	s_mov_b32 s0, 0x41000000
	v_cmp_nlt_f32_e64 s[0:1], |v2|, s0
                                        ; implicit-def: $vgpr1
	s_and_saveexec_b64 s[34:35], s[0:1]
	s_xor_b64 s[34:35], exec, s[34:35]
	s_cbranch_execz .LBB143_730
; %bb.725:
	s_mov_b32 s0, 0x5c800000
	v_cmp_nlt_f32_e64 s[0:1], |v2|, s0
                                        ; implicit-def: $vgpr1
	s_and_saveexec_b64 s[36:37], s[0:1]
	s_xor_b64 s[36:37], exec, s[36:37]
	s_cbranch_execz .LBB143_727
; %bb.726:
	s_mov_b32 s0, 0x800000
	v_cmp_lt_f32_e64 vcc, |v2|, s0
	v_cndmask_b32_e64 v1, 0, 32, vcc
	v_ldexp_f32 v1, |v2|, v1
	v_log_f32_e32 v1, v1
	s_mov_b32 s0, 0x3f317217
	s_mov_b32 s1, 0x7f800000
	v_mul_f32_e32 v3, 0x3f317217, v1
	v_fma_f32 v5, v1, s0, -v3
	v_fmac_f32_e32 v5, 0x3377d1cf, v1
	v_add_f32_e32 v3, v3, v5
	v_cmp_lt_f32_e64 s[0:1], |v1|, s1
	v_cndmask_b32_e64 v1, v1, v3, s[0:1]
	v_mov_b32_e32 v3, 0x41b17218
	v_cndmask_b32_e32 v3, 0, v3, vcc
	v_sub_f32_e32 v1, v1, v3
	v_fma_f32 v1, |v2|, v1, -|v2|
.LBB143_727:
	s_andn2_saveexec_b64 s[36:37], s[36:37]
	s_cbranch_execz .LBB143_729
; %bb.728:
	v_rcp_f32_e64 v3, |v2|
	v_mov_b32_e32 v1, 0x3a5b3dd2
	v_mov_b32_e32 v5, 0xba1c065c
	;; [unrolled: 1-line block ×3, first 2 shown]
	v_mul_f32_e32 v7, v3, v3
	v_fmac_f32_e32 v1, 0xbad5c4e8, v7
	v_fmac_f32_e32 v5, v7, v1
	s_mov_b32 s0, 0x800000
	v_fmac_f32_e32 v6, v7, v5
	v_mov_b32_e32 v1, 0xbb360b61
	v_cmp_lt_f32_e64 vcc, |v2|, s0
	v_fmac_f32_e32 v1, v7, v6
	v_cndmask_b32_e64 v6, 0, 32, vcc
	v_ldexp_f32 v6, |v2|, v6
	v_log_f32_e32 v6, v6
	v_mov_b32_e32 v5, 0x3daaaaab
	v_fmac_f32_e32 v5, v7, v1
	v_mov_b32_e32 v1, 0x3ed67f1d
	v_fmac_f32_e32 v1, v3, v5
	s_mov_b32 s0, 0x3f317217
	v_mul_f32_e32 v5, 0x3f317217, v6
	v_fma_f32 v7, v6, s0, -v5
	v_fmac_f32_e32 v7, 0x3377d1cf, v6
	s_mov_b32 s0, 0x7f800000
	v_add_f32_e32 v5, v5, v7
	v_cmp_lt_f32_e64 s[0:1], |v6|, s0
	v_cndmask_b32_e64 v5, v6, v5, s[0:1]
	v_mov_b32_e32 v6, 0x41b17218
	v_cndmask_b32_e32 v6, 0, v6, vcc
	v_sub_f32_e32 v5, v5, v6
	v_add_f32_e64 v3, |v2|, -0.5
	v_add_f32_e32 v5, -1.0, v5
	v_fmac_f32_e32 v1, v3, v5
.LBB143_729:
	s_or_b64 exec, exec, s[36:37]
.LBB143_730:
	s_andn2_saveexec_b64 s[34:35], s[34:35]
	s_cbranch_execz .LBB143_732
; %bb.731:
	v_cvt_i32_f32_e32 v1, v0
	v_mov_b32_e32 v3, 0x3af135b4
	v_mov_b32_e32 v5, 0x3cda40e4
	;; [unrolled: 1-line block ×3, first 2 shown]
	v_cvt_f32_i32_e32 v7, v1
	v_mov_b32_e32 v8, 0x3ea6cc7a
	v_mov_b32_e32 v9, 0x3e5c245a
	v_cmp_lt_i32_e32 vcc, 2, v1
	v_sub_f32_e64 v7, |v2|, v7
	v_fmac_f32_e32 v3, 0x3805ff67, v7
	v_fmac_f32_e32 v5, v7, v3
	;; [unrolled: 1-line block ×3, first 2 shown]
	v_mov_b32_e32 v5, 0x3a4beed6
	v_fmac_f32_e32 v8, v7, v6
	v_fmac_f32_e32 v5, 0x36f5d7bd, v7
	v_mov_b32_e32 v6, 0x3c98bf54
	v_fmac_f32_e32 v6, v7, v5
	v_mov_b32_e32 v5, 0x3e300f6e
	;; [unrolled: 2-line block ×4, first 2 shown]
	v_fmac_f32_e32 v5, v7, v6
	v_add_f32_e32 v6, 2.0, v7
	v_mov_b32_e32 v10, 0xbd9e233f
	v_fmac_f32_e32 v9, v7, v8
	v_add_f32_e32 v8, 0x40400000, v7
	v_cndmask_b32_e32 v6, 1.0, v6, vcc
	v_cmp_lt_i32_e32 vcc, 3, v1
	v_fmac_f32_e32 v10, v7, v9
	v_add_f32_e32 v9, 4.0, v7
	v_cndmask_b32_e32 v8, 1.0, v8, vcc
	v_cmp_lt_i32_e32 vcc, 4, v1
	v_mul_f32_e32 v3, v7, v10
	v_add_f32_e32 v10, 0x40a00000, v7
	v_mul_f32_e32 v6, v6, v8
	v_cndmask_b32_e32 v8, 1.0, v9, vcc
	v_cmp_lt_i32_e32 vcc, 5, v1
	v_add_f32_e32 v11, 0x40c00000, v7
	v_mul_f32_e32 v6, v8, v6
	v_cndmask_b32_e32 v8, 1.0, v10, vcc
	v_cmp_lt_i32_e32 vcc, 6, v1
	v_mul_f32_e32 v6, v8, v6
	v_cndmask_b32_e32 v1, 1.0, v11, vcc
	v_mul_f32_e32 v1, v1, v6
	s_mov_b32 s0, 0x800000
	v_cmp_gt_f32_e32 vcc, s0, v1
	v_cndmask_b32_e64 v6, 0, 32, vcc
	v_fma_f32 v5, v7, v5, 1.0
	v_ldexp_f32 v1, v1, v6
	v_rcp_f32_e32 v5, v5
	v_log_f32_e32 v1, v1
	s_mov_b32 s0, 0x3f317217
	v_mul_f32_e32 v3, v3, v5
	v_mul_f32_e32 v5, 0x3f317217, v1
	v_fma_f32 v6, v1, s0, -v5
	v_fmac_f32_e32 v6, 0x3377d1cf, v1
	s_mov_b32 s0, 0x7f800000
	v_add_f32_e32 v5, v5, v6
	v_cmp_lt_f32_e64 s[0:1], |v1|, s0
	v_cndmask_b32_e64 v1, v1, v5, s[0:1]
	v_mov_b32_e32 v5, 0x41b17218
	v_cndmask_b32_e32 v5, 0, v5, vcc
	v_fmac_f32_e32 v3, 0.5, v7
	v_sub_f32_e32 v1, v1, v5
	v_add_f32_e32 v1, v1, v3
.LBB143_732:
	s_or_b64 exec, exec, s[34:35]
.LBB143_733:
	s_andn2_saveexec_b64 s[30:31], s[30:31]
	s_cbranch_execz .LBB143_751
; %bb.734:
	s_mov_b32 s0, 0x3f666666
	v_cmp_le_f32_e64 s[0:1], |v2|, s0
                                        ; implicit-def: $vgpr1
                                        ; implicit-def: $vgpr5
                                        ; implicit-def: $vgpr3
	s_and_saveexec_b64 s[34:35], s[0:1]
	s_xor_b64 s[34:35], exec, s[34:35]
	s_cbranch_execz .LBB143_736
; %bb.735:
	s_mov_b32 s0, 0x800000
	v_cmp_lt_f32_e64 vcc, |v2|, s0
	v_cndmask_b32_e64 v1, 0, 32, vcc
	v_ldexp_f32 v1, |v2|, v1
	v_log_f32_e32 v1, v1
	s_mov_b32 s0, 0x3f317217
	s_mov_b32 s1, 0x7f800000
	v_mul_f32_e32 v3, 0x3f317217, v1
	v_fma_f32 v5, v1, s0, -v3
	v_fmac_f32_e32 v5, 0x3377d1cf, v1
	v_add_f32_e32 v3, v3, v5
	v_cmp_lt_f32_e64 s[0:1], |v1|, s1
	v_cndmask_b32_e64 v1, v1, v3, s[0:1]
	v_mov_b32_e32 v3, 0x41b17218
	v_cndmask_b32_e32 v3, 0, v3, vcc
	s_mov_b32 s0, 0x3f3b4a23
	s_mov_b32 s1, 0xbeec5b0c
	v_sub_f32_e32 v1, v1, v3
	v_sub_f32_e64 v3, 1.0, |v2|
	v_add_f32_e64 v5, |v2|, s1
	v_cmp_lt_f32_e64 vcc, |v2|, s0
	s_mov_b32 s0, 0x3e6d3309
	v_cndmask_b32_e32 v3, v3, v5, vcc
	v_cndmask_b32_e64 v5, 0, 1, vcc
	v_cmp_lt_f32_e64 s[0:1], |v2|, s0
	v_xor_b32_e32 v1, 0x80000000, v1
	v_cndmask_b32_e64 v3, v3, |v2|, s[0:1]
	v_cndmask_b32_e64 v5, v5, 2, s[0:1]
.LBB143_736:
	s_andn2_saveexec_b64 s[0:1], s[34:35]
	s_cbranch_execz .LBB143_738
; %bb.737:
	s_mov_b32 s34, 0x3fdda512
	s_mov_b32 s35, 0xbfbb16c3
	v_sub_f32_e64 v1, 2.0, |v2|
	v_add_f32_e64 v3, |v2|, s35
	v_cmp_lt_f32_e64 vcc, |v2|, s34
	v_cndmask_b32_e32 v3, v1, v3, vcc
	v_cndmask_b32_e64 v1, v1, 1.0, vcc
	v_cvt_i32_f32_e32 v1, v1
	s_mov_b32 s34, 0x3f9d70a4
	v_add_f32_e64 v5, |v2|, -1.0
	v_cmp_lt_f32_e64 vcc, |v2|, s34
	v_cndmask_b32_e32 v3, v3, v5, vcc
	v_cndmask_b32_e64 v5, v1, 2, vcc
	v_mov_b32_e32 v1, 0
.LBB143_738:
	s_or_b64 exec, exec, s[0:1]
	v_cmp_lt_i32_e32 vcc, 0, v5
	s_and_saveexec_b64 s[0:1], vcc
	s_xor_b64 s[0:1], exec, s[0:1]
	s_cbranch_execz .LBB143_746
; %bb.739:
	v_cmp_lt_i32_e32 vcc, 1, v5
	s_and_saveexec_b64 s[34:35], vcc
	s_xor_b64 s[34:35], exec, s[34:35]
	s_cbranch_execz .LBB143_743
; %bb.740:
	v_cmp_eq_u32_e32 vcc, 2, v5
	s_and_saveexec_b64 s[36:37], vcc
	s_cbranch_execz .LBB143_742
; %bb.741:
	v_mov_b32_e32 v5, 0x3e6a7578
	v_fmac_f32_e32 v5, 0x3c5b3c5e, v3
	v_mov_b32_e32 v6, 0x3f7a4bb2
	v_fmac_f32_e32 v6, v3, v5
	;; [unrolled: 2-line block ×8, first 2 shown]
	v_fma_f32 v5, v3, v7, 1.0
	v_rcp_f32_e32 v5, v5
	v_mov_b32_e32 v7, 0xbd9e233f
	v_fmac_f32_e32 v7, v3, v6
	v_mul_f32_e32 v6, v3, v7
	v_mul_f32_e32 v5, v6, v5
	v_fmac_f32_e32 v5, -0.5, v3
	v_add_f32_e32 v1, v1, v5
.LBB143_742:
	s_or_b64 exec, exec, s[36:37]
                                        ; implicit-def: $vgpr3
.LBB143_743:
	s_andn2_saveexec_b64 s[34:35], s[34:35]
	s_cbranch_execz .LBB143_745
; %bb.744:
	v_mul_f32_e32 v5, v3, v3
	v_mul_f32_e32 v6, v3, v5
	v_mov_b32_e32 v7, 0xbab7f476
	v_fmac_f32_e32 v7, 0x39a57b6b, v6
	v_mov_b32_e32 v8, 0x3bc7e707
	v_fmac_f32_e32 v8, v6, v7
	v_mov_b32_e32 v7, 0xbd064d47
	v_fmac_f32_e32 v7, v6, v8
	v_mov_b32_e32 v8, 0x3ef7b95e
	v_fmac_f32_e32 v8, v6, v7
	v_mov_b32_e32 v7, 0x3a66f867
	v_fmac_f32_e32 v7, 0xb9a3f927, v6
	v_mov_b32_e32 v9, 0xbb7177fe
	v_fmac_f32_e32 v9, v6, v7
	v_mov_b32_e32 v7, 0x3c93373d
	v_fmac_f32_e32 v7, v6, v9
	v_mov_b32_e32 v9, 0xbe17213c
	v_fmac_f32_e32 v9, v6, v7
	v_mov_b32_e32 v7, 0xba0d3085
	v_fmac_f32_e32 v7, 0x39afe9f7, v6
	v_mov_b32_e32 v10, 0x3b141699
	v_fmac_f32_e32 v10, v6, v7
	v_mov_b32_e32 v7, 0xbc28fcfe
	v_fmac_f32_e32 v7, v6, v10
	v_mov_b32_e32 v10, 0x3d845a15
	v_fmac_f32_e32 v10, v6, v7
	v_fmac_f32_e32 v9, v3, v10
	s_mov_b32 s36, 0xa2863e55
	v_fma_f32 v3, v6, -v9, s36
	v_fma_f32 v3, v5, v8, -v3
	v_add_f32_e32 v3, 0xbdf8cdce, v3
	v_add_f32_e32 v1, v1, v3
.LBB143_745:
	s_or_b64 exec, exec, s[34:35]
                                        ; implicit-def: $vgpr5
                                        ; implicit-def: $vgpr3
.LBB143_746:
	s_andn2_saveexec_b64 s[0:1], s[0:1]
	s_cbranch_execz .LBB143_750
; %bb.747:
	v_cmp_eq_u32_e32 vcc, 0, v5
	s_and_saveexec_b64 s[34:35], vcc
	s_cbranch_execz .LBB143_749
; %bb.748:
	v_mul_f32_e32 v5, v3, v3
	v_mov_b32_e32 v6, 0x39679767
	v_fmac_f32_e32 v6, 0x37d383a2, v5
	v_mov_b32_e32 v7, 0x3a9c54a1
	v_fmac_f32_e32 v7, v5, v6
	;; [unrolled: 2-line block ×10, first 2 shown]
	v_mul_f32_e32 v5, v5, v7
	v_fmac_f32_e32 v5, v3, v6
	v_fmac_f32_e32 v5, -0.5, v3
	v_add_f32_e32 v1, v1, v5
.LBB143_749:
	s_or_b64 exec, exec, s[34:35]
.LBB143_750:
	s_or_b64 exec, exec, s[0:1]
.LBB143_751:
	s_or_b64 exec, exec, s[30:31]
.LBB143_752:
	s_andn2_saveexec_b64 s[2:3], s[2:3]
	s_cbranch_execz .LBB143_754
; %bb.753:
	s_mov_b32 s0, 0x3e8a8991
	v_mov_b32_e32 v1, 0xbecd26ab
	v_fma_f32 v1, |v2|, s0, v1
	s_mov_b32 s0, 0x3f528d33
	v_fma_f32 v1, |v2|, v1, s0
	s_mov_b32 s0, 0x800000
	v_cmp_lt_f32_e64 vcc, |v2|, s0
	v_cndmask_b32_e64 v3, 0, 32, vcc
	v_ldexp_f32 v3, |v2|, v3
	v_log_f32_e32 v3, v3
	s_mov_b32 s0, 0xbf13c468
	v_fma_f32 v1, |v2|, v1, s0
	s_mov_b32 s0, 0x3f317217
	v_mul_f32_e32 v5, 0x3f317217, v3
	v_fma_f32 v6, v3, s0, -v5
	v_fmac_f32_e32 v6, 0x3377d1cf, v3
	s_mov_b32 s0, 0x7f800000
	v_add_f32_e32 v5, v5, v6
	v_cmp_lt_f32_e64 s[0:1], |v3|, s0
	v_cndmask_b32_e64 v3, v3, v5, s[0:1]
	v_mov_b32_e32 v5, 0x41b17218
	v_cndmask_b32_e32 v5, 0, v5, vcc
	v_sub_f32_e32 v3, v3, v5
	v_fma_f32 v1, |v2|, v1, -v3
.LBB143_754:
	s_or_b64 exec, exec, s[2:3]
	v_cmp_le_f32_e32 vcc, 0, v2
	v_cmp_nle_f32_e64 s[0:1], 0, v2
	s_and_saveexec_b64 s[2:3], s[0:1]
	s_xor_b64 s[30:31], exec, s[2:3]
	s_cbranch_execz .LBB143_758
; %bb.755:
	s_mov_b32 s0, 0x4b000000
	s_mov_b32 s2, 0x35000000
	v_cmp_lt_f32_e64 s[0:1], |v2|, s0
	v_cmp_gt_f32_e64 s[2:3], |v2|, s2
	s_and_b64 s[0:1], s[0:1], s[2:3]
	s_and_saveexec_b64 s[34:35], s[0:1]
	s_cbranch_execz .LBB143_757
; %bb.756:
	v_mul_f32_e64 v3, |v2|, 0.5
	v_floor_f32_e32 v5, v3
	v_sub_f32_e32 v5, v3, v5
	v_min_f32_e32 v5, 0x3f7fffff, v5
	s_mov_b32 s2, 0x7f800000
	v_add_f32_e32 v5, v5, v5
	v_cmp_neq_f32_e64 s[0:1], s2, v3
	v_cndmask_b32_e64 v3, 0, v5, s[0:1]
	v_cmp_gt_f32_e64 s[0:1], |v2|, 1.0
	v_cndmask_b32_e64 v3, |v2|, v3, s[0:1]
	v_add_f32_e32 v5, v3, v3
	v_rndne_f32_e32 v5, v5
	v_fmac_f32_e32 v3, -0.5, v5
	v_mul_f32_e32 v6, v3, v3
	v_mov_b32_e32 v7, 0xbf1f24be
	v_fmac_f32_e32 v7, 0x3e75aa41, v6
	v_mov_b32_e32 v8, 0x40234736
	v_fmac_f32_e32 v8, v6, v7
	;; [unrolled: 2-line block ×3, first 2 shown]
	v_mul_f32_e32 v8, v3, v6
	v_mul_f32_e32 v7, v8, v7
	v_fmac_f32_e32 v7, 0x40490fdb, v3
	v_mov_b32_e32 v3, 0x3e642e9d
	v_cvt_i32_f32_e32 v5, v5
	v_fmac_f32_e32 v3, 0x3d4be544, v6
	v_mov_b32_e32 v8, 0xbfaad1da
	v_fmac_f32_e32 v8, v6, v3
	v_mov_b32_e32 v3, 0x4081e0d3
	;; [unrolled: 2-line block ×3, first 2 shown]
	v_fmac_f32_e32 v8, v6, v3
	v_fma_f32 v3, v6, v8, 1.0
	v_and_b32_e32 v6, 1, v5
	v_lshlrev_b32_e32 v5, 30, v5
	v_cmp_eq_u32_e64 s[0:1], 0, v6
	v_and_b32_e32 v5, 0x80000000, v5
	v_xor_b32_e32 v0, v0, v2
	v_cndmask_b32_e64 v3, v3, v7, s[0:1]
	v_xor_b32_e32 v0, v0, v5
	v_xor_b32_e32 v0, v0, v3
	v_mul_f32_e32 v0, v2, v0
	v_frexp_mant_f32_e64 v3, |v0|
	v_rcp_f32_e32 v3, v3
	v_frexp_exp_i32_f32_e32 v0, v0
	v_sub_u32_e32 v0, 2, v0
	s_mov_b32 s0, 0x800000
	v_mul_f32_e32 v3, 0x3f490fdb, v3
	v_ldexp_f32 v0, v3, v0
	v_cmp_gt_f32_e64 s[0:1], s0, v0
	v_cndmask_b32_e64 v3, 0, 32, s[0:1]
	v_ldexp_f32 v0, v0, v3
	v_log_f32_e32 v0, v0
	s_mov_b32 s3, 0x3f317217
	v_mul_f32_e32 v3, 0x3f317217, v0
	v_fma_f32 v5, v0, s3, -v3
	v_fmac_f32_e32 v5, 0x3377d1cf, v0
	v_add_f32_e32 v3, v3, v5
	v_cmp_lt_f32_e64 s[2:3], |v0|, s2
	v_cndmask_b32_e64 v0, v0, v3, s[2:3]
	v_mov_b32_e32 v3, 0x41b17218
	v_cndmask_b32_e64 v3, 0, v3, s[0:1]
	v_sub_f32_e32 v0, v0, v3
	v_sub_f32_e32 v0, v0, v1
	v_floor_f32_e32 v1, v2
	v_sub_f32_e32 v1, v2, v1
	v_min_f32_e32 v1, 0x3f7fffff, v1
	v_mov_b32_e32 v3, 0x7f800000
	v_cmp_neq_f32_e64 s[0:1], 0, v1
	v_cndmask_b32_e64 v1, v3, v0, s[0:1]
.LBB143_757:
	s_or_b64 exec, exec, s[34:35]
.LBB143_758:
	s_andn2_saveexec_b64 s[30:31], s[30:31]
; %bb.759:
	v_cmp_eq_f32_e64 s[0:1], 1.0, v2
	v_cmp_eq_f32_e64 s[2:3], 2.0, v2
	s_or_b64 s[0:1], s[0:1], s[2:3]
	v_cndmask_b32_e64 v1, v1, 0, s[0:1]
; %bb.760:
	s_or_b64 exec, exec, s[30:31]
	s_mov_b32 s0, 0x4b000000
	v_cmp_lt_f32_e64 s[0:1], |v2|, s0
	v_mul_lo_u32 v5, v4, s10
	v_mov_b32_e32 v0, 0x264
	v_mov_b32_e32 v3, 0x7f800000
	s_or_b64 vcc, vcc, s[0:1]
	v_cndmask_b32_e32 v1, v3, v1, vcc
	v_cmp_class_f32_e32 vcc, v2, v0
	v_cndmask_b32_e32 v0, v1, v3, vcc
	v_cmp_u_f32_e32 vcc, v2, v2
	v_cndmask_b32_e32 v2, v0, v2, vcc
	v_ashrrev_i32_e32 v1, 31, v5
	v_mov_b32_e32 v3, s13
	s_and_b32 s36, s33, 0xff
	v_add_co_u32_e32 v0, vcc, s12, v5
	s_cmp_lt_i32 s36, 11
	v_addc_co_u32_e32 v1, vcc, v3, v1, vcc
	s_cbranch_scc1 .LBB143_768
; %bb.761:
	s_and_b32 s37, 0xffff, s36
	s_cmp_gt_i32 s37, 25
	s_cbranch_scc0 .LBB143_769
; %bb.762:
	s_cmp_gt_i32 s37, 28
	s_cbranch_scc0 .LBB143_770
; %bb.763:
	s_cmp_gt_i32 s37, 43
	s_cbranch_scc0 .LBB143_771
; %bb.764:
	s_cmp_gt_i32 s37, 45
	s_cbranch_scc0 .LBB143_772
; %bb.765:
	s_mov_b64 s[30:31], 0
	s_mov_b64 s[0:1], -1
	s_cmp_eq_u32 s37, 46
	s_mov_b64 s[2:3], 0
	s_cbranch_scc0 .LBB143_773
; %bb.766:
	v_bfe_u32 v3, v2, 16, 1
	s_movk_i32 s0, 0x7fff
	v_add3_u32 v3, v2, v3, s0
	v_cmp_o_f32_e32 vcc, v2, v2
	v_mov_b32_e32 v5, 0x7fc0
	v_cndmask_b32_sdwa v3, v5, v3, vcc dst_sel:DWORD dst_unused:UNUSED_PAD src0_sel:DWORD src1_sel:WORD_1
	global_store_dword v[0:1], v3, off
	s_mov_b64 s[2:3], -1
	s_mov_b64 s[0:1], 0
	s_branch .LBB143_773
.LBB143_767:
	s_mov_b64 s[30:31], 0
                                        ; implicit-def: $vgpr4
	s_mov_b64 s[0:1], s[22:23]
	s_branch .LBB143_884
.LBB143_768:
	s_mov_b64 s[30:31], -1
	s_mov_b64 s[2:3], 0
	s_mov_b64 s[0:1], s[22:23]
	s_branch .LBB143_842
.LBB143_769:
	s_mov_b64 s[30:31], -1
	s_mov_b64 s[2:3], 0
	s_mov_b64 s[0:1], s[22:23]
	s_branch .LBB143_800
.LBB143_770:
	s_mov_b64 s[30:31], -1
	s_mov_b64 s[2:3], 0
	s_mov_b64 s[0:1], s[22:23]
	s_branch .LBB143_783
.LBB143_771:
	s_mov_b64 s[30:31], -1
	s_mov_b64 s[2:3], 0
	s_mov_b64 s[0:1], s[22:23]
	s_branch .LBB143_779
.LBB143_772:
	s_mov_b64 s[30:31], -1
	s_mov_b64 s[2:3], 0
	s_mov_b64 s[0:1], s[22:23]
.LBB143_773:
	s_and_b64 vcc, exec, s[30:31]
	s_cbranch_vccz .LBB143_778
; %bb.774:
	s_cmp_eq_u32 s37, 44
	s_mov_b64 s[0:1], -1
	s_cbranch_scc0 .LBB143_778
; %bb.775:
	v_bfe_u32 v3, v2, 23, 8
	s_movk_i32 s0, 0xff
	v_cmp_ne_u32_e32 vcc, s0, v3
	v_mov_b32_e32 v5, 0xff
	s_and_saveexec_b64 s[2:3], vcc
; %bb.776:
	s_mov_b32 s0, 0x3fffff
	v_and_b32_e32 v6, 0x400000, v2
	v_and_or_b32 v3, v2, s0, v3
	v_cmp_ne_u32_e32 vcc, 0, v6
	v_cmp_ne_u32_e64 s[0:1], 0, v3
	s_and_b64 s[0:1], vcc, s[0:1]
	v_lshrrev_b32_e32 v5, 23, v2
	v_cndmask_b32_e64 v3, 0, 1, s[0:1]
	v_add_u32_e32 v5, v5, v3
; %bb.777:
	s_or_b64 exec, exec, s[2:3]
	s_mov_b64 s[2:3], -1
	s_mov_b64 s[0:1], 0
	global_store_byte v[0:1], v5, off
.LBB143_778:
	s_mov_b64 s[30:31], 0
.LBB143_779:
	s_and_b64 vcc, exec, s[30:31]
	s_cbranch_vccz .LBB143_782
; %bb.780:
	s_cmp_eq_u32 s37, 29
	s_mov_b64 s[0:1], -1
	s_cbranch_scc0 .LBB143_782
; %bb.781:
	v_trunc_f32_e32 v3, v2
	v_mul_f32_e32 v5, 0x2f800000, v3
	v_floor_f32_e32 v5, v5
	v_fmac_f32_e32 v3, 0xcf800000, v5
	v_cvt_u32_f32_e32 v6, v5
	v_cvt_u32_f32_e32 v5, v3
	s_mov_b64 s[2:3], -1
	s_mov_b64 s[0:1], 0
	s_mov_b64 s[30:31], 0
	global_store_dwordx2 v[0:1], v[5:6], off
	s_branch .LBB143_783
.LBB143_782:
	s_mov_b64 s[30:31], 0
.LBB143_783:
	s_and_b64 vcc, exec, s[30:31]
	s_cbranch_vccz .LBB143_799
; %bb.784:
	s_cmp_lt_i32 s37, 27
	s_mov_b64 s[2:3], -1
	s_cbranch_scc1 .LBB143_790
; %bb.785:
	v_cvt_u32_f32_e32 v3, v2
	s_cmp_gt_i32 s37, 27
	s_cbranch_scc0 .LBB143_787
; %bb.786:
	s_mov_b64 s[2:3], 0
	global_store_dword v[0:1], v3, off
.LBB143_787:
	s_andn2_b64 vcc, exec, s[2:3]
	s_cbranch_vccnz .LBB143_789
; %bb.788:
	global_store_short v[0:1], v3, off
.LBB143_789:
	s_mov_b64 s[2:3], 0
.LBB143_790:
	s_andn2_b64 vcc, exec, s[2:3]
	s_cbranch_vccnz .LBB143_798
; %bb.791:
	v_and_b32_e32 v3, 0x7fffffff, v2
	s_mov_b32 s2, 0x43800000
	v_cmp_gt_u32_e32 vcc, s2, v3
	v_mov_b32_e32 v5, 0x80
	s_and_saveexec_b64 s[2:3], vcc
	s_cbranch_execz .LBB143_797
; %bb.792:
	s_mov_b32 s30, 0x3bffffff
	v_cmp_lt_u32_e32 vcc, s30, v3
	s_mov_b64 s[30:31], 0
                                        ; implicit-def: $vgpr3
	s_and_saveexec_b64 s[34:35], vcc
	s_xor_b64 s[34:35], exec, s[34:35]
	s_cbranch_execz .LBB143_898
; %bb.793:
	v_bfe_u32 v3, v2, 20, 1
	s_mov_b32 s39, 0x487ffff
	v_add3_u32 v3, v2, v3, s39
	s_mov_b64 s[30:31], exec
	v_lshrrev_b32_e32 v3, 20, v3
	s_andn2_saveexec_b64 s[34:35], s[34:35]
	s_cbranch_execnz .LBB143_899
.LBB143_794:
	s_or_b64 exec, exec, s[34:35]
	v_mov_b32_e32 v5, 0
	s_and_saveexec_b64 s[34:35], s[30:31]
.LBB143_795:
	v_lshrrev_b32_e32 v5, 24, v2
	s_movk_i32 s30, 0x80
	v_and_or_b32 v5, v5, s30, v3
.LBB143_796:
	s_or_b64 exec, exec, s[34:35]
.LBB143_797:
	s_or_b64 exec, exec, s[2:3]
	global_store_byte v[0:1], v5, off
.LBB143_798:
	s_mov_b64 s[2:3], -1
.LBB143_799:
	s_mov_b64 s[30:31], 0
.LBB143_800:
	s_and_b64 vcc, exec, s[30:31]
	s_cbranch_vccz .LBB143_841
; %bb.801:
	s_cmp_gt_i32 s37, 22
	s_mov_b64 s[30:31], -1
	s_cbranch_scc0 .LBB143_833
; %bb.802:
	s_cmp_lt_i32 s37, 24
	s_mov_b64 s[2:3], -1
	s_cbranch_scc1 .LBB143_822
; %bb.803:
	s_cmp_gt_i32 s37, 24
	s_cbranch_scc0 .LBB143_811
; %bb.804:
	v_and_b32_e32 v3, 0x7fffffff, v2
	s_mov_b32 s2, 0x47800000
	v_cmp_gt_u32_e32 vcc, s2, v3
	v_mov_b32_e32 v5, 0x80
	s_and_saveexec_b64 s[2:3], vcc
	s_cbranch_execz .LBB143_810
; %bb.805:
	s_mov_b32 s30, 0x37ffffff
	v_cmp_lt_u32_e32 vcc, s30, v3
	s_mov_b64 s[30:31], 0
                                        ; implicit-def: $vgpr3
	s_and_saveexec_b64 s[34:35], vcc
	s_xor_b64 s[34:35], exec, s[34:35]
	s_cbranch_execz .LBB143_901
; %bb.806:
	v_bfe_u32 v3, v2, 21, 1
	s_mov_b32 s39, 0x88fffff
	v_add3_u32 v3, v2, v3, s39
	s_mov_b64 s[30:31], exec
	v_lshrrev_b32_e32 v3, 21, v3
	s_andn2_saveexec_b64 s[34:35], s[34:35]
	s_cbranch_execnz .LBB143_902
.LBB143_807:
	s_or_b64 exec, exec, s[34:35]
	v_mov_b32_e32 v5, 0
	s_and_saveexec_b64 s[34:35], s[30:31]
.LBB143_808:
	v_lshrrev_b32_e32 v5, 24, v2
	s_movk_i32 s30, 0x80
	v_and_or_b32 v5, v5, s30, v3
.LBB143_809:
	s_or_b64 exec, exec, s[34:35]
.LBB143_810:
	s_or_b64 exec, exec, s[2:3]
	s_mov_b64 s[2:3], 0
	global_store_byte v[0:1], v5, off
.LBB143_811:
	s_and_b64 vcc, exec, s[2:3]
	s_cbranch_vccz .LBB143_821
; %bb.812:
	v_and_b32_e32 v5, 0x7fffffff, v2
	s_mov_b32 s2, 0x43f00000
	v_cmp_gt_u32_e32 vcc, s2, v5
                                        ; implicit-def: $vgpr3
	s_and_saveexec_b64 s[2:3], vcc
	s_xor_b64 s[2:3], exec, s[2:3]
	s_cbranch_execz .LBB143_818
; %bb.813:
	s_mov_b32 s30, 0x3c7fffff
	v_cmp_lt_u32_e32 vcc, s30, v5
                                        ; implicit-def: $vgpr3
	s_and_saveexec_b64 s[30:31], vcc
	s_xor_b64 s[30:31], exec, s[30:31]
; %bb.814:
	v_bfe_u32 v3, v2, 20, 1
	s_mov_b32 s34, 0x407ffff
	v_add3_u32 v3, v2, v3, s34
	v_lshrrev_b32_e32 v5, 20, v3
	v_and_b32_e32 v3, 0xff00000, v3
	s_mov_b32 s34, 0x7f00000
	v_mov_b32_e32 v6, 0x7e
	v_cmp_ne_u32_e32 vcc, s34, v3
	v_cndmask_b32_e32 v3, v6, v5, vcc
; %bb.815:
	s_andn2_saveexec_b64 s[30:31], s[30:31]
; %bb.816:
	s_mov_b32 s34, 0x46800000
	v_add_f32_e64 v3, |v2|, s34
; %bb.817:
	s_or_b64 exec, exec, s[30:31]
                                        ; implicit-def: $vgpr5
.LBB143_818:
	s_andn2_saveexec_b64 s[2:3], s[2:3]
; %bb.819:
	s_mov_b32 s30, 0x7f800000
	v_mov_b32_e32 v3, 0x7e
	v_mov_b32_e32 v6, 0x7f
	v_cmp_lt_u32_e32 vcc, s30, v5
	v_cndmask_b32_e32 v3, v3, v6, vcc
; %bb.820:
	s_or_b64 exec, exec, s[2:3]
	v_lshrrev_b32_e32 v5, 24, v2
	s_movk_i32 s2, 0x80
	v_and_or_b32 v3, v5, s2, v3
	global_store_byte v[0:1], v3, off
.LBB143_821:
	s_mov_b64 s[2:3], 0
.LBB143_822:
	s_andn2_b64 vcc, exec, s[2:3]
	s_cbranch_vccnz .LBB143_832
; %bb.823:
	v_and_b32_e32 v5, 0x7fffffff, v2
	s_mov_b32 s2, 0x47800000
	v_cmp_gt_u32_e32 vcc, s2, v5
                                        ; implicit-def: $vgpr3
	s_and_saveexec_b64 s[2:3], vcc
	s_xor_b64 s[2:3], exec, s[2:3]
	s_cbranch_execz .LBB143_829
; %bb.824:
	s_mov_b32 s30, 0x387fffff
	v_cmp_lt_u32_e32 vcc, s30, v5
                                        ; implicit-def: $vgpr3
	s_and_saveexec_b64 s[30:31], vcc
	s_xor_b64 s[30:31], exec, s[30:31]
; %bb.825:
	v_bfe_u32 v3, v2, 21, 1
	s_mov_b32 s34, 0x80fffff
	v_add3_u32 v3, v2, v3, s34
	v_lshrrev_b32_e32 v3, 21, v3
; %bb.826:
	s_andn2_saveexec_b64 s[30:31], s[30:31]
; %bb.827:
	s_mov_b32 s34, 0x43000000
	v_add_f32_e64 v3, |v2|, s34
; %bb.828:
	s_or_b64 exec, exec, s[30:31]
                                        ; implicit-def: $vgpr5
.LBB143_829:
	s_andn2_saveexec_b64 s[2:3], s[2:3]
; %bb.830:
	s_mov_b32 s30, 0x7f800000
	v_mov_b32_e32 v3, 0x7c
	v_mov_b32_e32 v6, 0x7f
	v_cmp_lt_u32_e32 vcc, s30, v5
	v_cndmask_b32_e32 v3, v3, v6, vcc
; %bb.831:
	s_or_b64 exec, exec, s[2:3]
	v_lshrrev_b32_e32 v5, 24, v2
	s_movk_i32 s2, 0x80
	v_and_or_b32 v3, v5, s2, v3
	global_store_byte v[0:1], v3, off
.LBB143_832:
	s_mov_b64 s[30:31], 0
	s_mov_b64 s[2:3], -1
.LBB143_833:
	s_andn2_b64 vcc, exec, s[30:31]
	s_cbranch_vccnz .LBB143_841
; %bb.834:
	s_cmp_gt_i32 s37, 14
	s_mov_b64 s[30:31], -1
	s_cbranch_scc0 .LBB143_838
; %bb.835:
	s_cmp_eq_u32 s37, 15
	s_mov_b64 s[0:1], -1
	s_cbranch_scc0 .LBB143_837
; %bb.836:
	v_bfe_u32 v3, v2, 16, 1
	s_movk_i32 s0, 0x7fff
	v_add3_u32 v3, v2, v3, s0
	v_cmp_o_f32_e32 vcc, v2, v2
	v_mov_b32_e32 v5, 0x7fc0
	v_cndmask_b32_sdwa v3, v5, v3, vcc dst_sel:DWORD dst_unused:UNUSED_PAD src0_sel:DWORD src1_sel:WORD_1
	global_store_short v[0:1], v3, off
	s_mov_b64 s[2:3], -1
	s_mov_b64 s[0:1], 0
.LBB143_837:
	s_mov_b64 s[30:31], 0
.LBB143_838:
	s_and_b64 vcc, exec, s[30:31]
	s_cbranch_vccz .LBB143_841
; %bb.839:
	s_cmp_eq_u32 s37, 11
	s_mov_b64 s[0:1], -1
	s_cbranch_scc0 .LBB143_841
; %bb.840:
	v_cmp_neq_f32_e32 vcc, 0, v2
	v_cndmask_b32_e64 v3, 0, 1, vcc
	s_mov_b64 s[2:3], -1
	s_mov_b64 s[0:1], 0
	global_store_byte v[0:1], v3, off
.LBB143_841:
	s_mov_b64 s[30:31], 0
.LBB143_842:
	s_and_b64 vcc, exec, s[30:31]
	s_cbranch_vccz .LBB143_881
; %bb.843:
	s_and_b32 s30, 0xffff, s36
	s_cmp_lt_i32 s30, 5
	s_mov_b64 s[2:3], -1
	s_cbranch_scc1 .LBB143_864
; %bb.844:
	s_cmp_lt_i32 s30, 8
	s_cbranch_scc1 .LBB143_854
; %bb.845:
	s_cmp_lt_i32 s30, 9
	s_cbranch_scc1 .LBB143_851
; %bb.846:
	s_cmp_gt_i32 s30, 9
	s_cbranch_scc0 .LBB143_848
; %bb.847:
	v_cvt_f64_f32_e32 v[5:6], v2
	v_mov_b32_e32 v7, 0
	v_mov_b32_e32 v8, v7
	s_mov_b64 s[2:3], 0
	global_store_dwordx4 v[0:1], v[5:8], off
.LBB143_848:
	s_andn2_b64 vcc, exec, s[2:3]
	s_cbranch_vccnz .LBB143_850
; %bb.849:
	v_mov_b32_e32 v3, 0
	global_store_dwordx2 v[0:1], v[2:3], off
.LBB143_850:
	s_mov_b64 s[2:3], 0
.LBB143_851:
	s_andn2_b64 vcc, exec, s[2:3]
	s_cbranch_vccnz .LBB143_853
; %bb.852:
	v_cvt_f16_f32_e32 v3, v2
	global_store_dword v[0:1], v3, off
.LBB143_853:
	s_mov_b64 s[2:3], 0
.LBB143_854:
	s_andn2_b64 vcc, exec, s[2:3]
	s_cbranch_vccnz .LBB143_863
; %bb.855:
	s_cmp_lt_i32 s30, 6
	s_mov_b64 s[2:3], -1
	s_cbranch_scc1 .LBB143_861
; %bb.856:
	s_cmp_gt_i32 s30, 6
	s_cbranch_scc0 .LBB143_858
; %bb.857:
	v_cvt_f64_f32_e32 v[5:6], v2
	s_mov_b64 s[2:3], 0
	global_store_dwordx2 v[0:1], v[5:6], off
.LBB143_858:
	s_andn2_b64 vcc, exec, s[2:3]
	s_cbranch_vccnz .LBB143_860
; %bb.859:
	global_store_dword v[0:1], v2, off
.LBB143_860:
	s_mov_b64 s[2:3], 0
.LBB143_861:
	s_andn2_b64 vcc, exec, s[2:3]
	s_cbranch_vccnz .LBB143_863
; %bb.862:
	v_cvt_f16_f32_e32 v3, v2
	global_store_short v[0:1], v3, off
.LBB143_863:
	s_mov_b64 s[2:3], 0
.LBB143_864:
	s_andn2_b64 vcc, exec, s[2:3]
	s_cbranch_vccnz .LBB143_880
; %bb.865:
	s_cmp_lt_i32 s30, 2
	s_mov_b64 s[2:3], -1
	s_cbranch_scc1 .LBB143_875
; %bb.866:
	s_cmp_lt_i32 s30, 3
	s_cbranch_scc1 .LBB143_872
; %bb.867:
	s_cmp_gt_i32 s30, 3
	s_cbranch_scc0 .LBB143_869
; %bb.868:
	v_trunc_f32_e32 v3, v2
	s_mov_b32 s2, 0x2f800000
	v_mul_f32_e64 v5, |v3|, s2
	v_floor_f32_e32 v5, v5
	s_mov_b32 s2, 0xcf800000
	v_cvt_u32_f32_e32 v6, v5
	v_fma_f32 v5, v5, s2, |v3|
	v_cvt_u32_f32_e32 v5, v5
	v_ashrrev_i32_e32 v3, 31, v3
	v_xor_b32_e32 v6, v6, v3
	s_mov_b64 s[2:3], 0
	v_xor_b32_e32 v5, v5, v3
	v_sub_co_u32_e32 v5, vcc, v5, v3
	v_subb_co_u32_e32 v6, vcc, v6, v3, vcc
	global_store_dwordx2 v[0:1], v[5:6], off
.LBB143_869:
	s_andn2_b64 vcc, exec, s[2:3]
	s_cbranch_vccnz .LBB143_871
; %bb.870:
	v_cvt_i32_f32_e32 v3, v2
	global_store_dword v[0:1], v3, off
.LBB143_871:
	s_mov_b64 s[2:3], 0
.LBB143_872:
	s_andn2_b64 vcc, exec, s[2:3]
	s_cbranch_vccnz .LBB143_874
; %bb.873:
	v_cvt_i32_f32_e32 v3, v2
	global_store_short v[0:1], v3, off
.LBB143_874:
	s_mov_b64 s[2:3], 0
.LBB143_875:
	s_andn2_b64 vcc, exec, s[2:3]
	s_cbranch_vccnz .LBB143_880
; %bb.876:
	s_cmp_gt_i32 s30, 0
	s_mov_b64 s[2:3], -1
	s_cbranch_scc0 .LBB143_878
; %bb.877:
	v_cvt_i32_f32_e32 v3, v2
	s_mov_b64 s[2:3], 0
	global_store_byte v[0:1], v3, off
.LBB143_878:
	s_andn2_b64 vcc, exec, s[2:3]
	s_cbranch_vccnz .LBB143_880
; %bb.879:
	v_trunc_f32_e32 v2, v2
	s_mov_b32 s2, 0x2f800000
	v_mul_f32_e64 v3, |v2|, s2
	v_floor_f32_e32 v3, v3
	s_mov_b32 s2, 0xcf800000
	v_fma_f32 v3, v3, s2, |v2|
	v_cvt_u32_f32_e32 v3, v3
	v_ashrrev_i32_e32 v2, 31, v2
	v_xor_b32_e32 v3, v3, v2
	v_sub_u32_e32 v2, v3, v2
	global_store_byte v[0:1], v2, off
.LBB143_880:
	s_mov_b64 s[2:3], -1
.LBB143_881:
	s_andn2_b64 vcc, exec, s[2:3]
	s_cbranch_vccnz .LBB143_883
; %bb.882:
	v_add_u32_e32 v4, 0x80, v4
	s_mov_b64 s[30:31], -1
	s_branch .LBB143_884
.LBB143_883:
	s_mov_b64 s[30:31], 0
                                        ; implicit-def: $vgpr4
.LBB143_884:
	s_andn2_b64 s[2:3], s[22:23], exec
	s_and_b64 s[0:1], s[0:1], exec
	s_or_b64 s[2:3], s[2:3], s[0:1]
	s_andn2_b64 s[0:1], s[20:21], exec
	s_and_b64 s[28:29], s[28:29], exec
	s_or_b64 s[0:1], s[0:1], s[28:29]
	s_orn2_b64 s[34:35], s[30:31], exec
.LBB143_885:
	s_or_b64 exec, exec, s[26:27]
	s_mov_b64 s[30:31], 0
	s_mov_b64 s[36:37], 0
	;; [unrolled: 1-line block ×3, first 2 shown]
                                        ; implicit-def: $vgpr0_vgpr1
                                        ; implicit-def: $vgpr3
	s_and_saveexec_b64 s[26:27], s[34:35]
	s_cbranch_execz .LBB143_970
; %bb.886:
	v_cmp_gt_i32_e32 vcc, s38, v4
	s_mov_b64 s[34:35], 0
	s_mov_b64 s[38:39], s[0:1]
	s_mov_b64 s[40:41], 0
                                        ; implicit-def: $vgpr0_vgpr1
                                        ; implicit-def: $vgpr3
	s_and_saveexec_b64 s[28:29], vcc
	s_cbranch_execz .LBB143_969
; %bb.887:
	v_mul_lo_u32 v0, v4, s11
	v_mov_b32_e32 v1, s15
	s_and_b32 s43, 0xffff, s42
	s_cmp_lt_i32 s43, 11
	s_waitcnt vmcnt(0)
	v_ashrrev_i32_e32 v2, 31, v0
	v_add_co_u32_e32 v0, vcc, s14, v0
	v_addc_co_u32_e32 v1, vcc, v1, v2, vcc
	s_cbranch_scc1 .LBB143_894
; %bb.888:
	s_cmp_gt_i32 s43, 25
	s_cbranch_scc0 .LBB143_895
; %bb.889:
	s_cmp_gt_i32 s43, 28
	s_cbranch_scc0 .LBB143_896
	;; [unrolled: 3-line block ×4, first 2 shown]
; %bb.892:
	s_cmp_eq_u32 s43, 46
	s_mov_b64 s[38:39], 0
	s_cbranch_scc0 .LBB143_903
; %bb.893:
	global_load_dword v2, v[0:1], off
	s_mov_b64 s[36:37], -1
	s_waitcnt vmcnt(0)
	v_lshlrev_b32_e32 v3, 16, v2
	s_branch .LBB143_905
.LBB143_894:
	s_mov_b64 s[38:39], -1
                                        ; implicit-def: $vgpr3
	s_mov_b64 s[30:31], s[0:1]
	s_branch .LBB143_968
.LBB143_895:
	s_mov_b64 s[38:39], -1
	s_mov_b64 s[30:31], s[0:1]
                                        ; implicit-def: $vgpr3
	s_branch .LBB143_934
.LBB143_896:
	s_mov_b64 s[38:39], -1
	s_mov_b64 s[30:31], s[0:1]
                                        ; implicit-def: $vgpr3
	s_branch .LBB143_915
.LBB143_897:
	s_mov_b64 s[38:39], -1
	s_mov_b64 s[30:31], s[0:1]
                                        ; implicit-def: $vgpr3
	s_branch .LBB143_910
.LBB143_898:
	s_andn2_saveexec_b64 s[34:35], s[34:35]
	s_cbranch_execz .LBB143_794
.LBB143_899:
	s_mov_b32 s39, 0x46000000
	v_add_f32_e64 v3, |v2|, s39
	v_and_b32_e32 v3, 0xff, v3
	v_cmp_ne_u32_e32 vcc, 0, v3
	s_andn2_b64 s[30:31], s[30:31], exec
	s_and_b64 s[40:41], vcc, exec
	s_or_b64 s[30:31], s[30:31], s[40:41]
	s_or_b64 exec, exec, s[34:35]
	v_mov_b32_e32 v5, 0
	s_and_saveexec_b64 s[34:35], s[30:31]
	s_cbranch_execnz .LBB143_795
	s_branch .LBB143_796
.LBB143_900:
	s_mov_b64 s[38:39], -1
	s_mov_b64 s[30:31], s[0:1]
	s_branch .LBB143_904
.LBB143_901:
	s_andn2_saveexec_b64 s[34:35], s[34:35]
	s_cbranch_execz .LBB143_807
.LBB143_902:
	s_mov_b32 s39, 0x42800000
	v_add_f32_e64 v3, |v2|, s39
	v_and_b32_e32 v3, 0xff, v3
	v_cmp_ne_u32_e32 vcc, 0, v3
	s_andn2_b64 s[30:31], s[30:31], exec
	s_and_b64 s[40:41], vcc, exec
	s_or_b64 s[30:31], s[30:31], s[40:41]
	s_or_b64 exec, exec, s[34:35]
	v_mov_b32_e32 v5, 0
	s_and_saveexec_b64 s[34:35], s[30:31]
	s_cbranch_execnz .LBB143_808
	s_branch .LBB143_809
.LBB143_903:
	s_mov_b64 s[30:31], -1
.LBB143_904:
                                        ; implicit-def: $vgpr3
.LBB143_905:
	s_and_b64 vcc, exec, s[38:39]
	s_cbranch_vccz .LBB143_909
; %bb.906:
	s_cmp_eq_u32 s43, 44
	s_cbranch_scc0 .LBB143_908
; %bb.907:
	global_load_ubyte v2, v[0:1], off
	s_movk_i32 s36, 0xff
	v_mov_b32_e32 v3, 0x7f800001
	v_mov_b32_e32 v5, 0x400000
	s_mov_b64 s[30:31], 0
	s_waitcnt vmcnt(0)
	v_lshlrev_b32_e32 v6, 23, v2
	v_cmp_ne_u32_e32 vcc, s36, v2
	v_cndmask_b32_e32 v3, v3, v6, vcc
	v_cmp_ne_u32_e32 vcc, 0, v2
	v_cndmask_b32_e32 v3, v5, v3, vcc
	s_mov_b64 s[36:37], -1
	s_branch .LBB143_909
.LBB143_908:
	s_mov_b64 s[30:31], -1
                                        ; implicit-def: $vgpr3
.LBB143_909:
	s_mov_b64 s[38:39], 0
.LBB143_910:
	s_and_b64 vcc, exec, s[38:39]
	s_cbranch_vccz .LBB143_914
; %bb.911:
	s_cmp_eq_u32 s43, 29
	s_cbranch_scc0 .LBB143_913
; %bb.912:
	global_load_dwordx2 v[2:3], v[0:1], off
	s_mov_b64 s[30:31], 0
	s_mov_b64 s[36:37], -1
	s_mov_b64 s[38:39], 0
	s_waitcnt vmcnt(0)
	v_ffbh_u32_e32 v5, v3
	v_min_u32_e32 v5, 32, v5
	v_lshlrev_b64 v[2:3], v5, v[2:3]
	v_min_u32_e32 v2, 1, v2
	v_or_b32_e32 v2, v3, v2
	v_cvt_f32_u32_e32 v2, v2
	v_sub_u32_e32 v3, 32, v5
	v_ldexp_f32 v3, v2, v3
	s_branch .LBB143_915
.LBB143_913:
	s_mov_b64 s[30:31], -1
                                        ; implicit-def: $vgpr3
.LBB143_914:
	s_mov_b64 s[38:39], 0
.LBB143_915:
	s_and_b64 vcc, exec, s[38:39]
	s_cbranch_vccz .LBB143_933
; %bb.916:
	s_cmp_lt_i32 s43, 27
	s_cbranch_scc1 .LBB143_919
; %bb.917:
	s_cmp_gt_i32 s43, 27
	s_cbranch_scc0 .LBB143_920
; %bb.918:
	global_load_dword v2, v[0:1], off
	s_mov_b64 s[36:37], 0
	s_waitcnt vmcnt(0)
	v_cvt_f32_u32_e32 v3, v2
	s_branch .LBB143_921
.LBB143_919:
	s_mov_b64 s[36:37], -1
                                        ; implicit-def: $vgpr3
	s_branch .LBB143_924
.LBB143_920:
	s_mov_b64 s[36:37], -1
                                        ; implicit-def: $vgpr3
.LBB143_921:
	s_andn2_b64 vcc, exec, s[36:37]
	s_cbranch_vccnz .LBB143_923
; %bb.922:
	global_load_ushort v2, v[0:1], off
	s_waitcnt vmcnt(0)
	v_cvt_f32_u32_e32 v3, v2
.LBB143_923:
	s_mov_b64 s[36:37], 0
.LBB143_924:
	s_andn2_b64 vcc, exec, s[36:37]
	s_cbranch_vccnz .LBB143_932
; %bb.925:
	global_load_ubyte v2, v[0:1], off
	s_movk_i32 s36, 0x7f
	s_waitcnt vmcnt(0)
	v_cmp_lt_i16_e32 vcc, s36, v2
	s_mov_b64 s[36:37], 0
	s_and_saveexec_b64 s[38:39], vcc
	s_xor_b64 s[38:39], exec, s[38:39]
	s_cbranch_execz .LBB143_946
; %bb.926:
	s_movk_i32 s36, 0x80
	v_cmp_eq_u16_e32 vcc, s36, v2
	s_mov_b64 s[36:37], -1
	s_and_saveexec_b64 s[40:41], vcc
; %bb.927:
	s_xor_b64 s[36:37], exec, -1
; %bb.928:
	s_or_b64 exec, exec, s[40:41]
	s_and_b64 s[36:37], s[36:37], exec
	s_or_saveexec_b64 s[38:39], s[38:39]
	v_mov_b32_e32 v3, 0x7f800001
	s_xor_b64 exec, exec, s[38:39]
	s_cbranch_execnz .LBB143_947
.LBB143_929:
	s_or_b64 exec, exec, s[38:39]
	s_and_saveexec_b64 s[38:39], s[36:37]
	s_cbranch_execz .LBB143_931
.LBB143_930:
	v_lshlrev_b32_e32 v3, 24, v2
	v_and_b32_e32 v2, 0xffff, v2
	v_and_b32_e32 v5, 7, v2
	v_ffbh_u32_e32 v7, v5
	v_min_u32_e32 v7, 32, v7
	v_subrev_u32_e32 v8, 28, v7
	v_bfe_u32 v6, v2, 3, 4
	v_lshlrev_b32_e32 v2, v8, v2
	v_sub_u32_e32 v7, 29, v7
	v_and_b32_e32 v2, 7, v2
	v_cmp_eq_u32_e32 vcc, 0, v6
	v_cndmask_b32_e32 v6, v6, v7, vcc
	v_cndmask_b32_e32 v2, v5, v2, vcc
	v_mov_b32_e32 v5, 0x3b800000
	v_lshlrev_b32_e32 v2, 20, v2
	v_and_b32_e32 v3, 0x80000000, v3
	v_lshl_add_u32 v5, v6, 23, v5
	v_or3_b32 v3, v3, v5, v2
.LBB143_931:
	s_or_b64 exec, exec, s[38:39]
.LBB143_932:
	s_mov_b64 s[36:37], -1
.LBB143_933:
	s_mov_b64 s[38:39], 0
.LBB143_934:
	s_and_b64 vcc, exec, s[38:39]
	s_cbranch_vccz .LBB143_967
; %bb.935:
	s_cmp_gt_i32 s43, 22
	s_cbranch_scc0 .LBB143_945
; %bb.936:
	s_cmp_lt_i32 s43, 24
	s_cbranch_scc1 .LBB143_948
; %bb.937:
	s_cmp_gt_i32 s43, 24
	s_cbranch_scc0 .LBB143_949
; %bb.938:
	global_load_ubyte v2, v[0:1], off
	s_movk_i32 s34, 0x7f
	s_waitcnt vmcnt(0)
	v_cmp_lt_i16_e32 vcc, s34, v2
	s_mov_b64 s[34:35], 0
	s_and_saveexec_b64 s[36:37], vcc
	s_xor_b64 s[36:37], exec, s[36:37]
	s_cbranch_execz .LBB143_961
; %bb.939:
	s_movk_i32 s34, 0x80
	v_cmp_eq_u16_e32 vcc, s34, v2
	s_mov_b64 s[34:35], -1
	s_and_saveexec_b64 s[38:39], vcc
; %bb.940:
	s_xor_b64 s[34:35], exec, -1
; %bb.941:
	s_or_b64 exec, exec, s[38:39]
	s_and_b64 s[34:35], s[34:35], exec
	s_or_saveexec_b64 s[36:37], s[36:37]
	v_mov_b32_e32 v3, 0x7f800001
	s_xor_b64 exec, exec, s[36:37]
	s_cbranch_execnz .LBB143_962
.LBB143_942:
	s_or_b64 exec, exec, s[36:37]
	s_and_saveexec_b64 s[36:37], s[34:35]
	s_cbranch_execz .LBB143_944
.LBB143_943:
	v_lshlrev_b32_e32 v3, 24, v2
	v_and_b32_e32 v2, 0xffff, v2
	v_and_b32_e32 v5, 3, v2
	v_ffbh_u32_e32 v7, v5
	v_min_u32_e32 v7, 32, v7
	v_subrev_u32_e32 v8, 29, v7
	v_bfe_u32 v6, v2, 2, 5
	v_lshlrev_b32_e32 v2, v8, v2
	v_sub_u32_e32 v7, 30, v7
	v_and_b32_e32 v2, 3, v2
	v_cmp_eq_u32_e32 vcc, 0, v6
	v_cndmask_b32_e32 v6, v6, v7, vcc
	v_cndmask_b32_e32 v2, v5, v2, vcc
	v_mov_b32_e32 v5, 0x37800000
	v_lshlrev_b32_e32 v2, 21, v2
	v_and_b32_e32 v3, 0x80000000, v3
	v_lshl_add_u32 v5, v6, 23, v5
	v_or3_b32 v3, v3, v5, v2
.LBB143_944:
	s_or_b64 exec, exec, s[36:37]
	s_mov_b64 s[34:35], 0
	s_branch .LBB143_950
.LBB143_945:
	s_mov_b64 s[34:35], -1
                                        ; implicit-def: $vgpr3
	s_branch .LBB143_956
.LBB143_946:
	s_or_saveexec_b64 s[38:39], s[38:39]
	v_mov_b32_e32 v3, 0x7f800001
	s_xor_b64 exec, exec, s[38:39]
	s_cbranch_execz .LBB143_929
.LBB143_947:
	v_cmp_ne_u16_e32 vcc, 0, v2
	s_andn2_b64 s[36:37], s[36:37], exec
	s_and_b64 s[40:41], vcc, exec
	v_mov_b32_e32 v3, 0
	s_or_b64 s[36:37], s[36:37], s[40:41]
	s_or_b64 exec, exec, s[38:39]
	s_and_saveexec_b64 s[38:39], s[36:37]
	s_cbranch_execnz .LBB143_930
	s_branch .LBB143_931
.LBB143_948:
	s_mov_b64 s[34:35], -1
                                        ; implicit-def: $vgpr3
	s_branch .LBB143_953
.LBB143_949:
	s_mov_b64 s[34:35], -1
                                        ; implicit-def: $vgpr3
.LBB143_950:
	s_and_b64 vcc, exec, s[34:35]
	s_cbranch_vccz .LBB143_952
; %bb.951:
	global_load_ubyte v2, v[0:1], off
	s_mov_b32 s34, 0x7f800000
	s_waitcnt vmcnt(0)
	v_lshlrev_b32_e32 v2, 24, v2
	v_and_b32_e32 v3, 0x7f000000, v2
	v_ffbh_u32_e32 v5, v3
	v_min_u32_e32 v5, 32, v5
	v_sub_u32_e64 v5, v5, 4 clamp
	v_lshlrev_b32_e32 v7, v5, v3
	v_lshlrev_b32_e32 v5, 23, v5
	v_lshrrev_b32_e32 v7, 4, v7
	v_add_u32_e32 v6, 0x1000000, v3
	v_sub_u32_e32 v5, v7, v5
	v_ashrrev_i32_e32 v6, 8, v6
	v_add_u32_e32 v5, 0x3c000000, v5
	v_and_or_b32 v5, v6, s34, v5
	v_cmp_ne_u32_e32 vcc, 0, v3
	v_cndmask_b32_e32 v3, 0, v5, vcc
	s_brev_b32 s34, 1
	v_and_or_b32 v3, v2, s34, v3
.LBB143_952:
	s_mov_b64 s[34:35], 0
.LBB143_953:
	s_andn2_b64 vcc, exec, s[34:35]
	s_cbranch_vccnz .LBB143_955
; %bb.954:
	global_load_ubyte v2, v[0:1], off
	s_movk_i32 s34, 0x7f00
	s_brev_b32 s35, 16
	s_waitcnt vmcnt(0)
	v_lshlrev_b16_e32 v3, 8, v2
	v_lshlrev_b32_e32 v2, 25, v2
	v_lshrrev_b32_e32 v5, 4, v2
	v_and_or_b32 v6, v3, s34, 0.5
	v_or_b32_e32 v5, 0x70000000, v5
	v_add_f32_e32 v6, -0.5, v6
	v_mul_f32_e32 v5, 0x7800000, v5
	v_cmp_gt_u32_e32 vcc, s35, v2
	v_bfe_i32 v3, v3, 0, 16
	v_cndmask_b32_e32 v2, v5, v6, vcc
	s_brev_b32 s34, 1
	v_and_or_b32 v3, v3, s34, v2
.LBB143_955:
	s_mov_b64 s[34:35], 0
	s_mov_b64 s[36:37], -1
.LBB143_956:
	s_andn2_b64 vcc, exec, s[34:35]
	s_mov_b64 s[34:35], 0
	s_cbranch_vccnz .LBB143_967
; %bb.957:
	s_cmp_gt_i32 s43, 14
	s_cbranch_scc0 .LBB143_960
; %bb.958:
	s_cmp_eq_u32 s43, 15
	s_cbranch_scc0 .LBB143_963
; %bb.959:
	global_load_ushort v2, v[0:1], off
	s_mov_b64 s[30:31], 0
	s_mov_b64 s[36:37], -1
	s_waitcnt vmcnt(0)
	v_lshlrev_b32_e32 v3, 16, v2
	s_branch .LBB143_964
.LBB143_960:
	s_mov_b64 s[38:39], -1
                                        ; implicit-def: $vgpr3
	s_branch .LBB143_965
.LBB143_961:
	s_or_saveexec_b64 s[36:37], s[36:37]
	v_mov_b32_e32 v3, 0x7f800001
	s_xor_b64 exec, exec, s[36:37]
	s_cbranch_execz .LBB143_942
.LBB143_962:
	v_cmp_ne_u16_e32 vcc, 0, v2
	s_andn2_b64 s[34:35], s[34:35], exec
	s_and_b64 s[38:39], vcc, exec
	v_mov_b32_e32 v3, 0
	s_or_b64 s[34:35], s[34:35], s[38:39]
	s_or_b64 exec, exec, s[36:37]
	s_and_saveexec_b64 s[36:37], s[34:35]
	s_cbranch_execnz .LBB143_943
	s_branch .LBB143_944
.LBB143_963:
	s_mov_b64 s[30:31], -1
                                        ; implicit-def: $vgpr3
.LBB143_964:
	s_mov_b64 s[38:39], 0
.LBB143_965:
	s_and_b64 vcc, exec, s[38:39]
	s_cbranch_vccz .LBB143_967
; %bb.966:
	s_cmp_lg_u32 s43, 11
	s_cselect_b64 s[38:39], -1, 0
	s_andn2_b64 s[30:31], s[30:31], exec
	s_and_b64 s[38:39], s[38:39], exec
	s_mov_b64 s[34:35], -1
	s_or_b64 s[30:31], s[30:31], s[38:39]
.LBB143_967:
	s_mov_b64 s[38:39], 0
.LBB143_968:
	s_and_b64 s[40:41], s[36:37], exec
	s_and_b64 s[36:37], s[38:39], exec
	s_andn2_b64 s[38:39], s[0:1], exec
	s_and_b64 s[30:31], s[30:31], exec
	s_and_b64 s[34:35], s[34:35], exec
	s_or_b64 s[38:39], s[38:39], s[30:31]
.LBB143_969:
	s_or_b64 exec, exec, s[28:29]
	s_and_b64 s[30:31], s[34:35], exec
	s_andn2_b64 s[0:1], s[0:1], exec
	s_and_b64 s[34:35], s[38:39], exec
	s_and_b64 s[28:29], s[40:41], exec
	;; [unrolled: 1-line block ×3, first 2 shown]
	s_or_b64 s[0:1], s[0:1], s[34:35]
.LBB143_970:
	s_or_b64 exec, exec, s[26:27]
	s_andn2_b64 s[22:23], s[22:23], exec
	s_and_b64 s[2:3], s[2:3], exec
	s_andn2_b64 s[20:21], s[20:21], exec
	s_and_b64 s[0:1], s[0:1], exec
	s_or_b64 s[22:23], s[22:23], s[2:3]
	s_and_b64 s[28:29], s[28:29], exec
	s_and_b64 s[26:27], s[36:37], exec
	;; [unrolled: 1-line block ×3, first 2 shown]
	s_or_b64 s[20:21], s[20:21], s[0:1]
.LBB143_971:
	s_or_b64 exec, exec, s[24:25]
	s_andn2_b64 s[0:1], s[6:7], exec
	s_and_b64 s[6:7], s[22:23], exec
	s_and_b64 s[22:23], s[2:3], exec
	s_andn2_b64 s[2:3], s[16:17], exec
	s_and_b64 s[16:17], s[20:21], exec
	s_or_b64 s[6:7], s[0:1], s[6:7]
	s_and_b64 s[0:1], s[28:29], exec
	s_and_b64 s[24:25], s[26:27], exec
	s_or_b64 s[16:17], s[2:3], s[16:17]
	s_or_b64 exec, exec, s[18:19]
	s_mov_b64 s[18:19], 0
	s_and_saveexec_b64 s[2:3], s[16:17]
	s_cbranch_execz .LBB143_299
.LBB143_972:
	s_mov_b64 s[18:19], exec
	s_andn2_b64 s[22:23], s[22:23], exec
	s_trap 2
	s_or_b64 exec, exec, s[2:3]
	s_and_saveexec_b64 s[2:3], s[22:23]
	s_xor_b64 s[2:3], exec, s[2:3]
	s_cbranch_execnz .LBB143_300
.LBB143_973:
	s_or_b64 exec, exec, s[2:3]
	s_and_saveexec_b64 s[2:3], s[24:25]
	s_cbranch_execz .LBB143_1019
.LBB143_974:
	s_sext_i32_i16 s16, s42
	s_cmp_lt_i32 s16, 5
	s_cbranch_scc1 .LBB143_979
; %bb.975:
	s_cmp_lt_i32 s16, 8
	s_cbranch_scc1 .LBB143_980
; %bb.976:
	;; [unrolled: 3-line block ×3, first 2 shown]
	s_cmp_gt_i32 s16, 9
	s_cbranch_scc0 .LBB143_982
; %bb.978:
	global_load_dwordx2 v[2:3], v[0:1], off
	s_mov_b64 s[16:17], 0
	s_waitcnt vmcnt(0)
	v_cvt_f32_f64_e32 v3, v[2:3]
	s_branch .LBB143_983
.LBB143_979:
                                        ; implicit-def: $vgpr3
	s_branch .LBB143_1000
.LBB143_980:
                                        ; implicit-def: $vgpr3
	s_branch .LBB143_989
.LBB143_981:
	s_mov_b64 s[16:17], -1
                                        ; implicit-def: $vgpr3
	s_branch .LBB143_986
.LBB143_982:
	s_mov_b64 s[16:17], -1
                                        ; implicit-def: $vgpr3
.LBB143_983:
	s_andn2_b64 vcc, exec, s[16:17]
	s_cbranch_vccnz .LBB143_985
; %bb.984:
	global_load_dword v3, v[0:1], off
.LBB143_985:
	s_mov_b64 s[16:17], 0
.LBB143_986:
	s_andn2_b64 vcc, exec, s[16:17]
	s_cbranch_vccnz .LBB143_988
; %bb.987:
	global_load_dword v2, v[0:1], off
	s_waitcnt vmcnt(0)
	v_cvt_f32_f16_e32 v3, v2
.LBB143_988:
	s_cbranch_execnz .LBB143_999
.LBB143_989:
	s_sext_i32_i16 s16, s42
	s_cmp_lt_i32 s16, 6
	s_cbranch_scc1 .LBB143_992
; %bb.990:
	s_cmp_gt_i32 s16, 6
	s_cbranch_scc0 .LBB143_993
; %bb.991:
	global_load_dwordx2 v[2:3], v[0:1], off
	s_mov_b64 s[16:17], 0
	s_waitcnt vmcnt(0)
	v_cvt_f32_f64_e32 v3, v[2:3]
	s_branch .LBB143_994
.LBB143_992:
	s_mov_b64 s[16:17], -1
                                        ; implicit-def: $vgpr3
	s_branch .LBB143_997
.LBB143_993:
	s_mov_b64 s[16:17], -1
                                        ; implicit-def: $vgpr3
.LBB143_994:
	s_andn2_b64 vcc, exec, s[16:17]
	s_cbranch_vccnz .LBB143_996
; %bb.995:
	global_load_dword v3, v[0:1], off
.LBB143_996:
	s_mov_b64 s[16:17], 0
.LBB143_997:
	s_andn2_b64 vcc, exec, s[16:17]
	s_cbranch_vccnz .LBB143_999
; %bb.998:
	global_load_ushort v2, v[0:1], off
	s_waitcnt vmcnt(0)
	v_cvt_f32_f16_e32 v3, v2
.LBB143_999:
	s_cbranch_execnz .LBB143_1018
.LBB143_1000:
	s_sext_i32_i16 s16, s42
	s_cmp_lt_i32 s16, 2
	s_cbranch_scc1 .LBB143_1004
; %bb.1001:
	s_cmp_lt_i32 s16, 3
	s_cbranch_scc1 .LBB143_1005
; %bb.1002:
	s_cmp_gt_i32 s16, 3
	s_cbranch_scc0 .LBB143_1006
; %bb.1003:
	global_load_dwordx2 v[2:3], v[0:1], off
	s_mov_b64 s[16:17], 0
	s_waitcnt vmcnt(0)
	v_xor_b32_e32 v6, v2, v3
	v_ffbh_i32_e32 v5, v3
	v_ashrrev_i32_e32 v6, 31, v6
	v_add_u32_e32 v5, -1, v5
	v_add_u32_e32 v6, 32, v6
	v_min_u32_e32 v5, v5, v6
	v_lshlrev_b64 v[2:3], v5, v[2:3]
	v_min_u32_e32 v2, 1, v2
	v_or_b32_e32 v2, v3, v2
	v_cvt_f32_i32_e32 v2, v2
	v_sub_u32_e32 v3, 32, v5
	v_ldexp_f32 v3, v2, v3
	s_branch .LBB143_1007
.LBB143_1004:
                                        ; implicit-def: $vgpr3
	s_branch .LBB143_1013
.LBB143_1005:
	s_mov_b64 s[16:17], -1
                                        ; implicit-def: $vgpr3
	s_branch .LBB143_1010
.LBB143_1006:
	s_mov_b64 s[16:17], -1
                                        ; implicit-def: $vgpr3
.LBB143_1007:
	s_andn2_b64 vcc, exec, s[16:17]
	s_cbranch_vccnz .LBB143_1009
; %bb.1008:
	global_load_dword v2, v[0:1], off
	s_waitcnt vmcnt(0)
	v_cvt_f32_i32_e32 v3, v2
.LBB143_1009:
	s_mov_b64 s[16:17], 0
.LBB143_1010:
	s_andn2_b64 vcc, exec, s[16:17]
	s_cbranch_vccnz .LBB143_1012
; %bb.1011:
	global_load_sshort v2, v[0:1], off
	s_waitcnt vmcnt(0)
	v_cvt_f32_i32_e32 v3, v2
.LBB143_1012:
	s_cbranch_execnz .LBB143_1018
.LBB143_1013:
	s_sext_i32_i16 s16, s42
	s_cmp_gt_i32 s16, 0
	s_cbranch_scc0 .LBB143_1015
; %bb.1014:
	global_load_sbyte v2, v[0:1], off
	s_mov_b64 s[16:17], 0
	s_waitcnt vmcnt(0)
	v_cvt_f32_i32_e32 v3, v2
	s_branch .LBB143_1016
.LBB143_1015:
	s_mov_b64 s[16:17], -1
                                        ; implicit-def: $vgpr3
.LBB143_1016:
	s_andn2_b64 vcc, exec, s[16:17]
	s_cbranch_vccnz .LBB143_1018
; %bb.1017:
	global_load_ubyte v0, v[0:1], off
	s_waitcnt vmcnt(0)
	v_cvt_f32_ubyte0_e32 v3, v0
.LBB143_1018:
	s_or_b64 s[0:1], s[0:1], exec
.LBB143_1019:
	s_or_b64 exec, exec, s[2:3]
	s_mov_b64 s[20:21], 0
	s_mov_b64 s[2:3], 0
                                        ; implicit-def: $sgpr26
                                        ; implicit-def: $vgpr0_vgpr1
                                        ; implicit-def: $vgpr2
	s_and_saveexec_b64 s[16:17], s[0:1]
	s_cbranch_execz .LBB143_1075
; %bb.1020:
	s_mov_b32 s0, 0x3c800000
	s_waitcnt vmcnt(0)
	v_and_b32_e32 v0, 0x7fffffff, v3
	v_cmp_nlt_f32_e64 s[0:1], |v3|, s0
                                        ; implicit-def: $vgpr1
	s_and_saveexec_b64 s[2:3], s[0:1]
	s_xor_b64 s[2:3], exec, s[2:3]
	s_cbranch_execz .LBB143_1050
; %bb.1021:
	v_cmp_nlt_f32_e64 s[0:1], |v3|, 2.0
                                        ; implicit-def: $vgpr1
	s_and_saveexec_b64 s[20:21], s[0:1]
	s_xor_b64 s[20:21], exec, s[20:21]
	s_cbranch_execz .LBB143_1031
; %bb.1022:
	s_mov_b32 s0, 0x41000000
	v_cmp_nlt_f32_e64 s[0:1], |v3|, s0
                                        ; implicit-def: $vgpr1
	s_and_saveexec_b64 s[22:23], s[0:1]
	s_xor_b64 s[22:23], exec, s[22:23]
	s_cbranch_execz .LBB143_1028
; %bb.1023:
	s_mov_b32 s0, 0x5c800000
	v_cmp_nlt_f32_e64 s[0:1], |v3|, s0
                                        ; implicit-def: $vgpr1
	s_and_saveexec_b64 s[24:25], s[0:1]
	s_xor_b64 s[24:25], exec, s[24:25]
	s_cbranch_execz .LBB143_1025
; %bb.1024:
	s_mov_b32 s0, 0x800000
	v_cmp_lt_f32_e64 vcc, |v3|, s0
	v_cndmask_b32_e64 v1, 0, 32, vcc
	v_ldexp_f32 v1, |v3|, v1
	v_log_f32_e32 v1, v1
	s_mov_b32 s0, 0x3f317217
	s_mov_b32 s1, 0x7f800000
	v_mul_f32_e32 v2, 0x3f317217, v1
	v_fma_f32 v5, v1, s0, -v2
	v_fmac_f32_e32 v5, 0x3377d1cf, v1
	v_add_f32_e32 v2, v2, v5
	v_cmp_lt_f32_e64 s[0:1], |v1|, s1
	v_cndmask_b32_e64 v1, v1, v2, s[0:1]
	v_mov_b32_e32 v2, 0x41b17218
	v_cndmask_b32_e32 v2, 0, v2, vcc
	v_sub_f32_e32 v1, v1, v2
	v_fma_f32 v1, |v3|, v1, -|v3|
.LBB143_1025:
	s_andn2_saveexec_b64 s[24:25], s[24:25]
	s_cbranch_execz .LBB143_1027
; %bb.1026:
	v_rcp_f32_e64 v2, |v3|
	v_mov_b32_e32 v1, 0x3a5b3dd2
	v_mov_b32_e32 v5, 0xba1c065c
	;; [unrolled: 1-line block ×3, first 2 shown]
	v_mul_f32_e32 v7, v2, v2
	v_fmac_f32_e32 v1, 0xbad5c4e8, v7
	v_fmac_f32_e32 v5, v7, v1
	s_mov_b32 s0, 0x800000
	v_fmac_f32_e32 v6, v7, v5
	v_mov_b32_e32 v1, 0xbb360b61
	v_cmp_lt_f32_e64 vcc, |v3|, s0
	v_fmac_f32_e32 v1, v7, v6
	v_cndmask_b32_e64 v6, 0, 32, vcc
	v_ldexp_f32 v6, |v3|, v6
	v_log_f32_e32 v6, v6
	v_mov_b32_e32 v5, 0x3daaaaab
	v_fmac_f32_e32 v5, v7, v1
	v_mov_b32_e32 v1, 0x3ed67f1d
	v_fmac_f32_e32 v1, v2, v5
	s_mov_b32 s0, 0x3f317217
	v_mul_f32_e32 v5, 0x3f317217, v6
	v_fma_f32 v7, v6, s0, -v5
	v_fmac_f32_e32 v7, 0x3377d1cf, v6
	s_mov_b32 s0, 0x7f800000
	v_add_f32_e32 v5, v5, v7
	v_cmp_lt_f32_e64 s[0:1], |v6|, s0
	v_cndmask_b32_e64 v5, v6, v5, s[0:1]
	v_mov_b32_e32 v6, 0x41b17218
	v_cndmask_b32_e32 v6, 0, v6, vcc
	v_sub_f32_e32 v5, v5, v6
	v_add_f32_e64 v2, |v3|, -0.5
	v_add_f32_e32 v5, -1.0, v5
	v_fmac_f32_e32 v1, v2, v5
.LBB143_1027:
	s_or_b64 exec, exec, s[24:25]
.LBB143_1028:
	s_andn2_saveexec_b64 s[22:23], s[22:23]
	s_cbranch_execz .LBB143_1030
; %bb.1029:
	v_cvt_i32_f32_e32 v1, v0
	v_mov_b32_e32 v2, 0x3af135b4
	v_mov_b32_e32 v5, 0x3cda40e4
	;; [unrolled: 1-line block ×3, first 2 shown]
	v_cvt_f32_i32_e32 v7, v1
	v_mov_b32_e32 v8, 0x3ea6cc7a
	v_mov_b32_e32 v9, 0x3e5c245a
	v_cmp_lt_i32_e32 vcc, 2, v1
	v_sub_f32_e64 v7, |v3|, v7
	v_fmac_f32_e32 v2, 0x3805ff67, v7
	v_fmac_f32_e32 v5, v7, v2
	v_fmac_f32_e32 v6, v7, v5
	v_mov_b32_e32 v5, 0x3a4beed6
	v_fmac_f32_e32 v8, v7, v6
	v_fmac_f32_e32 v5, 0x36f5d7bd, v7
	v_mov_b32_e32 v6, 0x3c98bf54
	v_fmac_f32_e32 v6, v7, v5
	v_mov_b32_e32 v5, 0x3e300f6e
	;; [unrolled: 2-line block ×4, first 2 shown]
	v_fmac_f32_e32 v5, v7, v6
	v_add_f32_e32 v6, 2.0, v7
	v_mov_b32_e32 v10, 0xbd9e233f
	v_fmac_f32_e32 v9, v7, v8
	v_add_f32_e32 v8, 0x40400000, v7
	v_cndmask_b32_e32 v6, 1.0, v6, vcc
	v_cmp_lt_i32_e32 vcc, 3, v1
	v_fmac_f32_e32 v10, v7, v9
	v_add_f32_e32 v9, 4.0, v7
	v_cndmask_b32_e32 v8, 1.0, v8, vcc
	v_cmp_lt_i32_e32 vcc, 4, v1
	v_mul_f32_e32 v2, v7, v10
	v_add_f32_e32 v10, 0x40a00000, v7
	v_mul_f32_e32 v6, v6, v8
	v_cndmask_b32_e32 v8, 1.0, v9, vcc
	v_cmp_lt_i32_e32 vcc, 5, v1
	v_add_f32_e32 v11, 0x40c00000, v7
	v_mul_f32_e32 v6, v8, v6
	v_cndmask_b32_e32 v8, 1.0, v10, vcc
	v_cmp_lt_i32_e32 vcc, 6, v1
	v_mul_f32_e32 v6, v8, v6
	v_cndmask_b32_e32 v1, 1.0, v11, vcc
	v_mul_f32_e32 v1, v1, v6
	s_mov_b32 s0, 0x800000
	v_cmp_gt_f32_e32 vcc, s0, v1
	v_cndmask_b32_e64 v6, 0, 32, vcc
	v_fma_f32 v5, v7, v5, 1.0
	v_ldexp_f32 v1, v1, v6
	v_rcp_f32_e32 v5, v5
	v_log_f32_e32 v1, v1
	s_mov_b32 s0, 0x3f317217
	v_mul_f32_e32 v2, v2, v5
	v_mul_f32_e32 v5, 0x3f317217, v1
	v_fma_f32 v6, v1, s0, -v5
	v_fmac_f32_e32 v6, 0x3377d1cf, v1
	s_mov_b32 s0, 0x7f800000
	v_add_f32_e32 v5, v5, v6
	v_cmp_lt_f32_e64 s[0:1], |v1|, s0
	v_cndmask_b32_e64 v1, v1, v5, s[0:1]
	v_mov_b32_e32 v5, 0x41b17218
	v_cndmask_b32_e32 v5, 0, v5, vcc
	v_fmac_f32_e32 v2, 0.5, v7
	v_sub_f32_e32 v1, v1, v5
	v_add_f32_e32 v1, v1, v2
.LBB143_1030:
	s_or_b64 exec, exec, s[22:23]
.LBB143_1031:
	s_andn2_saveexec_b64 s[20:21], s[20:21]
	s_cbranch_execz .LBB143_1049
; %bb.1032:
	s_mov_b32 s0, 0x3f666666
	v_cmp_le_f32_e64 s[0:1], |v3|, s0
                                        ; implicit-def: $vgpr1
                                        ; implicit-def: $vgpr5
                                        ; implicit-def: $vgpr2
	s_and_saveexec_b64 s[22:23], s[0:1]
	s_xor_b64 s[22:23], exec, s[22:23]
	s_cbranch_execz .LBB143_1034
; %bb.1033:
	s_mov_b32 s0, 0x800000
	v_cmp_lt_f32_e64 vcc, |v3|, s0
	v_cndmask_b32_e64 v1, 0, 32, vcc
	v_ldexp_f32 v1, |v3|, v1
	v_log_f32_e32 v1, v1
	s_mov_b32 s0, 0x3f317217
	s_mov_b32 s1, 0x7f800000
	v_mul_f32_e32 v2, 0x3f317217, v1
	v_fma_f32 v5, v1, s0, -v2
	v_fmac_f32_e32 v5, 0x3377d1cf, v1
	v_add_f32_e32 v2, v2, v5
	v_cmp_lt_f32_e64 s[0:1], |v1|, s1
	v_cndmask_b32_e64 v1, v1, v2, s[0:1]
	v_mov_b32_e32 v2, 0x41b17218
	v_cndmask_b32_e32 v2, 0, v2, vcc
	s_mov_b32 s0, 0x3f3b4a23
	s_mov_b32 s1, 0xbeec5b0c
	v_sub_f32_e32 v1, v1, v2
	v_sub_f32_e64 v2, 1.0, |v3|
	v_add_f32_e64 v5, |v3|, s1
	v_cmp_lt_f32_e64 vcc, |v3|, s0
	s_mov_b32 s0, 0x3e6d3309
	v_cndmask_b32_e32 v2, v2, v5, vcc
	v_cndmask_b32_e64 v5, 0, 1, vcc
	v_cmp_lt_f32_e64 s[0:1], |v3|, s0
	v_xor_b32_e32 v1, 0x80000000, v1
	v_cndmask_b32_e64 v2, v2, |v3|, s[0:1]
	v_cndmask_b32_e64 v5, v5, 2, s[0:1]
.LBB143_1034:
	s_andn2_saveexec_b64 s[0:1], s[22:23]
	s_cbranch_execz .LBB143_1036
; %bb.1035:
	s_mov_b32 s22, 0x3fdda512
	s_mov_b32 s23, 0xbfbb16c3
	v_sub_f32_e64 v1, 2.0, |v3|
	v_add_f32_e64 v2, |v3|, s23
	v_cmp_lt_f32_e64 vcc, |v3|, s22
	v_cndmask_b32_e32 v2, v1, v2, vcc
	v_cndmask_b32_e64 v1, v1, 1.0, vcc
	v_cvt_i32_f32_e32 v1, v1
	s_mov_b32 s22, 0x3f9d70a4
	v_add_f32_e64 v5, |v3|, -1.0
	v_cmp_lt_f32_e64 vcc, |v3|, s22
	v_cndmask_b32_e32 v2, v2, v5, vcc
	v_cndmask_b32_e64 v5, v1, 2, vcc
	v_mov_b32_e32 v1, 0
.LBB143_1036:
	s_or_b64 exec, exec, s[0:1]
	v_cmp_lt_i32_e32 vcc, 0, v5
	s_and_saveexec_b64 s[0:1], vcc
	s_xor_b64 s[0:1], exec, s[0:1]
	s_cbranch_execz .LBB143_1044
; %bb.1037:
	v_cmp_lt_i32_e32 vcc, 1, v5
	s_and_saveexec_b64 s[22:23], vcc
	s_xor_b64 s[22:23], exec, s[22:23]
	s_cbranch_execz .LBB143_1041
; %bb.1038:
	v_cmp_eq_u32_e32 vcc, 2, v5
	s_and_saveexec_b64 s[24:25], vcc
	s_cbranch_execz .LBB143_1040
; %bb.1039:
	v_mov_b32_e32 v5, 0x3e6a7578
	v_fmac_f32_e32 v5, 0x3c5b3c5e, v2
	v_mov_b32_e32 v6, 0x3f7a4bb2
	v_fmac_f32_e32 v6, v2, v5
	;; [unrolled: 2-line block ×8, first 2 shown]
	v_fma_f32 v5, v2, v7, 1.0
	v_rcp_f32_e32 v5, v5
	v_mov_b32_e32 v7, 0xbd9e233f
	v_fmac_f32_e32 v7, v2, v6
	v_mul_f32_e32 v6, v2, v7
	v_mul_f32_e32 v5, v6, v5
	v_fmac_f32_e32 v5, -0.5, v2
	v_add_f32_e32 v1, v1, v5
.LBB143_1040:
	s_or_b64 exec, exec, s[24:25]
                                        ; implicit-def: $vgpr2
.LBB143_1041:
	s_andn2_saveexec_b64 s[22:23], s[22:23]
	s_cbranch_execz .LBB143_1043
; %bb.1042:
	v_mul_f32_e32 v5, v2, v2
	v_mul_f32_e32 v6, v2, v5
	v_mov_b32_e32 v7, 0xbab7f476
	v_fmac_f32_e32 v7, 0x39a57b6b, v6
	v_mov_b32_e32 v8, 0x3bc7e707
	v_fmac_f32_e32 v8, v6, v7
	;; [unrolled: 2-line block ×12, first 2 shown]
	v_fmac_f32_e32 v9, v2, v10
	s_mov_b32 s24, 0xa2863e55
	v_fma_f32 v2, v6, -v9, s24
	v_fma_f32 v2, v5, v8, -v2
	v_add_f32_e32 v2, 0xbdf8cdce, v2
	v_add_f32_e32 v1, v1, v2
.LBB143_1043:
	s_or_b64 exec, exec, s[22:23]
                                        ; implicit-def: $vgpr5
                                        ; implicit-def: $vgpr2
.LBB143_1044:
	s_andn2_saveexec_b64 s[0:1], s[0:1]
	s_cbranch_execz .LBB143_1048
; %bb.1045:
	v_cmp_eq_u32_e32 vcc, 0, v5
	s_and_saveexec_b64 s[22:23], vcc
	s_cbranch_execz .LBB143_1047
; %bb.1046:
	v_mul_f32_e32 v5, v2, v2
	v_mov_b32_e32 v6, 0x39679767
	v_fmac_f32_e32 v6, 0x37d383a2, v5
	v_mov_b32_e32 v7, 0x3a9c54a1
	v_fmac_f32_e32 v7, v5, v6
	;; [unrolled: 2-line block ×10, first 2 shown]
	v_mul_f32_e32 v5, v5, v7
	v_fmac_f32_e32 v5, v2, v6
	v_fmac_f32_e32 v5, -0.5, v2
	v_add_f32_e32 v1, v1, v5
.LBB143_1047:
	s_or_b64 exec, exec, s[22:23]
.LBB143_1048:
	s_or_b64 exec, exec, s[0:1]
.LBB143_1049:
	s_or_b64 exec, exec, s[20:21]
.LBB143_1050:
	s_andn2_saveexec_b64 s[2:3], s[2:3]
	s_cbranch_execz .LBB143_1052
; %bb.1051:
	s_mov_b32 s0, 0x3e8a8991
	v_mov_b32_e32 v1, 0xbecd26ab
	v_fma_f32 v1, |v3|, s0, v1
	s_mov_b32 s0, 0x3f528d33
	v_fma_f32 v1, |v3|, v1, s0
	s_mov_b32 s0, 0x800000
	v_cmp_lt_f32_e64 vcc, |v3|, s0
	v_cndmask_b32_e64 v2, 0, 32, vcc
	v_ldexp_f32 v2, |v3|, v2
	v_log_f32_e32 v2, v2
	s_mov_b32 s0, 0xbf13c468
	v_fma_f32 v1, |v3|, v1, s0
	s_mov_b32 s0, 0x3f317217
	v_mul_f32_e32 v5, 0x3f317217, v2
	v_fma_f32 v6, v2, s0, -v5
	v_fmac_f32_e32 v6, 0x3377d1cf, v2
	s_mov_b32 s0, 0x7f800000
	v_add_f32_e32 v5, v5, v6
	v_cmp_lt_f32_e64 s[0:1], |v2|, s0
	v_cndmask_b32_e64 v2, v2, v5, s[0:1]
	v_mov_b32_e32 v5, 0x41b17218
	v_cndmask_b32_e32 v5, 0, v5, vcc
	v_sub_f32_e32 v2, v2, v5
	v_fma_f32 v1, |v3|, v1, -v2
.LBB143_1052:
	s_or_b64 exec, exec, s[2:3]
	v_cmp_le_f32_e32 vcc, 0, v3
	v_cmp_nle_f32_e64 s[0:1], 0, v3
	s_and_saveexec_b64 s[2:3], s[0:1]
	s_xor_b64 s[20:21], exec, s[2:3]
	s_cbranch_execz .LBB143_1056
; %bb.1053:
	s_mov_b32 s0, 0x4b000000
	s_mov_b32 s2, 0x35000000
	v_cmp_lt_f32_e64 s[0:1], |v3|, s0
	v_cmp_gt_f32_e64 s[2:3], |v3|, s2
	s_and_b64 s[0:1], s[0:1], s[2:3]
	s_and_saveexec_b64 s[22:23], s[0:1]
	s_cbranch_execz .LBB143_1055
; %bb.1054:
	v_mul_f32_e64 v2, |v3|, 0.5
	v_floor_f32_e32 v5, v2
	v_sub_f32_e32 v5, v2, v5
	v_min_f32_e32 v5, 0x3f7fffff, v5
	s_mov_b32 s2, 0x7f800000
	v_add_f32_e32 v5, v5, v5
	v_cmp_neq_f32_e64 s[0:1], s2, v2
	v_cndmask_b32_e64 v2, 0, v5, s[0:1]
	v_cmp_gt_f32_e64 s[0:1], |v3|, 1.0
	v_cndmask_b32_e64 v2, |v3|, v2, s[0:1]
	v_add_f32_e32 v5, v2, v2
	v_rndne_f32_e32 v5, v5
	v_fmac_f32_e32 v2, -0.5, v5
	v_mul_f32_e32 v6, v2, v2
	v_mov_b32_e32 v7, 0xbf1f24be
	v_fmac_f32_e32 v7, 0x3e75aa41, v6
	v_mov_b32_e32 v8, 0x40234736
	v_fmac_f32_e32 v8, v6, v7
	;; [unrolled: 2-line block ×3, first 2 shown]
	v_mul_f32_e32 v8, v2, v6
	v_mul_f32_e32 v7, v8, v7
	v_fmac_f32_e32 v7, 0x40490fdb, v2
	v_mov_b32_e32 v2, 0x3e642e9d
	v_cvt_i32_f32_e32 v5, v5
	v_fmac_f32_e32 v2, 0x3d4be544, v6
	v_mov_b32_e32 v8, 0xbfaad1da
	v_fmac_f32_e32 v8, v6, v2
	v_mov_b32_e32 v2, 0x4081e0d3
	;; [unrolled: 2-line block ×3, first 2 shown]
	v_fmac_f32_e32 v8, v6, v2
	v_fma_f32 v2, v6, v8, 1.0
	v_and_b32_e32 v6, 1, v5
	v_lshlrev_b32_e32 v5, 30, v5
	v_cmp_eq_u32_e64 s[0:1], 0, v6
	v_and_b32_e32 v5, 0x80000000, v5
	v_xor_b32_e32 v0, v0, v3
	v_cndmask_b32_e64 v2, v2, v7, s[0:1]
	v_xor_b32_e32 v0, v0, v5
	v_xor_b32_e32 v0, v0, v2
	v_mul_f32_e32 v0, v3, v0
	v_frexp_mant_f32_e64 v2, |v0|
	v_rcp_f32_e32 v2, v2
	v_frexp_exp_i32_f32_e32 v0, v0
	v_sub_u32_e32 v0, 2, v0
	s_mov_b32 s0, 0x800000
	v_mul_f32_e32 v2, 0x3f490fdb, v2
	v_ldexp_f32 v0, v2, v0
	v_cmp_gt_f32_e64 s[0:1], s0, v0
	v_cndmask_b32_e64 v2, 0, 32, s[0:1]
	v_ldexp_f32 v0, v0, v2
	v_log_f32_e32 v0, v0
	s_mov_b32 s3, 0x3f317217
	v_mul_f32_e32 v2, 0x3f317217, v0
	v_fma_f32 v5, v0, s3, -v2
	v_fmac_f32_e32 v5, 0x3377d1cf, v0
	v_add_f32_e32 v2, v2, v5
	v_cmp_lt_f32_e64 s[2:3], |v0|, s2
	v_cndmask_b32_e64 v0, v0, v2, s[2:3]
	v_mov_b32_e32 v2, 0x41b17218
	v_cndmask_b32_e64 v2, 0, v2, s[0:1]
	v_sub_f32_e32 v0, v0, v2
	v_sub_f32_e32 v0, v0, v1
	v_floor_f32_e32 v1, v3
	v_sub_f32_e32 v1, v3, v1
	v_min_f32_e32 v1, 0x3f7fffff, v1
	v_mov_b32_e32 v2, 0x7f800000
	v_cmp_neq_f32_e64 s[0:1], 0, v1
	v_cndmask_b32_e64 v1, v2, v0, s[0:1]
.LBB143_1055:
	s_or_b64 exec, exec, s[22:23]
.LBB143_1056:
	s_andn2_saveexec_b64 s[20:21], s[20:21]
; %bb.1057:
	v_cmp_eq_f32_e64 s[0:1], 1.0, v3
	v_cmp_eq_f32_e64 s[2:3], 2.0, v3
	s_or_b64 s[0:1], s[0:1], s[2:3]
	v_cndmask_b32_e64 v1, v1, 0, s[0:1]
; %bb.1058:
	s_or_b64 exec, exec, s[20:21]
	s_mov_b32 s0, 0x4b000000
	v_cmp_lt_f32_e64 s[0:1], |v3|, s0
	v_mul_lo_u32 v4, v4, s10
	v_mov_b32_e32 v0, 0x264
	v_mov_b32_e32 v2, 0x7f800000
	s_or_b64 vcc, vcc, s[0:1]
	v_cndmask_b32_e32 v1, v2, v1, vcc
	v_cmp_class_f32_e32 vcc, v3, v0
	v_cndmask_b32_e32 v0, v1, v2, vcc
	v_cmp_u_f32_e32 vcc, v3, v3
	v_cndmask_b32_e32 v2, v0, v3, vcc
	v_ashrrev_i32_e32 v1, 31, v4
	v_mov_b32_e32 v3, s13
	s_and_b32 s26, s33, 0xff
	v_add_co_u32_e32 v0, vcc, s12, v4
	s_cmp_lt_i32 s26, 11
	v_addc_co_u32_e32 v1, vcc, v3, v1, vcc
	s_cbranch_scc1 .LBB143_1078
; %bb.1059:
	s_and_b32 s27, 0xffff, s26
	s_mov_b64 s[20:21], -1
	s_cmp_gt_i32 s27, 25
	s_mov_b64 s[0:1], s[6:7]
	s_cbranch_scc0 .LBB143_1096
; %bb.1060:
	s_mov_b64 s[2:3], -1
	s_cmp_gt_i32 s27, 28
	s_mov_b64 s[0:1], s[6:7]
	s_cbranch_scc0 .LBB143_1080
; %bb.1061:
	s_cmp_gt_i32 s27, 43
	s_mov_b64 s[0:1], s[6:7]
	s_cbranch_scc0 .LBB143_1072
; %bb.1062:
	;; [unrolled: 4-line block ×3, first 2 shown]
	s_cmp_eq_u32 s27, 46
	s_mov_b64 s[0:1], -1
	s_cbranch_scc0 .LBB143_1065
; %bb.1064:
	v_bfe_u32 v3, v2, 16, 1
	s_movk_i32 s0, 0x7fff
	v_add3_u32 v3, v2, v3, s0
	v_cmp_o_f32_e32 vcc, v2, v2
	v_mov_b32_e32 v4, 0x7fc0
	v_cndmask_b32_sdwa v3, v4, v3, vcc dst_sel:DWORD dst_unused:UNUSED_PAD src0_sel:DWORD src1_sel:WORD_1
	global_store_dword v[0:1], v3, off
	s_mov_b64 s[0:1], 0
.LBB143_1065:
	s_mov_b64 s[2:3], 0
.LBB143_1066:
	s_and_b64 vcc, exec, s[2:3]
	s_cbranch_vccz .LBB143_1071
; %bb.1067:
	s_cmp_eq_u32 s27, 44
	s_mov_b64 s[0:1], -1
	s_cbranch_scc0 .LBB143_1071
; %bb.1068:
	v_bfe_u32 v3, v2, 23, 8
	s_movk_i32 s0, 0xff
	v_cmp_ne_u32_e32 vcc, s0, v3
	v_mov_b32_e32 v4, 0xff
	s_and_saveexec_b64 s[2:3], vcc
; %bb.1069:
	s_mov_b32 s0, 0x3fffff
	v_and_b32_e32 v5, 0x400000, v2
	v_and_or_b32 v3, v2, s0, v3
	v_cmp_ne_u32_e32 vcc, 0, v5
	v_cmp_ne_u32_e64 s[0:1], 0, v3
	s_and_b64 s[0:1], vcc, s[0:1]
	v_lshrrev_b32_e32 v4, 23, v2
	v_cndmask_b32_e64 v3, 0, 1, s[0:1]
	v_add_u32_e32 v4, v4, v3
; %bb.1070:
	s_or_b64 exec, exec, s[2:3]
	s_mov_b64 s[0:1], 0
	global_store_byte v[0:1], v4, off
.LBB143_1071:
	s_mov_b64 s[2:3], 0
.LBB143_1072:
	s_and_b64 vcc, exec, s[2:3]
	s_cbranch_vccz .LBB143_1079
; %bb.1073:
	s_cmp_eq_u32 s27, 29
	s_mov_b64 s[0:1], -1
	s_cbranch_scc0 .LBB143_1079
; %bb.1074:
	v_trunc_f32_e32 v3, v2
	v_mul_f32_e32 v4, 0x2f800000, v3
	v_floor_f32_e32 v5, v4
	v_fmac_f32_e32 v3, 0xcf800000, v5
	v_cvt_u32_f32_e32 v4, v5
	v_cvt_u32_f32_e32 v3, v3
	s_mov_b64 s[0:1], 0
	s_mov_b64 s[2:3], 0
	global_store_dwordx2 v[0:1], v[3:4], off
	s_branch .LBB143_1080
.LBB143_1075:
	s_or_b64 exec, exec, s[16:17]
	s_and_saveexec_b64 s[0:1], s[6:7]
	s_cbranch_execnz .LBB143_1138
.LBB143_1076:
	s_or_b64 exec, exec, s[0:1]
	s_and_saveexec_b64 s[0:1], s[20:21]
	s_xor_b64 s[0:1], exec, s[0:1]
	s_cbranch_execz .LBB143_1139
.LBB143_1077:
	s_waitcnt vmcnt(0)
	v_cmp_neq_f32_e32 vcc, 0, v2
	v_cndmask_b32_e64 v3, 0, 1, vcc
	global_store_byte v[0:1], v3, off
	s_or_b64 exec, exec, s[0:1]
	s_and_saveexec_b64 s[0:1], s[2:3]
	s_xor_b64 s[0:1], exec, s[0:1]
	s_cbranch_execz .LBB143_1177
	s_branch .LBB143_1140
.LBB143_1078:
	s_mov_b64 s[20:21], 0
	s_mov_b64 s[2:3], -1
	s_mov_b64 s[0:1], s[6:7]
	s_branch .LBB143_1137
.LBB143_1079:
	s_mov_b64 s[2:3], 0
.LBB143_1080:
	s_and_b64 vcc, exec, s[2:3]
	s_cbranch_vccz .LBB143_1095
; %bb.1081:
	s_cmp_lt_i32 s27, 27
	s_mov_b64 s[2:3], -1
	s_cbranch_scc1 .LBB143_1087
; %bb.1082:
	v_cvt_u32_f32_e32 v3, v2
	s_cmp_gt_i32 s27, 27
	s_cbranch_scc0 .LBB143_1084
; %bb.1083:
	s_mov_b64 s[2:3], 0
	global_store_dword v[0:1], v3, off
.LBB143_1084:
	s_andn2_b64 vcc, exec, s[2:3]
	s_cbranch_vccnz .LBB143_1086
; %bb.1085:
	global_store_short v[0:1], v3, off
.LBB143_1086:
	s_mov_b64 s[2:3], 0
.LBB143_1087:
	s_andn2_b64 vcc, exec, s[2:3]
	s_cbranch_vccnz .LBB143_1095
; %bb.1088:
	v_and_b32_e32 v3, 0x7fffffff, v2
	s_mov_b32 s2, 0x43800000
	v_cmp_gt_u32_e32 vcc, s2, v3
	v_mov_b32_e32 v4, 0x80
	s_and_saveexec_b64 s[2:3], vcc
	s_cbranch_execz .LBB143_1094
; %bb.1089:
	s_mov_b32 s20, 0x3bffffff
	v_cmp_lt_u32_e32 vcc, s20, v3
	s_mov_b64 s[20:21], 0
                                        ; implicit-def: $vgpr3
	s_and_saveexec_b64 s[22:23], vcc
	s_xor_b64 s[22:23], exec, s[22:23]
	s_cbranch_execz .LBB143_1192
; %bb.1090:
	v_bfe_u32 v3, v2, 20, 1
	s_mov_b32 s24, 0x487ffff
	v_add3_u32 v3, v2, v3, s24
	s_mov_b64 s[20:21], exec
	v_lshrrev_b32_e32 v3, 20, v3
	s_andn2_saveexec_b64 s[22:23], s[22:23]
	s_cbranch_execnz .LBB143_1193
.LBB143_1091:
	s_or_b64 exec, exec, s[22:23]
	v_mov_b32_e32 v4, 0
	s_and_saveexec_b64 s[22:23], s[20:21]
.LBB143_1092:
	v_lshrrev_b32_e32 v4, 24, v2
	s_movk_i32 s20, 0x80
	v_and_or_b32 v4, v4, s20, v3
.LBB143_1093:
	s_or_b64 exec, exec, s[22:23]
.LBB143_1094:
	s_or_b64 exec, exec, s[2:3]
	global_store_byte v[0:1], v4, off
.LBB143_1095:
	s_mov_b64 s[20:21], 0
.LBB143_1096:
	s_mov_b64 s[2:3], 0
	s_and_b64 vcc, exec, s[20:21]
	s_cbranch_vccz .LBB143_1136
; %bb.1097:
	s_cmp_gt_i32 s27, 22
	s_mov_b64 s[20:21], -1
	s_cbranch_scc0 .LBB143_1129
; %bb.1098:
	s_cmp_lt_i32 s27, 24
	s_cbranch_scc1 .LBB143_1118
; %bb.1099:
	s_cmp_gt_i32 s27, 24
	s_cbranch_scc0 .LBB143_1107
; %bb.1100:
	v_and_b32_e32 v3, 0x7fffffff, v2
	s_mov_b32 s20, 0x47800000
	v_cmp_gt_u32_e32 vcc, s20, v3
	v_mov_b32_e32 v4, 0x80
	s_and_saveexec_b64 s[20:21], vcc
	s_cbranch_execz .LBB143_1106
; %bb.1101:
	s_mov_b32 s22, 0x37ffffff
	v_cmp_lt_u32_e32 vcc, s22, v3
	s_mov_b64 s[22:23], 0
                                        ; implicit-def: $vgpr3
	s_and_saveexec_b64 s[24:25], vcc
	s_xor_b64 s[24:25], exec, s[24:25]
	s_cbranch_execz .LBB143_1355
; %bb.1102:
	v_bfe_u32 v3, v2, 21, 1
	s_mov_b32 s28, 0x88fffff
	v_add3_u32 v3, v2, v3, s28
	s_mov_b64 s[22:23], exec
	v_lshrrev_b32_e32 v3, 21, v3
	s_andn2_saveexec_b64 s[24:25], s[24:25]
	s_cbranch_execnz .LBB143_1356
.LBB143_1103:
	s_or_b64 exec, exec, s[24:25]
	v_mov_b32_e32 v4, 0
	s_and_saveexec_b64 s[24:25], s[22:23]
.LBB143_1104:
	v_lshrrev_b32_e32 v4, 24, v2
	s_movk_i32 s22, 0x80
	v_and_or_b32 v4, v4, s22, v3
.LBB143_1105:
	s_or_b64 exec, exec, s[24:25]
.LBB143_1106:
	s_or_b64 exec, exec, s[20:21]
	s_mov_b64 s[20:21], 0
	global_store_byte v[0:1], v4, off
.LBB143_1107:
	s_and_b64 vcc, exec, s[20:21]
	s_cbranch_vccz .LBB143_1117
; %bb.1108:
	v_and_b32_e32 v4, 0x7fffffff, v2
	s_mov_b32 s20, 0x43f00000
	v_cmp_gt_u32_e32 vcc, s20, v4
                                        ; implicit-def: $vgpr3
	s_and_saveexec_b64 s[20:21], vcc
	s_xor_b64 s[20:21], exec, s[20:21]
	s_cbranch_execz .LBB143_1114
; %bb.1109:
	s_mov_b32 s22, 0x3c7fffff
	v_cmp_lt_u32_e32 vcc, s22, v4
                                        ; implicit-def: $vgpr3
	s_and_saveexec_b64 s[22:23], vcc
	s_xor_b64 s[22:23], exec, s[22:23]
; %bb.1110:
	v_bfe_u32 v3, v2, 20, 1
	s_mov_b32 s24, 0x407ffff
	v_add3_u32 v3, v2, v3, s24
	v_lshrrev_b32_e32 v4, 20, v3
	v_and_b32_e32 v3, 0xff00000, v3
	s_mov_b32 s24, 0x7f00000
	v_mov_b32_e32 v5, 0x7e
	v_cmp_ne_u32_e32 vcc, s24, v3
	v_cndmask_b32_e32 v3, v5, v4, vcc
; %bb.1111:
	s_andn2_saveexec_b64 s[22:23], s[22:23]
; %bb.1112:
	s_mov_b32 s24, 0x46800000
	v_add_f32_e64 v3, |v2|, s24
; %bb.1113:
	s_or_b64 exec, exec, s[22:23]
                                        ; implicit-def: $vgpr4
.LBB143_1114:
	s_andn2_saveexec_b64 s[20:21], s[20:21]
; %bb.1115:
	s_mov_b32 s22, 0x7f800000
	v_mov_b32_e32 v3, 0x7e
	v_mov_b32_e32 v5, 0x7f
	v_cmp_lt_u32_e32 vcc, s22, v4
	v_cndmask_b32_e32 v3, v3, v5, vcc
; %bb.1116:
	s_or_b64 exec, exec, s[20:21]
	v_lshrrev_b32_e32 v4, 24, v2
	s_movk_i32 s20, 0x80
	v_and_or_b32 v3, v4, s20, v3
	global_store_byte v[0:1], v3, off
.LBB143_1117:
	s_mov_b64 s[20:21], 0
.LBB143_1118:
	s_andn2_b64 vcc, exec, s[20:21]
	s_cbranch_vccnz .LBB143_1128
; %bb.1119:
	v_and_b32_e32 v4, 0x7fffffff, v2
	s_mov_b32 s20, 0x47800000
	v_cmp_gt_u32_e32 vcc, s20, v4
                                        ; implicit-def: $vgpr3
	s_and_saveexec_b64 s[20:21], vcc
	s_xor_b64 s[20:21], exec, s[20:21]
	s_cbranch_execz .LBB143_1125
; %bb.1120:
	s_mov_b32 s22, 0x387fffff
	v_cmp_lt_u32_e32 vcc, s22, v4
                                        ; implicit-def: $vgpr3
	s_and_saveexec_b64 s[22:23], vcc
	s_xor_b64 s[22:23], exec, s[22:23]
; %bb.1121:
	v_bfe_u32 v3, v2, 21, 1
	s_mov_b32 s24, 0x80fffff
	v_add3_u32 v3, v2, v3, s24
	v_lshrrev_b32_e32 v3, 21, v3
; %bb.1122:
	s_andn2_saveexec_b64 s[22:23], s[22:23]
; %bb.1123:
	s_mov_b32 s24, 0x43000000
	v_add_f32_e64 v3, |v2|, s24
; %bb.1124:
	s_or_b64 exec, exec, s[22:23]
                                        ; implicit-def: $vgpr4
.LBB143_1125:
	s_andn2_saveexec_b64 s[20:21], s[20:21]
; %bb.1126:
	s_mov_b32 s22, 0x7f800000
	v_mov_b32_e32 v3, 0x7c
	v_mov_b32_e32 v5, 0x7f
	v_cmp_lt_u32_e32 vcc, s22, v4
	v_cndmask_b32_e32 v3, v3, v5, vcc
; %bb.1127:
	s_or_b64 exec, exec, s[20:21]
	v_lshrrev_b32_e32 v4, 24, v2
	s_movk_i32 s20, 0x80
	v_and_or_b32 v3, v4, s20, v3
	global_store_byte v[0:1], v3, off
.LBB143_1128:
	s_mov_b64 s[20:21], 0
.LBB143_1129:
	s_andn2_b64 vcc, exec, s[20:21]
	s_mov_b64 s[20:21], 0
	s_cbranch_vccnz .LBB143_1137
; %bb.1130:
	s_cmp_gt_i32 s27, 14
	s_mov_b64 s[22:23], -1
	s_cbranch_scc0 .LBB143_1134
; %bb.1131:
	s_cmp_eq_u32 s27, 15
	s_mov_b64 s[0:1], -1
	s_cbranch_scc0 .LBB143_1133
; %bb.1132:
	v_bfe_u32 v3, v2, 16, 1
	s_movk_i32 s0, 0x7fff
	v_add3_u32 v3, v2, v3, s0
	v_cmp_o_f32_e32 vcc, v2, v2
	v_mov_b32_e32 v4, 0x7fc0
	v_cndmask_b32_sdwa v3, v4, v3, vcc dst_sel:DWORD dst_unused:UNUSED_PAD src0_sel:DWORD src1_sel:WORD_1
	global_store_short v[0:1], v3, off
	s_mov_b64 s[0:1], 0
.LBB143_1133:
	s_mov_b64 s[22:23], 0
.LBB143_1134:
	s_and_b64 vcc, exec, s[22:23]
	s_cbranch_vccz .LBB143_1137
; %bb.1135:
	s_cmp_lg_u32 s27, 11
	s_cselect_b64 s[22:23], -1, 0
	s_andn2_b64 s[0:1], s[0:1], exec
	s_and_b64 s[22:23], s[22:23], exec
	s_mov_b64 s[20:21], -1
	s_or_b64 s[0:1], s[0:1], s[22:23]
	s_branch .LBB143_1137
.LBB143_1136:
	s_mov_b64 s[20:21], 0
.LBB143_1137:
	s_andn2_b64 s[6:7], s[6:7], exec
	s_and_b64 s[0:1], s[0:1], exec
	s_and_b64 s[2:3], s[2:3], exec
	;; [unrolled: 1-line block ×3, first 2 shown]
	s_or_b64 s[6:7], s[6:7], s[0:1]
	s_or_b64 exec, exec, s[16:17]
	s_and_saveexec_b64 s[0:1], s[6:7]
	s_cbranch_execz .LBB143_1076
.LBB143_1138:
	s_or_b64 s[18:19], s[18:19], exec
	s_andn2_b64 s[20:21], s[20:21], exec
	s_trap 2
	s_or_b64 exec, exec, s[0:1]
	s_and_saveexec_b64 s[0:1], s[20:21]
	s_xor_b64 s[0:1], exec, s[0:1]
	s_cbranch_execnz .LBB143_1077
.LBB143_1139:
	s_or_b64 exec, exec, s[0:1]
	s_and_saveexec_b64 s[0:1], s[2:3]
	s_xor_b64 s[0:1], exec, s[0:1]
	s_cbranch_execz .LBB143_1177
.LBB143_1140:
	s_sext_i32_i16 s6, s26
	s_cmp_lt_i32 s6, 5
	s_mov_b64 s[2:3], -1
	s_cbranch_scc1 .LBB143_1161
; %bb.1141:
	s_cmp_lt_i32 s6, 8
	s_cbranch_scc1 .LBB143_1151
; %bb.1142:
	s_cmp_lt_i32 s6, 9
	s_cbranch_scc1 .LBB143_1148
; %bb.1143:
	s_cmp_gt_i32 s6, 9
	s_cbranch_scc0 .LBB143_1145
; %bb.1144:
	s_waitcnt vmcnt(0)
	v_cvt_f64_f32_e32 v[3:4], v2
	v_mov_b32_e32 v5, 0
	v_mov_b32_e32 v6, v5
	s_mov_b64 s[2:3], 0
	global_store_dwordx4 v[0:1], v[3:6], off
.LBB143_1145:
	s_andn2_b64 vcc, exec, s[2:3]
	s_cbranch_vccnz .LBB143_1147
; %bb.1146:
	s_waitcnt vmcnt(0)
	v_mov_b32_e32 v3, 0
	global_store_dwordx2 v[0:1], v[2:3], off
.LBB143_1147:
	s_mov_b64 s[2:3], 0
.LBB143_1148:
	s_andn2_b64 vcc, exec, s[2:3]
	s_cbranch_vccnz .LBB143_1150
; %bb.1149:
	s_waitcnt vmcnt(0)
	v_cvt_f16_f32_e32 v3, v2
	global_store_dword v[0:1], v3, off
.LBB143_1150:
	s_mov_b64 s[2:3], 0
.LBB143_1151:
	s_andn2_b64 vcc, exec, s[2:3]
	s_cbranch_vccnz .LBB143_1160
; %bb.1152:
	s_sext_i32_i16 s6, s26
	s_cmp_lt_i32 s6, 6
	s_mov_b64 s[2:3], -1
	s_cbranch_scc1 .LBB143_1158
; %bb.1153:
	s_cmp_gt_i32 s6, 6
	s_cbranch_scc0 .LBB143_1155
; %bb.1154:
	s_waitcnt vmcnt(0)
	v_cvt_f64_f32_e32 v[3:4], v2
	s_mov_b64 s[2:3], 0
	global_store_dwordx2 v[0:1], v[3:4], off
.LBB143_1155:
	s_andn2_b64 vcc, exec, s[2:3]
	s_cbranch_vccnz .LBB143_1157
; %bb.1156:
	s_waitcnt vmcnt(0)
	global_store_dword v[0:1], v2, off
.LBB143_1157:
	s_mov_b64 s[2:3], 0
.LBB143_1158:
	s_andn2_b64 vcc, exec, s[2:3]
	s_cbranch_vccnz .LBB143_1160
; %bb.1159:
	s_waitcnt vmcnt(0)
	v_cvt_f16_f32_e32 v3, v2
	global_store_short v[0:1], v3, off
.LBB143_1160:
	s_mov_b64 s[2:3], 0
.LBB143_1161:
	s_andn2_b64 vcc, exec, s[2:3]
	s_cbranch_vccnz .LBB143_1177
; %bb.1162:
	s_sext_i32_i16 s6, s26
	s_cmp_lt_i32 s6, 2
	s_mov_b64 s[2:3], -1
	s_cbranch_scc1 .LBB143_1172
; %bb.1163:
	s_cmp_lt_i32 s6, 3
	s_cbranch_scc1 .LBB143_1169
; %bb.1164:
	s_cmp_gt_i32 s6, 3
	s_cbranch_scc0 .LBB143_1166
; %bb.1165:
	s_waitcnt vmcnt(0)
	v_trunc_f32_e32 v3, v2
	s_mov_b32 s2, 0x2f800000
	v_mul_f32_e64 v4, |v3|, s2
	v_floor_f32_e32 v4, v4
	s_mov_b32 s2, 0xcf800000
	v_cvt_u32_f32_e32 v5, v4
	v_fma_f32 v4, v4, s2, |v3|
	v_cvt_u32_f32_e32 v4, v4
	v_ashrrev_i32_e32 v6, 31, v3
	v_xor_b32_e32 v5, v5, v6
	s_mov_b64 s[2:3], 0
	v_xor_b32_e32 v3, v4, v6
	v_sub_co_u32_e32 v3, vcc, v3, v6
	v_subb_co_u32_e32 v4, vcc, v5, v6, vcc
	global_store_dwordx2 v[0:1], v[3:4], off
.LBB143_1166:
	s_andn2_b64 vcc, exec, s[2:3]
	s_cbranch_vccnz .LBB143_1168
; %bb.1167:
	s_waitcnt vmcnt(0)
	v_cvt_i32_f32_e32 v3, v2
	global_store_dword v[0:1], v3, off
.LBB143_1168:
	s_mov_b64 s[2:3], 0
.LBB143_1169:
	s_andn2_b64 vcc, exec, s[2:3]
	s_cbranch_vccnz .LBB143_1171
; %bb.1170:
	s_waitcnt vmcnt(0)
	v_cvt_i32_f32_e32 v3, v2
	global_store_short v[0:1], v3, off
.LBB143_1171:
	s_mov_b64 s[2:3], 0
.LBB143_1172:
	s_andn2_b64 vcc, exec, s[2:3]
	s_cbranch_vccnz .LBB143_1177
; %bb.1173:
	s_sext_i32_i16 s2, s26
	s_cmp_gt_i32 s2, 0
	s_mov_b64 s[2:3], -1
	s_cbranch_scc0 .LBB143_1175
; %bb.1174:
	s_waitcnt vmcnt(0)
	v_cvt_i32_f32_e32 v3, v2
	s_mov_b64 s[2:3], 0
	global_store_byte v[0:1], v3, off
.LBB143_1175:
	s_andn2_b64 vcc, exec, s[2:3]
	s_cbranch_vccnz .LBB143_1177
; %bb.1176:
	s_waitcnt vmcnt(0)
	v_trunc_f32_e32 v2, v2
	s_mov_b32 s2, 0x2f800000
	v_mul_f32_e64 v3, |v2|, s2
	v_floor_f32_e32 v3, v3
	s_mov_b32 s2, 0xcf800000
	v_fma_f32 v3, v3, s2, |v2|
	v_cvt_u32_f32_e32 v3, v3
	v_ashrrev_i32_e32 v2, 31, v2
	v_xor_b32_e32 v3, v3, v2
	v_sub_u32_e32 v2, v3, v2
	global_store_byte v[0:1], v2, off
.LBB143_1177:
	s_or_b64 exec, exec, s[0:1]
	s_and_b64 s[16:17], s[18:19], exec
                                        ; implicit-def: $vgpr4
.LBB143_1178:
	s_or_saveexec_b64 s[18:19], s[4:5]
	s_mov_b64 s[0:1], 0
                                        ; implicit-def: $sgpr26
                                        ; implicit-def: $vgpr0_vgpr1
                                        ; implicit-def: $vgpr2
	s_xor_b64 exec, exec, s[18:19]
	s_cbranch_execz .LBB143_2278
; %bb.1179:
	v_mul_lo_u32 v5, s11, v4
	v_mov_b32_e32 v1, s15
	s_and_b32 s26, 0xffff, s42
	s_cmp_lt_i32 s26, 11
	s_waitcnt vmcnt(0)
	v_ashrrev_i32_e32 v2, 31, v5
	v_add_co_u32_e32 v0, vcc, s14, v5
	v_addc_co_u32_e32 v1, vcc, v1, v2, vcc
	s_cbranch_scc1 .LBB143_1186
; %bb.1180:
	s_cmp_gt_i32 s26, 25
	s_mov_b64 s[2:3], 0
	s_cbranch_scc0 .LBB143_1188
; %bb.1181:
	s_cmp_gt_i32 s26, 28
	s_cbranch_scc0 .LBB143_1189
; %bb.1182:
	s_cmp_gt_i32 s26, 43
	;; [unrolled: 3-line block ×3, first 2 shown]
	s_cbranch_scc0 .LBB143_1191
; %bb.1184:
	s_cmp_eq_u32 s26, 46
	s_mov_b64 s[6:7], 0
	s_cbranch_scc0 .LBB143_1194
; %bb.1185:
	global_load_dword v2, v[0:1], off
	s_mov_b64 s[4:5], -1
	s_waitcnt vmcnt(0)
	v_lshlrev_b32_e32 v2, 16, v2
	s_branch .LBB143_1195
.LBB143_1186:
	s_mov_b64 s[4:5], 0
                                        ; implicit-def: $vgpr2
	s_mov_b64 s[20:21], s[16:17]
	s_cbranch_execnz .LBB143_1258
.LBB143_1187:
	s_andn2_b64 vcc, exec, s[4:5]
	s_cbranch_vccz .LBB143_1303
	s_branch .LBB143_2276
.LBB143_1188:
	s_mov_b64 s[4:5], 0
                                        ; implicit-def: $vgpr2
	s_cbranch_execnz .LBB143_1223
	s_branch .LBB143_1254
.LBB143_1189:
	s_mov_b64 s[6:7], -1
	s_mov_b64 s[4:5], 0
                                        ; implicit-def: $vgpr2
	s_branch .LBB143_1204
.LBB143_1190:
	s_mov_b64 s[4:5], 0
                                        ; implicit-def: $vgpr2
	s_cbranch_execnz .LBB143_1200
	s_branch .LBB143_1203
.LBB143_1191:
	s_mov_b64 s[6:7], -1
	s_mov_b64 s[4:5], 0
                                        ; implicit-def: $vgpr2
	s_branch .LBB143_1195
.LBB143_1192:
	s_andn2_saveexec_b64 s[22:23], s[22:23]
	s_cbranch_execz .LBB143_1091
.LBB143_1193:
	s_mov_b32 s24, 0x46000000
	v_add_f32_e64 v3, |v2|, s24
	v_and_b32_e32 v3, 0xff, v3
	v_cmp_ne_u32_e32 vcc, 0, v3
	s_andn2_b64 s[20:21], s[20:21], exec
	s_and_b64 s[24:25], vcc, exec
	s_or_b64 s[20:21], s[20:21], s[24:25]
	s_or_b64 exec, exec, s[22:23]
	v_mov_b32_e32 v4, 0
	s_and_saveexec_b64 s[22:23], s[20:21]
	s_cbranch_execnz .LBB143_1092
	s_branch .LBB143_1093
.LBB143_1194:
	s_mov_b64 s[0:1], -1
                                        ; implicit-def: $vgpr2
	s_mov_b64 s[4:5], 0
.LBB143_1195:
	s_and_b64 vcc, exec, s[6:7]
	s_cbranch_vccz .LBB143_1198
; %bb.1196:
	s_cmp_eq_u32 s26, 44
	s_cbranch_scc0 .LBB143_1199
; %bb.1197:
	global_load_ubyte v2, v[0:1], off
	s_movk_i32 s4, 0xff
	v_mov_b32_e32 v3, 0x7f800001
	v_mov_b32_e32 v6, 0x400000
	s_mov_b64 s[0:1], 0
	s_waitcnt vmcnt(0)
	v_lshlrev_b32_e32 v7, 23, v2
	v_cmp_ne_u32_e32 vcc, s4, v2
	v_cndmask_b32_e32 v3, v3, v7, vcc
	v_cmp_ne_u32_e32 vcc, 0, v2
	v_cndmask_b32_e32 v2, v6, v3, vcc
	s_mov_b64 s[4:5], -1
.LBB143_1198:
	s_branch .LBB143_1203
.LBB143_1199:
	s_mov_b64 s[0:1], -1
                                        ; implicit-def: $vgpr2
	s_branch .LBB143_1203
.LBB143_1200:
	s_cmp_eq_u32 s26, 29
	s_cbranch_scc0 .LBB143_1202
; %bb.1201:
	global_load_dwordx2 v[2:3], v[0:1], off
	s_mov_b64 s[0:1], 0
	s_mov_b64 s[4:5], -1
	s_mov_b64 s[6:7], 0
	s_waitcnt vmcnt(0)
	v_ffbh_u32_e32 v6, v3
	v_min_u32_e32 v6, 32, v6
	v_lshlrev_b64 v[2:3], v6, v[2:3]
	v_min_u32_e32 v2, 1, v2
	v_or_b32_e32 v2, v3, v2
	v_cvt_f32_u32_e32 v2, v2
	v_sub_u32_e32 v3, 32, v6
	v_ldexp_f32 v2, v2, v3
	s_branch .LBB143_1204
.LBB143_1202:
	s_mov_b64 s[0:1], -1
                                        ; implicit-def: $vgpr2
.LBB143_1203:
	s_mov_b64 s[6:7], 0
.LBB143_1204:
	s_and_b64 vcc, exec, s[6:7]
	s_cbranch_vccz .LBB143_1222
; %bb.1205:
	s_cmp_lt_i32 s26, 27
	s_cbranch_scc1 .LBB143_1208
; %bb.1206:
	s_cmp_gt_i32 s26, 27
	s_cbranch_scc0 .LBB143_1209
; %bb.1207:
	global_load_dword v2, v[0:1], off
	s_mov_b64 s[4:5], 0
	s_waitcnt vmcnt(0)
	v_cvt_f32_u32_e32 v2, v2
	s_branch .LBB143_1210
.LBB143_1208:
	s_mov_b64 s[4:5], -1
                                        ; implicit-def: $vgpr2
	s_branch .LBB143_1213
.LBB143_1209:
	s_mov_b64 s[4:5], -1
                                        ; implicit-def: $vgpr2
.LBB143_1210:
	s_andn2_b64 vcc, exec, s[4:5]
	s_cbranch_vccnz .LBB143_1212
; %bb.1211:
	global_load_ushort v2, v[0:1], off
	s_waitcnt vmcnt(0)
	v_cvt_f32_u32_e32 v2, v2
.LBB143_1212:
	s_mov_b64 s[4:5], 0
.LBB143_1213:
	s_andn2_b64 vcc, exec, s[4:5]
	s_cbranch_vccnz .LBB143_1221
; %bb.1214:
	global_load_ubyte v3, v[0:1], off
	s_movk_i32 s4, 0x7f
	s_waitcnt vmcnt(0)
	v_cmp_lt_i16_e32 vcc, s4, v3
	s_mov_b64 s[4:5], 0
	s_and_saveexec_b64 s[6:7], vcc
	s_xor_b64 s[6:7], exec, s[6:7]
	s_cbranch_execz .LBB143_1234
; %bb.1215:
	s_movk_i32 s4, 0x80
	v_cmp_eq_u16_e32 vcc, s4, v3
	s_mov_b64 s[4:5], -1
	s_and_saveexec_b64 s[8:9], vcc
; %bb.1216:
	s_xor_b64 s[4:5], exec, -1
; %bb.1217:
	s_or_b64 exec, exec, s[8:9]
	s_and_b64 s[4:5], s[4:5], exec
	s_or_saveexec_b64 s[6:7], s[6:7]
	v_mov_b32_e32 v2, 0x7f800001
	s_xor_b64 exec, exec, s[6:7]
	s_cbranch_execnz .LBB143_1235
.LBB143_1218:
	s_or_b64 exec, exec, s[6:7]
	s_and_saveexec_b64 s[6:7], s[4:5]
	s_cbranch_execz .LBB143_1220
.LBB143_1219:
	v_lshlrev_b32_e32 v2, 24, v3
	v_and_b32_e32 v3, 0xffff, v3
	v_and_b32_e32 v6, 7, v3
	v_ffbh_u32_e32 v8, v6
	v_min_u32_e32 v8, 32, v8
	v_subrev_u32_e32 v9, 28, v8
	v_bfe_u32 v7, v3, 3, 4
	v_lshlrev_b32_e32 v3, v9, v3
	v_sub_u32_e32 v8, 29, v8
	v_and_b32_e32 v3, 7, v3
	v_cmp_eq_u32_e32 vcc, 0, v7
	v_cndmask_b32_e32 v7, v7, v8, vcc
	v_cndmask_b32_e32 v3, v6, v3, vcc
	v_mov_b32_e32 v6, 0x3b800000
	v_lshlrev_b32_e32 v3, 20, v3
	v_and_b32_e32 v2, 0x80000000, v2
	v_lshl_add_u32 v6, v7, 23, v6
	v_or3_b32 v2, v2, v6, v3
.LBB143_1220:
	s_or_b64 exec, exec, s[6:7]
.LBB143_1221:
	s_mov_b64 s[4:5], -1
.LBB143_1222:
	s_branch .LBB143_1254
.LBB143_1223:
	s_cmp_gt_i32 s26, 22
	s_cbranch_scc0 .LBB143_1233
; %bb.1224:
	s_cmp_lt_i32 s26, 24
	s_cbranch_scc1 .LBB143_1236
; %bb.1225:
	s_cmp_gt_i32 s26, 24
	s_cbranch_scc0 .LBB143_1237
; %bb.1226:
	global_load_ubyte v3, v[0:1], off
	s_movk_i32 s2, 0x7f
	s_waitcnt vmcnt(0)
	v_cmp_lt_i16_e32 vcc, s2, v3
	s_mov_b64 s[2:3], 0
	s_and_saveexec_b64 s[4:5], vcc
	s_xor_b64 s[4:5], exec, s[4:5]
	s_cbranch_execz .LBB143_1248
; %bb.1227:
	s_movk_i32 s2, 0x80
	v_cmp_eq_u16_e32 vcc, s2, v3
	s_mov_b64 s[2:3], -1
	s_and_saveexec_b64 s[6:7], vcc
; %bb.1228:
	s_xor_b64 s[2:3], exec, -1
; %bb.1229:
	s_or_b64 exec, exec, s[6:7]
	s_and_b64 s[2:3], s[2:3], exec
	s_or_saveexec_b64 s[4:5], s[4:5]
	v_mov_b32_e32 v2, 0x7f800001
	s_xor_b64 exec, exec, s[4:5]
	s_cbranch_execnz .LBB143_1249
.LBB143_1230:
	s_or_b64 exec, exec, s[4:5]
	s_and_saveexec_b64 s[4:5], s[2:3]
	s_cbranch_execz .LBB143_1232
.LBB143_1231:
	v_lshlrev_b32_e32 v2, 24, v3
	v_and_b32_e32 v3, 0xffff, v3
	v_and_b32_e32 v6, 3, v3
	v_ffbh_u32_e32 v8, v6
	v_min_u32_e32 v8, 32, v8
	v_subrev_u32_e32 v9, 29, v8
	v_bfe_u32 v7, v3, 2, 5
	v_lshlrev_b32_e32 v3, v9, v3
	v_sub_u32_e32 v8, 30, v8
	v_and_b32_e32 v3, 3, v3
	v_cmp_eq_u32_e32 vcc, 0, v7
	v_cndmask_b32_e32 v7, v7, v8, vcc
	v_cndmask_b32_e32 v3, v6, v3, vcc
	v_mov_b32_e32 v6, 0x37800000
	v_lshlrev_b32_e32 v3, 21, v3
	v_and_b32_e32 v2, 0x80000000, v2
	v_lshl_add_u32 v6, v7, 23, v6
	v_or3_b32 v2, v2, v6, v3
.LBB143_1232:
	s_or_b64 exec, exec, s[4:5]
	s_mov_b64 s[2:3], 0
	s_branch .LBB143_1238
.LBB143_1233:
                                        ; implicit-def: $vgpr2
	s_mov_b64 s[2:3], 0
	s_branch .LBB143_1244
.LBB143_1234:
	s_or_saveexec_b64 s[6:7], s[6:7]
	v_mov_b32_e32 v2, 0x7f800001
	s_xor_b64 exec, exec, s[6:7]
	s_cbranch_execz .LBB143_1218
.LBB143_1235:
	v_cmp_ne_u16_e32 vcc, 0, v3
	s_andn2_b64 s[4:5], s[4:5], exec
	s_and_b64 s[8:9], vcc, exec
	v_mov_b32_e32 v2, 0
	s_or_b64 s[4:5], s[4:5], s[8:9]
	s_or_b64 exec, exec, s[6:7]
	s_and_saveexec_b64 s[6:7], s[4:5]
	s_cbranch_execnz .LBB143_1219
	s_branch .LBB143_1220
.LBB143_1236:
	s_mov_b64 s[2:3], -1
                                        ; implicit-def: $vgpr2
	s_branch .LBB143_1241
.LBB143_1237:
	s_mov_b64 s[2:3], -1
                                        ; implicit-def: $vgpr2
.LBB143_1238:
	s_and_b64 vcc, exec, s[2:3]
	s_cbranch_vccz .LBB143_1240
; %bb.1239:
	global_load_ubyte v2, v[0:1], off
	s_mov_b32 s2, 0x7f800000
	s_waitcnt vmcnt(0)
	v_lshlrev_b32_e32 v2, 24, v2
	v_and_b32_e32 v3, 0x7f000000, v2
	v_ffbh_u32_e32 v6, v3
	v_min_u32_e32 v6, 32, v6
	v_sub_u32_e64 v6, v6, 4 clamp
	v_lshlrev_b32_e32 v8, v6, v3
	v_lshlrev_b32_e32 v6, 23, v6
	v_lshrrev_b32_e32 v8, 4, v8
	v_add_u32_e32 v7, 0x1000000, v3
	v_sub_u32_e32 v6, v8, v6
	v_ashrrev_i32_e32 v7, 8, v7
	v_add_u32_e32 v6, 0x3c000000, v6
	v_and_or_b32 v6, v7, s2, v6
	v_cmp_ne_u32_e32 vcc, 0, v3
	v_cndmask_b32_e32 v3, 0, v6, vcc
	s_brev_b32 s2, 1
	v_and_or_b32 v2, v2, s2, v3
.LBB143_1240:
	s_mov_b64 s[2:3], 0
.LBB143_1241:
	s_andn2_b64 vcc, exec, s[2:3]
	s_cbranch_vccnz .LBB143_1243
; %bb.1242:
	global_load_ubyte v2, v[0:1], off
	s_movk_i32 s2, 0x7f00
	s_brev_b32 s3, 16
	s_waitcnt vmcnt(0)
	v_lshlrev_b16_e32 v3, 8, v2
	v_lshlrev_b32_e32 v2, 25, v2
	v_lshrrev_b32_e32 v6, 4, v2
	v_and_or_b32 v7, v3, s2, 0.5
	v_or_b32_e32 v6, 0x70000000, v6
	v_add_f32_e32 v7, -0.5, v7
	v_mul_f32_e32 v6, 0x7800000, v6
	v_cmp_gt_u32_e32 vcc, s3, v2
	v_bfe_i32 v3, v3, 0, 16
	v_cndmask_b32_e32 v2, v6, v7, vcc
	s_brev_b32 s2, 1
	v_and_or_b32 v2, v3, s2, v2
.LBB143_1243:
	s_mov_b64 s[4:5], -1
	s_mov_b64 s[2:3], 0
	s_cbranch_execnz .LBB143_1254
.LBB143_1244:
	s_cmp_gt_i32 s26, 14
	s_cbranch_scc0 .LBB143_1247
; %bb.1245:
	s_cmp_eq_u32 s26, 15
	s_cbranch_scc0 .LBB143_1250
; %bb.1246:
	global_load_ushort v2, v[0:1], off
	s_mov_b64 s[0:1], 0
	s_mov_b64 s[4:5], -1
	s_waitcnt vmcnt(0)
	v_lshlrev_b32_e32 v2, 16, v2
	s_branch .LBB143_1251
.LBB143_1247:
	s_mov_b64 s[6:7], -1
                                        ; implicit-def: $vgpr2
	s_branch .LBB143_1252
.LBB143_1248:
	s_or_saveexec_b64 s[4:5], s[4:5]
	v_mov_b32_e32 v2, 0x7f800001
	s_xor_b64 exec, exec, s[4:5]
	s_cbranch_execz .LBB143_1230
.LBB143_1249:
	v_cmp_ne_u16_e32 vcc, 0, v3
	s_andn2_b64 s[2:3], s[2:3], exec
	s_and_b64 s[6:7], vcc, exec
	v_mov_b32_e32 v2, 0
	s_or_b64 s[2:3], s[2:3], s[6:7]
	s_or_b64 exec, exec, s[4:5]
	s_and_saveexec_b64 s[4:5], s[2:3]
	s_cbranch_execnz .LBB143_1231
	s_branch .LBB143_1232
.LBB143_1250:
	s_mov_b64 s[0:1], -1
                                        ; implicit-def: $vgpr2
.LBB143_1251:
	s_mov_b64 s[6:7], 0
.LBB143_1252:
	s_and_b64 vcc, exec, s[6:7]
	s_cbranch_vccz .LBB143_1254
; %bb.1253:
	s_cmp_lg_u32 s26, 11
	s_mov_b64 s[2:3], -1
	s_cselect_b64 s[0:1], -1, 0
.LBB143_1254:
	s_and_b64 vcc, exec, s[0:1]
	s_mov_b64 s[20:21], s[16:17]
	s_cbranch_vccnz .LBB143_1353
; %bb.1255:
	s_andn2_b64 vcc, exec, s[2:3]
	s_cbranch_vccnz .LBB143_1257
.LBB143_1256:
	global_load_ubyte v2, v[0:1], off
	s_mov_b64 s[4:5], -1
	s_waitcnt vmcnt(0)
	v_cmp_ne_u16_e32 vcc, 0, v2
	v_cndmask_b32_e64 v2, 0, 1.0, vcc
.LBB143_1257:
	s_branch .LBB143_1187
.LBB143_1258:
	s_cmp_lt_i32 s26, 5
	s_cbranch_scc1 .LBB143_1263
; %bb.1259:
	s_cmp_lt_i32 s26, 8
	s_cbranch_scc1 .LBB143_1264
; %bb.1260:
	;; [unrolled: 3-line block ×3, first 2 shown]
	s_cmp_gt_i32 s26, 9
	s_cbranch_scc0 .LBB143_1266
; %bb.1262:
	global_load_dwordx2 v[2:3], v[0:1], off
	s_mov_b64 s[0:1], 0
	s_waitcnt vmcnt(0)
	v_cvt_f32_f64_e32 v2, v[2:3]
	s_branch .LBB143_1267
.LBB143_1263:
                                        ; implicit-def: $vgpr2
	s_branch .LBB143_1284
.LBB143_1264:
                                        ; implicit-def: $vgpr2
	s_branch .LBB143_1273
.LBB143_1265:
	s_mov_b64 s[0:1], -1
                                        ; implicit-def: $vgpr2
	s_branch .LBB143_1270
.LBB143_1266:
	s_mov_b64 s[0:1], -1
                                        ; implicit-def: $vgpr2
.LBB143_1267:
	s_andn2_b64 vcc, exec, s[0:1]
	s_cbranch_vccnz .LBB143_1269
; %bb.1268:
	global_load_dword v2, v[0:1], off
.LBB143_1269:
	s_mov_b64 s[0:1], 0
.LBB143_1270:
	s_andn2_b64 vcc, exec, s[0:1]
	s_cbranch_vccnz .LBB143_1272
; %bb.1271:
	global_load_dword v2, v[0:1], off
	s_waitcnt vmcnt(0)
	v_cvt_f32_f16_e32 v2, v2
.LBB143_1272:
	s_cbranch_execnz .LBB143_1283
.LBB143_1273:
	s_cmp_lt_i32 s26, 6
	s_cbranch_scc1 .LBB143_1276
; %bb.1274:
	s_cmp_gt_i32 s26, 6
	s_cbranch_scc0 .LBB143_1277
; %bb.1275:
	global_load_dwordx2 v[2:3], v[0:1], off
	s_mov_b64 s[0:1], 0
	s_waitcnt vmcnt(0)
	v_cvt_f32_f64_e32 v2, v[2:3]
	s_branch .LBB143_1278
.LBB143_1276:
	s_mov_b64 s[0:1], -1
                                        ; implicit-def: $vgpr2
	s_branch .LBB143_1281
.LBB143_1277:
	s_mov_b64 s[0:1], -1
                                        ; implicit-def: $vgpr2
.LBB143_1278:
	s_andn2_b64 vcc, exec, s[0:1]
	s_cbranch_vccnz .LBB143_1280
; %bb.1279:
	global_load_dword v2, v[0:1], off
.LBB143_1280:
	s_mov_b64 s[0:1], 0
.LBB143_1281:
	s_andn2_b64 vcc, exec, s[0:1]
	s_cbranch_vccnz .LBB143_1283
; %bb.1282:
	global_load_ushort v2, v[0:1], off
	s_waitcnt vmcnt(0)
	v_cvt_f32_f16_e32 v2, v2
.LBB143_1283:
	s_cbranch_execnz .LBB143_1302
.LBB143_1284:
	s_cmp_lt_i32 s26, 2
	s_cbranch_scc1 .LBB143_1288
; %bb.1285:
	s_cmp_lt_i32 s26, 3
	s_cbranch_scc1 .LBB143_1289
; %bb.1286:
	s_cmp_gt_i32 s26, 3
	s_cbranch_scc0 .LBB143_1290
; %bb.1287:
	global_load_dwordx2 v[2:3], v[0:1], off
	s_mov_b64 s[0:1], 0
	s_waitcnt vmcnt(0)
	v_xor_b32_e32 v7, v2, v3
	v_ffbh_i32_e32 v6, v3
	v_ashrrev_i32_e32 v7, 31, v7
	v_add_u32_e32 v6, -1, v6
	v_add_u32_e32 v7, 32, v7
	v_min_u32_e32 v6, v6, v7
	v_lshlrev_b64 v[2:3], v6, v[2:3]
	v_min_u32_e32 v2, 1, v2
	v_or_b32_e32 v2, v3, v2
	v_cvt_f32_i32_e32 v2, v2
	v_sub_u32_e32 v3, 32, v6
	v_ldexp_f32 v2, v2, v3
	s_branch .LBB143_1291
.LBB143_1288:
                                        ; implicit-def: $vgpr2
	s_branch .LBB143_1297
.LBB143_1289:
	s_mov_b64 s[0:1], -1
                                        ; implicit-def: $vgpr2
	s_branch .LBB143_1294
.LBB143_1290:
	s_mov_b64 s[0:1], -1
                                        ; implicit-def: $vgpr2
.LBB143_1291:
	s_andn2_b64 vcc, exec, s[0:1]
	s_cbranch_vccnz .LBB143_1293
; %bb.1292:
	global_load_dword v2, v[0:1], off
	s_waitcnt vmcnt(0)
	v_cvt_f32_i32_e32 v2, v2
.LBB143_1293:
	s_mov_b64 s[0:1], 0
.LBB143_1294:
	s_andn2_b64 vcc, exec, s[0:1]
	s_cbranch_vccnz .LBB143_1296
; %bb.1295:
	global_load_sshort v2, v[0:1], off
	s_waitcnt vmcnt(0)
	v_cvt_f32_i32_e32 v2, v2
.LBB143_1296:
	s_cbranch_execnz .LBB143_1302
.LBB143_1297:
	s_cmp_gt_i32 s26, 0
	s_cbranch_scc0 .LBB143_1299
; %bb.1298:
	global_load_sbyte v2, v[0:1], off
	s_mov_b64 s[0:1], 0
	s_waitcnt vmcnt(0)
	v_cvt_f32_i32_e32 v2, v2
	s_branch .LBB143_1300
.LBB143_1299:
	s_mov_b64 s[0:1], -1
                                        ; implicit-def: $vgpr2
.LBB143_1300:
	s_andn2_b64 vcc, exec, s[0:1]
	s_cbranch_vccnz .LBB143_1302
; %bb.1301:
	global_load_ubyte v0, v[0:1], off
	s_waitcnt vmcnt(0)
	v_cvt_f32_ubyte0_e32 v2, v0
.LBB143_1302:
.LBB143_1303:
	s_mov_b32 s0, 0x3c800000
	s_waitcnt vmcnt(0)
	v_and_b32_e32 v0, 0x7fffffff, v2
	v_cmp_nlt_f32_e64 s[0:1], |v2|, s0
                                        ; implicit-def: $vgpr3
	s_and_saveexec_b64 s[2:3], s[0:1]
	s_xor_b64 s[2:3], exec, s[2:3]
	s_cbranch_execz .LBB143_1333
; %bb.1304:
	v_cmp_nlt_f32_e64 s[0:1], |v2|, 2.0
                                        ; implicit-def: $vgpr3
	s_and_saveexec_b64 s[4:5], s[0:1]
	s_xor_b64 s[4:5], exec, s[4:5]
	s_cbranch_execz .LBB143_1314
; %bb.1305:
	s_mov_b32 s0, 0x41000000
	v_cmp_nlt_f32_e64 s[0:1], |v2|, s0
                                        ; implicit-def: $vgpr3
	s_and_saveexec_b64 s[6:7], s[0:1]
	s_xor_b64 s[6:7], exec, s[6:7]
	s_cbranch_execz .LBB143_1311
; %bb.1306:
	s_mov_b32 s0, 0x5c800000
	v_cmp_nlt_f32_e64 s[0:1], |v2|, s0
                                        ; implicit-def: $vgpr3
	s_and_saveexec_b64 s[8:9], s[0:1]
	s_xor_b64 s[8:9], exec, s[8:9]
	s_cbranch_execz .LBB143_1308
; %bb.1307:
	s_mov_b32 s0, 0x800000
	v_cmp_lt_f32_e64 vcc, |v2|, s0
	v_cndmask_b32_e64 v1, 0, 32, vcc
	v_ldexp_f32 v1, |v2|, v1
	v_log_f32_e32 v1, v1
	s_mov_b32 s0, 0x3f317217
	s_mov_b32 s1, 0x7f800000
	v_mul_f32_e32 v3, 0x3f317217, v1
	v_fma_f32 v6, v1, s0, -v3
	v_fmac_f32_e32 v6, 0x3377d1cf, v1
	v_add_f32_e32 v3, v3, v6
	v_cmp_lt_f32_e64 s[0:1], |v1|, s1
	v_cndmask_b32_e64 v1, v1, v3, s[0:1]
	v_mov_b32_e32 v3, 0x41b17218
	v_cndmask_b32_e32 v3, 0, v3, vcc
	v_sub_f32_e32 v1, v1, v3
	v_fma_f32 v3, |v2|, v1, -|v2|
.LBB143_1308:
	s_andn2_saveexec_b64 s[8:9], s[8:9]
	s_cbranch_execz .LBB143_1310
; %bb.1309:
	v_rcp_f32_e64 v1, |v2|
	v_mov_b32_e32 v3, 0x3a5b3dd2
	v_mov_b32_e32 v6, 0xba1c065c
	;; [unrolled: 1-line block ×3, first 2 shown]
	v_mul_f32_e32 v8, v1, v1
	v_fmac_f32_e32 v3, 0xbad5c4e8, v8
	v_fmac_f32_e32 v6, v8, v3
	s_mov_b32 s0, 0x800000
	v_fmac_f32_e32 v7, v8, v6
	v_mov_b32_e32 v3, 0xbb360b61
	v_cmp_lt_f32_e64 vcc, |v2|, s0
	v_fmac_f32_e32 v3, v8, v7
	v_cndmask_b32_e64 v7, 0, 32, vcc
	v_ldexp_f32 v7, |v2|, v7
	v_log_f32_e32 v7, v7
	v_mov_b32_e32 v6, 0x3daaaaab
	v_fmac_f32_e32 v6, v8, v3
	v_mov_b32_e32 v3, 0x3ed67f1d
	v_fmac_f32_e32 v3, v1, v6
	s_mov_b32 s0, 0x3f317217
	v_mul_f32_e32 v6, 0x3f317217, v7
	v_fma_f32 v8, v7, s0, -v6
	v_fmac_f32_e32 v8, 0x3377d1cf, v7
	s_mov_b32 s0, 0x7f800000
	v_add_f32_e32 v6, v6, v8
	v_cmp_lt_f32_e64 s[0:1], |v7|, s0
	v_cndmask_b32_e64 v6, v7, v6, s[0:1]
	v_mov_b32_e32 v7, 0x41b17218
	v_cndmask_b32_e32 v7, 0, v7, vcc
	v_sub_f32_e32 v6, v6, v7
	v_add_f32_e64 v1, |v2|, -0.5
	v_add_f32_e32 v6, -1.0, v6
	v_fmac_f32_e32 v3, v1, v6
.LBB143_1310:
	s_or_b64 exec, exec, s[8:9]
.LBB143_1311:
	s_andn2_saveexec_b64 s[6:7], s[6:7]
	s_cbranch_execz .LBB143_1313
; %bb.1312:
	v_cvt_i32_f32_e32 v1, v0
	v_mov_b32_e32 v3, 0x3af135b4
	v_mov_b32_e32 v6, 0x3cda40e4
	v_mov_b32_e32 v7, 0x3e15dce6
	v_cvt_f32_i32_e32 v8, v1
	v_mov_b32_e32 v9, 0x3ea6cc7a
	v_mov_b32_e32 v10, 0x3e5c245a
	v_cmp_lt_i32_e32 vcc, 2, v1
	v_sub_f32_e64 v8, |v2|, v8
	v_fmac_f32_e32 v3, 0x3805ff67, v8
	v_fmac_f32_e32 v6, v8, v3
	;; [unrolled: 1-line block ×3, first 2 shown]
	v_mov_b32_e32 v6, 0x3a4beed6
	v_fmac_f32_e32 v9, v8, v7
	v_fmac_f32_e32 v6, 0x36f5d7bd, v8
	v_mov_b32_e32 v7, 0x3c98bf54
	v_fmac_f32_e32 v7, v8, v6
	v_mov_b32_e32 v6, 0x3e300f6e
	;; [unrolled: 2-line block ×4, first 2 shown]
	v_fmac_f32_e32 v6, v8, v7
	v_add_f32_e32 v7, 2.0, v8
	v_mov_b32_e32 v11, 0xbd9e233f
	v_fmac_f32_e32 v10, v8, v9
	v_add_f32_e32 v9, 0x40400000, v8
	v_cndmask_b32_e32 v7, 1.0, v7, vcc
	v_cmp_lt_i32_e32 vcc, 3, v1
	v_fmac_f32_e32 v11, v8, v10
	v_add_f32_e32 v10, 4.0, v8
	v_cndmask_b32_e32 v9, 1.0, v9, vcc
	v_cmp_lt_i32_e32 vcc, 4, v1
	v_mul_f32_e32 v3, v8, v11
	v_add_f32_e32 v11, 0x40a00000, v8
	v_mul_f32_e32 v7, v7, v9
	v_cndmask_b32_e32 v9, 1.0, v10, vcc
	v_cmp_lt_i32_e32 vcc, 5, v1
	v_add_f32_e32 v12, 0x40c00000, v8
	v_mul_f32_e32 v7, v9, v7
	v_cndmask_b32_e32 v9, 1.0, v11, vcc
	v_cmp_lt_i32_e32 vcc, 6, v1
	v_mul_f32_e32 v7, v9, v7
	v_cndmask_b32_e32 v1, 1.0, v12, vcc
	v_mul_f32_e32 v1, v1, v7
	s_mov_b32 s0, 0x800000
	v_cmp_gt_f32_e32 vcc, s0, v1
	v_cndmask_b32_e64 v7, 0, 32, vcc
	v_fma_f32 v6, v8, v6, 1.0
	v_ldexp_f32 v1, v1, v7
	v_rcp_f32_e32 v6, v6
	v_log_f32_e32 v1, v1
	s_mov_b32 s0, 0x3f317217
	v_mul_f32_e32 v3, v3, v6
	v_mul_f32_e32 v6, 0x3f317217, v1
	v_fma_f32 v7, v1, s0, -v6
	v_fmac_f32_e32 v7, 0x3377d1cf, v1
	s_mov_b32 s0, 0x7f800000
	v_add_f32_e32 v6, v6, v7
	v_cmp_lt_f32_e64 s[0:1], |v1|, s0
	v_cndmask_b32_e64 v1, v1, v6, s[0:1]
	v_mov_b32_e32 v6, 0x41b17218
	v_cndmask_b32_e32 v6, 0, v6, vcc
	v_fmac_f32_e32 v3, 0.5, v8
	v_sub_f32_e32 v1, v1, v6
	v_add_f32_e32 v3, v1, v3
.LBB143_1313:
	s_or_b64 exec, exec, s[6:7]
.LBB143_1314:
	s_andn2_saveexec_b64 s[4:5], s[4:5]
	s_cbranch_execz .LBB143_1332
; %bb.1315:
	s_mov_b32 s0, 0x3f666666
	v_cmp_le_f32_e64 s[0:1], |v2|, s0
                                        ; implicit-def: $vgpr3
                                        ; implicit-def: $vgpr6
                                        ; implicit-def: $vgpr1
	s_and_saveexec_b64 s[6:7], s[0:1]
	s_xor_b64 s[6:7], exec, s[6:7]
	s_cbranch_execz .LBB143_1317
; %bb.1316:
	s_mov_b32 s0, 0x800000
	v_cmp_lt_f32_e64 vcc, |v2|, s0
	v_cndmask_b32_e64 v1, 0, 32, vcc
	v_ldexp_f32 v1, |v2|, v1
	v_log_f32_e32 v1, v1
	s_mov_b32 s0, 0x3f317217
	s_mov_b32 s1, 0x7f800000
	v_mul_f32_e32 v3, 0x3f317217, v1
	v_fma_f32 v6, v1, s0, -v3
	v_fmac_f32_e32 v6, 0x3377d1cf, v1
	v_add_f32_e32 v3, v3, v6
	v_cmp_lt_f32_e64 s[0:1], |v1|, s1
	v_cndmask_b32_e64 v1, v1, v3, s[0:1]
	v_mov_b32_e32 v3, 0x41b17218
	v_cndmask_b32_e32 v3, 0, v3, vcc
	v_sub_f32_e32 v1, v1, v3
	s_mov_b32 s0, 0x3f3b4a23
	s_mov_b32 s1, 0xbeec5b0c
	v_xor_b32_e32 v3, 0x80000000, v1
	v_sub_f32_e64 v1, 1.0, |v2|
	v_add_f32_e64 v6, |v2|, s1
	v_cmp_lt_f32_e64 vcc, |v2|, s0
	s_mov_b32 s0, 0x3e6d3309
	v_cndmask_b32_e32 v1, v1, v6, vcc
	v_cndmask_b32_e64 v6, 0, 1, vcc
	v_cmp_lt_f32_e64 s[0:1], |v2|, s0
	v_cndmask_b32_e64 v1, v1, |v2|, s[0:1]
	v_cndmask_b32_e64 v6, v6, 2, s[0:1]
.LBB143_1317:
	s_andn2_saveexec_b64 s[0:1], s[6:7]
	s_cbranch_execz .LBB143_1319
; %bb.1318:
	s_mov_b32 s6, 0x3fdda512
	s_mov_b32 s7, 0xbfbb16c3
	v_sub_f32_e64 v1, 2.0, |v2|
	v_add_f32_e64 v3, |v2|, s7
	v_cmp_lt_f32_e64 vcc, |v2|, s6
	v_cndmask_b32_e32 v3, v1, v3, vcc
	v_cndmask_b32_e64 v1, v1, 1.0, vcc
	v_cvt_i32_f32_e32 v6, v1
	s_mov_b32 s6, 0x3f9d70a4
	v_add_f32_e64 v1, |v2|, -1.0
	v_cmp_lt_f32_e64 vcc, |v2|, s6
	v_cndmask_b32_e32 v1, v3, v1, vcc
	v_cndmask_b32_e64 v6, v6, 2, vcc
	v_mov_b32_e32 v3, 0
.LBB143_1319:
	s_or_b64 exec, exec, s[0:1]
	v_cmp_lt_i32_e32 vcc, 0, v6
	s_and_saveexec_b64 s[0:1], vcc
	s_xor_b64 s[0:1], exec, s[0:1]
	s_cbranch_execz .LBB143_1327
; %bb.1320:
	v_cmp_lt_i32_e32 vcc, 1, v6
	s_and_saveexec_b64 s[6:7], vcc
	s_xor_b64 s[6:7], exec, s[6:7]
	s_cbranch_execz .LBB143_1324
; %bb.1321:
	v_cmp_eq_u32_e32 vcc, 2, v6
	s_and_saveexec_b64 s[8:9], vcc
	s_cbranch_execz .LBB143_1323
; %bb.1322:
	v_mov_b32_e32 v6, 0x3e6a7578
	v_fmac_f32_e32 v6, 0x3c5b3c5e, v1
	v_mov_b32_e32 v7, 0x3f7a4bb2
	v_fmac_f32_e32 v7, v1, v6
	;; [unrolled: 2-line block ×8, first 2 shown]
	v_fma_f32 v6, v1, v8, 1.0
	v_rcp_f32_e32 v6, v6
	v_mov_b32_e32 v8, 0xbd9e233f
	v_fmac_f32_e32 v8, v1, v7
	v_mul_f32_e32 v7, v1, v8
	v_mul_f32_e32 v6, v7, v6
	v_fmac_f32_e32 v6, -0.5, v1
	v_add_f32_e32 v3, v3, v6
.LBB143_1323:
	s_or_b64 exec, exec, s[8:9]
                                        ; implicit-def: $vgpr1
.LBB143_1324:
	s_andn2_saveexec_b64 s[6:7], s[6:7]
	s_cbranch_execz .LBB143_1326
; %bb.1325:
	v_mul_f32_e32 v6, v1, v1
	v_mul_f32_e32 v7, v1, v6
	v_mov_b32_e32 v8, 0xbab7f476
	v_fmac_f32_e32 v8, 0x39a57b6b, v7
	v_mov_b32_e32 v9, 0x3bc7e707
	v_fmac_f32_e32 v9, v7, v8
	;; [unrolled: 2-line block ×12, first 2 shown]
	v_fmac_f32_e32 v10, v1, v11
	s_mov_b32 s8, 0xa2863e55
	v_fma_f32 v1, v7, -v10, s8
	v_fma_f32 v1, v6, v9, -v1
	v_add_f32_e32 v1, 0xbdf8cdce, v1
	v_add_f32_e32 v3, v3, v1
.LBB143_1326:
	s_or_b64 exec, exec, s[6:7]
                                        ; implicit-def: $vgpr6
                                        ; implicit-def: $vgpr1
.LBB143_1327:
	s_andn2_saveexec_b64 s[0:1], s[0:1]
	s_cbranch_execz .LBB143_1331
; %bb.1328:
	v_cmp_eq_u32_e32 vcc, 0, v6
	s_and_saveexec_b64 s[6:7], vcc
	s_cbranch_execz .LBB143_1330
; %bb.1329:
	v_mul_f32_e32 v6, v1, v1
	v_mov_b32_e32 v7, 0x39679767
	v_fmac_f32_e32 v7, 0x37d383a2, v6
	v_mov_b32_e32 v8, 0x3a9c54a1
	v_fmac_f32_e32 v8, v6, v7
	;; [unrolled: 2-line block ×10, first 2 shown]
	v_mul_f32_e32 v6, v6, v8
	v_fmac_f32_e32 v6, v1, v7
	v_fmac_f32_e32 v6, -0.5, v1
	v_add_f32_e32 v3, v3, v6
.LBB143_1330:
	s_or_b64 exec, exec, s[6:7]
.LBB143_1331:
	s_or_b64 exec, exec, s[0:1]
.LBB143_1332:
	s_or_b64 exec, exec, s[4:5]
.LBB143_1333:
	s_andn2_saveexec_b64 s[2:3], s[2:3]
	s_cbranch_execz .LBB143_1335
; %bb.1334:
	s_mov_b32 s0, 0x3e8a8991
	v_mov_b32_e32 v1, 0xbecd26ab
	v_fma_f32 v1, |v2|, s0, v1
	s_mov_b32 s0, 0x3f528d33
	v_fma_f32 v1, |v2|, v1, s0
	s_mov_b32 s0, 0x800000
	v_cmp_lt_f32_e64 vcc, |v2|, s0
	v_cndmask_b32_e64 v3, 0, 32, vcc
	v_ldexp_f32 v3, |v2|, v3
	v_log_f32_e32 v3, v3
	s_mov_b32 s0, 0xbf13c468
	v_fma_f32 v1, |v2|, v1, s0
	s_mov_b32 s0, 0x3f317217
	v_mul_f32_e32 v6, 0x3f317217, v3
	v_fma_f32 v7, v3, s0, -v6
	v_fmac_f32_e32 v7, 0x3377d1cf, v3
	s_mov_b32 s0, 0x7f800000
	v_add_f32_e32 v6, v6, v7
	v_cmp_lt_f32_e64 s[0:1], |v3|, s0
	v_cndmask_b32_e64 v3, v3, v6, s[0:1]
	v_mov_b32_e32 v6, 0x41b17218
	v_cndmask_b32_e32 v6, 0, v6, vcc
	v_sub_f32_e32 v3, v3, v6
	v_fma_f32 v3, |v2|, v1, -v3
.LBB143_1335:
	s_or_b64 exec, exec, s[2:3]
	v_cmp_le_f32_e64 s[0:1], 0, v2
	v_cmp_nle_f32_e32 vcc, 0, v2
	s_and_saveexec_b64 s[2:3], vcc
	s_xor_b64 s[4:5], exec, s[2:3]
	s_cbranch_execz .LBB143_1339
; %bb.1336:
	s_mov_b32 s2, 0x4b000000
	s_mov_b32 s6, 0x35000000
	v_cmp_lt_f32_e64 s[2:3], |v2|, s2
	v_cmp_gt_f32_e64 s[6:7], |v2|, s6
	s_and_b64 s[2:3], s[2:3], s[6:7]
	s_and_saveexec_b64 s[6:7], s[2:3]
	s_cbranch_execz .LBB143_1338
; %bb.1337:
	v_mul_f32_e64 v1, |v2|, 0.5
	v_floor_f32_e32 v6, v1
	v_sub_f32_e32 v6, v1, v6
	v_min_f32_e32 v6, 0x3f7fffff, v6
	s_mov_b32 s8, 0x7f800000
	v_add_f32_e32 v6, v6, v6
	v_cmp_neq_f32_e32 vcc, s8, v1
	v_cndmask_b32_e32 v1, 0, v6, vcc
	v_cmp_gt_f32_e64 s[2:3], |v2|, 1.0
	v_cndmask_b32_e64 v1, |v2|, v1, s[2:3]
	v_add_f32_e32 v6, v1, v1
	v_rndne_f32_e32 v6, v6
	v_fmac_f32_e32 v1, -0.5, v6
	v_mul_f32_e32 v7, v1, v1
	v_mov_b32_e32 v8, 0xbf1f24be
	v_fmac_f32_e32 v8, 0x3e75aa41, v7
	v_mov_b32_e32 v9, 0x40234736
	v_fmac_f32_e32 v9, v7, v8
	;; [unrolled: 2-line block ×3, first 2 shown]
	v_mul_f32_e32 v9, v1, v7
	v_mul_f32_e32 v8, v9, v8
	v_fmac_f32_e32 v8, 0x40490fdb, v1
	v_mov_b32_e32 v1, 0x3e642e9d
	v_cvt_i32_f32_e32 v6, v6
	v_fmac_f32_e32 v1, 0x3d4be544, v7
	v_mov_b32_e32 v9, 0xbfaad1da
	v_fmac_f32_e32 v9, v7, v1
	v_mov_b32_e32 v1, 0x4081e0d3
	;; [unrolled: 2-line block ×3, first 2 shown]
	v_fmac_f32_e32 v9, v7, v1
	v_fma_f32 v1, v7, v9, 1.0
	v_and_b32_e32 v7, 1, v6
	v_lshlrev_b32_e32 v6, 30, v6
	v_cmp_eq_u32_e32 vcc, 0, v7
	v_and_b32_e32 v6, 0x80000000, v6
	v_xor_b32_e32 v0, v0, v2
	v_cndmask_b32_e32 v1, v1, v8, vcc
	v_xor_b32_e32 v0, v0, v6
	v_xor_b32_e32 v0, v0, v1
	v_mul_f32_e32 v0, v2, v0
	v_frexp_mant_f32_e64 v1, |v0|
	v_rcp_f32_e32 v1, v1
	v_frexp_exp_i32_f32_e32 v0, v0
	v_sub_u32_e32 v0, 2, v0
	s_mov_b32 s2, 0x800000
	v_mul_f32_e32 v1, 0x3f490fdb, v1
	v_ldexp_f32 v0, v1, v0
	v_cmp_gt_f32_e32 vcc, s2, v0
	v_cndmask_b32_e64 v1, 0, 32, vcc
	v_ldexp_f32 v0, v0, v1
	v_log_f32_e32 v0, v0
	s_mov_b32 s2, 0x3f317217
	v_mul_f32_e32 v1, 0x3f317217, v0
	v_fma_f32 v6, v0, s2, -v1
	v_fmac_f32_e32 v6, 0x3377d1cf, v0
	v_add_f32_e32 v1, v1, v6
	v_cmp_lt_f32_e64 s[2:3], |v0|, s8
	v_cndmask_b32_e64 v0, v0, v1, s[2:3]
	v_mov_b32_e32 v1, 0x41b17218
	v_cndmask_b32_e32 v1, 0, v1, vcc
	v_sub_f32_e32 v0, v0, v1
	v_floor_f32_e32 v1, v2
	v_sub_f32_e32 v1, v2, v1
	v_min_f32_e32 v1, 0x3f7fffff, v1
	v_sub_f32_e32 v0, v0, v3
	v_mov_b32_e32 v3, 0x7f800000
	v_cmp_neq_f32_e32 vcc, 0, v1
	v_cndmask_b32_e32 v3, v3, v0, vcc
.LBB143_1338:
	s_or_b64 exec, exec, s[6:7]
.LBB143_1339:
	s_andn2_saveexec_b64 s[4:5], s[4:5]
; %bb.1340:
	v_cmp_eq_f32_e32 vcc, 1.0, v2
	v_cmp_eq_f32_e64 s[2:3], 2.0, v2
	s_or_b64 s[2:3], vcc, s[2:3]
	v_cndmask_b32_e64 v3, v3, 0, s[2:3]
; %bb.1341:
	s_or_b64 exec, exec, s[4:5]
	s_lshl_b32 s11, s11, 7
	v_add_u32_e32 v6, s11, v5
	v_ashrrev_i32_e32 v1, 31, v6
	v_mov_b32_e32 v5, s15
	v_add_co_u32_e32 v0, vcc, s14, v6
	s_cmp_lt_i32 s26, 11
	v_addc_co_u32_e32 v1, vcc, v5, v1, vcc
	s_cbranch_scc1 .LBB143_1348
; %bb.1342:
	s_cmp_gt_i32 s26, 25
	s_mov_b64 s[4:5], 0
	s_cbranch_scc0 .LBB143_1350
; %bb.1343:
	s_cmp_gt_i32 s26, 28
	s_cbranch_scc0 .LBB143_1351
; %bb.1344:
	s_cmp_gt_i32 s26, 43
	;; [unrolled: 3-line block ×3, first 2 shown]
	s_cbranch_scc0 .LBB143_1354
; %bb.1346:
	s_cmp_eq_u32 s26, 46
	s_mov_b64 s[8:9], 0
	s_cbranch_scc0 .LBB143_1357
; %bb.1347:
	global_load_dword v5, v[0:1], off
	s_mov_b64 s[2:3], 0
	s_mov_b64 s[6:7], -1
	s_waitcnt vmcnt(0)
	v_lshlrev_b32_e32 v5, 16, v5
	s_branch .LBB143_1358
.LBB143_1348:
	s_mov_b64 s[6:7], 0
                                        ; implicit-def: $vgpr5
	s_cbranch_execnz .LBB143_1423
.LBB143_1349:
	s_andn2_b64 vcc, exec, s[6:7]
	s_cbranch_vccnz .LBB143_2276
	s_branch .LBB143_1470
.LBB143_1350:
	s_mov_b64 s[6:7], 0
	s_mov_b64 s[2:3], 0
                                        ; implicit-def: $vgpr5
	s_cbranch_execnz .LBB143_1387
	s_branch .LBB143_1419
.LBB143_1351:
	s_mov_b64 s[8:9], -1
	s_mov_b64 s[6:7], 0
	s_mov_b64 s[2:3], 0
                                        ; implicit-def: $vgpr5
	s_branch .LBB143_1368
.LBB143_1352:
	s_mov_b64 s[8:9], -1
	s_mov_b64 s[6:7], 0
	s_mov_b64 s[2:3], 0
                                        ; implicit-def: $vgpr5
	s_branch .LBB143_1363
.LBB143_1353:
	s_or_b64 s[20:21], s[16:17], exec
	s_trap 2
	s_cbranch_execz .LBB143_1256
	s_branch .LBB143_1257
.LBB143_1354:
	s_mov_b64 s[8:9], -1
	s_mov_b64 s[6:7], 0
	s_mov_b64 s[2:3], 0
                                        ; implicit-def: $vgpr5
	s_branch .LBB143_1358
.LBB143_1355:
	s_andn2_saveexec_b64 s[24:25], s[24:25]
	s_cbranch_execz .LBB143_1103
.LBB143_1356:
	s_mov_b32 s28, 0x42800000
	v_add_f32_e64 v3, |v2|, s28
	v_and_b32_e32 v3, 0xff, v3
	v_cmp_ne_u32_e32 vcc, 0, v3
	s_andn2_b64 s[22:23], s[22:23], exec
	s_and_b64 s[28:29], vcc, exec
	s_or_b64 s[22:23], s[22:23], s[28:29]
	s_or_b64 exec, exec, s[24:25]
	v_mov_b32_e32 v4, 0
	s_and_saveexec_b64 s[24:25], s[22:23]
	s_cbranch_execnz .LBB143_1104
	s_branch .LBB143_1105
.LBB143_1357:
	s_mov_b64 s[2:3], -1
                                        ; implicit-def: $vgpr5
	s_mov_b64 s[6:7], 0
.LBB143_1358:
	s_and_b64 vcc, exec, s[8:9]
	s_cbranch_vccz .LBB143_1362
; %bb.1359:
	s_cmp_eq_u32 s26, 44
	s_cbranch_scc0 .LBB143_1361
; %bb.1360:
	global_load_ubyte v5, v[0:1], off
	s_movk_i32 s6, 0xff
	v_mov_b32_e32 v7, 0x7f800001
	v_mov_b32_e32 v8, 0x400000
	s_mov_b64 s[2:3], 0
	s_waitcnt vmcnt(0)
	v_lshlrev_b32_e32 v9, 23, v5
	v_cmp_ne_u32_e32 vcc, s6, v5
	v_cndmask_b32_e32 v7, v7, v9, vcc
	v_cmp_ne_u32_e32 vcc, 0, v5
	v_cndmask_b32_e32 v5, v8, v7, vcc
	s_mov_b64 s[6:7], -1
	s_branch .LBB143_1362
.LBB143_1361:
	s_mov_b64 s[2:3], -1
                                        ; implicit-def: $vgpr5
.LBB143_1362:
	s_mov_b64 s[8:9], 0
.LBB143_1363:
	s_and_b64 vcc, exec, s[8:9]
	s_cbranch_vccz .LBB143_1367
; %bb.1364:
	s_cmp_eq_u32 s26, 29
	s_cbranch_scc0 .LBB143_1366
; %bb.1365:
	global_load_dwordx2 v[7:8], v[0:1], off
	s_mov_b64 s[2:3], 0
	s_mov_b64 s[6:7], -1
	s_mov_b64 s[8:9], 0
	s_waitcnt vmcnt(0)
	v_ffbh_u32_e32 v5, v8
	v_min_u32_e32 v5, 32, v5
	v_lshlrev_b64 v[7:8], v5, v[7:8]
	v_sub_u32_e32 v5, 32, v5
	v_min_u32_e32 v7, 1, v7
	v_or_b32_e32 v7, v8, v7
	v_cvt_f32_u32_e32 v7, v7
	v_ldexp_f32 v5, v7, v5
	s_branch .LBB143_1368
.LBB143_1366:
	s_mov_b64 s[2:3], -1
                                        ; implicit-def: $vgpr5
.LBB143_1367:
	s_mov_b64 s[8:9], 0
.LBB143_1368:
	s_and_b64 vcc, exec, s[8:9]
	s_cbranch_vccz .LBB143_1386
; %bb.1369:
	s_cmp_lt_i32 s26, 27
	s_cbranch_scc1 .LBB143_1372
; %bb.1370:
	s_cmp_gt_i32 s26, 27
	s_cbranch_scc0 .LBB143_1373
; %bb.1371:
	global_load_dword v5, v[0:1], off
	s_mov_b64 s[6:7], 0
	s_waitcnt vmcnt(0)
	v_cvt_f32_u32_e32 v5, v5
	s_branch .LBB143_1374
.LBB143_1372:
	s_mov_b64 s[6:7], -1
                                        ; implicit-def: $vgpr5
	s_branch .LBB143_1377
.LBB143_1373:
	s_mov_b64 s[6:7], -1
                                        ; implicit-def: $vgpr5
.LBB143_1374:
	s_andn2_b64 vcc, exec, s[6:7]
	s_cbranch_vccnz .LBB143_1376
; %bb.1375:
	global_load_ushort v5, v[0:1], off
	s_waitcnt vmcnt(0)
	v_cvt_f32_u32_e32 v5, v5
.LBB143_1376:
	s_mov_b64 s[6:7], 0
.LBB143_1377:
	s_andn2_b64 vcc, exec, s[6:7]
	s_cbranch_vccnz .LBB143_1385
; %bb.1378:
	global_load_ubyte v7, v[0:1], off
	s_movk_i32 s6, 0x7f
	s_waitcnt vmcnt(0)
	v_cmp_lt_i16_e32 vcc, s6, v7
	s_mov_b64 s[6:7], 0
	s_and_saveexec_b64 s[8:9], vcc
	s_xor_b64 s[8:9], exec, s[8:9]
	s_cbranch_execz .LBB143_1398
; %bb.1379:
	s_movk_i32 s6, 0x80
	v_cmp_eq_u16_e32 vcc, s6, v7
	s_mov_b64 s[6:7], -1
	s_and_saveexec_b64 s[22:23], vcc
; %bb.1380:
	s_xor_b64 s[6:7], exec, -1
; %bb.1381:
	s_or_b64 exec, exec, s[22:23]
	s_and_b64 s[6:7], s[6:7], exec
	s_or_saveexec_b64 s[8:9], s[8:9]
	v_mov_b32_e32 v5, 0x7f800001
	s_xor_b64 exec, exec, s[8:9]
	s_cbranch_execnz .LBB143_1399
.LBB143_1382:
	s_or_b64 exec, exec, s[8:9]
	s_and_saveexec_b64 s[8:9], s[6:7]
	s_cbranch_execz .LBB143_1384
.LBB143_1383:
	v_lshlrev_b32_e32 v5, 24, v7
	v_and_b32_e32 v7, 0xffff, v7
	v_and_b32_e32 v8, 7, v7
	v_ffbh_u32_e32 v10, v8
	v_min_u32_e32 v10, 32, v10
	v_subrev_u32_e32 v11, 28, v10
	v_bfe_u32 v9, v7, 3, 4
	v_lshlrev_b32_e32 v7, v11, v7
	v_sub_u32_e32 v10, 29, v10
	v_and_b32_e32 v7, 7, v7
	v_cmp_eq_u32_e32 vcc, 0, v9
	v_cndmask_b32_e32 v9, v9, v10, vcc
	v_cndmask_b32_e32 v7, v8, v7, vcc
	v_mov_b32_e32 v8, 0x3b800000
	v_lshlrev_b32_e32 v7, 20, v7
	v_and_b32_e32 v5, 0x80000000, v5
	v_lshl_add_u32 v8, v9, 23, v8
	v_or3_b32 v5, v5, v8, v7
.LBB143_1384:
	s_or_b64 exec, exec, s[8:9]
.LBB143_1385:
	s_mov_b64 s[6:7], -1
.LBB143_1386:
	s_branch .LBB143_1419
.LBB143_1387:
	s_cmp_gt_i32 s26, 22
	s_cbranch_scc0 .LBB143_1397
; %bb.1388:
	s_cmp_lt_i32 s26, 24
	s_cbranch_scc1 .LBB143_1400
; %bb.1389:
	s_cmp_gt_i32 s26, 24
	s_cbranch_scc0 .LBB143_1401
; %bb.1390:
	global_load_ubyte v7, v[0:1], off
	s_movk_i32 s4, 0x7f
	s_waitcnt vmcnt(0)
	v_cmp_lt_i16_e32 vcc, s4, v7
	s_mov_b64 s[4:5], 0
	s_and_saveexec_b64 s[6:7], vcc
	s_xor_b64 s[6:7], exec, s[6:7]
	s_cbranch_execz .LBB143_1413
; %bb.1391:
	s_movk_i32 s4, 0x80
	v_cmp_eq_u16_e32 vcc, s4, v7
	s_mov_b64 s[4:5], -1
	s_and_saveexec_b64 s[8:9], vcc
; %bb.1392:
	s_xor_b64 s[4:5], exec, -1
; %bb.1393:
	s_or_b64 exec, exec, s[8:9]
	s_and_b64 s[4:5], s[4:5], exec
	s_or_saveexec_b64 s[6:7], s[6:7]
	v_mov_b32_e32 v5, 0x7f800001
	s_xor_b64 exec, exec, s[6:7]
	s_cbranch_execnz .LBB143_1414
.LBB143_1394:
	s_or_b64 exec, exec, s[6:7]
	s_and_saveexec_b64 s[6:7], s[4:5]
	s_cbranch_execz .LBB143_1396
.LBB143_1395:
	v_lshlrev_b32_e32 v5, 24, v7
	v_and_b32_e32 v7, 0xffff, v7
	v_and_b32_e32 v8, 3, v7
	v_ffbh_u32_e32 v10, v8
	v_min_u32_e32 v10, 32, v10
	v_subrev_u32_e32 v11, 29, v10
	v_bfe_u32 v9, v7, 2, 5
	v_lshlrev_b32_e32 v7, v11, v7
	v_sub_u32_e32 v10, 30, v10
	v_and_b32_e32 v7, 3, v7
	v_cmp_eq_u32_e32 vcc, 0, v9
	v_cndmask_b32_e32 v9, v9, v10, vcc
	v_cndmask_b32_e32 v7, v8, v7, vcc
	v_mov_b32_e32 v8, 0x37800000
	v_lshlrev_b32_e32 v7, 21, v7
	v_and_b32_e32 v5, 0x80000000, v5
	v_lshl_add_u32 v8, v9, 23, v8
	v_or3_b32 v5, v5, v8, v7
.LBB143_1396:
	s_or_b64 exec, exec, s[6:7]
	s_mov_b64 s[4:5], 0
	s_branch .LBB143_1402
.LBB143_1397:
	s_mov_b64 s[4:5], -1
                                        ; implicit-def: $vgpr5
	s_branch .LBB143_1408
.LBB143_1398:
	s_or_saveexec_b64 s[8:9], s[8:9]
	v_mov_b32_e32 v5, 0x7f800001
	s_xor_b64 exec, exec, s[8:9]
	s_cbranch_execz .LBB143_1382
.LBB143_1399:
	v_cmp_ne_u16_e32 vcc, 0, v7
	s_andn2_b64 s[6:7], s[6:7], exec
	s_and_b64 s[22:23], vcc, exec
	v_mov_b32_e32 v5, 0
	s_or_b64 s[6:7], s[6:7], s[22:23]
	s_or_b64 exec, exec, s[8:9]
	s_and_saveexec_b64 s[8:9], s[6:7]
	s_cbranch_execnz .LBB143_1383
	s_branch .LBB143_1384
.LBB143_1400:
	s_mov_b64 s[4:5], -1
                                        ; implicit-def: $vgpr5
	s_branch .LBB143_1405
.LBB143_1401:
	s_mov_b64 s[4:5], -1
                                        ; implicit-def: $vgpr5
.LBB143_1402:
	s_and_b64 vcc, exec, s[4:5]
	s_cbranch_vccz .LBB143_1404
; %bb.1403:
	global_load_ubyte v5, v[0:1], off
	s_mov_b32 s4, 0x7f800000
	s_waitcnt vmcnt(0)
	v_lshlrev_b32_e32 v5, 24, v5
	v_and_b32_e32 v7, 0x7f000000, v5
	v_ffbh_u32_e32 v8, v7
	v_min_u32_e32 v8, 32, v8
	v_sub_u32_e64 v8, v8, 4 clamp
	v_lshlrev_b32_e32 v10, v8, v7
	v_lshlrev_b32_e32 v8, 23, v8
	v_lshrrev_b32_e32 v10, 4, v10
	v_add_u32_e32 v9, 0x1000000, v7
	v_sub_u32_e32 v8, v10, v8
	v_ashrrev_i32_e32 v9, 8, v9
	v_add_u32_e32 v8, 0x3c000000, v8
	v_and_or_b32 v8, v9, s4, v8
	v_cmp_ne_u32_e32 vcc, 0, v7
	v_cndmask_b32_e32 v7, 0, v8, vcc
	s_brev_b32 s4, 1
	v_and_or_b32 v5, v5, s4, v7
.LBB143_1404:
	s_mov_b64 s[4:5], 0
.LBB143_1405:
	s_andn2_b64 vcc, exec, s[4:5]
	s_cbranch_vccnz .LBB143_1407
; %bb.1406:
	global_load_ubyte v5, v[0:1], off
	s_movk_i32 s4, 0x7f00
	s_brev_b32 s5, 16
	s_waitcnt vmcnt(0)
	v_lshlrev_b16_e32 v7, 8, v5
	v_lshlrev_b32_e32 v5, 25, v5
	v_lshrrev_b32_e32 v8, 4, v5
	v_and_or_b32 v9, v7, s4, 0.5
	v_or_b32_e32 v8, 0x70000000, v8
	v_add_f32_e32 v9, -0.5, v9
	v_mul_f32_e32 v8, 0x7800000, v8
	v_cmp_gt_u32_e32 vcc, s5, v5
	v_bfe_i32 v7, v7, 0, 16
	v_cndmask_b32_e32 v5, v8, v9, vcc
	s_brev_b32 s4, 1
	v_and_or_b32 v5, v7, s4, v5
.LBB143_1407:
	s_mov_b64 s[4:5], 0
	s_mov_b64 s[6:7], -1
.LBB143_1408:
	s_andn2_b64 vcc, exec, s[4:5]
	s_mov_b64 s[4:5], 0
	s_cbranch_vccnz .LBB143_1419
; %bb.1409:
	s_cmp_gt_i32 s26, 14
	s_cbranch_scc0 .LBB143_1412
; %bb.1410:
	s_cmp_eq_u32 s26, 15
	s_cbranch_scc0 .LBB143_1415
; %bb.1411:
	global_load_ushort v5, v[0:1], off
	s_mov_b64 s[2:3], 0
	s_mov_b64 s[6:7], -1
	s_waitcnt vmcnt(0)
	v_lshlrev_b32_e32 v5, 16, v5
	s_branch .LBB143_1416
.LBB143_1412:
	s_mov_b64 s[8:9], -1
                                        ; implicit-def: $vgpr5
	s_branch .LBB143_1417
.LBB143_1413:
	s_or_saveexec_b64 s[6:7], s[6:7]
	v_mov_b32_e32 v5, 0x7f800001
	s_xor_b64 exec, exec, s[6:7]
	s_cbranch_execz .LBB143_1394
.LBB143_1414:
	v_cmp_ne_u16_e32 vcc, 0, v7
	s_andn2_b64 s[4:5], s[4:5], exec
	s_and_b64 s[8:9], vcc, exec
	v_mov_b32_e32 v5, 0
	s_or_b64 s[4:5], s[4:5], s[8:9]
	s_or_b64 exec, exec, s[6:7]
	s_and_saveexec_b64 s[6:7], s[4:5]
	s_cbranch_execnz .LBB143_1395
	s_branch .LBB143_1396
.LBB143_1415:
	s_mov_b64 s[2:3], -1
                                        ; implicit-def: $vgpr5
.LBB143_1416:
	s_mov_b64 s[8:9], 0
.LBB143_1417:
	s_and_b64 vcc, exec, s[8:9]
	s_cbranch_vccz .LBB143_1419
; %bb.1418:
	s_cmp_lg_u32 s26, 11
	s_mov_b64 s[4:5], -1
	s_cselect_b64 s[2:3], -1, 0
.LBB143_1419:
	s_and_b64 vcc, exec, s[2:3]
	s_cbranch_vccnz .LBB143_1520
; %bb.1420:
	s_andn2_b64 vcc, exec, s[4:5]
	s_cbranch_vccnz .LBB143_1422
.LBB143_1421:
	global_load_ubyte v5, v[0:1], off
	s_mov_b64 s[6:7], -1
	s_waitcnt vmcnt(0)
	v_cmp_ne_u16_e32 vcc, 0, v5
	v_cndmask_b32_e64 v5, 0, 1.0, vcc
.LBB143_1422:
	s_branch .LBB143_1349
.LBB143_1423:
	s_cmp_lt_i32 s26, 5
	s_cbranch_scc1 .LBB143_1428
; %bb.1424:
	s_cmp_lt_i32 s26, 8
	s_cbranch_scc1 .LBB143_1429
; %bb.1425:
	;; [unrolled: 3-line block ×3, first 2 shown]
	s_cmp_gt_i32 s26, 9
	s_cbranch_scc0 .LBB143_1431
; %bb.1427:
	global_load_dwordx2 v[7:8], v[0:1], off
	s_mov_b64 s[2:3], 0
	s_waitcnt vmcnt(0)
	v_cvt_f32_f64_e32 v5, v[7:8]
	s_branch .LBB143_1432
.LBB143_1428:
                                        ; implicit-def: $vgpr5
	s_branch .LBB143_1450
.LBB143_1429:
	s_mov_b64 s[2:3], -1
                                        ; implicit-def: $vgpr5
	s_branch .LBB143_1438
.LBB143_1430:
	s_mov_b64 s[2:3], -1
                                        ; implicit-def: $vgpr5
	s_branch .LBB143_1435
.LBB143_1431:
	s_mov_b64 s[2:3], -1
                                        ; implicit-def: $vgpr5
.LBB143_1432:
	s_andn2_b64 vcc, exec, s[2:3]
	s_cbranch_vccnz .LBB143_1434
; %bb.1433:
	global_load_dword v5, v[0:1], off
.LBB143_1434:
	s_mov_b64 s[2:3], 0
.LBB143_1435:
	s_andn2_b64 vcc, exec, s[2:3]
	s_cbranch_vccnz .LBB143_1437
; %bb.1436:
	global_load_dword v5, v[0:1], off
	s_waitcnt vmcnt(0)
	v_cvt_f32_f16_e32 v5, v5
.LBB143_1437:
	s_mov_b64 s[2:3], 0
.LBB143_1438:
	s_andn2_b64 vcc, exec, s[2:3]
	s_cbranch_vccnz .LBB143_1449
; %bb.1439:
	s_cmp_lt_i32 s26, 6
	s_cbranch_scc1 .LBB143_1442
; %bb.1440:
	s_cmp_gt_i32 s26, 6
	s_cbranch_scc0 .LBB143_1443
; %bb.1441:
	global_load_dwordx2 v[7:8], v[0:1], off
	s_mov_b64 s[2:3], 0
	s_waitcnt vmcnt(0)
	v_cvt_f32_f64_e32 v5, v[7:8]
	s_branch .LBB143_1444
.LBB143_1442:
	s_mov_b64 s[2:3], -1
                                        ; implicit-def: $vgpr5
	s_branch .LBB143_1447
.LBB143_1443:
	s_mov_b64 s[2:3], -1
                                        ; implicit-def: $vgpr5
.LBB143_1444:
	s_andn2_b64 vcc, exec, s[2:3]
	s_cbranch_vccnz .LBB143_1446
; %bb.1445:
	global_load_dword v5, v[0:1], off
.LBB143_1446:
	s_mov_b64 s[2:3], 0
.LBB143_1447:
	s_andn2_b64 vcc, exec, s[2:3]
	s_cbranch_vccnz .LBB143_1449
; %bb.1448:
	global_load_ushort v5, v[0:1], off
	s_waitcnt vmcnt(0)
	v_cvt_f32_f16_e32 v5, v5
.LBB143_1449:
	s_cbranch_execnz .LBB143_1469
.LBB143_1450:
	s_cmp_lt_i32 s26, 2
	s_cbranch_scc1 .LBB143_1454
; %bb.1451:
	s_cmp_lt_i32 s26, 3
	s_cbranch_scc1 .LBB143_1455
; %bb.1452:
	s_cmp_gt_i32 s26, 3
	s_cbranch_scc0 .LBB143_1456
; %bb.1453:
	global_load_dwordx2 v[7:8], v[0:1], off
	s_mov_b64 s[2:3], 0
	s_waitcnt vmcnt(0)
	v_xor_b32_e32 v9, v7, v8
	v_ffbh_i32_e32 v5, v8
	v_ashrrev_i32_e32 v9, 31, v9
	v_add_u32_e32 v5, -1, v5
	v_add_u32_e32 v9, 32, v9
	v_min_u32_e32 v5, v5, v9
	v_lshlrev_b64 v[7:8], v5, v[7:8]
	v_sub_u32_e32 v5, 32, v5
	v_min_u32_e32 v7, 1, v7
	v_or_b32_e32 v7, v8, v7
	v_cvt_f32_i32_e32 v7, v7
	v_ldexp_f32 v5, v7, v5
	s_branch .LBB143_1457
.LBB143_1454:
	s_mov_b64 s[2:3], -1
                                        ; implicit-def: $vgpr5
	s_branch .LBB143_1463
.LBB143_1455:
	s_mov_b64 s[2:3], -1
                                        ; implicit-def: $vgpr5
	s_branch .LBB143_1460
.LBB143_1456:
	s_mov_b64 s[2:3], -1
                                        ; implicit-def: $vgpr5
.LBB143_1457:
	s_andn2_b64 vcc, exec, s[2:3]
	s_cbranch_vccnz .LBB143_1459
; %bb.1458:
	global_load_dword v5, v[0:1], off
	s_waitcnt vmcnt(0)
	v_cvt_f32_i32_e32 v5, v5
.LBB143_1459:
	s_mov_b64 s[2:3], 0
.LBB143_1460:
	s_andn2_b64 vcc, exec, s[2:3]
	s_cbranch_vccnz .LBB143_1462
; %bb.1461:
	global_load_sshort v5, v[0:1], off
	s_waitcnt vmcnt(0)
	v_cvt_f32_i32_e32 v5, v5
.LBB143_1462:
	s_mov_b64 s[2:3], 0
.LBB143_1463:
	s_andn2_b64 vcc, exec, s[2:3]
	s_cbranch_vccnz .LBB143_1469
; %bb.1464:
	s_cmp_gt_i32 s26, 0
	s_cbranch_scc0 .LBB143_1466
; %bb.1465:
	global_load_sbyte v5, v[0:1], off
	s_mov_b64 s[2:3], 0
	s_waitcnt vmcnt(0)
	v_cvt_f32_i32_e32 v5, v5
	s_branch .LBB143_1467
.LBB143_1466:
	s_mov_b64 s[2:3], -1
                                        ; implicit-def: $vgpr5
.LBB143_1467:
	s_andn2_b64 vcc, exec, s[2:3]
	s_cbranch_vccnz .LBB143_1469
; %bb.1468:
	global_load_ubyte v0, v[0:1], off
	s_waitcnt vmcnt(0)
	v_cvt_f32_ubyte0_e32 v5, v0
.LBB143_1469:
.LBB143_1470:
	s_mov_b32 s2, 0x3c800000
	s_waitcnt vmcnt(0)
	v_and_b32_e32 v0, 0x7fffffff, v5
	v_cmp_nlt_f32_e64 s[2:3], |v5|, s2
                                        ; implicit-def: $vgpr7
	s_and_saveexec_b64 s[4:5], s[2:3]
	s_xor_b64 s[4:5], exec, s[4:5]
	s_cbranch_execz .LBB143_1500
; %bb.1471:
	v_cmp_nlt_f32_e64 s[2:3], |v5|, 2.0
                                        ; implicit-def: $vgpr7
	s_and_saveexec_b64 s[6:7], s[2:3]
	s_xor_b64 s[6:7], exec, s[6:7]
	s_cbranch_execz .LBB143_1481
; %bb.1472:
	s_mov_b32 s2, 0x41000000
	v_cmp_nlt_f32_e64 s[2:3], |v5|, s2
                                        ; implicit-def: $vgpr7
	s_and_saveexec_b64 s[8:9], s[2:3]
	s_xor_b64 s[8:9], exec, s[8:9]
	s_cbranch_execz .LBB143_1478
; %bb.1473:
	s_mov_b32 s2, 0x5c800000
	v_cmp_nlt_f32_e64 s[2:3], |v5|, s2
                                        ; implicit-def: $vgpr7
	s_and_saveexec_b64 s[22:23], s[2:3]
	s_xor_b64 s[22:23], exec, s[22:23]
	s_cbranch_execz .LBB143_1475
; %bb.1474:
	s_mov_b32 s2, 0x800000
	v_cmp_lt_f32_e64 vcc, |v5|, s2
	v_cndmask_b32_e64 v1, 0, 32, vcc
	v_ldexp_f32 v1, |v5|, v1
	v_log_f32_e32 v1, v1
	s_mov_b32 s2, 0x3f317217
	s_mov_b32 s3, 0x7f800000
	v_mul_f32_e32 v7, 0x3f317217, v1
	v_fma_f32 v8, v1, s2, -v7
	v_fmac_f32_e32 v8, 0x3377d1cf, v1
	v_add_f32_e32 v7, v7, v8
	v_cmp_lt_f32_e64 s[2:3], |v1|, s3
	v_cndmask_b32_e64 v1, v1, v7, s[2:3]
	v_mov_b32_e32 v7, 0x41b17218
	v_cndmask_b32_e32 v7, 0, v7, vcc
	v_sub_f32_e32 v1, v1, v7
	v_fma_f32 v7, |v5|, v1, -|v5|
.LBB143_1475:
	s_andn2_saveexec_b64 s[22:23], s[22:23]
	s_cbranch_execz .LBB143_1477
; %bb.1476:
	v_rcp_f32_e64 v1, |v5|
	v_mov_b32_e32 v7, 0x3a5b3dd2
	v_mov_b32_e32 v8, 0xba1c065c
	;; [unrolled: 1-line block ×3, first 2 shown]
	v_mul_f32_e32 v10, v1, v1
	v_fmac_f32_e32 v7, 0xbad5c4e8, v10
	v_fmac_f32_e32 v8, v10, v7
	s_mov_b32 s2, 0x800000
	v_fmac_f32_e32 v9, v10, v8
	v_mov_b32_e32 v7, 0xbb360b61
	v_cmp_lt_f32_e64 vcc, |v5|, s2
	v_fmac_f32_e32 v7, v10, v9
	v_cndmask_b32_e64 v9, 0, 32, vcc
	v_ldexp_f32 v9, |v5|, v9
	v_log_f32_e32 v9, v9
	v_mov_b32_e32 v8, 0x3daaaaab
	v_fmac_f32_e32 v8, v10, v7
	v_mov_b32_e32 v7, 0x3ed67f1d
	v_fmac_f32_e32 v7, v1, v8
	s_mov_b32 s2, 0x3f317217
	v_mul_f32_e32 v8, 0x3f317217, v9
	v_fma_f32 v10, v9, s2, -v8
	v_fmac_f32_e32 v10, 0x3377d1cf, v9
	s_mov_b32 s2, 0x7f800000
	v_add_f32_e32 v8, v8, v10
	v_cmp_lt_f32_e64 s[2:3], |v9|, s2
	v_cndmask_b32_e64 v8, v9, v8, s[2:3]
	v_mov_b32_e32 v9, 0x41b17218
	v_cndmask_b32_e32 v9, 0, v9, vcc
	v_sub_f32_e32 v8, v8, v9
	v_add_f32_e64 v1, |v5|, -0.5
	v_add_f32_e32 v8, -1.0, v8
	v_fmac_f32_e32 v7, v1, v8
.LBB143_1477:
	s_or_b64 exec, exec, s[22:23]
.LBB143_1478:
	s_andn2_saveexec_b64 s[8:9], s[8:9]
	s_cbranch_execz .LBB143_1480
; %bb.1479:
	v_cvt_i32_f32_e32 v1, v0
	v_mov_b32_e32 v7, 0x3af135b4
	v_mov_b32_e32 v8, 0x3cda40e4
	;; [unrolled: 1-line block ×3, first 2 shown]
	v_cvt_f32_i32_e32 v10, v1
	v_mov_b32_e32 v11, 0x3ea6cc7a
	v_mov_b32_e32 v12, 0x3e5c245a
	v_cmp_lt_i32_e32 vcc, 2, v1
	v_sub_f32_e64 v10, |v5|, v10
	v_fmac_f32_e32 v7, 0x3805ff67, v10
	v_fmac_f32_e32 v8, v10, v7
	;; [unrolled: 1-line block ×3, first 2 shown]
	v_mov_b32_e32 v8, 0x3a4beed6
	v_fmac_f32_e32 v11, v10, v9
	v_fmac_f32_e32 v8, 0x36f5d7bd, v10
	v_mov_b32_e32 v9, 0x3c98bf54
	v_fmac_f32_e32 v9, v10, v8
	v_mov_b32_e32 v8, 0x3e300f6e
	;; [unrolled: 2-line block ×4, first 2 shown]
	v_fmac_f32_e32 v8, v10, v9
	v_add_f32_e32 v9, 2.0, v10
	v_mov_b32_e32 v13, 0xbd9e233f
	v_fmac_f32_e32 v12, v10, v11
	v_add_f32_e32 v11, 0x40400000, v10
	v_cndmask_b32_e32 v9, 1.0, v9, vcc
	v_cmp_lt_i32_e32 vcc, 3, v1
	v_fmac_f32_e32 v13, v10, v12
	v_add_f32_e32 v12, 4.0, v10
	v_cndmask_b32_e32 v11, 1.0, v11, vcc
	v_cmp_lt_i32_e32 vcc, 4, v1
	v_mul_f32_e32 v7, v10, v13
	v_add_f32_e32 v13, 0x40a00000, v10
	v_mul_f32_e32 v9, v9, v11
	v_cndmask_b32_e32 v11, 1.0, v12, vcc
	v_cmp_lt_i32_e32 vcc, 5, v1
	v_add_f32_e32 v14, 0x40c00000, v10
	v_mul_f32_e32 v9, v11, v9
	v_cndmask_b32_e32 v11, 1.0, v13, vcc
	v_cmp_lt_i32_e32 vcc, 6, v1
	v_mul_f32_e32 v9, v11, v9
	v_cndmask_b32_e32 v1, 1.0, v14, vcc
	v_mul_f32_e32 v1, v1, v9
	s_mov_b32 s2, 0x800000
	v_cmp_gt_f32_e32 vcc, s2, v1
	v_cndmask_b32_e64 v9, 0, 32, vcc
	v_fma_f32 v8, v10, v8, 1.0
	v_ldexp_f32 v1, v1, v9
	v_rcp_f32_e32 v8, v8
	v_log_f32_e32 v1, v1
	s_mov_b32 s2, 0x3f317217
	v_mul_f32_e32 v7, v7, v8
	v_mul_f32_e32 v8, 0x3f317217, v1
	v_fma_f32 v9, v1, s2, -v8
	v_fmac_f32_e32 v9, 0x3377d1cf, v1
	s_mov_b32 s2, 0x7f800000
	v_add_f32_e32 v8, v8, v9
	v_cmp_lt_f32_e64 s[2:3], |v1|, s2
	v_cndmask_b32_e64 v1, v1, v8, s[2:3]
	v_mov_b32_e32 v8, 0x41b17218
	v_cndmask_b32_e32 v8, 0, v8, vcc
	v_fmac_f32_e32 v7, 0.5, v10
	v_sub_f32_e32 v1, v1, v8
	v_add_f32_e32 v7, v1, v7
.LBB143_1480:
	s_or_b64 exec, exec, s[8:9]
.LBB143_1481:
	s_andn2_saveexec_b64 s[6:7], s[6:7]
	s_cbranch_execz .LBB143_1499
; %bb.1482:
	s_mov_b32 s2, 0x3f666666
	v_cmp_le_f32_e64 s[2:3], |v5|, s2
                                        ; implicit-def: $vgpr7
                                        ; implicit-def: $vgpr8
                                        ; implicit-def: $vgpr1
	s_and_saveexec_b64 s[8:9], s[2:3]
	s_xor_b64 s[8:9], exec, s[8:9]
	s_cbranch_execz .LBB143_1484
; %bb.1483:
	s_mov_b32 s2, 0x800000
	v_cmp_lt_f32_e64 vcc, |v5|, s2
	v_cndmask_b32_e64 v1, 0, 32, vcc
	v_ldexp_f32 v1, |v5|, v1
	v_log_f32_e32 v1, v1
	s_mov_b32 s2, 0x3f317217
	s_mov_b32 s3, 0x7f800000
	v_mul_f32_e32 v7, 0x3f317217, v1
	v_fma_f32 v8, v1, s2, -v7
	v_fmac_f32_e32 v8, 0x3377d1cf, v1
	v_add_f32_e32 v7, v7, v8
	v_cmp_lt_f32_e64 s[2:3], |v1|, s3
	v_cndmask_b32_e64 v1, v1, v7, s[2:3]
	v_mov_b32_e32 v7, 0x41b17218
	v_cndmask_b32_e32 v7, 0, v7, vcc
	v_sub_f32_e32 v1, v1, v7
	s_mov_b32 s2, 0x3f3b4a23
	s_mov_b32 s3, 0xbeec5b0c
	v_xor_b32_e32 v7, 0x80000000, v1
	v_sub_f32_e64 v1, 1.0, |v5|
	v_add_f32_e64 v8, |v5|, s3
	v_cmp_lt_f32_e64 vcc, |v5|, s2
	s_mov_b32 s2, 0x3e6d3309
	v_cndmask_b32_e32 v1, v1, v8, vcc
	v_cndmask_b32_e64 v8, 0, 1, vcc
	v_cmp_lt_f32_e64 s[2:3], |v5|, s2
	v_cndmask_b32_e64 v1, v1, |v5|, s[2:3]
	v_cndmask_b32_e64 v8, v8, 2, s[2:3]
.LBB143_1484:
	s_andn2_saveexec_b64 s[2:3], s[8:9]
	s_cbranch_execz .LBB143_1486
; %bb.1485:
	s_mov_b32 s8, 0x3fdda512
	s_mov_b32 s9, 0xbfbb16c3
	v_sub_f32_e64 v1, 2.0, |v5|
	v_add_f32_e64 v7, |v5|, s9
	v_cmp_lt_f32_e64 vcc, |v5|, s8
	v_cndmask_b32_e32 v7, v1, v7, vcc
	v_cndmask_b32_e64 v1, v1, 1.0, vcc
	v_cvt_i32_f32_e32 v8, v1
	s_mov_b32 s8, 0x3f9d70a4
	v_add_f32_e64 v1, |v5|, -1.0
	v_cmp_lt_f32_e64 vcc, |v5|, s8
	v_cndmask_b32_e32 v1, v7, v1, vcc
	v_cndmask_b32_e64 v8, v8, 2, vcc
	v_mov_b32_e32 v7, 0
.LBB143_1486:
	s_or_b64 exec, exec, s[2:3]
	v_cmp_lt_i32_e32 vcc, 0, v8
	s_and_saveexec_b64 s[2:3], vcc
	s_xor_b64 s[2:3], exec, s[2:3]
	s_cbranch_execz .LBB143_1494
; %bb.1487:
	v_cmp_lt_i32_e32 vcc, 1, v8
	s_and_saveexec_b64 s[8:9], vcc
	s_xor_b64 s[8:9], exec, s[8:9]
	s_cbranch_execz .LBB143_1491
; %bb.1488:
	v_cmp_eq_u32_e32 vcc, 2, v8
	s_and_saveexec_b64 s[22:23], vcc
	s_cbranch_execz .LBB143_1490
; %bb.1489:
	v_mov_b32_e32 v8, 0x3e6a7578
	v_fmac_f32_e32 v8, 0x3c5b3c5e, v1
	v_mov_b32_e32 v9, 0x3f7a4bb2
	v_fmac_f32_e32 v9, v1, v8
	;; [unrolled: 2-line block ×8, first 2 shown]
	v_fma_f32 v8, v1, v10, 1.0
	v_rcp_f32_e32 v8, v8
	v_mov_b32_e32 v10, 0xbd9e233f
	v_fmac_f32_e32 v10, v1, v9
	v_mul_f32_e32 v9, v1, v10
	v_mul_f32_e32 v8, v9, v8
	v_fmac_f32_e32 v8, -0.5, v1
	v_add_f32_e32 v7, v7, v8
.LBB143_1490:
	s_or_b64 exec, exec, s[22:23]
                                        ; implicit-def: $vgpr1
.LBB143_1491:
	s_andn2_saveexec_b64 s[8:9], s[8:9]
	s_cbranch_execz .LBB143_1493
; %bb.1492:
	v_mul_f32_e32 v8, v1, v1
	v_mul_f32_e32 v9, v1, v8
	v_mov_b32_e32 v10, 0xbab7f476
	v_fmac_f32_e32 v10, 0x39a57b6b, v9
	v_mov_b32_e32 v11, 0x3bc7e707
	v_fmac_f32_e32 v11, v9, v10
	;; [unrolled: 2-line block ×12, first 2 shown]
	v_fmac_f32_e32 v12, v1, v13
	s_mov_b32 s22, 0xa2863e55
	v_fma_f32 v1, v9, -v12, s22
	v_fma_f32 v1, v8, v11, -v1
	v_add_f32_e32 v1, 0xbdf8cdce, v1
	v_add_f32_e32 v7, v7, v1
.LBB143_1493:
	s_or_b64 exec, exec, s[8:9]
                                        ; implicit-def: $vgpr8
                                        ; implicit-def: $vgpr1
.LBB143_1494:
	s_andn2_saveexec_b64 s[2:3], s[2:3]
	s_cbranch_execz .LBB143_1498
; %bb.1495:
	v_cmp_eq_u32_e32 vcc, 0, v8
	s_and_saveexec_b64 s[8:9], vcc
	s_cbranch_execz .LBB143_1497
; %bb.1496:
	v_mul_f32_e32 v8, v1, v1
	v_mov_b32_e32 v9, 0x39679767
	v_fmac_f32_e32 v9, 0x37d383a2, v8
	v_mov_b32_e32 v10, 0x3a9c54a1
	v_fmac_f32_e32 v10, v8, v9
	;; [unrolled: 2-line block ×10, first 2 shown]
	v_mul_f32_e32 v8, v8, v10
	v_fmac_f32_e32 v8, v1, v9
	v_fmac_f32_e32 v8, -0.5, v1
	v_add_f32_e32 v7, v7, v8
.LBB143_1497:
	s_or_b64 exec, exec, s[8:9]
.LBB143_1498:
	s_or_b64 exec, exec, s[2:3]
.LBB143_1499:
	s_or_b64 exec, exec, s[6:7]
.LBB143_1500:
	s_andn2_saveexec_b64 s[4:5], s[4:5]
	s_cbranch_execz .LBB143_1502
; %bb.1501:
	s_mov_b32 s2, 0x3e8a8991
	v_mov_b32_e32 v1, 0xbecd26ab
	v_fma_f32 v1, |v5|, s2, v1
	s_mov_b32 s2, 0x3f528d33
	v_fma_f32 v1, |v5|, v1, s2
	s_mov_b32 s2, 0x800000
	v_cmp_lt_f32_e64 vcc, |v5|, s2
	v_cndmask_b32_e64 v7, 0, 32, vcc
	v_ldexp_f32 v7, |v5|, v7
	v_log_f32_e32 v7, v7
	s_mov_b32 s2, 0xbf13c468
	v_fma_f32 v1, |v5|, v1, s2
	s_mov_b32 s2, 0x3f317217
	v_mul_f32_e32 v8, 0x3f317217, v7
	v_fma_f32 v9, v7, s2, -v8
	v_fmac_f32_e32 v9, 0x3377d1cf, v7
	s_mov_b32 s2, 0x7f800000
	v_add_f32_e32 v8, v8, v9
	v_cmp_lt_f32_e64 s[2:3], |v7|, s2
	v_cndmask_b32_e64 v7, v7, v8, s[2:3]
	v_mov_b32_e32 v8, 0x41b17218
	v_cndmask_b32_e32 v8, 0, v8, vcc
	v_sub_f32_e32 v7, v7, v8
	v_fma_f32 v7, |v5|, v1, -v7
.LBB143_1502:
	s_or_b64 exec, exec, s[4:5]
	v_cmp_le_f32_e64 s[2:3], 0, v5
	v_cmp_nle_f32_e32 vcc, 0, v5
	s_and_saveexec_b64 s[4:5], vcc
	s_xor_b64 s[6:7], exec, s[4:5]
	s_cbranch_execz .LBB143_1506
; %bb.1503:
	s_mov_b32 s4, 0x4b000000
	s_mov_b32 s8, 0x35000000
	v_cmp_lt_f32_e64 s[4:5], |v5|, s4
	v_cmp_gt_f32_e64 s[8:9], |v5|, s8
	s_and_b64 s[4:5], s[4:5], s[8:9]
	s_and_saveexec_b64 s[8:9], s[4:5]
	s_cbranch_execz .LBB143_1505
; %bb.1504:
	v_mul_f32_e64 v1, |v5|, 0.5
	v_floor_f32_e32 v8, v1
	v_sub_f32_e32 v8, v1, v8
	v_min_f32_e32 v8, 0x3f7fffff, v8
	s_mov_b32 s22, 0x7f800000
	v_add_f32_e32 v8, v8, v8
	v_cmp_neq_f32_e32 vcc, s22, v1
	v_cndmask_b32_e32 v1, 0, v8, vcc
	v_cmp_gt_f32_e64 s[4:5], |v5|, 1.0
	v_cndmask_b32_e64 v1, |v5|, v1, s[4:5]
	v_add_f32_e32 v8, v1, v1
	v_rndne_f32_e32 v8, v8
	v_fmac_f32_e32 v1, -0.5, v8
	v_mul_f32_e32 v9, v1, v1
	v_mov_b32_e32 v10, 0xbf1f24be
	v_fmac_f32_e32 v10, 0x3e75aa41, v9
	v_mov_b32_e32 v11, 0x40234736
	v_fmac_f32_e32 v11, v9, v10
	;; [unrolled: 2-line block ×3, first 2 shown]
	v_mul_f32_e32 v11, v1, v9
	v_mul_f32_e32 v10, v11, v10
	v_fmac_f32_e32 v10, 0x40490fdb, v1
	v_mov_b32_e32 v1, 0x3e642e9d
	v_cvt_i32_f32_e32 v8, v8
	v_fmac_f32_e32 v1, 0x3d4be544, v9
	v_mov_b32_e32 v11, 0xbfaad1da
	v_fmac_f32_e32 v11, v9, v1
	v_mov_b32_e32 v1, 0x4081e0d3
	v_fmac_f32_e32 v1, v9, v11
	v_mov_b32_e32 v11, 0xc09de9e6
	v_fmac_f32_e32 v11, v9, v1
	v_fma_f32 v1, v9, v11, 1.0
	v_and_b32_e32 v9, 1, v8
	v_lshlrev_b32_e32 v8, 30, v8
	v_cmp_eq_u32_e32 vcc, 0, v9
	v_and_b32_e32 v8, 0x80000000, v8
	v_xor_b32_e32 v0, v0, v5
	v_cndmask_b32_e32 v1, v1, v10, vcc
	v_xor_b32_e32 v0, v0, v8
	v_xor_b32_e32 v0, v0, v1
	v_mul_f32_e32 v0, v5, v0
	v_frexp_mant_f32_e64 v1, |v0|
	v_rcp_f32_e32 v1, v1
	v_frexp_exp_i32_f32_e32 v0, v0
	v_sub_u32_e32 v0, 2, v0
	s_mov_b32 s4, 0x800000
	v_mul_f32_e32 v1, 0x3f490fdb, v1
	v_ldexp_f32 v0, v1, v0
	v_cmp_gt_f32_e32 vcc, s4, v0
	v_cndmask_b32_e64 v1, 0, 32, vcc
	v_ldexp_f32 v0, v0, v1
	v_log_f32_e32 v0, v0
	s_mov_b32 s4, 0x3f317217
	v_mul_f32_e32 v1, 0x3f317217, v0
	v_fma_f32 v8, v0, s4, -v1
	v_fmac_f32_e32 v8, 0x3377d1cf, v0
	v_add_f32_e32 v1, v1, v8
	v_cmp_lt_f32_e64 s[4:5], |v0|, s22
	v_cndmask_b32_e64 v0, v0, v1, s[4:5]
	v_mov_b32_e32 v1, 0x41b17218
	v_cndmask_b32_e32 v1, 0, v1, vcc
	v_sub_f32_e32 v0, v0, v1
	v_floor_f32_e32 v1, v5
	v_sub_f32_e32 v1, v5, v1
	v_min_f32_e32 v1, 0x3f7fffff, v1
	v_sub_f32_e32 v0, v0, v7
	v_mov_b32_e32 v7, 0x7f800000
	v_cmp_neq_f32_e32 vcc, 0, v1
	v_cndmask_b32_e32 v7, v7, v0, vcc
.LBB143_1505:
	s_or_b64 exec, exec, s[8:9]
.LBB143_1506:
	s_andn2_saveexec_b64 s[6:7], s[6:7]
; %bb.1507:
	v_cmp_eq_f32_e32 vcc, 1.0, v5
	v_cmp_eq_f32_e64 s[4:5], 2.0, v5
	s_or_b64 s[4:5], vcc, s[4:5]
	v_cndmask_b32_e64 v7, v7, 0, s[4:5]
; %bb.1508:
	s_or_b64 exec, exec, s[6:7]
	v_add_u32_e32 v8, s11, v6
	v_ashrrev_i32_e32 v1, 31, v8
	v_mov_b32_e32 v6, s15
	v_add_co_u32_e32 v0, vcc, s14, v8
	s_cmp_lt_i32 s26, 11
	v_addc_co_u32_e32 v1, vcc, v6, v1, vcc
	s_cbranch_scc1 .LBB143_1515
; %bb.1509:
	s_cmp_gt_i32 s26, 25
	s_mov_b64 s[6:7], 0
	s_cbranch_scc0 .LBB143_1517
; %bb.1510:
	s_cmp_gt_i32 s26, 28
	s_cbranch_scc0 .LBB143_1518
; %bb.1511:
	s_cmp_gt_i32 s26, 43
	;; [unrolled: 3-line block ×3, first 2 shown]
	s_cbranch_scc0 .LBB143_1521
; %bb.1513:
	s_cmp_eq_u32 s26, 46
	s_mov_b64 s[22:23], 0
	s_cbranch_scc0 .LBB143_1522
; %bb.1514:
	global_load_dword v6, v[0:1], off
	s_mov_b64 s[4:5], 0
	s_mov_b64 s[8:9], -1
	s_waitcnt vmcnt(0)
	v_lshlrev_b32_e32 v6, 16, v6
	s_branch .LBB143_1523
.LBB143_1515:
	s_mov_b64 s[8:9], 0
                                        ; implicit-def: $vgpr6
	s_cbranch_execnz .LBB143_1589
.LBB143_1516:
	s_andn2_b64 vcc, exec, s[8:9]
	s_cbranch_vccnz .LBB143_2276
	s_branch .LBB143_1637
.LBB143_1517:
	s_mov_b64 s[22:23], -1
	s_mov_b64 s[8:9], 0
	s_mov_b64 s[4:5], 0
                                        ; implicit-def: $vgpr6
	s_branch .LBB143_1552
.LBB143_1518:
	s_mov_b64 s[22:23], -1
	s_mov_b64 s[8:9], 0
	s_mov_b64 s[4:5], 0
                                        ; implicit-def: $vgpr6
	s_branch .LBB143_1533
.LBB143_1519:
	s_mov_b64 s[22:23], -1
	s_mov_b64 s[8:9], 0
	s_mov_b64 s[4:5], 0
                                        ; implicit-def: $vgpr6
	s_branch .LBB143_1528
.LBB143_1520:
	s_trap 2
	s_or_b64 s[20:21], s[20:21], exec
	s_cbranch_execz .LBB143_1421
	s_branch .LBB143_1422
.LBB143_1521:
	s_mov_b64 s[22:23], -1
	s_mov_b64 s[8:9], 0
	s_mov_b64 s[4:5], 0
                                        ; implicit-def: $vgpr6
	s_branch .LBB143_1523
.LBB143_1522:
	s_mov_b64 s[4:5], -1
                                        ; implicit-def: $vgpr6
	s_mov_b64 s[8:9], 0
.LBB143_1523:
	s_and_b64 vcc, exec, s[22:23]
	s_cbranch_vccz .LBB143_1527
; %bb.1524:
	s_cmp_eq_u32 s26, 44
	s_cbranch_scc0 .LBB143_1526
; %bb.1525:
	global_load_ubyte v6, v[0:1], off
	s_movk_i32 s8, 0xff
	v_mov_b32_e32 v9, 0x7f800001
	v_mov_b32_e32 v10, 0x400000
	s_mov_b64 s[4:5], 0
	s_waitcnt vmcnt(0)
	v_lshlrev_b32_e32 v11, 23, v6
	v_cmp_ne_u32_e32 vcc, s8, v6
	v_cndmask_b32_e32 v9, v9, v11, vcc
	v_cmp_ne_u32_e32 vcc, 0, v6
	v_cndmask_b32_e32 v6, v10, v9, vcc
	s_mov_b64 s[8:9], -1
	s_branch .LBB143_1527
.LBB143_1526:
	s_mov_b64 s[4:5], -1
                                        ; implicit-def: $vgpr6
.LBB143_1527:
	s_mov_b64 s[22:23], 0
.LBB143_1528:
	s_and_b64 vcc, exec, s[22:23]
	s_cbranch_vccz .LBB143_1532
; %bb.1529:
	s_cmp_eq_u32 s26, 29
	s_cbranch_scc0 .LBB143_1531
; %bb.1530:
	global_load_dwordx2 v[9:10], v[0:1], off
	s_mov_b64 s[4:5], 0
	s_mov_b64 s[8:9], -1
	s_mov_b64 s[22:23], 0
	s_waitcnt vmcnt(0)
	v_ffbh_u32_e32 v6, v10
	v_min_u32_e32 v6, 32, v6
	v_lshlrev_b64 v[9:10], v6, v[9:10]
	v_sub_u32_e32 v6, 32, v6
	v_min_u32_e32 v9, 1, v9
	v_or_b32_e32 v9, v10, v9
	v_cvt_f32_u32_e32 v9, v9
	v_ldexp_f32 v6, v9, v6
	s_branch .LBB143_1533
.LBB143_1531:
	s_mov_b64 s[4:5], -1
                                        ; implicit-def: $vgpr6
.LBB143_1532:
	s_mov_b64 s[22:23], 0
.LBB143_1533:
	s_and_b64 vcc, exec, s[22:23]
	s_cbranch_vccz .LBB143_1551
; %bb.1534:
	s_cmp_lt_i32 s26, 27
	s_cbranch_scc1 .LBB143_1537
; %bb.1535:
	s_cmp_gt_i32 s26, 27
	s_cbranch_scc0 .LBB143_1538
; %bb.1536:
	global_load_dword v6, v[0:1], off
	s_mov_b64 s[8:9], 0
	s_waitcnt vmcnt(0)
	v_cvt_f32_u32_e32 v6, v6
	s_branch .LBB143_1539
.LBB143_1537:
	s_mov_b64 s[8:9], -1
                                        ; implicit-def: $vgpr6
	s_branch .LBB143_1542
.LBB143_1538:
	s_mov_b64 s[8:9], -1
                                        ; implicit-def: $vgpr6
.LBB143_1539:
	s_andn2_b64 vcc, exec, s[8:9]
	s_cbranch_vccnz .LBB143_1541
; %bb.1540:
	global_load_ushort v6, v[0:1], off
	s_waitcnt vmcnt(0)
	v_cvt_f32_u32_e32 v6, v6
.LBB143_1541:
	s_mov_b64 s[8:9], 0
.LBB143_1542:
	s_andn2_b64 vcc, exec, s[8:9]
	s_cbranch_vccnz .LBB143_1550
; %bb.1543:
	global_load_ubyte v9, v[0:1], off
	s_movk_i32 s8, 0x7f
	s_waitcnt vmcnt(0)
	v_cmp_lt_i16_e32 vcc, s8, v9
	s_mov_b64 s[8:9], 0
	s_and_saveexec_b64 s[22:23], vcc
	s_xor_b64 s[22:23], exec, s[22:23]
	s_cbranch_execz .LBB143_1564
; %bb.1544:
	s_movk_i32 s8, 0x80
	v_cmp_eq_u16_e32 vcc, s8, v9
	s_mov_b64 s[8:9], -1
	s_and_saveexec_b64 s[24:25], vcc
; %bb.1545:
	s_xor_b64 s[8:9], exec, -1
; %bb.1546:
	s_or_b64 exec, exec, s[24:25]
	s_and_b64 s[8:9], s[8:9], exec
	s_or_saveexec_b64 s[22:23], s[22:23]
	v_mov_b32_e32 v6, 0x7f800001
	s_xor_b64 exec, exec, s[22:23]
	s_cbranch_execnz .LBB143_1565
.LBB143_1547:
	s_or_b64 exec, exec, s[22:23]
	s_and_saveexec_b64 s[22:23], s[8:9]
	s_cbranch_execz .LBB143_1549
.LBB143_1548:
	v_lshlrev_b32_e32 v6, 24, v9
	v_and_b32_e32 v9, 0xffff, v9
	v_and_b32_e32 v10, 7, v9
	v_ffbh_u32_e32 v12, v10
	v_min_u32_e32 v12, 32, v12
	v_subrev_u32_e32 v13, 28, v12
	v_bfe_u32 v11, v9, 3, 4
	v_lshlrev_b32_e32 v9, v13, v9
	v_sub_u32_e32 v12, 29, v12
	v_and_b32_e32 v9, 7, v9
	v_cmp_eq_u32_e32 vcc, 0, v11
	v_cndmask_b32_e32 v11, v11, v12, vcc
	v_cndmask_b32_e32 v9, v10, v9, vcc
	v_mov_b32_e32 v10, 0x3b800000
	v_lshlrev_b32_e32 v9, 20, v9
	v_and_b32_e32 v6, 0x80000000, v6
	v_lshl_add_u32 v10, v11, 23, v10
	v_or3_b32 v6, v6, v10, v9
.LBB143_1549:
	s_or_b64 exec, exec, s[22:23]
.LBB143_1550:
	s_mov_b64 s[8:9], -1
.LBB143_1551:
	s_mov_b64 s[22:23], 0
.LBB143_1552:
	s_and_b64 vcc, exec, s[22:23]
	s_cbranch_vccz .LBB143_1585
; %bb.1553:
	s_cmp_gt_i32 s26, 22
	s_cbranch_scc0 .LBB143_1563
; %bb.1554:
	s_cmp_lt_i32 s26, 24
	s_cbranch_scc1 .LBB143_1566
; %bb.1555:
	s_cmp_gt_i32 s26, 24
	s_cbranch_scc0 .LBB143_1567
; %bb.1556:
	global_load_ubyte v9, v[0:1], off
	s_movk_i32 s6, 0x7f
	s_waitcnt vmcnt(0)
	v_cmp_lt_i16_e32 vcc, s6, v9
	s_mov_b64 s[6:7], 0
	s_and_saveexec_b64 s[8:9], vcc
	s_xor_b64 s[8:9], exec, s[8:9]
	s_cbranch_execz .LBB143_1579
; %bb.1557:
	s_movk_i32 s6, 0x80
	v_cmp_eq_u16_e32 vcc, s6, v9
	s_mov_b64 s[6:7], -1
	s_and_saveexec_b64 s[22:23], vcc
; %bb.1558:
	s_xor_b64 s[6:7], exec, -1
; %bb.1559:
	s_or_b64 exec, exec, s[22:23]
	s_and_b64 s[6:7], s[6:7], exec
	s_or_saveexec_b64 s[8:9], s[8:9]
	v_mov_b32_e32 v6, 0x7f800001
	s_xor_b64 exec, exec, s[8:9]
	s_cbranch_execnz .LBB143_1580
.LBB143_1560:
	s_or_b64 exec, exec, s[8:9]
	s_and_saveexec_b64 s[8:9], s[6:7]
	s_cbranch_execz .LBB143_1562
.LBB143_1561:
	v_lshlrev_b32_e32 v6, 24, v9
	v_and_b32_e32 v9, 0xffff, v9
	v_and_b32_e32 v10, 3, v9
	v_ffbh_u32_e32 v12, v10
	v_min_u32_e32 v12, 32, v12
	v_subrev_u32_e32 v13, 29, v12
	v_bfe_u32 v11, v9, 2, 5
	v_lshlrev_b32_e32 v9, v13, v9
	v_sub_u32_e32 v12, 30, v12
	v_and_b32_e32 v9, 3, v9
	v_cmp_eq_u32_e32 vcc, 0, v11
	v_cndmask_b32_e32 v11, v11, v12, vcc
	v_cndmask_b32_e32 v9, v10, v9, vcc
	v_mov_b32_e32 v10, 0x37800000
	v_lshlrev_b32_e32 v9, 21, v9
	v_and_b32_e32 v6, 0x80000000, v6
	v_lshl_add_u32 v10, v11, 23, v10
	v_or3_b32 v6, v6, v10, v9
.LBB143_1562:
	s_or_b64 exec, exec, s[8:9]
	s_mov_b64 s[6:7], 0
	s_branch .LBB143_1568
.LBB143_1563:
	s_mov_b64 s[6:7], -1
                                        ; implicit-def: $vgpr6
	s_branch .LBB143_1574
.LBB143_1564:
	s_or_saveexec_b64 s[22:23], s[22:23]
	v_mov_b32_e32 v6, 0x7f800001
	s_xor_b64 exec, exec, s[22:23]
	s_cbranch_execz .LBB143_1547
.LBB143_1565:
	v_cmp_ne_u16_e32 vcc, 0, v9
	s_andn2_b64 s[8:9], s[8:9], exec
	s_and_b64 s[24:25], vcc, exec
	v_mov_b32_e32 v6, 0
	s_or_b64 s[8:9], s[8:9], s[24:25]
	s_or_b64 exec, exec, s[22:23]
	s_and_saveexec_b64 s[22:23], s[8:9]
	s_cbranch_execnz .LBB143_1548
	s_branch .LBB143_1549
.LBB143_1566:
	s_mov_b64 s[6:7], -1
                                        ; implicit-def: $vgpr6
	s_branch .LBB143_1571
.LBB143_1567:
	s_mov_b64 s[6:7], -1
                                        ; implicit-def: $vgpr6
.LBB143_1568:
	s_and_b64 vcc, exec, s[6:7]
	s_cbranch_vccz .LBB143_1570
; %bb.1569:
	global_load_ubyte v6, v[0:1], off
	s_mov_b32 s6, 0x7f800000
	s_waitcnt vmcnt(0)
	v_lshlrev_b32_e32 v6, 24, v6
	v_and_b32_e32 v9, 0x7f000000, v6
	v_ffbh_u32_e32 v10, v9
	v_min_u32_e32 v10, 32, v10
	v_sub_u32_e64 v10, v10, 4 clamp
	v_lshlrev_b32_e32 v12, v10, v9
	v_lshlrev_b32_e32 v10, 23, v10
	v_lshrrev_b32_e32 v12, 4, v12
	v_add_u32_e32 v11, 0x1000000, v9
	v_sub_u32_e32 v10, v12, v10
	v_ashrrev_i32_e32 v11, 8, v11
	v_add_u32_e32 v10, 0x3c000000, v10
	v_and_or_b32 v10, v11, s6, v10
	v_cmp_ne_u32_e32 vcc, 0, v9
	v_cndmask_b32_e32 v9, 0, v10, vcc
	s_brev_b32 s6, 1
	v_and_or_b32 v6, v6, s6, v9
.LBB143_1570:
	s_mov_b64 s[6:7], 0
.LBB143_1571:
	s_andn2_b64 vcc, exec, s[6:7]
	s_cbranch_vccnz .LBB143_1573
; %bb.1572:
	global_load_ubyte v6, v[0:1], off
	s_movk_i32 s6, 0x7f00
	s_brev_b32 s7, 16
	s_waitcnt vmcnt(0)
	v_lshlrev_b16_e32 v9, 8, v6
	v_lshlrev_b32_e32 v6, 25, v6
	v_lshrrev_b32_e32 v10, 4, v6
	v_and_or_b32 v11, v9, s6, 0.5
	v_or_b32_e32 v10, 0x70000000, v10
	v_add_f32_e32 v11, -0.5, v11
	v_mul_f32_e32 v10, 0x7800000, v10
	v_cmp_gt_u32_e32 vcc, s7, v6
	v_bfe_i32 v9, v9, 0, 16
	v_cndmask_b32_e32 v6, v10, v11, vcc
	s_brev_b32 s6, 1
	v_and_or_b32 v6, v9, s6, v6
.LBB143_1573:
	s_mov_b64 s[6:7], 0
	s_mov_b64 s[8:9], -1
.LBB143_1574:
	s_andn2_b64 vcc, exec, s[6:7]
	s_mov_b64 s[6:7], 0
	s_cbranch_vccnz .LBB143_1585
; %bb.1575:
	s_cmp_gt_i32 s26, 14
	s_cbranch_scc0 .LBB143_1578
; %bb.1576:
	s_cmp_eq_u32 s26, 15
	s_cbranch_scc0 .LBB143_1581
; %bb.1577:
	global_load_ushort v6, v[0:1], off
	s_mov_b64 s[4:5], 0
	s_mov_b64 s[8:9], -1
	s_waitcnt vmcnt(0)
	v_lshlrev_b32_e32 v6, 16, v6
	s_branch .LBB143_1582
.LBB143_1578:
	s_mov_b64 s[22:23], -1
                                        ; implicit-def: $vgpr6
	s_branch .LBB143_1583
.LBB143_1579:
	s_or_saveexec_b64 s[8:9], s[8:9]
	v_mov_b32_e32 v6, 0x7f800001
	s_xor_b64 exec, exec, s[8:9]
	s_cbranch_execz .LBB143_1560
.LBB143_1580:
	v_cmp_ne_u16_e32 vcc, 0, v9
	s_andn2_b64 s[6:7], s[6:7], exec
	s_and_b64 s[22:23], vcc, exec
	v_mov_b32_e32 v6, 0
	s_or_b64 s[6:7], s[6:7], s[22:23]
	s_or_b64 exec, exec, s[8:9]
	s_and_saveexec_b64 s[8:9], s[6:7]
	s_cbranch_execnz .LBB143_1561
	s_branch .LBB143_1562
.LBB143_1581:
	s_mov_b64 s[4:5], -1
                                        ; implicit-def: $vgpr6
.LBB143_1582:
	s_mov_b64 s[22:23], 0
.LBB143_1583:
	s_and_b64 vcc, exec, s[22:23]
	s_cbranch_vccz .LBB143_1585
; %bb.1584:
	s_cmp_lg_u32 s26, 11
	s_mov_b64 s[6:7], -1
	s_cselect_b64 s[4:5], -1, 0
.LBB143_1585:
	s_and_b64 vcc, exec, s[4:5]
	s_cbranch_vccnz .LBB143_1686
; %bb.1586:
	s_andn2_b64 vcc, exec, s[6:7]
	s_cbranch_vccnz .LBB143_1588
.LBB143_1587:
	global_load_ubyte v6, v[0:1], off
	s_mov_b64 s[8:9], -1
	s_waitcnt vmcnt(0)
	v_cmp_ne_u16_e32 vcc, 0, v6
	v_cndmask_b32_e64 v6, 0, 1.0, vcc
.LBB143_1588:
	s_branch .LBB143_1516
.LBB143_1589:
	s_cmp_lt_i32 s26, 5
	s_cbranch_scc1 .LBB143_1594
; %bb.1590:
	s_cmp_lt_i32 s26, 8
	s_cbranch_scc1 .LBB143_1595
; %bb.1591:
	;; [unrolled: 3-line block ×3, first 2 shown]
	s_cmp_gt_i32 s26, 9
	s_cbranch_scc0 .LBB143_1597
; %bb.1593:
	global_load_dwordx2 v[9:10], v[0:1], off
	s_mov_b64 s[4:5], 0
	s_waitcnt vmcnt(0)
	v_cvt_f32_f64_e32 v6, v[9:10]
	s_branch .LBB143_1598
.LBB143_1594:
	s_mov_b64 s[4:5], -1
                                        ; implicit-def: $vgpr6
	s_branch .LBB143_1616
.LBB143_1595:
	s_mov_b64 s[4:5], -1
                                        ; implicit-def: $vgpr6
	s_branch .LBB143_1604
.LBB143_1596:
	s_mov_b64 s[4:5], -1
                                        ; implicit-def: $vgpr6
	s_branch .LBB143_1601
.LBB143_1597:
	s_mov_b64 s[4:5], -1
                                        ; implicit-def: $vgpr6
.LBB143_1598:
	s_andn2_b64 vcc, exec, s[4:5]
	s_cbranch_vccnz .LBB143_1600
; %bb.1599:
	global_load_dword v6, v[0:1], off
.LBB143_1600:
	s_mov_b64 s[4:5], 0
.LBB143_1601:
	s_andn2_b64 vcc, exec, s[4:5]
	s_cbranch_vccnz .LBB143_1603
; %bb.1602:
	global_load_dword v6, v[0:1], off
	s_waitcnt vmcnt(0)
	v_cvt_f32_f16_e32 v6, v6
.LBB143_1603:
	s_mov_b64 s[4:5], 0
.LBB143_1604:
	s_andn2_b64 vcc, exec, s[4:5]
	s_cbranch_vccnz .LBB143_1615
; %bb.1605:
	s_cmp_lt_i32 s26, 6
	s_cbranch_scc1 .LBB143_1608
; %bb.1606:
	s_cmp_gt_i32 s26, 6
	s_cbranch_scc0 .LBB143_1609
; %bb.1607:
	global_load_dwordx2 v[9:10], v[0:1], off
	s_mov_b64 s[4:5], 0
	s_waitcnt vmcnt(0)
	v_cvt_f32_f64_e32 v6, v[9:10]
	s_branch .LBB143_1610
.LBB143_1608:
	s_mov_b64 s[4:5], -1
                                        ; implicit-def: $vgpr6
	s_branch .LBB143_1613
.LBB143_1609:
	s_mov_b64 s[4:5], -1
                                        ; implicit-def: $vgpr6
.LBB143_1610:
	s_andn2_b64 vcc, exec, s[4:5]
	s_cbranch_vccnz .LBB143_1612
; %bb.1611:
	global_load_dword v6, v[0:1], off
.LBB143_1612:
	s_mov_b64 s[4:5], 0
.LBB143_1613:
	s_andn2_b64 vcc, exec, s[4:5]
	s_cbranch_vccnz .LBB143_1615
; %bb.1614:
	global_load_ushort v6, v[0:1], off
	s_waitcnt vmcnt(0)
	v_cvt_f32_f16_e32 v6, v6
.LBB143_1615:
	s_mov_b64 s[4:5], 0
.LBB143_1616:
	s_andn2_b64 vcc, exec, s[4:5]
	s_cbranch_vccnz .LBB143_1636
; %bb.1617:
	s_cmp_lt_i32 s26, 2
	s_cbranch_scc1 .LBB143_1621
; %bb.1618:
	s_cmp_lt_i32 s26, 3
	s_cbranch_scc1 .LBB143_1622
; %bb.1619:
	s_cmp_gt_i32 s26, 3
	s_cbranch_scc0 .LBB143_1623
; %bb.1620:
	global_load_dwordx2 v[9:10], v[0:1], off
	s_mov_b64 s[4:5], 0
	s_waitcnt vmcnt(0)
	v_xor_b32_e32 v11, v9, v10
	v_ffbh_i32_e32 v6, v10
	v_ashrrev_i32_e32 v11, 31, v11
	v_add_u32_e32 v6, -1, v6
	v_add_u32_e32 v11, 32, v11
	v_min_u32_e32 v6, v6, v11
	v_lshlrev_b64 v[9:10], v6, v[9:10]
	v_sub_u32_e32 v6, 32, v6
	v_min_u32_e32 v9, 1, v9
	v_or_b32_e32 v9, v10, v9
	v_cvt_f32_i32_e32 v9, v9
	v_ldexp_f32 v6, v9, v6
	s_branch .LBB143_1624
.LBB143_1621:
	s_mov_b64 s[4:5], -1
                                        ; implicit-def: $vgpr6
	s_branch .LBB143_1630
.LBB143_1622:
	s_mov_b64 s[4:5], -1
                                        ; implicit-def: $vgpr6
	s_branch .LBB143_1627
.LBB143_1623:
	s_mov_b64 s[4:5], -1
                                        ; implicit-def: $vgpr6
.LBB143_1624:
	s_andn2_b64 vcc, exec, s[4:5]
	s_cbranch_vccnz .LBB143_1626
; %bb.1625:
	global_load_dword v6, v[0:1], off
	s_waitcnt vmcnt(0)
	v_cvt_f32_i32_e32 v6, v6
.LBB143_1626:
	s_mov_b64 s[4:5], 0
.LBB143_1627:
	s_andn2_b64 vcc, exec, s[4:5]
	s_cbranch_vccnz .LBB143_1629
; %bb.1628:
	global_load_sshort v6, v[0:1], off
	s_waitcnt vmcnt(0)
	v_cvt_f32_i32_e32 v6, v6
.LBB143_1629:
	s_mov_b64 s[4:5], 0
.LBB143_1630:
	s_andn2_b64 vcc, exec, s[4:5]
	s_cbranch_vccnz .LBB143_1636
; %bb.1631:
	s_cmp_gt_i32 s26, 0
	s_cbranch_scc0 .LBB143_1633
; %bb.1632:
	global_load_sbyte v6, v[0:1], off
	s_mov_b64 s[4:5], 0
	s_waitcnt vmcnt(0)
	v_cvt_f32_i32_e32 v6, v6
	s_branch .LBB143_1634
.LBB143_1633:
	s_mov_b64 s[4:5], -1
                                        ; implicit-def: $vgpr6
.LBB143_1634:
	s_andn2_b64 vcc, exec, s[4:5]
	s_cbranch_vccnz .LBB143_1636
; %bb.1635:
	global_load_ubyte v0, v[0:1], off
	s_waitcnt vmcnt(0)
	v_cvt_f32_ubyte0_e32 v6, v0
.LBB143_1636:
.LBB143_1637:
	s_mov_b32 s4, 0x3c800000
	s_waitcnt vmcnt(0)
	v_and_b32_e32 v0, 0x7fffffff, v6
	v_cmp_nlt_f32_e64 s[4:5], |v6|, s4
                                        ; implicit-def: $vgpr9
	s_and_saveexec_b64 s[6:7], s[4:5]
	s_xor_b64 s[6:7], exec, s[6:7]
	s_cbranch_execz .LBB143_1667
; %bb.1638:
	v_cmp_nlt_f32_e64 s[4:5], |v6|, 2.0
                                        ; implicit-def: $vgpr9
	s_and_saveexec_b64 s[8:9], s[4:5]
	s_xor_b64 s[8:9], exec, s[8:9]
	s_cbranch_execz .LBB143_1648
; %bb.1639:
	s_mov_b32 s4, 0x41000000
	v_cmp_nlt_f32_e64 s[4:5], |v6|, s4
                                        ; implicit-def: $vgpr9
	s_and_saveexec_b64 s[22:23], s[4:5]
	s_xor_b64 s[22:23], exec, s[22:23]
	s_cbranch_execz .LBB143_1645
; %bb.1640:
	s_mov_b32 s4, 0x5c800000
	v_cmp_nlt_f32_e64 s[4:5], |v6|, s4
                                        ; implicit-def: $vgpr9
	s_and_saveexec_b64 s[24:25], s[4:5]
	s_xor_b64 s[24:25], exec, s[24:25]
	s_cbranch_execz .LBB143_1642
; %bb.1641:
	s_mov_b32 s4, 0x800000
	v_cmp_lt_f32_e64 vcc, |v6|, s4
	v_cndmask_b32_e64 v1, 0, 32, vcc
	v_ldexp_f32 v1, |v6|, v1
	v_log_f32_e32 v1, v1
	s_mov_b32 s4, 0x3f317217
	s_mov_b32 s5, 0x7f800000
	v_mul_f32_e32 v9, 0x3f317217, v1
	v_fma_f32 v10, v1, s4, -v9
	v_fmac_f32_e32 v10, 0x3377d1cf, v1
	v_add_f32_e32 v9, v9, v10
	v_cmp_lt_f32_e64 s[4:5], |v1|, s5
	v_cndmask_b32_e64 v1, v1, v9, s[4:5]
	v_mov_b32_e32 v9, 0x41b17218
	v_cndmask_b32_e32 v9, 0, v9, vcc
	v_sub_f32_e32 v1, v1, v9
	v_fma_f32 v9, |v6|, v1, -|v6|
.LBB143_1642:
	s_andn2_saveexec_b64 s[24:25], s[24:25]
	s_cbranch_execz .LBB143_1644
; %bb.1643:
	v_rcp_f32_e64 v1, |v6|
	v_mov_b32_e32 v9, 0x3a5b3dd2
	v_mov_b32_e32 v10, 0xba1c065c
	v_mov_b32_e32 v11, 0x3a500cfd
	v_mul_f32_e32 v12, v1, v1
	v_fmac_f32_e32 v9, 0xbad5c4e8, v12
	v_fmac_f32_e32 v10, v12, v9
	s_mov_b32 s4, 0x800000
	v_fmac_f32_e32 v11, v12, v10
	v_mov_b32_e32 v9, 0xbb360b61
	v_cmp_lt_f32_e64 vcc, |v6|, s4
	v_fmac_f32_e32 v9, v12, v11
	v_cndmask_b32_e64 v11, 0, 32, vcc
	v_ldexp_f32 v11, |v6|, v11
	v_log_f32_e32 v11, v11
	v_mov_b32_e32 v10, 0x3daaaaab
	v_fmac_f32_e32 v10, v12, v9
	v_mov_b32_e32 v9, 0x3ed67f1d
	v_fmac_f32_e32 v9, v1, v10
	s_mov_b32 s4, 0x3f317217
	v_mul_f32_e32 v10, 0x3f317217, v11
	v_fma_f32 v12, v11, s4, -v10
	v_fmac_f32_e32 v12, 0x3377d1cf, v11
	s_mov_b32 s4, 0x7f800000
	v_add_f32_e32 v10, v10, v12
	v_cmp_lt_f32_e64 s[4:5], |v11|, s4
	v_cndmask_b32_e64 v10, v11, v10, s[4:5]
	v_mov_b32_e32 v11, 0x41b17218
	v_cndmask_b32_e32 v11, 0, v11, vcc
	v_sub_f32_e32 v10, v10, v11
	v_add_f32_e64 v1, |v6|, -0.5
	v_add_f32_e32 v10, -1.0, v10
	v_fmac_f32_e32 v9, v1, v10
.LBB143_1644:
	s_or_b64 exec, exec, s[24:25]
.LBB143_1645:
	s_andn2_saveexec_b64 s[22:23], s[22:23]
	s_cbranch_execz .LBB143_1647
; %bb.1646:
	v_cvt_i32_f32_e32 v1, v0
	v_mov_b32_e32 v9, 0x3af135b4
	v_mov_b32_e32 v10, 0x3cda40e4
	;; [unrolled: 1-line block ×3, first 2 shown]
	v_cvt_f32_i32_e32 v12, v1
	v_mov_b32_e32 v13, 0x3ea6cc7a
	v_mov_b32_e32 v14, 0x3e5c245a
	v_cmp_lt_i32_e32 vcc, 2, v1
	v_sub_f32_e64 v12, |v6|, v12
	v_fmac_f32_e32 v9, 0x3805ff67, v12
	v_fmac_f32_e32 v10, v12, v9
	;; [unrolled: 1-line block ×3, first 2 shown]
	v_mov_b32_e32 v10, 0x3a4beed6
	v_fmac_f32_e32 v13, v12, v11
	v_fmac_f32_e32 v10, 0x36f5d7bd, v12
	v_mov_b32_e32 v11, 0x3c98bf54
	v_fmac_f32_e32 v11, v12, v10
	v_mov_b32_e32 v10, 0x3e300f6e
	v_fmac_f32_e32 v10, v12, v11
	v_mov_b32_e32 v11, 0x3f38d0c5
	v_fmac_f32_e32 v11, v12, v10
	v_mov_b32_e32 v10, 0x3fb22d3b
	v_fmac_f32_e32 v10, v12, v11
	v_add_f32_e32 v11, 2.0, v12
	v_mov_b32_e32 v15, 0xbd9e233f
	v_fmac_f32_e32 v14, v12, v13
	v_add_f32_e32 v13, 0x40400000, v12
	v_cndmask_b32_e32 v11, 1.0, v11, vcc
	v_cmp_lt_i32_e32 vcc, 3, v1
	v_fmac_f32_e32 v15, v12, v14
	v_add_f32_e32 v14, 4.0, v12
	v_cndmask_b32_e32 v13, 1.0, v13, vcc
	v_cmp_lt_i32_e32 vcc, 4, v1
	v_mul_f32_e32 v9, v12, v15
	v_add_f32_e32 v15, 0x40a00000, v12
	v_mul_f32_e32 v11, v11, v13
	v_cndmask_b32_e32 v13, 1.0, v14, vcc
	v_cmp_lt_i32_e32 vcc, 5, v1
	v_add_f32_e32 v16, 0x40c00000, v12
	v_mul_f32_e32 v11, v13, v11
	v_cndmask_b32_e32 v13, 1.0, v15, vcc
	v_cmp_lt_i32_e32 vcc, 6, v1
	v_mul_f32_e32 v11, v13, v11
	v_cndmask_b32_e32 v1, 1.0, v16, vcc
	v_mul_f32_e32 v1, v1, v11
	s_mov_b32 s4, 0x800000
	v_cmp_gt_f32_e32 vcc, s4, v1
	v_cndmask_b32_e64 v11, 0, 32, vcc
	v_fma_f32 v10, v12, v10, 1.0
	v_ldexp_f32 v1, v1, v11
	v_rcp_f32_e32 v10, v10
	v_log_f32_e32 v1, v1
	s_mov_b32 s4, 0x3f317217
	v_mul_f32_e32 v9, v9, v10
	v_mul_f32_e32 v10, 0x3f317217, v1
	v_fma_f32 v11, v1, s4, -v10
	v_fmac_f32_e32 v11, 0x3377d1cf, v1
	s_mov_b32 s4, 0x7f800000
	v_add_f32_e32 v10, v10, v11
	v_cmp_lt_f32_e64 s[4:5], |v1|, s4
	v_cndmask_b32_e64 v1, v1, v10, s[4:5]
	v_mov_b32_e32 v10, 0x41b17218
	v_cndmask_b32_e32 v10, 0, v10, vcc
	v_fmac_f32_e32 v9, 0.5, v12
	v_sub_f32_e32 v1, v1, v10
	v_add_f32_e32 v9, v1, v9
.LBB143_1647:
	s_or_b64 exec, exec, s[22:23]
.LBB143_1648:
	s_andn2_saveexec_b64 s[8:9], s[8:9]
	s_cbranch_execz .LBB143_1666
; %bb.1649:
	s_mov_b32 s4, 0x3f666666
	v_cmp_le_f32_e64 s[4:5], |v6|, s4
                                        ; implicit-def: $vgpr9
                                        ; implicit-def: $vgpr10
                                        ; implicit-def: $vgpr1
	s_and_saveexec_b64 s[22:23], s[4:5]
	s_xor_b64 s[22:23], exec, s[22:23]
	s_cbranch_execz .LBB143_1651
; %bb.1650:
	s_mov_b32 s4, 0x800000
	v_cmp_lt_f32_e64 vcc, |v6|, s4
	v_cndmask_b32_e64 v1, 0, 32, vcc
	v_ldexp_f32 v1, |v6|, v1
	v_log_f32_e32 v1, v1
	s_mov_b32 s4, 0x3f317217
	s_mov_b32 s5, 0x7f800000
	v_mul_f32_e32 v9, 0x3f317217, v1
	v_fma_f32 v10, v1, s4, -v9
	v_fmac_f32_e32 v10, 0x3377d1cf, v1
	v_add_f32_e32 v9, v9, v10
	v_cmp_lt_f32_e64 s[4:5], |v1|, s5
	v_cndmask_b32_e64 v1, v1, v9, s[4:5]
	v_mov_b32_e32 v9, 0x41b17218
	v_cndmask_b32_e32 v9, 0, v9, vcc
	v_sub_f32_e32 v1, v1, v9
	s_mov_b32 s4, 0x3f3b4a23
	s_mov_b32 s5, 0xbeec5b0c
	v_xor_b32_e32 v9, 0x80000000, v1
	v_sub_f32_e64 v1, 1.0, |v6|
	v_add_f32_e64 v10, |v6|, s5
	v_cmp_lt_f32_e64 vcc, |v6|, s4
	s_mov_b32 s4, 0x3e6d3309
	v_cndmask_b32_e32 v1, v1, v10, vcc
	v_cndmask_b32_e64 v10, 0, 1, vcc
	v_cmp_lt_f32_e64 s[4:5], |v6|, s4
	v_cndmask_b32_e64 v1, v1, |v6|, s[4:5]
	v_cndmask_b32_e64 v10, v10, 2, s[4:5]
.LBB143_1651:
	s_andn2_saveexec_b64 s[4:5], s[22:23]
	s_cbranch_execz .LBB143_1653
; %bb.1652:
	s_mov_b32 s22, 0x3fdda512
	s_mov_b32 s23, 0xbfbb16c3
	v_sub_f32_e64 v1, 2.0, |v6|
	v_add_f32_e64 v9, |v6|, s23
	v_cmp_lt_f32_e64 vcc, |v6|, s22
	v_cndmask_b32_e32 v9, v1, v9, vcc
	v_cndmask_b32_e64 v1, v1, 1.0, vcc
	v_cvt_i32_f32_e32 v10, v1
	s_mov_b32 s22, 0x3f9d70a4
	v_add_f32_e64 v1, |v6|, -1.0
	v_cmp_lt_f32_e64 vcc, |v6|, s22
	v_cndmask_b32_e32 v1, v9, v1, vcc
	v_cndmask_b32_e64 v10, v10, 2, vcc
	v_mov_b32_e32 v9, 0
.LBB143_1653:
	s_or_b64 exec, exec, s[4:5]
	v_cmp_lt_i32_e32 vcc, 0, v10
	s_and_saveexec_b64 s[4:5], vcc
	s_xor_b64 s[4:5], exec, s[4:5]
	s_cbranch_execz .LBB143_1661
; %bb.1654:
	v_cmp_lt_i32_e32 vcc, 1, v10
	s_and_saveexec_b64 s[22:23], vcc
	s_xor_b64 s[22:23], exec, s[22:23]
	s_cbranch_execz .LBB143_1658
; %bb.1655:
	v_cmp_eq_u32_e32 vcc, 2, v10
	s_and_saveexec_b64 s[24:25], vcc
	s_cbranch_execz .LBB143_1657
; %bb.1656:
	v_mov_b32_e32 v10, 0x3e6a7578
	v_fmac_f32_e32 v10, 0x3c5b3c5e, v1
	v_mov_b32_e32 v11, 0x3f7a4bb2
	v_fmac_f32_e32 v11, v1, v10
	;; [unrolled: 2-line block ×8, first 2 shown]
	v_fma_f32 v10, v1, v12, 1.0
	v_rcp_f32_e32 v10, v10
	v_mov_b32_e32 v12, 0xbd9e233f
	v_fmac_f32_e32 v12, v1, v11
	v_mul_f32_e32 v11, v1, v12
	v_mul_f32_e32 v10, v11, v10
	v_fmac_f32_e32 v10, -0.5, v1
	v_add_f32_e32 v9, v9, v10
.LBB143_1657:
	s_or_b64 exec, exec, s[24:25]
                                        ; implicit-def: $vgpr1
.LBB143_1658:
	s_andn2_saveexec_b64 s[22:23], s[22:23]
	s_cbranch_execz .LBB143_1660
; %bb.1659:
	v_mul_f32_e32 v10, v1, v1
	v_mul_f32_e32 v11, v1, v10
	v_mov_b32_e32 v12, 0xbab7f476
	v_fmac_f32_e32 v12, 0x39a57b6b, v11
	v_mov_b32_e32 v13, 0x3bc7e707
	v_fmac_f32_e32 v13, v11, v12
	;; [unrolled: 2-line block ×12, first 2 shown]
	v_fmac_f32_e32 v14, v1, v15
	s_mov_b32 s24, 0xa2863e55
	v_fma_f32 v1, v11, -v14, s24
	v_fma_f32 v1, v10, v13, -v1
	v_add_f32_e32 v1, 0xbdf8cdce, v1
	v_add_f32_e32 v9, v9, v1
.LBB143_1660:
	s_or_b64 exec, exec, s[22:23]
                                        ; implicit-def: $vgpr10
                                        ; implicit-def: $vgpr1
.LBB143_1661:
	s_andn2_saveexec_b64 s[4:5], s[4:5]
	s_cbranch_execz .LBB143_1665
; %bb.1662:
	v_cmp_eq_u32_e32 vcc, 0, v10
	s_and_saveexec_b64 s[22:23], vcc
	s_cbranch_execz .LBB143_1664
; %bb.1663:
	v_mul_f32_e32 v10, v1, v1
	v_mov_b32_e32 v11, 0x39679767
	v_fmac_f32_e32 v11, 0x37d383a2, v10
	v_mov_b32_e32 v12, 0x3a9c54a1
	v_fmac_f32_e32 v12, v10, v11
	;; [unrolled: 2-line block ×10, first 2 shown]
	v_mul_f32_e32 v10, v10, v12
	v_fmac_f32_e32 v10, v1, v11
	v_fmac_f32_e32 v10, -0.5, v1
	v_add_f32_e32 v9, v9, v10
.LBB143_1664:
	s_or_b64 exec, exec, s[22:23]
.LBB143_1665:
	s_or_b64 exec, exec, s[4:5]
.LBB143_1666:
	s_or_b64 exec, exec, s[8:9]
.LBB143_1667:
	s_andn2_saveexec_b64 s[6:7], s[6:7]
	s_cbranch_execz .LBB143_1669
; %bb.1668:
	s_mov_b32 s4, 0x3e8a8991
	v_mov_b32_e32 v1, 0xbecd26ab
	v_fma_f32 v1, |v6|, s4, v1
	s_mov_b32 s4, 0x3f528d33
	v_fma_f32 v1, |v6|, v1, s4
	s_mov_b32 s4, 0x800000
	v_cmp_lt_f32_e64 vcc, |v6|, s4
	v_cndmask_b32_e64 v9, 0, 32, vcc
	v_ldexp_f32 v9, |v6|, v9
	v_log_f32_e32 v9, v9
	s_mov_b32 s4, 0xbf13c468
	v_fma_f32 v1, |v6|, v1, s4
	s_mov_b32 s4, 0x3f317217
	v_mul_f32_e32 v10, 0x3f317217, v9
	v_fma_f32 v11, v9, s4, -v10
	v_fmac_f32_e32 v11, 0x3377d1cf, v9
	s_mov_b32 s4, 0x7f800000
	v_add_f32_e32 v10, v10, v11
	v_cmp_lt_f32_e64 s[4:5], |v9|, s4
	v_cndmask_b32_e64 v9, v9, v10, s[4:5]
	v_mov_b32_e32 v10, 0x41b17218
	v_cndmask_b32_e32 v10, 0, v10, vcc
	v_sub_f32_e32 v9, v9, v10
	v_fma_f32 v9, |v6|, v1, -v9
.LBB143_1669:
	s_or_b64 exec, exec, s[6:7]
	v_cmp_le_f32_e64 s[4:5], 0, v6
	v_cmp_nle_f32_e32 vcc, 0, v6
	s_and_saveexec_b64 s[6:7], vcc
	s_xor_b64 s[8:9], exec, s[6:7]
	s_cbranch_execz .LBB143_1673
; %bb.1670:
	s_mov_b32 s6, 0x4b000000
	s_mov_b32 s22, 0x35000000
	v_cmp_lt_f32_e64 s[6:7], |v6|, s6
	v_cmp_gt_f32_e64 s[22:23], |v6|, s22
	s_and_b64 s[6:7], s[6:7], s[22:23]
	s_and_saveexec_b64 s[22:23], s[6:7]
	s_cbranch_execz .LBB143_1672
; %bb.1671:
	v_mul_f32_e64 v1, |v6|, 0.5
	v_floor_f32_e32 v10, v1
	v_sub_f32_e32 v10, v1, v10
	v_min_f32_e32 v10, 0x3f7fffff, v10
	s_mov_b32 s24, 0x7f800000
	v_add_f32_e32 v10, v10, v10
	v_cmp_neq_f32_e32 vcc, s24, v1
	v_cndmask_b32_e32 v1, 0, v10, vcc
	v_cmp_gt_f32_e64 s[6:7], |v6|, 1.0
	v_cndmask_b32_e64 v1, |v6|, v1, s[6:7]
	v_add_f32_e32 v10, v1, v1
	v_rndne_f32_e32 v10, v10
	v_fmac_f32_e32 v1, -0.5, v10
	v_mul_f32_e32 v11, v1, v1
	v_mov_b32_e32 v12, 0xbf1f24be
	v_fmac_f32_e32 v12, 0x3e75aa41, v11
	v_mov_b32_e32 v13, 0x40234736
	v_fmac_f32_e32 v13, v11, v12
	;; [unrolled: 2-line block ×3, first 2 shown]
	v_mul_f32_e32 v13, v1, v11
	v_mul_f32_e32 v12, v13, v12
	v_fmac_f32_e32 v12, 0x40490fdb, v1
	v_mov_b32_e32 v1, 0x3e642e9d
	v_cvt_i32_f32_e32 v10, v10
	v_fmac_f32_e32 v1, 0x3d4be544, v11
	v_mov_b32_e32 v13, 0xbfaad1da
	v_fmac_f32_e32 v13, v11, v1
	v_mov_b32_e32 v1, 0x4081e0d3
	;; [unrolled: 2-line block ×3, first 2 shown]
	v_fmac_f32_e32 v13, v11, v1
	v_fma_f32 v1, v11, v13, 1.0
	v_and_b32_e32 v11, 1, v10
	v_lshlrev_b32_e32 v10, 30, v10
	v_cmp_eq_u32_e32 vcc, 0, v11
	v_and_b32_e32 v10, 0x80000000, v10
	v_xor_b32_e32 v0, v0, v6
	v_cndmask_b32_e32 v1, v1, v12, vcc
	v_xor_b32_e32 v0, v0, v10
	v_xor_b32_e32 v0, v0, v1
	v_mul_f32_e32 v0, v6, v0
	v_frexp_mant_f32_e64 v1, |v0|
	v_rcp_f32_e32 v1, v1
	v_frexp_exp_i32_f32_e32 v0, v0
	v_sub_u32_e32 v0, 2, v0
	s_mov_b32 s6, 0x800000
	v_mul_f32_e32 v1, 0x3f490fdb, v1
	v_ldexp_f32 v0, v1, v0
	v_cmp_gt_f32_e32 vcc, s6, v0
	v_cndmask_b32_e64 v1, 0, 32, vcc
	v_ldexp_f32 v0, v0, v1
	v_log_f32_e32 v0, v0
	s_mov_b32 s6, 0x3f317217
	v_mul_f32_e32 v1, 0x3f317217, v0
	v_fma_f32 v10, v0, s6, -v1
	v_fmac_f32_e32 v10, 0x3377d1cf, v0
	v_add_f32_e32 v1, v1, v10
	v_cmp_lt_f32_e64 s[6:7], |v0|, s24
	v_cndmask_b32_e64 v0, v0, v1, s[6:7]
	v_mov_b32_e32 v1, 0x41b17218
	v_cndmask_b32_e32 v1, 0, v1, vcc
	v_sub_f32_e32 v0, v0, v1
	v_floor_f32_e32 v1, v6
	v_sub_f32_e32 v1, v6, v1
	v_min_f32_e32 v1, 0x3f7fffff, v1
	v_sub_f32_e32 v0, v0, v9
	v_mov_b32_e32 v9, 0x7f800000
	v_cmp_neq_f32_e32 vcc, 0, v1
	v_cndmask_b32_e32 v9, v9, v0, vcc
.LBB143_1672:
	s_or_b64 exec, exec, s[22:23]
.LBB143_1673:
	s_andn2_saveexec_b64 s[8:9], s[8:9]
; %bb.1674:
	v_cmp_eq_f32_e32 vcc, 1.0, v6
	v_cmp_eq_f32_e64 s[6:7], 2.0, v6
	s_or_b64 s[6:7], vcc, s[6:7]
	v_cndmask_b32_e64 v9, v9, 0, s[6:7]
; %bb.1675:
	s_or_b64 exec, exec, s[8:9]
	v_add_u32_e32 v0, s11, v8
	v_ashrrev_i32_e32 v1, 31, v0
	v_mov_b32_e32 v8, s15
	v_add_co_u32_e32 v0, vcc, s14, v0
	s_cmp_lt_i32 s26, 11
	v_addc_co_u32_e32 v1, vcc, v8, v1, vcc
	s_cbranch_scc1 .LBB143_1682
; %bb.1676:
	s_cmp_gt_i32 s26, 25
	s_mov_b64 s[8:9], 0
	s_cbranch_scc0 .LBB143_1683
; %bb.1677:
	s_cmp_gt_i32 s26, 28
	s_cbranch_scc0 .LBB143_1684
; %bb.1678:
	s_cmp_gt_i32 s26, 43
	;; [unrolled: 3-line block ×3, first 2 shown]
	s_cbranch_scc0 .LBB143_1687
; %bb.1680:
	s_cmp_eq_u32 s26, 46
	s_mov_b64 s[22:23], 0
	s_cbranch_scc0 .LBB143_1688
; %bb.1681:
	global_load_dword v8, v[0:1], off
	s_mov_b64 s[6:7], 0
	s_mov_b64 s[14:15], -1
	s_waitcnt vmcnt(0)
	v_lshlrev_b32_e32 v8, 16, v8
	s_branch .LBB143_1689
.LBB143_1682:
	s_mov_b64 s[6:7], -1
	s_mov_b64 s[14:15], 0
                                        ; implicit-def: $vgpr8
	s_branch .LBB143_1755
.LBB143_1683:
	s_mov_b64 s[22:23], -1
	s_mov_b64 s[14:15], 0
	s_mov_b64 s[6:7], 0
                                        ; implicit-def: $vgpr8
	s_branch .LBB143_1718
.LBB143_1684:
	s_mov_b64 s[22:23], -1
	s_mov_b64 s[14:15], 0
	s_mov_b64 s[6:7], 0
                                        ; implicit-def: $vgpr8
	s_branch .LBB143_1699
.LBB143_1685:
	s_mov_b64 s[22:23], -1
	s_mov_b64 s[14:15], 0
	s_mov_b64 s[6:7], 0
                                        ; implicit-def: $vgpr8
	s_branch .LBB143_1694
.LBB143_1686:
	s_trap 2
	s_or_b64 s[20:21], s[20:21], exec
	s_cbranch_execz .LBB143_1587
	s_branch .LBB143_1588
.LBB143_1687:
	s_mov_b64 s[22:23], -1
	s_mov_b64 s[14:15], 0
	s_mov_b64 s[6:7], 0
                                        ; implicit-def: $vgpr8
	s_branch .LBB143_1689
.LBB143_1688:
	s_mov_b64 s[6:7], -1
                                        ; implicit-def: $vgpr8
	s_mov_b64 s[14:15], 0
.LBB143_1689:
	s_and_b64 vcc, exec, s[22:23]
	s_cbranch_vccz .LBB143_1693
; %bb.1690:
	s_cmp_eq_u32 s26, 44
	s_cbranch_scc0 .LBB143_1692
; %bb.1691:
	global_load_ubyte v8, v[0:1], off
	s_movk_i32 s11, 0xff
	v_mov_b32_e32 v10, 0x7f800001
	v_mov_b32_e32 v11, 0x400000
	s_mov_b64 s[6:7], 0
	s_mov_b64 s[14:15], -1
	s_waitcnt vmcnt(0)
	v_lshlrev_b32_e32 v12, 23, v8
	v_cmp_ne_u32_e32 vcc, s11, v8
	v_cndmask_b32_e32 v10, v10, v12, vcc
	v_cmp_ne_u32_e32 vcc, 0, v8
	v_cndmask_b32_e32 v8, v11, v10, vcc
	s_branch .LBB143_1693
.LBB143_1692:
	s_mov_b64 s[6:7], -1
                                        ; implicit-def: $vgpr8
.LBB143_1693:
	s_mov_b64 s[22:23], 0
.LBB143_1694:
	s_and_b64 vcc, exec, s[22:23]
	s_cbranch_vccz .LBB143_1698
; %bb.1695:
	s_cmp_eq_u32 s26, 29
	s_cbranch_scc0 .LBB143_1697
; %bb.1696:
	global_load_dwordx2 v[10:11], v[0:1], off
	s_mov_b64 s[6:7], 0
	s_mov_b64 s[14:15], -1
	s_mov_b64 s[22:23], 0
	s_waitcnt vmcnt(0)
	v_ffbh_u32_e32 v8, v11
	v_min_u32_e32 v8, 32, v8
	v_lshlrev_b64 v[10:11], v8, v[10:11]
	v_sub_u32_e32 v8, 32, v8
	v_min_u32_e32 v10, 1, v10
	v_or_b32_e32 v10, v11, v10
	v_cvt_f32_u32_e32 v10, v10
	v_ldexp_f32 v8, v10, v8
	s_branch .LBB143_1699
.LBB143_1697:
	s_mov_b64 s[6:7], -1
                                        ; implicit-def: $vgpr8
.LBB143_1698:
	s_mov_b64 s[22:23], 0
.LBB143_1699:
	s_and_b64 vcc, exec, s[22:23]
	s_cbranch_vccz .LBB143_1717
; %bb.1700:
	s_cmp_lt_i32 s26, 27
	s_cbranch_scc1 .LBB143_1703
; %bb.1701:
	s_cmp_gt_i32 s26, 27
	s_cbranch_scc0 .LBB143_1704
; %bb.1702:
	global_load_dword v8, v[0:1], off
	s_mov_b64 s[14:15], 0
	s_waitcnt vmcnt(0)
	v_cvt_f32_u32_e32 v8, v8
	s_branch .LBB143_1705
.LBB143_1703:
	s_mov_b64 s[14:15], -1
                                        ; implicit-def: $vgpr8
	s_branch .LBB143_1708
.LBB143_1704:
	s_mov_b64 s[14:15], -1
                                        ; implicit-def: $vgpr8
.LBB143_1705:
	s_andn2_b64 vcc, exec, s[14:15]
	s_cbranch_vccnz .LBB143_1707
; %bb.1706:
	global_load_ushort v8, v[0:1], off
	s_waitcnt vmcnt(0)
	v_cvt_f32_u32_e32 v8, v8
.LBB143_1707:
	s_mov_b64 s[14:15], 0
.LBB143_1708:
	s_andn2_b64 vcc, exec, s[14:15]
	s_cbranch_vccnz .LBB143_1716
; %bb.1709:
	global_load_ubyte v10, v[0:1], off
	s_movk_i32 s11, 0x7f
	s_mov_b64 s[14:15], 0
	s_waitcnt vmcnt(0)
	v_cmp_lt_i16_e32 vcc, s11, v10
	s_and_saveexec_b64 s[22:23], vcc
	s_xor_b64 s[22:23], exec, s[22:23]
	s_cbranch_execz .LBB143_1730
; %bb.1710:
	s_movk_i32 s11, 0x80
	v_cmp_eq_u16_e32 vcc, s11, v10
	s_mov_b64 s[14:15], -1
	s_and_saveexec_b64 s[24:25], vcc
; %bb.1711:
	s_xor_b64 s[14:15], exec, -1
; %bb.1712:
	s_or_b64 exec, exec, s[24:25]
	s_and_b64 s[14:15], s[14:15], exec
	s_or_saveexec_b64 s[22:23], s[22:23]
	v_mov_b32_e32 v8, 0x7f800001
	s_xor_b64 exec, exec, s[22:23]
	s_cbranch_execnz .LBB143_1731
.LBB143_1713:
	s_or_b64 exec, exec, s[22:23]
	s_and_saveexec_b64 s[22:23], s[14:15]
	s_cbranch_execz .LBB143_1715
.LBB143_1714:
	v_lshlrev_b32_e32 v8, 24, v10
	v_and_b32_e32 v10, 0xffff, v10
	v_and_b32_e32 v11, 7, v10
	v_ffbh_u32_e32 v13, v11
	v_min_u32_e32 v13, 32, v13
	v_subrev_u32_e32 v14, 28, v13
	v_bfe_u32 v12, v10, 3, 4
	v_lshlrev_b32_e32 v10, v14, v10
	v_sub_u32_e32 v13, 29, v13
	v_and_b32_e32 v10, 7, v10
	v_cmp_eq_u32_e32 vcc, 0, v12
	v_cndmask_b32_e32 v12, v12, v13, vcc
	v_cndmask_b32_e32 v10, v11, v10, vcc
	v_mov_b32_e32 v11, 0x3b800000
	v_lshlrev_b32_e32 v10, 20, v10
	v_and_b32_e32 v8, 0x80000000, v8
	v_lshl_add_u32 v11, v12, 23, v11
	v_or3_b32 v8, v8, v11, v10
.LBB143_1715:
	s_or_b64 exec, exec, s[22:23]
.LBB143_1716:
	s_mov_b64 s[14:15], -1
.LBB143_1717:
	s_mov_b64 s[22:23], 0
.LBB143_1718:
	s_and_b64 vcc, exec, s[22:23]
	s_cbranch_vccz .LBB143_1751
; %bb.1719:
	s_cmp_gt_i32 s26, 22
	s_cbranch_scc0 .LBB143_1729
; %bb.1720:
	s_cmp_lt_i32 s26, 24
	s_cbranch_scc1 .LBB143_1732
; %bb.1721:
	s_cmp_gt_i32 s26, 24
	s_cbranch_scc0 .LBB143_1733
; %bb.1722:
	global_load_ubyte v10, v[0:1], off
	s_movk_i32 s8, 0x7f
	s_waitcnt vmcnt(0)
	v_cmp_lt_i16_e32 vcc, s8, v10
	s_mov_b64 s[8:9], 0
	s_and_saveexec_b64 s[14:15], vcc
	s_xor_b64 s[14:15], exec, s[14:15]
	s_cbranch_execz .LBB143_1745
; %bb.1723:
	s_movk_i32 s8, 0x80
	v_cmp_eq_u16_e32 vcc, s8, v10
	s_mov_b64 s[8:9], -1
	s_and_saveexec_b64 s[22:23], vcc
; %bb.1724:
	s_xor_b64 s[8:9], exec, -1
; %bb.1725:
	s_or_b64 exec, exec, s[22:23]
	s_and_b64 s[8:9], s[8:9], exec
	s_or_saveexec_b64 s[14:15], s[14:15]
	v_mov_b32_e32 v8, 0x7f800001
	s_xor_b64 exec, exec, s[14:15]
	s_cbranch_execnz .LBB143_1746
.LBB143_1726:
	s_or_b64 exec, exec, s[14:15]
	s_and_saveexec_b64 s[14:15], s[8:9]
	s_cbranch_execz .LBB143_1728
.LBB143_1727:
	v_lshlrev_b32_e32 v8, 24, v10
	v_and_b32_e32 v10, 0xffff, v10
	v_and_b32_e32 v11, 3, v10
	v_ffbh_u32_e32 v13, v11
	v_min_u32_e32 v13, 32, v13
	v_subrev_u32_e32 v14, 29, v13
	v_bfe_u32 v12, v10, 2, 5
	v_lshlrev_b32_e32 v10, v14, v10
	v_sub_u32_e32 v13, 30, v13
	v_and_b32_e32 v10, 3, v10
	v_cmp_eq_u32_e32 vcc, 0, v12
	v_cndmask_b32_e32 v12, v12, v13, vcc
	v_cndmask_b32_e32 v10, v11, v10, vcc
	v_mov_b32_e32 v11, 0x37800000
	v_lshlrev_b32_e32 v10, 21, v10
	v_and_b32_e32 v8, 0x80000000, v8
	v_lshl_add_u32 v11, v12, 23, v11
	v_or3_b32 v8, v8, v11, v10
.LBB143_1728:
	s_or_b64 exec, exec, s[14:15]
	s_mov_b64 s[8:9], 0
	s_branch .LBB143_1734
.LBB143_1729:
	s_mov_b64 s[8:9], -1
                                        ; implicit-def: $vgpr8
	s_branch .LBB143_1740
.LBB143_1730:
	s_or_saveexec_b64 s[22:23], s[22:23]
	v_mov_b32_e32 v8, 0x7f800001
	s_xor_b64 exec, exec, s[22:23]
	s_cbranch_execz .LBB143_1713
.LBB143_1731:
	v_cmp_ne_u16_e32 vcc, 0, v10
	s_andn2_b64 s[14:15], s[14:15], exec
	s_and_b64 s[24:25], vcc, exec
	v_mov_b32_e32 v8, 0
	s_or_b64 s[14:15], s[14:15], s[24:25]
	s_or_b64 exec, exec, s[22:23]
	s_and_saveexec_b64 s[22:23], s[14:15]
	s_cbranch_execnz .LBB143_1714
	s_branch .LBB143_1715
.LBB143_1732:
	s_mov_b64 s[8:9], -1
                                        ; implicit-def: $vgpr8
	s_branch .LBB143_1737
.LBB143_1733:
	s_mov_b64 s[8:9], -1
                                        ; implicit-def: $vgpr8
.LBB143_1734:
	s_and_b64 vcc, exec, s[8:9]
	s_cbranch_vccz .LBB143_1736
; %bb.1735:
	global_load_ubyte v8, v[0:1], off
	s_mov_b32 s8, 0x7f800000
	s_waitcnt vmcnt(0)
	v_lshlrev_b32_e32 v8, 24, v8
	v_and_b32_e32 v10, 0x7f000000, v8
	v_ffbh_u32_e32 v11, v10
	v_min_u32_e32 v11, 32, v11
	v_sub_u32_e64 v11, v11, 4 clamp
	v_lshlrev_b32_e32 v13, v11, v10
	v_lshlrev_b32_e32 v11, 23, v11
	v_lshrrev_b32_e32 v13, 4, v13
	v_add_u32_e32 v12, 0x1000000, v10
	v_sub_u32_e32 v11, v13, v11
	v_ashrrev_i32_e32 v12, 8, v12
	v_add_u32_e32 v11, 0x3c000000, v11
	v_and_or_b32 v11, v12, s8, v11
	v_cmp_ne_u32_e32 vcc, 0, v10
	v_cndmask_b32_e32 v10, 0, v11, vcc
	s_brev_b32 s8, 1
	v_and_or_b32 v8, v8, s8, v10
.LBB143_1736:
	s_mov_b64 s[8:9], 0
.LBB143_1737:
	s_andn2_b64 vcc, exec, s[8:9]
	s_cbranch_vccnz .LBB143_1739
; %bb.1738:
	global_load_ubyte v8, v[0:1], off
	s_movk_i32 s8, 0x7f00
	s_brev_b32 s9, 16
	s_waitcnt vmcnt(0)
	v_lshlrev_b16_e32 v10, 8, v8
	v_lshlrev_b32_e32 v8, 25, v8
	v_lshrrev_b32_e32 v11, 4, v8
	v_and_or_b32 v12, v10, s8, 0.5
	v_or_b32_e32 v11, 0x70000000, v11
	v_add_f32_e32 v12, -0.5, v12
	v_mul_f32_e32 v11, 0x7800000, v11
	v_cmp_gt_u32_e32 vcc, s9, v8
	v_bfe_i32 v10, v10, 0, 16
	v_cndmask_b32_e32 v8, v11, v12, vcc
	s_brev_b32 s8, 1
	v_and_or_b32 v8, v10, s8, v8
.LBB143_1739:
	s_mov_b64 s[8:9], 0
	s_mov_b64 s[14:15], -1
.LBB143_1740:
	s_andn2_b64 vcc, exec, s[8:9]
	s_mov_b64 s[8:9], 0
	s_cbranch_vccnz .LBB143_1751
; %bb.1741:
	s_cmp_gt_i32 s26, 14
	s_cbranch_scc0 .LBB143_1744
; %bb.1742:
	s_cmp_eq_u32 s26, 15
	s_cbranch_scc0 .LBB143_1747
; %bb.1743:
	global_load_ushort v8, v[0:1], off
	s_mov_b64 s[6:7], 0
	s_mov_b64 s[14:15], -1
	s_waitcnt vmcnt(0)
	v_lshlrev_b32_e32 v8, 16, v8
	s_branch .LBB143_1748
.LBB143_1744:
	s_mov_b64 s[22:23], -1
                                        ; implicit-def: $vgpr8
	s_branch .LBB143_1749
.LBB143_1745:
	s_or_saveexec_b64 s[14:15], s[14:15]
	v_mov_b32_e32 v8, 0x7f800001
	s_xor_b64 exec, exec, s[14:15]
	s_cbranch_execz .LBB143_1726
.LBB143_1746:
	v_cmp_ne_u16_e32 vcc, 0, v10
	s_andn2_b64 s[8:9], s[8:9], exec
	s_and_b64 s[22:23], vcc, exec
	v_mov_b32_e32 v8, 0
	s_or_b64 s[8:9], s[8:9], s[22:23]
	s_or_b64 exec, exec, s[14:15]
	s_and_saveexec_b64 s[14:15], s[8:9]
	s_cbranch_execnz .LBB143_1727
	s_branch .LBB143_1728
.LBB143_1747:
	s_mov_b64 s[6:7], -1
                                        ; implicit-def: $vgpr8
.LBB143_1748:
	s_mov_b64 s[22:23], 0
.LBB143_1749:
	s_and_b64 vcc, exec, s[22:23]
	s_cbranch_vccz .LBB143_1751
; %bb.1750:
	s_cmp_lg_u32 s26, 11
	s_mov_b64 s[8:9], -1
	s_cselect_b64 s[6:7], -1, 0
.LBB143_1751:
	s_and_b64 vcc, exec, s[6:7]
	s_cbranch_vccnz .LBB143_2322
; %bb.1752:
	s_andn2_b64 vcc, exec, s[8:9]
	s_cbranch_vccnz .LBB143_1754
.LBB143_1753:
	global_load_ubyte v8, v[0:1], off
	s_mov_b64 s[14:15], -1
	s_waitcnt vmcnt(0)
	v_cmp_ne_u16_e32 vcc, 0, v8
	v_cndmask_b32_e64 v8, 0, 1.0, vcc
.LBB143_1754:
	s_mov_b64 s[6:7], 0
.LBB143_1755:
	s_and_b64 vcc, exec, s[6:7]
	s_cbranch_vccz .LBB143_1804
; %bb.1756:
	s_cmp_lt_i32 s26, 5
	s_cbranch_scc1 .LBB143_1761
; %bb.1757:
	s_cmp_lt_i32 s26, 8
	s_cbranch_scc1 .LBB143_1762
	;; [unrolled: 3-line block ×3, first 2 shown]
; %bb.1759:
	s_cmp_gt_i32 s26, 9
	s_cbranch_scc0 .LBB143_1764
; %bb.1760:
	global_load_dwordx2 v[10:11], v[0:1], off
	s_mov_b64 s[6:7], 0
	s_waitcnt vmcnt(0)
	v_cvt_f32_f64_e32 v8, v[10:11]
	s_branch .LBB143_1765
.LBB143_1761:
	s_mov_b64 s[6:7], -1
                                        ; implicit-def: $vgpr8
	s_branch .LBB143_1783
.LBB143_1762:
	s_mov_b64 s[6:7], -1
                                        ; implicit-def: $vgpr8
	s_branch .LBB143_1771
.LBB143_1763:
	s_mov_b64 s[6:7], -1
                                        ; implicit-def: $vgpr8
	s_branch .LBB143_1768
.LBB143_1764:
	s_mov_b64 s[6:7], -1
                                        ; implicit-def: $vgpr8
.LBB143_1765:
	s_andn2_b64 vcc, exec, s[6:7]
	s_cbranch_vccnz .LBB143_1767
; %bb.1766:
	global_load_dword v8, v[0:1], off
.LBB143_1767:
	s_mov_b64 s[6:7], 0
.LBB143_1768:
	s_andn2_b64 vcc, exec, s[6:7]
	s_cbranch_vccnz .LBB143_1770
; %bb.1769:
	global_load_dword v8, v[0:1], off
	s_waitcnt vmcnt(0)
	v_cvt_f32_f16_e32 v8, v8
.LBB143_1770:
	s_mov_b64 s[6:7], 0
.LBB143_1771:
	s_andn2_b64 vcc, exec, s[6:7]
	s_cbranch_vccnz .LBB143_1782
; %bb.1772:
	s_cmp_lt_i32 s26, 6
	s_cbranch_scc1 .LBB143_1775
; %bb.1773:
	s_cmp_gt_i32 s26, 6
	s_cbranch_scc0 .LBB143_1776
; %bb.1774:
	global_load_dwordx2 v[10:11], v[0:1], off
	s_mov_b64 s[6:7], 0
	s_waitcnt vmcnt(0)
	v_cvt_f32_f64_e32 v8, v[10:11]
	s_branch .LBB143_1777
.LBB143_1775:
	s_mov_b64 s[6:7], -1
                                        ; implicit-def: $vgpr8
	s_branch .LBB143_1780
.LBB143_1776:
	s_mov_b64 s[6:7], -1
                                        ; implicit-def: $vgpr8
.LBB143_1777:
	s_andn2_b64 vcc, exec, s[6:7]
	s_cbranch_vccnz .LBB143_1779
; %bb.1778:
	global_load_dword v8, v[0:1], off
.LBB143_1779:
	s_mov_b64 s[6:7], 0
.LBB143_1780:
	s_andn2_b64 vcc, exec, s[6:7]
	s_cbranch_vccnz .LBB143_1782
; %bb.1781:
	global_load_ushort v8, v[0:1], off
	s_waitcnt vmcnt(0)
	v_cvt_f32_f16_e32 v8, v8
.LBB143_1782:
	s_mov_b64 s[6:7], 0
.LBB143_1783:
	s_andn2_b64 vcc, exec, s[6:7]
	s_cbranch_vccnz .LBB143_1803
; %bb.1784:
	s_cmp_lt_i32 s26, 2
	s_cbranch_scc1 .LBB143_1788
; %bb.1785:
	s_cmp_lt_i32 s26, 3
	s_cbranch_scc1 .LBB143_1789
; %bb.1786:
	s_cmp_gt_i32 s26, 3
	s_cbranch_scc0 .LBB143_1790
; %bb.1787:
	global_load_dwordx2 v[10:11], v[0:1], off
	s_mov_b64 s[6:7], 0
	s_waitcnt vmcnt(0)
	v_xor_b32_e32 v12, v10, v11
	v_ffbh_i32_e32 v8, v11
	v_ashrrev_i32_e32 v12, 31, v12
	v_add_u32_e32 v8, -1, v8
	v_add_u32_e32 v12, 32, v12
	v_min_u32_e32 v8, v8, v12
	v_lshlrev_b64 v[10:11], v8, v[10:11]
	v_sub_u32_e32 v8, 32, v8
	v_min_u32_e32 v10, 1, v10
	v_or_b32_e32 v10, v11, v10
	v_cvt_f32_i32_e32 v10, v10
	v_ldexp_f32 v8, v10, v8
	s_branch .LBB143_1791
.LBB143_1788:
	s_mov_b64 s[6:7], -1
                                        ; implicit-def: $vgpr8
	s_branch .LBB143_1797
.LBB143_1789:
	s_mov_b64 s[6:7], -1
                                        ; implicit-def: $vgpr8
	s_branch .LBB143_1794
.LBB143_1790:
	s_mov_b64 s[6:7], -1
                                        ; implicit-def: $vgpr8
.LBB143_1791:
	s_andn2_b64 vcc, exec, s[6:7]
	s_cbranch_vccnz .LBB143_1793
; %bb.1792:
	global_load_dword v8, v[0:1], off
	s_waitcnt vmcnt(0)
	v_cvt_f32_i32_e32 v8, v8
.LBB143_1793:
	s_mov_b64 s[6:7], 0
.LBB143_1794:
	s_andn2_b64 vcc, exec, s[6:7]
	s_cbranch_vccnz .LBB143_1796
; %bb.1795:
	global_load_sshort v8, v[0:1], off
	s_waitcnt vmcnt(0)
	v_cvt_f32_i32_e32 v8, v8
.LBB143_1796:
	s_mov_b64 s[6:7], 0
.LBB143_1797:
	s_andn2_b64 vcc, exec, s[6:7]
	s_cbranch_vccnz .LBB143_1803
; %bb.1798:
	s_cmp_gt_i32 s26, 0
	s_cbranch_scc0 .LBB143_1800
; %bb.1799:
	global_load_sbyte v8, v[0:1], off
	s_mov_b64 s[6:7], 0
	s_waitcnt vmcnt(0)
	v_cvt_f32_i32_e32 v8, v8
	s_branch .LBB143_1801
.LBB143_1800:
	s_mov_b64 s[6:7], -1
                                        ; implicit-def: $vgpr8
.LBB143_1801:
	s_andn2_b64 vcc, exec, s[6:7]
	s_cbranch_vccnz .LBB143_1803
; %bb.1802:
	global_load_ubyte v0, v[0:1], off
	s_waitcnt vmcnt(0)
	v_cvt_f32_ubyte0_e32 v8, v0
.LBB143_1803:
	s_mov_b64 s[14:15], -1
.LBB143_1804:
	s_andn2_b64 vcc, exec, s[14:15]
	s_cbranch_vccnz .LBB143_2276
; %bb.1805:
	s_mov_b32 s6, 0x3c800000
	s_waitcnt vmcnt(0)
	v_and_b32_e32 v0, 0x7fffffff, v8
	v_cmp_nlt_f32_e64 s[6:7], |v8|, s6
                                        ; implicit-def: $vgpr10
	s_and_saveexec_b64 s[8:9], s[6:7]
	s_xor_b64 s[8:9], exec, s[8:9]
	s_cbranch_execz .LBB143_1835
; %bb.1806:
	v_cmp_nlt_f32_e64 s[6:7], |v8|, 2.0
                                        ; implicit-def: $vgpr10
	s_and_saveexec_b64 s[14:15], s[6:7]
	s_xor_b64 s[14:15], exec, s[14:15]
	s_cbranch_execz .LBB143_1816
; %bb.1807:
	s_mov_b32 s6, 0x41000000
	v_cmp_nlt_f32_e64 s[6:7], |v8|, s6
                                        ; implicit-def: $vgpr10
	s_and_saveexec_b64 s[22:23], s[6:7]
	s_xor_b64 s[22:23], exec, s[22:23]
	s_cbranch_execz .LBB143_1813
; %bb.1808:
	s_mov_b32 s6, 0x5c800000
	v_cmp_nlt_f32_e64 s[6:7], |v8|, s6
                                        ; implicit-def: $vgpr10
	s_and_saveexec_b64 s[24:25], s[6:7]
	s_xor_b64 s[24:25], exec, s[24:25]
	s_cbranch_execz .LBB143_1810
; %bb.1809:
	s_mov_b32 s6, 0x800000
	v_cmp_lt_f32_e64 vcc, |v8|, s6
	v_cndmask_b32_e64 v1, 0, 32, vcc
	v_ldexp_f32 v1, |v8|, v1
	v_log_f32_e32 v1, v1
	s_mov_b32 s6, 0x3f317217
	s_mov_b32 s7, 0x7f800000
	v_mul_f32_e32 v10, 0x3f317217, v1
	v_fma_f32 v11, v1, s6, -v10
	v_fmac_f32_e32 v11, 0x3377d1cf, v1
	v_add_f32_e32 v10, v10, v11
	v_cmp_lt_f32_e64 s[6:7], |v1|, s7
	v_cndmask_b32_e64 v1, v1, v10, s[6:7]
	v_mov_b32_e32 v10, 0x41b17218
	v_cndmask_b32_e32 v10, 0, v10, vcc
	v_sub_f32_e32 v1, v1, v10
	v_fma_f32 v10, |v8|, v1, -|v8|
.LBB143_1810:
	s_andn2_saveexec_b64 s[24:25], s[24:25]
	s_cbranch_execz .LBB143_1812
; %bb.1811:
	v_rcp_f32_e64 v1, |v8|
	v_mov_b32_e32 v10, 0x3a5b3dd2
	v_mov_b32_e32 v11, 0xba1c065c
	;; [unrolled: 1-line block ×3, first 2 shown]
	v_mul_f32_e32 v13, v1, v1
	v_fmac_f32_e32 v10, 0xbad5c4e8, v13
	v_fmac_f32_e32 v11, v13, v10
	s_mov_b32 s6, 0x800000
	v_fmac_f32_e32 v12, v13, v11
	v_mov_b32_e32 v10, 0xbb360b61
	v_cmp_lt_f32_e64 vcc, |v8|, s6
	v_fmac_f32_e32 v10, v13, v12
	v_cndmask_b32_e64 v12, 0, 32, vcc
	v_ldexp_f32 v12, |v8|, v12
	v_log_f32_e32 v12, v12
	v_mov_b32_e32 v11, 0x3daaaaab
	v_fmac_f32_e32 v11, v13, v10
	v_mov_b32_e32 v10, 0x3ed67f1d
	v_fmac_f32_e32 v10, v1, v11
	s_mov_b32 s6, 0x3f317217
	v_mul_f32_e32 v11, 0x3f317217, v12
	v_fma_f32 v13, v12, s6, -v11
	v_fmac_f32_e32 v13, 0x3377d1cf, v12
	s_mov_b32 s6, 0x7f800000
	v_add_f32_e32 v11, v11, v13
	v_cmp_lt_f32_e64 s[6:7], |v12|, s6
	v_cndmask_b32_e64 v11, v12, v11, s[6:7]
	v_mov_b32_e32 v12, 0x41b17218
	v_cndmask_b32_e32 v12, 0, v12, vcc
	v_sub_f32_e32 v11, v11, v12
	v_add_f32_e64 v1, |v8|, -0.5
	v_add_f32_e32 v11, -1.0, v11
	v_fmac_f32_e32 v10, v1, v11
.LBB143_1812:
	s_or_b64 exec, exec, s[24:25]
.LBB143_1813:
	s_andn2_saveexec_b64 s[22:23], s[22:23]
	s_cbranch_execz .LBB143_1815
; %bb.1814:
	v_cvt_i32_f32_e32 v1, v0
	v_mov_b32_e32 v10, 0x3af135b4
	v_mov_b32_e32 v11, 0x3cda40e4
	;; [unrolled: 1-line block ×3, first 2 shown]
	v_cvt_f32_i32_e32 v13, v1
	v_mov_b32_e32 v14, 0x3ea6cc7a
	v_mov_b32_e32 v15, 0x3e5c245a
	v_cmp_lt_i32_e32 vcc, 2, v1
	v_sub_f32_e64 v13, |v8|, v13
	v_fmac_f32_e32 v10, 0x3805ff67, v13
	v_fmac_f32_e32 v11, v13, v10
	;; [unrolled: 1-line block ×3, first 2 shown]
	v_mov_b32_e32 v11, 0x3a4beed6
	v_fmac_f32_e32 v14, v13, v12
	v_fmac_f32_e32 v11, 0x36f5d7bd, v13
	v_mov_b32_e32 v12, 0x3c98bf54
	v_fmac_f32_e32 v12, v13, v11
	v_mov_b32_e32 v11, 0x3e300f6e
	;; [unrolled: 2-line block ×4, first 2 shown]
	v_fmac_f32_e32 v11, v13, v12
	v_add_f32_e32 v12, 2.0, v13
	v_mov_b32_e32 v16, 0xbd9e233f
	v_fmac_f32_e32 v15, v13, v14
	v_add_f32_e32 v14, 0x40400000, v13
	v_cndmask_b32_e32 v12, 1.0, v12, vcc
	v_cmp_lt_i32_e32 vcc, 3, v1
	v_fmac_f32_e32 v16, v13, v15
	v_add_f32_e32 v15, 4.0, v13
	v_cndmask_b32_e32 v14, 1.0, v14, vcc
	v_cmp_lt_i32_e32 vcc, 4, v1
	v_mul_f32_e32 v10, v13, v16
	v_add_f32_e32 v16, 0x40a00000, v13
	v_mul_f32_e32 v12, v12, v14
	v_cndmask_b32_e32 v14, 1.0, v15, vcc
	v_cmp_lt_i32_e32 vcc, 5, v1
	v_add_f32_e32 v17, 0x40c00000, v13
	v_mul_f32_e32 v12, v14, v12
	v_cndmask_b32_e32 v14, 1.0, v16, vcc
	v_cmp_lt_i32_e32 vcc, 6, v1
	v_mul_f32_e32 v12, v14, v12
	v_cndmask_b32_e32 v1, 1.0, v17, vcc
	v_mul_f32_e32 v1, v1, v12
	s_mov_b32 s6, 0x800000
	v_cmp_gt_f32_e32 vcc, s6, v1
	v_cndmask_b32_e64 v12, 0, 32, vcc
	v_fma_f32 v11, v13, v11, 1.0
	v_ldexp_f32 v1, v1, v12
	v_rcp_f32_e32 v11, v11
	v_log_f32_e32 v1, v1
	s_mov_b32 s6, 0x3f317217
	v_mul_f32_e32 v10, v10, v11
	v_mul_f32_e32 v11, 0x3f317217, v1
	v_fma_f32 v12, v1, s6, -v11
	v_fmac_f32_e32 v12, 0x3377d1cf, v1
	s_mov_b32 s6, 0x7f800000
	v_add_f32_e32 v11, v11, v12
	v_cmp_lt_f32_e64 s[6:7], |v1|, s6
	v_cndmask_b32_e64 v1, v1, v11, s[6:7]
	v_mov_b32_e32 v11, 0x41b17218
	v_cndmask_b32_e32 v11, 0, v11, vcc
	v_fmac_f32_e32 v10, 0.5, v13
	v_sub_f32_e32 v1, v1, v11
	v_add_f32_e32 v10, v1, v10
.LBB143_1815:
	s_or_b64 exec, exec, s[22:23]
.LBB143_1816:
	s_andn2_saveexec_b64 s[14:15], s[14:15]
	s_cbranch_execz .LBB143_1834
; %bb.1817:
	s_mov_b32 s6, 0x3f666666
	v_cmp_le_f32_e64 s[6:7], |v8|, s6
                                        ; implicit-def: $vgpr10
                                        ; implicit-def: $vgpr11
                                        ; implicit-def: $vgpr1
	s_and_saveexec_b64 s[22:23], s[6:7]
	s_xor_b64 s[22:23], exec, s[22:23]
	s_cbranch_execz .LBB143_1819
; %bb.1818:
	s_mov_b32 s6, 0x800000
	v_cmp_lt_f32_e64 vcc, |v8|, s6
	v_cndmask_b32_e64 v1, 0, 32, vcc
	v_ldexp_f32 v1, |v8|, v1
	v_log_f32_e32 v1, v1
	s_mov_b32 s6, 0x3f317217
	s_mov_b32 s7, 0x7f800000
	v_mul_f32_e32 v10, 0x3f317217, v1
	v_fma_f32 v11, v1, s6, -v10
	v_fmac_f32_e32 v11, 0x3377d1cf, v1
	v_add_f32_e32 v10, v10, v11
	v_cmp_lt_f32_e64 s[6:7], |v1|, s7
	v_cndmask_b32_e64 v1, v1, v10, s[6:7]
	v_mov_b32_e32 v10, 0x41b17218
	v_cndmask_b32_e32 v10, 0, v10, vcc
	v_sub_f32_e32 v1, v1, v10
	s_mov_b32 s6, 0x3f3b4a23
	s_mov_b32 s7, 0xbeec5b0c
	v_xor_b32_e32 v10, 0x80000000, v1
	v_sub_f32_e64 v1, 1.0, |v8|
	v_add_f32_e64 v11, |v8|, s7
	v_cmp_lt_f32_e64 vcc, |v8|, s6
	s_mov_b32 s6, 0x3e6d3309
	v_cndmask_b32_e32 v1, v1, v11, vcc
	v_cndmask_b32_e64 v11, 0, 1, vcc
	v_cmp_lt_f32_e64 s[6:7], |v8|, s6
	v_cndmask_b32_e64 v1, v1, |v8|, s[6:7]
	v_cndmask_b32_e64 v11, v11, 2, s[6:7]
.LBB143_1819:
	s_andn2_saveexec_b64 s[6:7], s[22:23]
	s_cbranch_execz .LBB143_1821
; %bb.1820:
	s_mov_b32 s11, 0x3fdda512
	s_mov_b32 s22, 0xbfbb16c3
	v_sub_f32_e64 v1, 2.0, |v8|
	v_add_f32_e64 v10, |v8|, s22
	v_cmp_lt_f32_e64 vcc, |v8|, s11
	v_cndmask_b32_e32 v10, v1, v10, vcc
	v_cndmask_b32_e64 v1, v1, 1.0, vcc
	v_cvt_i32_f32_e32 v11, v1
	s_mov_b32 s11, 0x3f9d70a4
	v_add_f32_e64 v1, |v8|, -1.0
	v_cmp_lt_f32_e64 vcc, |v8|, s11
	v_cndmask_b32_e32 v1, v10, v1, vcc
	v_cndmask_b32_e64 v11, v11, 2, vcc
	v_mov_b32_e32 v10, 0
.LBB143_1821:
	s_or_b64 exec, exec, s[6:7]
	v_cmp_lt_i32_e32 vcc, 0, v11
	s_and_saveexec_b64 s[6:7], vcc
	s_xor_b64 s[6:7], exec, s[6:7]
	s_cbranch_execz .LBB143_1829
; %bb.1822:
	v_cmp_lt_i32_e32 vcc, 1, v11
	s_and_saveexec_b64 s[22:23], vcc
	s_xor_b64 s[22:23], exec, s[22:23]
	s_cbranch_execz .LBB143_1826
; %bb.1823:
	v_cmp_eq_u32_e32 vcc, 2, v11
	s_and_saveexec_b64 s[24:25], vcc
	s_cbranch_execz .LBB143_1825
; %bb.1824:
	v_mov_b32_e32 v11, 0x3e6a7578
	v_fmac_f32_e32 v11, 0x3c5b3c5e, v1
	v_mov_b32_e32 v12, 0x3f7a4bb2
	v_fmac_f32_e32 v12, v1, v11
	;; [unrolled: 2-line block ×8, first 2 shown]
	v_fma_f32 v11, v1, v13, 1.0
	v_rcp_f32_e32 v11, v11
	v_mov_b32_e32 v13, 0xbd9e233f
	v_fmac_f32_e32 v13, v1, v12
	v_mul_f32_e32 v12, v1, v13
	v_mul_f32_e32 v11, v12, v11
	v_fmac_f32_e32 v11, -0.5, v1
	v_add_f32_e32 v10, v10, v11
.LBB143_1825:
	s_or_b64 exec, exec, s[24:25]
                                        ; implicit-def: $vgpr1
.LBB143_1826:
	s_andn2_saveexec_b64 s[22:23], s[22:23]
	s_cbranch_execz .LBB143_1828
; %bb.1827:
	v_mul_f32_e32 v11, v1, v1
	v_mul_f32_e32 v12, v1, v11
	v_mov_b32_e32 v13, 0xbab7f476
	v_fmac_f32_e32 v13, 0x39a57b6b, v12
	v_mov_b32_e32 v14, 0x3bc7e707
	v_fmac_f32_e32 v14, v12, v13
	;; [unrolled: 2-line block ×12, first 2 shown]
	v_fmac_f32_e32 v15, v1, v16
	s_mov_b32 s11, 0xa2863e55
	v_fma_f32 v1, v12, -v15, s11
	v_fma_f32 v1, v11, v14, -v1
	v_add_f32_e32 v1, 0xbdf8cdce, v1
	v_add_f32_e32 v10, v10, v1
.LBB143_1828:
	s_or_b64 exec, exec, s[22:23]
                                        ; implicit-def: $vgpr11
                                        ; implicit-def: $vgpr1
.LBB143_1829:
	s_andn2_saveexec_b64 s[6:7], s[6:7]
	s_cbranch_execz .LBB143_1833
; %bb.1830:
	v_cmp_eq_u32_e32 vcc, 0, v11
	s_and_saveexec_b64 s[22:23], vcc
	s_cbranch_execz .LBB143_1832
; %bb.1831:
	v_mul_f32_e32 v11, v1, v1
	v_mov_b32_e32 v12, 0x39679767
	v_fmac_f32_e32 v12, 0x37d383a2, v11
	v_mov_b32_e32 v13, 0x3a9c54a1
	v_fmac_f32_e32 v13, v11, v12
	;; [unrolled: 2-line block ×10, first 2 shown]
	v_mul_f32_e32 v11, v11, v13
	v_fmac_f32_e32 v11, v1, v12
	v_fmac_f32_e32 v11, -0.5, v1
	v_add_f32_e32 v10, v10, v11
.LBB143_1832:
	s_or_b64 exec, exec, s[22:23]
.LBB143_1833:
	s_or_b64 exec, exec, s[6:7]
.LBB143_1834:
	s_or_b64 exec, exec, s[14:15]
.LBB143_1835:
	s_andn2_saveexec_b64 s[8:9], s[8:9]
	s_cbranch_execz .LBB143_1837
; %bb.1836:
	s_mov_b32 s6, 0x3e8a8991
	v_mov_b32_e32 v1, 0xbecd26ab
	v_fma_f32 v1, |v8|, s6, v1
	s_mov_b32 s6, 0x3f528d33
	v_fma_f32 v1, |v8|, v1, s6
	s_mov_b32 s6, 0x800000
	v_cmp_lt_f32_e64 vcc, |v8|, s6
	v_cndmask_b32_e64 v10, 0, 32, vcc
	v_ldexp_f32 v10, |v8|, v10
	v_log_f32_e32 v10, v10
	s_mov_b32 s6, 0xbf13c468
	v_fma_f32 v1, |v8|, v1, s6
	s_mov_b32 s6, 0x3f317217
	v_mul_f32_e32 v11, 0x3f317217, v10
	v_fma_f32 v12, v10, s6, -v11
	v_fmac_f32_e32 v12, 0x3377d1cf, v10
	s_mov_b32 s6, 0x7f800000
	v_add_f32_e32 v11, v11, v12
	v_cmp_lt_f32_e64 s[6:7], |v10|, s6
	v_cndmask_b32_e64 v10, v10, v11, s[6:7]
	v_mov_b32_e32 v11, 0x41b17218
	v_cndmask_b32_e32 v11, 0, v11, vcc
	v_sub_f32_e32 v10, v10, v11
	v_fma_f32 v10, |v8|, v1, -v10
.LBB143_1837:
	s_or_b64 exec, exec, s[8:9]
	v_cmp_le_f32_e64 s[6:7], 0, v8
	v_cmp_nle_f32_e32 vcc, 0, v8
	s_and_saveexec_b64 s[8:9], vcc
	s_xor_b64 s[14:15], exec, s[8:9]
	s_cbranch_execz .LBB143_1841
; %bb.1838:
	s_mov_b32 s8, 0x4b000000
	s_mov_b32 s11, 0x35000000
	v_cmp_lt_f32_e64 s[8:9], |v8|, s8
	v_cmp_gt_f32_e64 s[22:23], |v8|, s11
	s_and_b64 s[8:9], s[8:9], s[22:23]
	s_and_saveexec_b64 s[22:23], s[8:9]
	s_cbranch_execz .LBB143_1840
; %bb.1839:
	v_mul_f32_e64 v1, |v8|, 0.5
	v_floor_f32_e32 v11, v1
	v_sub_f32_e32 v11, v1, v11
	v_min_f32_e32 v11, 0x3f7fffff, v11
	s_mov_b32 s11, 0x7f800000
	v_add_f32_e32 v11, v11, v11
	v_cmp_neq_f32_e32 vcc, s11, v1
	v_cndmask_b32_e32 v1, 0, v11, vcc
	v_cmp_gt_f32_e64 s[8:9], |v8|, 1.0
	v_cndmask_b32_e64 v1, |v8|, v1, s[8:9]
	v_add_f32_e32 v11, v1, v1
	v_rndne_f32_e32 v11, v11
	v_fmac_f32_e32 v1, -0.5, v11
	v_mul_f32_e32 v12, v1, v1
	v_mov_b32_e32 v13, 0xbf1f24be
	v_fmac_f32_e32 v13, 0x3e75aa41, v12
	v_mov_b32_e32 v14, 0x40234736
	v_fmac_f32_e32 v14, v12, v13
	;; [unrolled: 2-line block ×3, first 2 shown]
	v_mul_f32_e32 v14, v1, v12
	v_mul_f32_e32 v13, v14, v13
	v_fmac_f32_e32 v13, 0x40490fdb, v1
	v_mov_b32_e32 v1, 0x3e642e9d
	v_cvt_i32_f32_e32 v11, v11
	v_fmac_f32_e32 v1, 0x3d4be544, v12
	v_mov_b32_e32 v14, 0xbfaad1da
	v_fmac_f32_e32 v14, v12, v1
	v_mov_b32_e32 v1, 0x4081e0d3
	;; [unrolled: 2-line block ×3, first 2 shown]
	v_fmac_f32_e32 v14, v12, v1
	v_fma_f32 v1, v12, v14, 1.0
	v_and_b32_e32 v12, 1, v11
	v_lshlrev_b32_e32 v11, 30, v11
	v_cmp_eq_u32_e32 vcc, 0, v12
	v_and_b32_e32 v11, 0x80000000, v11
	v_xor_b32_e32 v0, v0, v8
	v_cndmask_b32_e32 v1, v1, v13, vcc
	v_xor_b32_e32 v0, v0, v11
	v_xor_b32_e32 v0, v0, v1
	v_mul_f32_e32 v0, v8, v0
	v_frexp_mant_f32_e64 v1, |v0|
	v_rcp_f32_e32 v1, v1
	v_frexp_exp_i32_f32_e32 v0, v0
	v_sub_u32_e32 v0, 2, v0
	s_mov_b32 s8, 0x800000
	v_mul_f32_e32 v1, 0x3f490fdb, v1
	v_ldexp_f32 v0, v1, v0
	v_cmp_gt_f32_e32 vcc, s8, v0
	v_cndmask_b32_e64 v1, 0, 32, vcc
	v_ldexp_f32 v0, v0, v1
	v_log_f32_e32 v0, v0
	s_mov_b32 s8, 0x3f317217
	v_mul_f32_e32 v1, 0x3f317217, v0
	v_fma_f32 v11, v0, s8, -v1
	v_fmac_f32_e32 v11, 0x3377d1cf, v0
	v_add_f32_e32 v1, v1, v11
	v_cmp_lt_f32_e64 s[8:9], |v0|, s11
	v_cndmask_b32_e64 v0, v0, v1, s[8:9]
	v_mov_b32_e32 v1, 0x41b17218
	v_cndmask_b32_e32 v1, 0, v1, vcc
	v_sub_f32_e32 v0, v0, v1
	v_floor_f32_e32 v1, v8
	v_sub_f32_e32 v1, v8, v1
	v_min_f32_e32 v1, 0x3f7fffff, v1
	v_sub_f32_e32 v0, v0, v10
	v_mov_b32_e32 v10, 0x7f800000
	v_cmp_neq_f32_e32 vcc, 0, v1
	v_cndmask_b32_e32 v10, v10, v0, vcc
.LBB143_1840:
	s_or_b64 exec, exec, s[22:23]
.LBB143_1841:
	s_andn2_saveexec_b64 s[14:15], s[14:15]
; %bb.1842:
	v_cmp_eq_f32_e32 vcc, 1.0, v8
	v_cmp_eq_f32_e64 s[8:9], 2.0, v8
	s_or_b64 s[8:9], vcc, s[8:9]
	v_cndmask_b32_e64 v10, v10, 0, s[8:9]
; %bb.1843:
	s_or_b64 exec, exec, s[14:15]
	s_mov_b32 s8, 0x4b000000
	v_cmp_lt_f32_e64 s[8:9], |v2|, s8
	v_mul_lo_u32 v4, s10, v4
	v_mov_b32_e32 v0, 0x264
	v_mov_b32_e32 v1, 0x7f800000
	s_or_b64 vcc, s[0:1], s[8:9]
	v_cndmask_b32_e32 v3, v1, v3, vcc
	v_cmp_class_f32_e32 vcc, v2, v0
	v_cndmask_b32_e32 v0, v3, v1, vcc
	v_cmp_u_f32_e32 vcc, v2, v2
	v_cndmask_b32_e32 v2, v0, v2, vcc
	v_ashrrev_i32_e32 v1, 31, v4
	v_mov_b32_e32 v3, s13
	s_and_b32 s26, s33, 0xff
	v_add_co_u32_e32 v0, vcc, s12, v4
	s_cmp_lt_i32 s26, 11
	v_addc_co_u32_e32 v1, vcc, v3, v1, vcc
	s_cbranch_scc1 .LBB143_1921
; %bb.1844:
	s_and_b32 s11, 0xffff, s26
	s_mov_b64 s[22:23], -1
	s_mov_b64 s[8:9], 0
	s_cmp_gt_i32 s11, 25
	s_mov_b64 s[14:15], 0
	s_mov_b64 s[0:1], 0
	s_cbranch_scc0 .LBB143_1877
; %bb.1845:
	s_cmp_gt_i32 s11, 28
	s_cbranch_scc0 .LBB143_1860
; %bb.1846:
	s_cmp_gt_i32 s11, 43
	s_cbranch_scc0 .LBB143_1856
; %bb.1847:
	s_cmp_gt_i32 s11, 45
	s_cbranch_scc0 .LBB143_1850
; %bb.1848:
	s_mov_b64 s[0:1], -1
	s_mov_b64 s[22:23], 0
	s_cmp_eq_u32 s11, 46
	s_cbranch_scc0 .LBB143_1850
; %bb.1849:
	v_bfe_u32 v3, v2, 16, 1
	s_movk_i32 s0, 0x7fff
	v_add3_u32 v3, v2, v3, s0
	v_cmp_o_f32_e32 vcc, v2, v2
	v_mov_b32_e32 v11, 0x7fc0
	v_cndmask_b32_sdwa v3, v11, v3, vcc dst_sel:DWORD dst_unused:UNUSED_PAD src0_sel:DWORD src1_sel:WORD_1
	global_store_dword v[0:1], v3, off
	s_mov_b64 s[0:1], 0
	s_mov_b64 s[14:15], -1
.LBB143_1850:
	s_and_b64 vcc, exec, s[22:23]
	s_cbranch_vccz .LBB143_1855
; %bb.1851:
	s_cmp_eq_u32 s11, 44
	s_mov_b64 s[0:1], -1
	s_cbranch_scc0 .LBB143_1855
; %bb.1852:
	v_bfe_u32 v3, v2, 23, 8
	s_movk_i32 s0, 0xff
	v_cmp_ne_u32_e32 vcc, s0, v3
	v_mov_b32_e32 v11, 0xff
	s_and_saveexec_b64 s[14:15], vcc
; %bb.1853:
	s_mov_b32 s0, 0x3fffff
	v_and_b32_e32 v12, 0x400000, v2
	v_and_or_b32 v3, v2, s0, v3
	v_cmp_ne_u32_e32 vcc, 0, v12
	v_cmp_ne_u32_e64 s[0:1], 0, v3
	s_and_b64 s[0:1], vcc, s[0:1]
	v_lshrrev_b32_e32 v11, 23, v2
	v_cndmask_b32_e64 v3, 0, 1, s[0:1]
	v_add_u32_e32 v11, v11, v3
; %bb.1854:
	s_or_b64 exec, exec, s[14:15]
	s_mov_b64 s[0:1], 0
	s_mov_b64 s[14:15], -1
	global_store_byte v[0:1], v11, off
.LBB143_1855:
	s_mov_b64 s[22:23], 0
.LBB143_1856:
	s_and_b64 vcc, exec, s[22:23]
	s_cbranch_vccz .LBB143_1859
; %bb.1857:
	s_cmp_eq_u32 s11, 29
	s_mov_b64 s[0:1], -1
	s_cbranch_scc0 .LBB143_1859
; %bb.1858:
	v_trunc_f32_e32 v3, v2
	v_mul_f32_e32 v11, 0x2f800000, v3
	v_floor_f32_e32 v11, v11
	v_fmac_f32_e32 v3, 0xcf800000, v11
	v_cvt_u32_f32_e32 v12, v11
	v_cvt_u32_f32_e32 v11, v3
	s_mov_b64 s[0:1], 0
	s_mov_b64 s[14:15], -1
	global_store_dwordx2 v[0:1], v[11:12], off
.LBB143_1859:
	s_mov_b64 s[22:23], 0
.LBB143_1860:
	s_and_b64 vcc, exec, s[22:23]
	s_cbranch_vccz .LBB143_1876
; %bb.1861:
	s_cmp_lt_i32 s11, 27
	s_mov_b64 s[14:15], -1
	s_cbranch_scc1 .LBB143_1867
; %bb.1862:
	v_cvt_u32_f32_e32 v3, v2
	s_cmp_gt_i32 s11, 27
	s_cbranch_scc0 .LBB143_1864
; %bb.1863:
	s_mov_b64 s[14:15], 0
	global_store_dword v[0:1], v3, off
.LBB143_1864:
	s_andn2_b64 vcc, exec, s[14:15]
	s_cbranch_vccnz .LBB143_1866
; %bb.1865:
	global_store_short v[0:1], v3, off
.LBB143_1866:
	s_mov_b64 s[14:15], 0
.LBB143_1867:
	s_andn2_b64 vcc, exec, s[14:15]
	s_cbranch_vccnz .LBB143_1875
; %bb.1868:
	v_and_b32_e32 v3, 0x7fffffff, v2
	s_mov_b32 s14, 0x43800000
	v_cmp_gt_u32_e32 vcc, s14, v3
	v_mov_b32_e32 v11, 0x80
	s_and_saveexec_b64 s[14:15], vcc
	s_cbranch_execz .LBB143_1874
; %bb.1869:
	s_mov_b32 s22, 0x3bffffff
	v_cmp_lt_u32_e32 vcc, s22, v3
	s_mov_b64 s[22:23], 0
                                        ; implicit-def: $vgpr3
	s_and_saveexec_b64 s[24:25], vcc
	s_xor_b64 s[24:25], exec, s[24:25]
	s_cbranch_execz .LBB143_2323
; %bb.1870:
	v_bfe_u32 v3, v2, 20, 1
	s_mov_b32 s27, 0x487ffff
	v_add3_u32 v3, v2, v3, s27
	s_mov_b64 s[22:23], exec
	v_lshrrev_b32_e32 v3, 20, v3
	s_andn2_saveexec_b64 s[24:25], s[24:25]
	s_cbranch_execnz .LBB143_2324
.LBB143_1871:
	s_or_b64 exec, exec, s[24:25]
	v_mov_b32_e32 v11, 0
	s_and_saveexec_b64 s[24:25], s[22:23]
.LBB143_1872:
	v_lshrrev_b32_e32 v11, 24, v2
	s_movk_i32 s22, 0x80
	v_and_or_b32 v11, v11, s22, v3
.LBB143_1873:
	s_or_b64 exec, exec, s[24:25]
.LBB143_1874:
	s_or_b64 exec, exec, s[14:15]
	global_store_byte v[0:1], v11, off
.LBB143_1875:
	s_mov_b64 s[14:15], -1
.LBB143_1876:
	s_mov_b64 s[22:23], 0
.LBB143_1877:
	s_and_b64 vcc, exec, s[22:23]
	s_cbranch_vccz .LBB143_1917
; %bb.1878:
	s_cmp_gt_i32 s11, 22
	s_mov_b64 s[8:9], -1
	s_cbranch_scc0 .LBB143_1910
; %bb.1879:
	s_cmp_lt_i32 s11, 24
	s_cbranch_scc1 .LBB143_1899
; %bb.1880:
	s_cmp_gt_i32 s11, 24
	s_cbranch_scc0 .LBB143_1888
; %bb.1881:
	v_and_b32_e32 v3, 0x7fffffff, v2
	s_mov_b32 s8, 0x47800000
	v_cmp_gt_u32_e32 vcc, s8, v3
	v_mov_b32_e32 v11, 0x80
	s_and_saveexec_b64 s[8:9], vcc
	s_cbranch_execz .LBB143_1887
; %bb.1882:
	s_mov_b32 s14, 0x37ffffff
	v_cmp_lt_u32_e32 vcc, s14, v3
	s_mov_b64 s[14:15], 0
                                        ; implicit-def: $vgpr3
	s_and_saveexec_b64 s[22:23], vcc
	s_xor_b64 s[22:23], exec, s[22:23]
	s_cbranch_execz .LBB143_2326
; %bb.1883:
	v_bfe_u32 v3, v2, 21, 1
	s_mov_b32 s24, 0x88fffff
	v_add3_u32 v3, v2, v3, s24
	s_mov_b64 s[14:15], exec
	v_lshrrev_b32_e32 v3, 21, v3
	s_andn2_saveexec_b64 s[22:23], s[22:23]
	s_cbranch_execnz .LBB143_2327
.LBB143_1884:
	s_or_b64 exec, exec, s[22:23]
	v_mov_b32_e32 v11, 0
	s_and_saveexec_b64 s[22:23], s[14:15]
.LBB143_1885:
	v_lshrrev_b32_e32 v11, 24, v2
	s_movk_i32 s14, 0x80
	v_and_or_b32 v11, v11, s14, v3
.LBB143_1886:
	s_or_b64 exec, exec, s[22:23]
.LBB143_1887:
	s_or_b64 exec, exec, s[8:9]
	s_mov_b64 s[8:9], 0
	global_store_byte v[0:1], v11, off
.LBB143_1888:
	s_and_b64 vcc, exec, s[8:9]
	s_cbranch_vccz .LBB143_1898
; %bb.1889:
	v_and_b32_e32 v11, 0x7fffffff, v2
	s_mov_b32 s8, 0x43f00000
	v_cmp_gt_u32_e32 vcc, s8, v11
                                        ; implicit-def: $vgpr3
	s_and_saveexec_b64 s[8:9], vcc
	s_xor_b64 s[8:9], exec, s[8:9]
	s_cbranch_execz .LBB143_1895
; %bb.1890:
	s_mov_b32 s14, 0x3c7fffff
	v_cmp_lt_u32_e32 vcc, s14, v11
                                        ; implicit-def: $vgpr3
	s_and_saveexec_b64 s[14:15], vcc
	s_xor_b64 s[14:15], exec, s[14:15]
; %bb.1891:
	v_bfe_u32 v3, v2, 20, 1
	s_mov_b32 s22, 0x407ffff
	v_add3_u32 v3, v2, v3, s22
	v_lshrrev_b32_e32 v11, 20, v3
	v_and_b32_e32 v3, 0xff00000, v3
	s_mov_b32 s22, 0x7f00000
	v_mov_b32_e32 v12, 0x7e
	v_cmp_ne_u32_e32 vcc, s22, v3
	v_cndmask_b32_e32 v3, v12, v11, vcc
; %bb.1892:
	s_andn2_saveexec_b64 s[14:15], s[14:15]
; %bb.1893:
	s_mov_b32 s22, 0x46800000
	v_add_f32_e64 v3, |v2|, s22
; %bb.1894:
	s_or_b64 exec, exec, s[14:15]
                                        ; implicit-def: $vgpr11
.LBB143_1895:
	s_andn2_saveexec_b64 s[8:9], s[8:9]
; %bb.1896:
	s_mov_b32 s14, 0x7f800000
	v_mov_b32_e32 v3, 0x7e
	v_mov_b32_e32 v12, 0x7f
	v_cmp_lt_u32_e32 vcc, s14, v11
	v_cndmask_b32_e32 v3, v3, v12, vcc
; %bb.1897:
	s_or_b64 exec, exec, s[8:9]
	v_lshrrev_b32_e32 v11, 24, v2
	s_movk_i32 s8, 0x80
	v_and_or_b32 v3, v11, s8, v3
	global_store_byte v[0:1], v3, off
.LBB143_1898:
	s_mov_b64 s[8:9], 0
.LBB143_1899:
	s_andn2_b64 vcc, exec, s[8:9]
	s_cbranch_vccnz .LBB143_1909
; %bb.1900:
	v_and_b32_e32 v11, 0x7fffffff, v2
	s_mov_b32 s8, 0x47800000
	v_cmp_gt_u32_e32 vcc, s8, v11
                                        ; implicit-def: $vgpr3
	s_and_saveexec_b64 s[8:9], vcc
	s_xor_b64 s[8:9], exec, s[8:9]
	s_cbranch_execz .LBB143_1906
; %bb.1901:
	s_mov_b32 s14, 0x387fffff
	v_cmp_lt_u32_e32 vcc, s14, v11
                                        ; implicit-def: $vgpr3
	s_and_saveexec_b64 s[14:15], vcc
	s_xor_b64 s[14:15], exec, s[14:15]
; %bb.1902:
	v_bfe_u32 v3, v2, 21, 1
	s_mov_b32 s22, 0x80fffff
	v_add3_u32 v3, v2, v3, s22
	v_lshrrev_b32_e32 v3, 21, v3
; %bb.1903:
	s_andn2_saveexec_b64 s[14:15], s[14:15]
; %bb.1904:
	s_mov_b32 s22, 0x43000000
	v_add_f32_e64 v3, |v2|, s22
; %bb.1905:
	s_or_b64 exec, exec, s[14:15]
                                        ; implicit-def: $vgpr11
.LBB143_1906:
	s_andn2_saveexec_b64 s[8:9], s[8:9]
; %bb.1907:
	s_mov_b32 s14, 0x7f800000
	v_mov_b32_e32 v3, 0x7c
	v_mov_b32_e32 v12, 0x7f
	v_cmp_lt_u32_e32 vcc, s14, v11
	v_cndmask_b32_e32 v3, v3, v12, vcc
; %bb.1908:
	s_or_b64 exec, exec, s[8:9]
	v_lshrrev_b32_e32 v11, 24, v2
	s_movk_i32 s8, 0x80
	v_and_or_b32 v3, v11, s8, v3
	global_store_byte v[0:1], v3, off
.LBB143_1909:
	s_mov_b64 s[8:9], 0
	s_mov_b64 s[14:15], -1
.LBB143_1910:
	s_andn2_b64 vcc, exec, s[8:9]
	s_mov_b64 s[8:9], 0
	s_cbranch_vccnz .LBB143_1917
; %bb.1911:
	s_cmp_gt_i32 s11, 14
	s_mov_b64 s[22:23], -1
	s_cbranch_scc0 .LBB143_1915
; %bb.1912:
	s_cmp_eq_u32 s11, 15
	s_mov_b64 s[0:1], -1
	s_cbranch_scc0 .LBB143_1914
; %bb.1913:
	v_bfe_u32 v3, v2, 16, 1
	s_movk_i32 s0, 0x7fff
	v_add3_u32 v3, v2, v3, s0
	v_cmp_o_f32_e32 vcc, v2, v2
	v_mov_b32_e32 v11, 0x7fc0
	v_cndmask_b32_sdwa v3, v11, v3, vcc dst_sel:DWORD dst_unused:UNUSED_PAD src0_sel:DWORD src1_sel:WORD_1
	global_store_short v[0:1], v3, off
	s_mov_b64 s[0:1], 0
	s_mov_b64 s[14:15], -1
.LBB143_1914:
	s_mov_b64 s[22:23], 0
.LBB143_1915:
	s_and_b64 vcc, exec, s[22:23]
	s_cbranch_vccz .LBB143_1917
; %bb.1916:
	s_cmp_lg_u32 s11, 11
	s_mov_b64 s[8:9], -1
	s_cselect_b64 s[0:1], -1, 0
.LBB143_1917:
	s_and_b64 vcc, exec, s[0:1]
	s_cbranch_vccnz .LBB143_2325
; %bb.1918:
	s_andn2_b64 vcc, exec, s[8:9]
	s_cbranch_vccnz .LBB143_1920
.LBB143_1919:
	v_cmp_neq_f32_e32 vcc, 0, v2
	v_cndmask_b32_e64 v3, 0, 1, vcc
	s_mov_b64 s[14:15], -1
	global_store_byte v[0:1], v3, off
.LBB143_1920:
	s_mov_b64 s[0:1], 0
	s_branch .LBB143_1922
.LBB143_1921:
	s_mov_b64 s[0:1], -1
	s_mov_b64 s[14:15], 0
.LBB143_1922:
	s_and_b64 vcc, exec, s[0:1]
	s_cbranch_vccz .LBB143_1961
; %bb.1923:
	s_and_b32 s8, 0xffff, s26
	s_cmp_lt_i32 s8, 5
	s_mov_b64 s[0:1], -1
	s_cbranch_scc1 .LBB143_1944
; %bb.1924:
	s_cmp_lt_i32 s8, 8
	s_cbranch_scc1 .LBB143_1934
; %bb.1925:
	s_cmp_lt_i32 s8, 9
	s_cbranch_scc1 .LBB143_1931
; %bb.1926:
	s_cmp_gt_i32 s8, 9
	s_cbranch_scc0 .LBB143_1928
; %bb.1927:
	v_cvt_f64_f32_e32 v[11:12], v2
	v_mov_b32_e32 v13, 0
	v_mov_b32_e32 v14, v13
	s_mov_b64 s[0:1], 0
	global_store_dwordx4 v[0:1], v[11:14], off
.LBB143_1928:
	s_andn2_b64 vcc, exec, s[0:1]
	s_cbranch_vccnz .LBB143_1930
; %bb.1929:
	v_mov_b32_e32 v3, 0
	global_store_dwordx2 v[0:1], v[2:3], off
.LBB143_1930:
	s_mov_b64 s[0:1], 0
.LBB143_1931:
	s_andn2_b64 vcc, exec, s[0:1]
	s_cbranch_vccnz .LBB143_1933
; %bb.1932:
	v_cvt_f16_f32_e32 v3, v2
	global_store_dword v[0:1], v3, off
.LBB143_1933:
	s_mov_b64 s[0:1], 0
.LBB143_1934:
	s_andn2_b64 vcc, exec, s[0:1]
	s_cbranch_vccnz .LBB143_1943
; %bb.1935:
	s_cmp_lt_i32 s8, 6
	s_mov_b64 s[0:1], -1
	s_cbranch_scc1 .LBB143_1941
; %bb.1936:
	s_cmp_gt_i32 s8, 6
	s_cbranch_scc0 .LBB143_1938
; %bb.1937:
	v_cvt_f64_f32_e32 v[11:12], v2
	s_mov_b64 s[0:1], 0
	global_store_dwordx2 v[0:1], v[11:12], off
.LBB143_1938:
	s_andn2_b64 vcc, exec, s[0:1]
	s_cbranch_vccnz .LBB143_1940
; %bb.1939:
	global_store_dword v[0:1], v2, off
.LBB143_1940:
	s_mov_b64 s[0:1], 0
.LBB143_1941:
	s_andn2_b64 vcc, exec, s[0:1]
	s_cbranch_vccnz .LBB143_1943
; %bb.1942:
	v_cvt_f16_f32_e32 v3, v2
	global_store_short v[0:1], v3, off
.LBB143_1943:
	s_mov_b64 s[0:1], 0
.LBB143_1944:
	s_andn2_b64 vcc, exec, s[0:1]
	s_cbranch_vccnz .LBB143_1960
; %bb.1945:
	s_cmp_lt_i32 s8, 2
	s_mov_b64 s[0:1], -1
	s_cbranch_scc1 .LBB143_1955
; %bb.1946:
	s_cmp_lt_i32 s8, 3
	s_cbranch_scc1 .LBB143_1952
; %bb.1947:
	s_cmp_gt_i32 s8, 3
	s_cbranch_scc0 .LBB143_1949
; %bb.1948:
	v_trunc_f32_e32 v3, v2
	s_mov_b32 s0, 0x2f800000
	v_mul_f32_e64 v11, |v3|, s0
	v_floor_f32_e32 v11, v11
	s_mov_b32 s0, 0xcf800000
	v_cvt_u32_f32_e32 v12, v11
	v_fma_f32 v11, v11, s0, |v3|
	v_cvt_u32_f32_e32 v11, v11
	v_ashrrev_i32_e32 v3, 31, v3
	v_xor_b32_e32 v12, v12, v3
	s_mov_b64 s[0:1], 0
	v_xor_b32_e32 v11, v11, v3
	v_sub_co_u32_e32 v11, vcc, v11, v3
	v_subb_co_u32_e32 v12, vcc, v12, v3, vcc
	global_store_dwordx2 v[0:1], v[11:12], off
.LBB143_1949:
	s_andn2_b64 vcc, exec, s[0:1]
	s_cbranch_vccnz .LBB143_1951
; %bb.1950:
	v_cvt_i32_f32_e32 v3, v2
	global_store_dword v[0:1], v3, off
.LBB143_1951:
	s_mov_b64 s[0:1], 0
.LBB143_1952:
	s_andn2_b64 vcc, exec, s[0:1]
	s_cbranch_vccnz .LBB143_1954
; %bb.1953:
	v_cvt_i32_f32_e32 v3, v2
	global_store_short v[0:1], v3, off
.LBB143_1954:
	s_mov_b64 s[0:1], 0
.LBB143_1955:
	s_andn2_b64 vcc, exec, s[0:1]
	s_cbranch_vccnz .LBB143_1960
; %bb.1956:
	s_cmp_gt_i32 s8, 0
	s_mov_b64 s[0:1], -1
	s_cbranch_scc0 .LBB143_1958
; %bb.1957:
	v_cvt_i32_f32_e32 v3, v2
	s_mov_b64 s[0:1], 0
	global_store_byte v[0:1], v3, off
.LBB143_1958:
	s_andn2_b64 vcc, exec, s[0:1]
	s_cbranch_vccnz .LBB143_1960
; %bb.1959:
	v_trunc_f32_e32 v2, v2
	s_mov_b32 s0, 0x2f800000
	v_mul_f32_e64 v3, |v2|, s0
	v_floor_f32_e32 v3, v3
	s_mov_b32 s0, 0xcf800000
	v_fma_f32 v3, v3, s0, |v2|
	v_cvt_u32_f32_e32 v3, v3
	v_ashrrev_i32_e32 v2, 31, v2
	v_xor_b32_e32 v3, v3, v2
	v_sub_u32_e32 v2, v3, v2
	global_store_byte v[0:1], v2, off
.LBB143_1960:
	s_mov_b64 s[14:15], -1
.LBB143_1961:
	s_andn2_b64 vcc, exec, s[14:15]
	s_cbranch_vccnz .LBB143_2276
; %bb.1962:
	s_mov_b32 s0, 0x4b000000
	v_cmp_lt_f32_e64 s[0:1], |v5|, s0
	v_mov_b32_e32 v0, 0x264
	v_mov_b32_e32 v1, 0x7f800000
	s_or_b64 vcc, s[2:3], s[0:1]
	v_cndmask_b32_e32 v2, v1, v7, vcc
	v_cmp_class_f32_e32 vcc, v5, v0
	s_lshl_b32 s22, s10, 7
	v_cndmask_b32_e32 v0, v2, v1, vcc
	v_cmp_u_f32_e32 vcc, v5, v5
	v_add_u32_e32 v4, s22, v4
	v_cndmask_b32_e32 v2, v0, v5, vcc
	v_ashrrev_i32_e32 v1, 31, v4
	v_mov_b32_e32 v3, s13
	v_add_co_u32_e32 v0, vcc, s12, v4
	s_cmp_lt_i32 s26, 11
	v_addc_co_u32_e32 v1, vcc, v3, v1, vcc
	s_cbranch_scc1 .LBB143_2040
; %bb.1963:
	s_and_b32 s23, 0xffff, s26
	s_mov_b64 s[10:11], -1
	s_mov_b64 s[2:3], 0
	s_cmp_gt_i32 s23, 25
	s_mov_b64 s[8:9], 0
	s_mov_b64 s[0:1], 0
	s_cbranch_scc0 .LBB143_1996
; %bb.1964:
	s_cmp_gt_i32 s23, 28
	s_cbranch_scc0 .LBB143_1979
; %bb.1965:
	s_cmp_gt_i32 s23, 43
	;; [unrolled: 3-line block ×3, first 2 shown]
	s_cbranch_scc0 .LBB143_1969
; %bb.1967:
	s_mov_b64 s[0:1], -1
	s_mov_b64 s[10:11], 0
	s_cmp_eq_u32 s23, 46
	s_cbranch_scc0 .LBB143_1969
; %bb.1968:
	v_bfe_u32 v3, v2, 16, 1
	s_movk_i32 s0, 0x7fff
	v_add3_u32 v3, v2, v3, s0
	v_cmp_o_f32_e32 vcc, v2, v2
	v_mov_b32_e32 v5, 0x7fc0
	v_cndmask_b32_sdwa v3, v5, v3, vcc dst_sel:DWORD dst_unused:UNUSED_PAD src0_sel:DWORD src1_sel:WORD_1
	global_store_dword v[0:1], v3, off
	s_mov_b64 s[0:1], 0
	s_mov_b64 s[8:9], -1
.LBB143_1969:
	s_and_b64 vcc, exec, s[10:11]
	s_cbranch_vccz .LBB143_1974
; %bb.1970:
	s_cmp_eq_u32 s23, 44
	s_mov_b64 s[0:1], -1
	s_cbranch_scc0 .LBB143_1974
; %bb.1971:
	v_bfe_u32 v3, v2, 23, 8
	s_movk_i32 s0, 0xff
	v_cmp_ne_u32_e32 vcc, s0, v3
	v_mov_b32_e32 v5, 0xff
	s_and_saveexec_b64 s[8:9], vcc
; %bb.1972:
	s_mov_b32 s0, 0x3fffff
	v_and_b32_e32 v7, 0x400000, v2
	v_and_or_b32 v3, v2, s0, v3
	v_cmp_ne_u32_e32 vcc, 0, v7
	v_cmp_ne_u32_e64 s[0:1], 0, v3
	s_and_b64 s[0:1], vcc, s[0:1]
	v_lshrrev_b32_e32 v5, 23, v2
	v_cndmask_b32_e64 v3, 0, 1, s[0:1]
	v_add_u32_e32 v5, v5, v3
; %bb.1973:
	s_or_b64 exec, exec, s[8:9]
	s_mov_b64 s[0:1], 0
	s_mov_b64 s[8:9], -1
	global_store_byte v[0:1], v5, off
.LBB143_1974:
	s_mov_b64 s[10:11], 0
.LBB143_1975:
	s_and_b64 vcc, exec, s[10:11]
	s_cbranch_vccz .LBB143_1978
; %bb.1976:
	s_cmp_eq_u32 s23, 29
	s_mov_b64 s[0:1], -1
	s_cbranch_scc0 .LBB143_1978
; %bb.1977:
	v_trunc_f32_e32 v3, v2
	v_mul_f32_e32 v5, 0x2f800000, v3
	v_floor_f32_e32 v5, v5
	v_fmac_f32_e32 v3, 0xcf800000, v5
	v_cvt_u32_f32_e32 v12, v5
	v_cvt_u32_f32_e32 v11, v3
	s_mov_b64 s[0:1], 0
	s_mov_b64 s[8:9], -1
	global_store_dwordx2 v[0:1], v[11:12], off
.LBB143_1978:
	s_mov_b64 s[10:11], 0
.LBB143_1979:
	s_and_b64 vcc, exec, s[10:11]
	s_cbranch_vccz .LBB143_1995
; %bb.1980:
	s_cmp_lt_i32 s23, 27
	s_mov_b64 s[8:9], -1
	s_cbranch_scc1 .LBB143_1986
; %bb.1981:
	v_cvt_u32_f32_e32 v3, v2
	s_cmp_gt_i32 s23, 27
	s_cbranch_scc0 .LBB143_1983
; %bb.1982:
	s_mov_b64 s[8:9], 0
	global_store_dword v[0:1], v3, off
.LBB143_1983:
	s_andn2_b64 vcc, exec, s[8:9]
	s_cbranch_vccnz .LBB143_1985
; %bb.1984:
	global_store_short v[0:1], v3, off
.LBB143_1985:
	s_mov_b64 s[8:9], 0
.LBB143_1986:
	s_andn2_b64 vcc, exec, s[8:9]
	s_cbranch_vccnz .LBB143_1994
; %bb.1987:
	v_and_b32_e32 v3, 0x7fffffff, v2
	s_mov_b32 s8, 0x43800000
	v_cmp_gt_u32_e32 vcc, s8, v3
	v_mov_b32_e32 v5, 0x80
	s_and_saveexec_b64 s[8:9], vcc
	s_cbranch_execz .LBB143_1993
; %bb.1988:
	s_mov_b32 s10, 0x3bffffff
	v_cmp_lt_u32_e32 vcc, s10, v3
	s_mov_b64 s[10:11], 0
                                        ; implicit-def: $vgpr3
	s_and_saveexec_b64 s[14:15], vcc
	s_xor_b64 s[14:15], exec, s[14:15]
	s_cbranch_execz .LBB143_2328
; %bb.1989:
	v_bfe_u32 v3, v2, 20, 1
	s_mov_b32 s24, 0x487ffff
	v_add3_u32 v3, v2, v3, s24
	s_mov_b64 s[10:11], exec
	v_lshrrev_b32_e32 v3, 20, v3
	s_andn2_saveexec_b64 s[14:15], s[14:15]
	s_cbranch_execnz .LBB143_2329
.LBB143_1990:
	s_or_b64 exec, exec, s[14:15]
	v_mov_b32_e32 v5, 0
	s_and_saveexec_b64 s[14:15], s[10:11]
.LBB143_1991:
	v_lshrrev_b32_e32 v5, 24, v2
	s_movk_i32 s10, 0x80
	v_and_or_b32 v5, v5, s10, v3
.LBB143_1992:
	s_or_b64 exec, exec, s[14:15]
.LBB143_1993:
	s_or_b64 exec, exec, s[8:9]
	global_store_byte v[0:1], v5, off
.LBB143_1994:
	s_mov_b64 s[8:9], -1
.LBB143_1995:
	s_mov_b64 s[10:11], 0
.LBB143_1996:
	s_and_b64 vcc, exec, s[10:11]
	s_cbranch_vccz .LBB143_2036
; %bb.1997:
	s_cmp_gt_i32 s23, 22
	s_mov_b64 s[2:3], -1
	s_cbranch_scc0 .LBB143_2029
; %bb.1998:
	s_cmp_lt_i32 s23, 24
	s_cbranch_scc1 .LBB143_2018
; %bb.1999:
	s_cmp_gt_i32 s23, 24
	s_cbranch_scc0 .LBB143_2007
; %bb.2000:
	v_and_b32_e32 v3, 0x7fffffff, v2
	s_mov_b32 s2, 0x47800000
	v_cmp_gt_u32_e32 vcc, s2, v3
	v_mov_b32_e32 v5, 0x80
	s_and_saveexec_b64 s[2:3], vcc
	s_cbranch_execz .LBB143_2006
; %bb.2001:
	s_mov_b32 s8, 0x37ffffff
	v_cmp_lt_u32_e32 vcc, s8, v3
	s_mov_b64 s[8:9], 0
                                        ; implicit-def: $vgpr3
	s_and_saveexec_b64 s[10:11], vcc
	s_xor_b64 s[10:11], exec, s[10:11]
	s_cbranch_execz .LBB143_2331
; %bb.2002:
	v_bfe_u32 v3, v2, 21, 1
	s_mov_b32 s14, 0x88fffff
	v_add3_u32 v3, v2, v3, s14
	s_mov_b64 s[8:9], exec
	v_lshrrev_b32_e32 v3, 21, v3
	s_andn2_saveexec_b64 s[10:11], s[10:11]
	s_cbranch_execnz .LBB143_2332
.LBB143_2003:
	s_or_b64 exec, exec, s[10:11]
	v_mov_b32_e32 v5, 0
	s_and_saveexec_b64 s[10:11], s[8:9]
.LBB143_2004:
	v_lshrrev_b32_e32 v5, 24, v2
	s_movk_i32 s8, 0x80
	v_and_or_b32 v5, v5, s8, v3
.LBB143_2005:
	s_or_b64 exec, exec, s[10:11]
.LBB143_2006:
	s_or_b64 exec, exec, s[2:3]
	s_mov_b64 s[2:3], 0
	global_store_byte v[0:1], v5, off
.LBB143_2007:
	s_and_b64 vcc, exec, s[2:3]
	s_cbranch_vccz .LBB143_2017
; %bb.2008:
	v_and_b32_e32 v5, 0x7fffffff, v2
	s_mov_b32 s2, 0x43f00000
	v_cmp_gt_u32_e32 vcc, s2, v5
                                        ; implicit-def: $vgpr3
	s_and_saveexec_b64 s[2:3], vcc
	s_xor_b64 s[2:3], exec, s[2:3]
	s_cbranch_execz .LBB143_2014
; %bb.2009:
	s_mov_b32 s8, 0x3c7fffff
	v_cmp_lt_u32_e32 vcc, s8, v5
                                        ; implicit-def: $vgpr3
	s_and_saveexec_b64 s[8:9], vcc
	s_xor_b64 s[8:9], exec, s[8:9]
; %bb.2010:
	v_bfe_u32 v3, v2, 20, 1
	s_mov_b32 s10, 0x407ffff
	v_add3_u32 v3, v2, v3, s10
	v_lshrrev_b32_e32 v5, 20, v3
	v_and_b32_e32 v3, 0xff00000, v3
	s_mov_b32 s10, 0x7f00000
	v_mov_b32_e32 v7, 0x7e
	v_cmp_ne_u32_e32 vcc, s10, v3
	v_cndmask_b32_e32 v3, v7, v5, vcc
; %bb.2011:
	s_andn2_saveexec_b64 s[8:9], s[8:9]
; %bb.2012:
	s_mov_b32 s10, 0x46800000
	v_add_f32_e64 v3, |v2|, s10
; %bb.2013:
	s_or_b64 exec, exec, s[8:9]
                                        ; implicit-def: $vgpr5
.LBB143_2014:
	s_andn2_saveexec_b64 s[2:3], s[2:3]
; %bb.2015:
	s_mov_b32 s8, 0x7f800000
	v_mov_b32_e32 v3, 0x7e
	v_mov_b32_e32 v7, 0x7f
	v_cmp_lt_u32_e32 vcc, s8, v5
	v_cndmask_b32_e32 v3, v3, v7, vcc
; %bb.2016:
	s_or_b64 exec, exec, s[2:3]
	v_lshrrev_b32_e32 v5, 24, v2
	s_movk_i32 s2, 0x80
	v_and_or_b32 v3, v5, s2, v3
	global_store_byte v[0:1], v3, off
.LBB143_2017:
	s_mov_b64 s[2:3], 0
.LBB143_2018:
	s_andn2_b64 vcc, exec, s[2:3]
	s_cbranch_vccnz .LBB143_2028
; %bb.2019:
	v_and_b32_e32 v5, 0x7fffffff, v2
	s_mov_b32 s2, 0x47800000
	v_cmp_gt_u32_e32 vcc, s2, v5
                                        ; implicit-def: $vgpr3
	s_and_saveexec_b64 s[2:3], vcc
	s_xor_b64 s[2:3], exec, s[2:3]
	s_cbranch_execz .LBB143_2025
; %bb.2020:
	s_mov_b32 s8, 0x387fffff
	v_cmp_lt_u32_e32 vcc, s8, v5
                                        ; implicit-def: $vgpr3
	s_and_saveexec_b64 s[8:9], vcc
	s_xor_b64 s[8:9], exec, s[8:9]
; %bb.2021:
	v_bfe_u32 v3, v2, 21, 1
	s_mov_b32 s10, 0x80fffff
	v_add3_u32 v3, v2, v3, s10
	v_lshrrev_b32_e32 v3, 21, v3
; %bb.2022:
	s_andn2_saveexec_b64 s[8:9], s[8:9]
; %bb.2023:
	s_mov_b32 s10, 0x43000000
	v_add_f32_e64 v3, |v2|, s10
; %bb.2024:
	s_or_b64 exec, exec, s[8:9]
                                        ; implicit-def: $vgpr5
.LBB143_2025:
	s_andn2_saveexec_b64 s[2:3], s[2:3]
; %bb.2026:
	s_mov_b32 s8, 0x7f800000
	v_mov_b32_e32 v3, 0x7c
	v_mov_b32_e32 v7, 0x7f
	v_cmp_lt_u32_e32 vcc, s8, v5
	v_cndmask_b32_e32 v3, v3, v7, vcc
; %bb.2027:
	s_or_b64 exec, exec, s[2:3]
	v_lshrrev_b32_e32 v5, 24, v2
	s_movk_i32 s2, 0x80
	v_and_or_b32 v3, v5, s2, v3
	global_store_byte v[0:1], v3, off
.LBB143_2028:
	s_mov_b64 s[2:3], 0
	s_mov_b64 s[8:9], -1
.LBB143_2029:
	s_andn2_b64 vcc, exec, s[2:3]
	s_mov_b64 s[2:3], 0
	s_cbranch_vccnz .LBB143_2036
; %bb.2030:
	s_cmp_gt_i32 s23, 14
	s_mov_b64 s[10:11], -1
	s_cbranch_scc0 .LBB143_2034
; %bb.2031:
	s_cmp_eq_u32 s23, 15
	s_mov_b64 s[0:1], -1
	s_cbranch_scc0 .LBB143_2033
; %bb.2032:
	v_bfe_u32 v3, v2, 16, 1
	s_movk_i32 s0, 0x7fff
	v_add3_u32 v3, v2, v3, s0
	v_cmp_o_f32_e32 vcc, v2, v2
	v_mov_b32_e32 v5, 0x7fc0
	v_cndmask_b32_sdwa v3, v5, v3, vcc dst_sel:DWORD dst_unused:UNUSED_PAD src0_sel:DWORD src1_sel:WORD_1
	global_store_short v[0:1], v3, off
	s_mov_b64 s[0:1], 0
	s_mov_b64 s[8:9], -1
.LBB143_2033:
	s_mov_b64 s[10:11], 0
.LBB143_2034:
	s_and_b64 vcc, exec, s[10:11]
	s_cbranch_vccz .LBB143_2036
; %bb.2035:
	s_cmp_lg_u32 s23, 11
	s_mov_b64 s[2:3], -1
	s_cselect_b64 s[0:1], -1, 0
.LBB143_2036:
	s_and_b64 vcc, exec, s[0:1]
	s_cbranch_vccnz .LBB143_2330
; %bb.2037:
	s_andn2_b64 vcc, exec, s[2:3]
	s_cbranch_vccnz .LBB143_2039
.LBB143_2038:
	v_cmp_neq_f32_e32 vcc, 0, v2
	v_cndmask_b32_e64 v3, 0, 1, vcc
	s_mov_b64 s[8:9], -1
	global_store_byte v[0:1], v3, off
.LBB143_2039:
	s_mov_b64 s[0:1], 0
	s_branch .LBB143_2041
.LBB143_2040:
	s_mov_b64 s[0:1], -1
	s_mov_b64 s[8:9], 0
.LBB143_2041:
	s_and_b64 vcc, exec, s[0:1]
	s_cbranch_vccz .LBB143_2080
; %bb.2042:
	s_and_b32 s2, 0xffff, s26
	s_cmp_lt_i32 s2, 5
	s_mov_b64 s[0:1], -1
	s_cbranch_scc1 .LBB143_2063
; %bb.2043:
	s_cmp_lt_i32 s2, 8
	s_cbranch_scc1 .LBB143_2053
; %bb.2044:
	s_cmp_lt_i32 s2, 9
	s_cbranch_scc1 .LBB143_2050
; %bb.2045:
	s_cmp_gt_i32 s2, 9
	s_cbranch_scc0 .LBB143_2047
; %bb.2046:
	v_cvt_f64_f32_e32 v[11:12], v2
	v_mov_b32_e32 v13, 0
	v_mov_b32_e32 v14, v13
	s_mov_b64 s[0:1], 0
	global_store_dwordx4 v[0:1], v[11:14], off
.LBB143_2047:
	s_andn2_b64 vcc, exec, s[0:1]
	s_cbranch_vccnz .LBB143_2049
; %bb.2048:
	v_mov_b32_e32 v3, 0
	global_store_dwordx2 v[0:1], v[2:3], off
.LBB143_2049:
	s_mov_b64 s[0:1], 0
.LBB143_2050:
	s_andn2_b64 vcc, exec, s[0:1]
	s_cbranch_vccnz .LBB143_2052
; %bb.2051:
	v_cvt_f16_f32_e32 v3, v2
	global_store_dword v[0:1], v3, off
.LBB143_2052:
	s_mov_b64 s[0:1], 0
.LBB143_2053:
	s_andn2_b64 vcc, exec, s[0:1]
	s_cbranch_vccnz .LBB143_2062
; %bb.2054:
	s_cmp_lt_i32 s2, 6
	s_mov_b64 s[0:1], -1
	s_cbranch_scc1 .LBB143_2060
; %bb.2055:
	s_cmp_gt_i32 s2, 6
	s_cbranch_scc0 .LBB143_2057
; %bb.2056:
	v_cvt_f64_f32_e32 v[11:12], v2
	s_mov_b64 s[0:1], 0
	global_store_dwordx2 v[0:1], v[11:12], off
.LBB143_2057:
	s_andn2_b64 vcc, exec, s[0:1]
	s_cbranch_vccnz .LBB143_2059
; %bb.2058:
	global_store_dword v[0:1], v2, off
.LBB143_2059:
	s_mov_b64 s[0:1], 0
.LBB143_2060:
	s_andn2_b64 vcc, exec, s[0:1]
	s_cbranch_vccnz .LBB143_2062
; %bb.2061:
	v_cvt_f16_f32_e32 v3, v2
	global_store_short v[0:1], v3, off
.LBB143_2062:
	s_mov_b64 s[0:1], 0
.LBB143_2063:
	s_andn2_b64 vcc, exec, s[0:1]
	s_cbranch_vccnz .LBB143_2079
; %bb.2064:
	s_cmp_lt_i32 s2, 2
	s_mov_b64 s[0:1], -1
	s_cbranch_scc1 .LBB143_2074
; %bb.2065:
	s_cmp_lt_i32 s2, 3
	s_cbranch_scc1 .LBB143_2071
; %bb.2066:
	s_cmp_gt_i32 s2, 3
	s_cbranch_scc0 .LBB143_2068
; %bb.2067:
	v_trunc_f32_e32 v3, v2
	s_mov_b32 s0, 0x2f800000
	v_mul_f32_e64 v5, |v3|, s0
	v_floor_f32_e32 v5, v5
	s_mov_b32 s0, 0xcf800000
	v_cvt_u32_f32_e32 v7, v5
	v_fma_f32 v5, v5, s0, |v3|
	v_cvt_u32_f32_e32 v5, v5
	v_ashrrev_i32_e32 v3, 31, v3
	v_xor_b32_e32 v7, v7, v3
	s_mov_b64 s[0:1], 0
	v_xor_b32_e32 v5, v5, v3
	v_sub_co_u32_e32 v11, vcc, v5, v3
	v_subb_co_u32_e32 v12, vcc, v7, v3, vcc
	global_store_dwordx2 v[0:1], v[11:12], off
.LBB143_2068:
	s_andn2_b64 vcc, exec, s[0:1]
	s_cbranch_vccnz .LBB143_2070
; %bb.2069:
	v_cvt_i32_f32_e32 v3, v2
	global_store_dword v[0:1], v3, off
.LBB143_2070:
	s_mov_b64 s[0:1], 0
.LBB143_2071:
	s_andn2_b64 vcc, exec, s[0:1]
	s_cbranch_vccnz .LBB143_2073
; %bb.2072:
	v_cvt_i32_f32_e32 v3, v2
	global_store_short v[0:1], v3, off
.LBB143_2073:
	s_mov_b64 s[0:1], 0
.LBB143_2074:
	s_andn2_b64 vcc, exec, s[0:1]
	s_cbranch_vccnz .LBB143_2079
; %bb.2075:
	s_cmp_gt_i32 s2, 0
	s_mov_b64 s[0:1], -1
	s_cbranch_scc0 .LBB143_2077
; %bb.2076:
	v_cvt_i32_f32_e32 v3, v2
	s_mov_b64 s[0:1], 0
	global_store_byte v[0:1], v3, off
.LBB143_2077:
	s_andn2_b64 vcc, exec, s[0:1]
	s_cbranch_vccnz .LBB143_2079
; %bb.2078:
	v_trunc_f32_e32 v2, v2
	s_mov_b32 s0, 0x2f800000
	v_mul_f32_e64 v3, |v2|, s0
	v_floor_f32_e32 v3, v3
	s_mov_b32 s0, 0xcf800000
	v_fma_f32 v3, v3, s0, |v2|
	v_cvt_u32_f32_e32 v3, v3
	v_ashrrev_i32_e32 v2, 31, v2
	v_xor_b32_e32 v3, v3, v2
	v_sub_u32_e32 v2, v3, v2
	global_store_byte v[0:1], v2, off
.LBB143_2079:
	s_mov_b64 s[8:9], -1
.LBB143_2080:
	s_andn2_b64 vcc, exec, s[8:9]
	s_cbranch_vccnz .LBB143_2276
; %bb.2081:
	s_mov_b32 s0, 0x4b000000
	v_cmp_lt_f32_e64 s[0:1], |v6|, s0
	v_mov_b32_e32 v0, 0x264
	v_mov_b32_e32 v1, 0x7f800000
	s_or_b64 vcc, s[4:5], s[0:1]
	v_cndmask_b32_e32 v2, v1, v9, vcc
	v_cmp_class_f32_e32 vcc, v6, v0
	v_cndmask_b32_e32 v0, v2, v1, vcc
	v_cmp_u_f32_e32 vcc, v6, v6
	v_add_u32_e32 v4, s22, v4
	v_cndmask_b32_e32 v2, v0, v6, vcc
	v_ashrrev_i32_e32 v1, 31, v4
	v_mov_b32_e32 v3, s13
	v_add_co_u32_e32 v0, vcc, s12, v4
	s_cmp_lt_i32 s26, 11
	v_addc_co_u32_e32 v1, vcc, v3, v1, vcc
	s_cbranch_scc1 .LBB143_2159
; %bb.2082:
	s_and_b32 s14, 0xffff, s26
	s_mov_b64 s[8:9], -1
	s_mov_b64 s[2:3], 0
	s_cmp_gt_i32 s14, 25
	s_mov_b64 s[4:5], 0
	s_mov_b64 s[0:1], 0
	s_cbranch_scc0 .LBB143_2115
; %bb.2083:
	s_cmp_gt_i32 s14, 28
	s_cbranch_scc0 .LBB143_2098
; %bb.2084:
	s_cmp_gt_i32 s14, 43
	s_cbranch_scc0 .LBB143_2094
; %bb.2085:
	s_cmp_gt_i32 s14, 45
	s_cbranch_scc0 .LBB143_2088
; %bb.2086:
	s_mov_b64 s[0:1], -1
	s_mov_b64 s[8:9], 0
	s_cmp_eq_u32 s14, 46
	s_cbranch_scc0 .LBB143_2088
; %bb.2087:
	v_bfe_u32 v3, v2, 16, 1
	s_movk_i32 s0, 0x7fff
	v_add3_u32 v3, v2, v3, s0
	v_cmp_o_f32_e32 vcc, v2, v2
	v_mov_b32_e32 v5, 0x7fc0
	v_cndmask_b32_sdwa v3, v5, v3, vcc dst_sel:DWORD dst_unused:UNUSED_PAD src0_sel:DWORD src1_sel:WORD_1
	global_store_dword v[0:1], v3, off
	s_mov_b64 s[0:1], 0
	s_mov_b64 s[4:5], -1
.LBB143_2088:
	s_and_b64 vcc, exec, s[8:9]
	s_cbranch_vccz .LBB143_2093
; %bb.2089:
	s_cmp_eq_u32 s14, 44
	s_mov_b64 s[0:1], -1
	s_cbranch_scc0 .LBB143_2093
; %bb.2090:
	v_bfe_u32 v3, v2, 23, 8
	s_movk_i32 s0, 0xff
	v_cmp_ne_u32_e32 vcc, s0, v3
	v_mov_b32_e32 v5, 0xff
	s_and_saveexec_b64 s[4:5], vcc
; %bb.2091:
	s_mov_b32 s0, 0x3fffff
	v_and_b32_e32 v6, 0x400000, v2
	v_and_or_b32 v3, v2, s0, v3
	v_cmp_ne_u32_e32 vcc, 0, v6
	v_cmp_ne_u32_e64 s[0:1], 0, v3
	s_and_b64 s[0:1], vcc, s[0:1]
	v_lshrrev_b32_e32 v5, 23, v2
	v_cndmask_b32_e64 v3, 0, 1, s[0:1]
	v_add_u32_e32 v5, v5, v3
; %bb.2092:
	s_or_b64 exec, exec, s[4:5]
	s_mov_b64 s[0:1], 0
	s_mov_b64 s[4:5], -1
	global_store_byte v[0:1], v5, off
.LBB143_2093:
	s_mov_b64 s[8:9], 0
.LBB143_2094:
	s_and_b64 vcc, exec, s[8:9]
	s_cbranch_vccz .LBB143_2097
; %bb.2095:
	s_cmp_eq_u32 s14, 29
	s_mov_b64 s[0:1], -1
	s_cbranch_scc0 .LBB143_2097
; %bb.2096:
	v_trunc_f32_e32 v3, v2
	v_mul_f32_e32 v5, 0x2f800000, v3
	v_floor_f32_e32 v5, v5
	v_fmac_f32_e32 v3, 0xcf800000, v5
	v_cvt_u32_f32_e32 v6, v5
	v_cvt_u32_f32_e32 v5, v3
	s_mov_b64 s[0:1], 0
	s_mov_b64 s[4:5], -1
	global_store_dwordx2 v[0:1], v[5:6], off
.LBB143_2097:
	s_mov_b64 s[8:9], 0
.LBB143_2098:
	s_and_b64 vcc, exec, s[8:9]
	s_cbranch_vccz .LBB143_2114
; %bb.2099:
	s_cmp_lt_i32 s14, 27
	s_mov_b64 s[4:5], -1
	s_cbranch_scc1 .LBB143_2105
; %bb.2100:
	v_cvt_u32_f32_e32 v3, v2
	s_cmp_gt_i32 s14, 27
	s_cbranch_scc0 .LBB143_2102
; %bb.2101:
	s_mov_b64 s[4:5], 0
	global_store_dword v[0:1], v3, off
.LBB143_2102:
	s_andn2_b64 vcc, exec, s[4:5]
	s_cbranch_vccnz .LBB143_2104
; %bb.2103:
	global_store_short v[0:1], v3, off
.LBB143_2104:
	s_mov_b64 s[4:5], 0
.LBB143_2105:
	s_andn2_b64 vcc, exec, s[4:5]
	s_cbranch_vccnz .LBB143_2113
; %bb.2106:
	v_and_b32_e32 v3, 0x7fffffff, v2
	s_mov_b32 s4, 0x43800000
	v_cmp_gt_u32_e32 vcc, s4, v3
	v_mov_b32_e32 v5, 0x80
	s_and_saveexec_b64 s[4:5], vcc
	s_cbranch_execz .LBB143_2112
; %bb.2107:
	s_mov_b32 s8, 0x3bffffff
	v_cmp_lt_u32_e32 vcc, s8, v3
	s_mov_b64 s[8:9], 0
                                        ; implicit-def: $vgpr3
	s_and_saveexec_b64 s[10:11], vcc
	s_xor_b64 s[10:11], exec, s[10:11]
	s_cbranch_execz .LBB143_2333
; %bb.2108:
	v_bfe_u32 v3, v2, 20, 1
	s_mov_b32 s15, 0x487ffff
	v_add3_u32 v3, v2, v3, s15
	s_mov_b64 s[8:9], exec
	v_lshrrev_b32_e32 v3, 20, v3
	s_andn2_saveexec_b64 s[10:11], s[10:11]
	s_cbranch_execnz .LBB143_2334
.LBB143_2109:
	s_or_b64 exec, exec, s[10:11]
	v_mov_b32_e32 v5, 0
	s_and_saveexec_b64 s[10:11], s[8:9]
.LBB143_2110:
	v_lshrrev_b32_e32 v5, 24, v2
	s_movk_i32 s8, 0x80
	v_and_or_b32 v5, v5, s8, v3
.LBB143_2111:
	s_or_b64 exec, exec, s[10:11]
.LBB143_2112:
	s_or_b64 exec, exec, s[4:5]
	global_store_byte v[0:1], v5, off
.LBB143_2113:
	s_mov_b64 s[4:5], -1
.LBB143_2114:
	s_mov_b64 s[8:9], 0
.LBB143_2115:
	s_and_b64 vcc, exec, s[8:9]
	s_cbranch_vccz .LBB143_2155
; %bb.2116:
	s_cmp_gt_i32 s14, 22
	s_mov_b64 s[2:3], -1
	s_cbranch_scc0 .LBB143_2148
; %bb.2117:
	s_cmp_lt_i32 s14, 24
	s_cbranch_scc1 .LBB143_2137
; %bb.2118:
	s_cmp_gt_i32 s14, 24
	s_cbranch_scc0 .LBB143_2126
; %bb.2119:
	v_and_b32_e32 v3, 0x7fffffff, v2
	s_mov_b32 s2, 0x47800000
	v_cmp_gt_u32_e32 vcc, s2, v3
	v_mov_b32_e32 v5, 0x80
	s_and_saveexec_b64 s[2:3], vcc
	s_cbranch_execz .LBB143_2125
; %bb.2120:
	s_mov_b32 s4, 0x37ffffff
	v_cmp_lt_u32_e32 vcc, s4, v3
	s_mov_b64 s[4:5], 0
                                        ; implicit-def: $vgpr3
	s_and_saveexec_b64 s[8:9], vcc
	s_xor_b64 s[8:9], exec, s[8:9]
	s_cbranch_execz .LBB143_2336
; %bb.2121:
	v_bfe_u32 v3, v2, 21, 1
	s_mov_b32 s10, 0x88fffff
	v_add3_u32 v3, v2, v3, s10
	s_mov_b64 s[4:5], exec
	v_lshrrev_b32_e32 v3, 21, v3
	s_andn2_saveexec_b64 s[8:9], s[8:9]
	s_cbranch_execnz .LBB143_2337
.LBB143_2122:
	s_or_b64 exec, exec, s[8:9]
	v_mov_b32_e32 v5, 0
	s_and_saveexec_b64 s[8:9], s[4:5]
.LBB143_2123:
	v_lshrrev_b32_e32 v5, 24, v2
	s_movk_i32 s4, 0x80
	v_and_or_b32 v5, v5, s4, v3
.LBB143_2124:
	s_or_b64 exec, exec, s[8:9]
.LBB143_2125:
	s_or_b64 exec, exec, s[2:3]
	s_mov_b64 s[2:3], 0
	global_store_byte v[0:1], v5, off
.LBB143_2126:
	s_and_b64 vcc, exec, s[2:3]
	s_cbranch_vccz .LBB143_2136
; %bb.2127:
	v_and_b32_e32 v5, 0x7fffffff, v2
	s_mov_b32 s2, 0x43f00000
	v_cmp_gt_u32_e32 vcc, s2, v5
                                        ; implicit-def: $vgpr3
	s_and_saveexec_b64 s[2:3], vcc
	s_xor_b64 s[2:3], exec, s[2:3]
	s_cbranch_execz .LBB143_2133
; %bb.2128:
	s_mov_b32 s4, 0x3c7fffff
	v_cmp_lt_u32_e32 vcc, s4, v5
                                        ; implicit-def: $vgpr3
	s_and_saveexec_b64 s[4:5], vcc
	s_xor_b64 s[4:5], exec, s[4:5]
; %bb.2129:
	v_bfe_u32 v3, v2, 20, 1
	s_mov_b32 s8, 0x407ffff
	v_add3_u32 v3, v2, v3, s8
	v_lshrrev_b32_e32 v5, 20, v3
	v_and_b32_e32 v3, 0xff00000, v3
	s_mov_b32 s8, 0x7f00000
	v_mov_b32_e32 v6, 0x7e
	v_cmp_ne_u32_e32 vcc, s8, v3
	v_cndmask_b32_e32 v3, v6, v5, vcc
; %bb.2130:
	s_andn2_saveexec_b64 s[4:5], s[4:5]
; %bb.2131:
	s_mov_b32 s8, 0x46800000
	v_add_f32_e64 v3, |v2|, s8
; %bb.2132:
	s_or_b64 exec, exec, s[4:5]
                                        ; implicit-def: $vgpr5
.LBB143_2133:
	s_andn2_saveexec_b64 s[2:3], s[2:3]
; %bb.2134:
	s_mov_b32 s4, 0x7f800000
	v_mov_b32_e32 v3, 0x7e
	v_mov_b32_e32 v6, 0x7f
	v_cmp_lt_u32_e32 vcc, s4, v5
	v_cndmask_b32_e32 v3, v3, v6, vcc
; %bb.2135:
	s_or_b64 exec, exec, s[2:3]
	v_lshrrev_b32_e32 v5, 24, v2
	s_movk_i32 s2, 0x80
	v_and_or_b32 v3, v5, s2, v3
	global_store_byte v[0:1], v3, off
.LBB143_2136:
	s_mov_b64 s[2:3], 0
.LBB143_2137:
	s_andn2_b64 vcc, exec, s[2:3]
	s_cbranch_vccnz .LBB143_2147
; %bb.2138:
	v_and_b32_e32 v5, 0x7fffffff, v2
	s_mov_b32 s2, 0x47800000
	v_cmp_gt_u32_e32 vcc, s2, v5
                                        ; implicit-def: $vgpr3
	s_and_saveexec_b64 s[2:3], vcc
	s_xor_b64 s[2:3], exec, s[2:3]
	s_cbranch_execz .LBB143_2144
; %bb.2139:
	s_mov_b32 s4, 0x387fffff
	v_cmp_lt_u32_e32 vcc, s4, v5
                                        ; implicit-def: $vgpr3
	s_and_saveexec_b64 s[4:5], vcc
	s_xor_b64 s[4:5], exec, s[4:5]
; %bb.2140:
	v_bfe_u32 v3, v2, 21, 1
	s_mov_b32 s8, 0x80fffff
	v_add3_u32 v3, v2, v3, s8
	v_lshrrev_b32_e32 v3, 21, v3
; %bb.2141:
	s_andn2_saveexec_b64 s[4:5], s[4:5]
; %bb.2142:
	s_mov_b32 s8, 0x43000000
	v_add_f32_e64 v3, |v2|, s8
; %bb.2143:
	s_or_b64 exec, exec, s[4:5]
                                        ; implicit-def: $vgpr5
.LBB143_2144:
	s_andn2_saveexec_b64 s[2:3], s[2:3]
; %bb.2145:
	s_mov_b32 s4, 0x7f800000
	v_mov_b32_e32 v3, 0x7c
	v_mov_b32_e32 v6, 0x7f
	v_cmp_lt_u32_e32 vcc, s4, v5
	v_cndmask_b32_e32 v3, v3, v6, vcc
; %bb.2146:
	s_or_b64 exec, exec, s[2:3]
	v_lshrrev_b32_e32 v5, 24, v2
	s_movk_i32 s2, 0x80
	v_and_or_b32 v3, v5, s2, v3
	global_store_byte v[0:1], v3, off
.LBB143_2147:
	s_mov_b64 s[2:3], 0
	s_mov_b64 s[4:5], -1
.LBB143_2148:
	s_andn2_b64 vcc, exec, s[2:3]
	s_mov_b64 s[2:3], 0
	s_cbranch_vccnz .LBB143_2155
; %bb.2149:
	s_cmp_gt_i32 s14, 14
	s_mov_b64 s[8:9], -1
	s_cbranch_scc0 .LBB143_2153
; %bb.2150:
	s_cmp_eq_u32 s14, 15
	s_mov_b64 s[0:1], -1
	s_cbranch_scc0 .LBB143_2152
; %bb.2151:
	v_bfe_u32 v3, v2, 16, 1
	s_movk_i32 s0, 0x7fff
	v_add3_u32 v3, v2, v3, s0
	v_cmp_o_f32_e32 vcc, v2, v2
	v_mov_b32_e32 v5, 0x7fc0
	v_cndmask_b32_sdwa v3, v5, v3, vcc dst_sel:DWORD dst_unused:UNUSED_PAD src0_sel:DWORD src1_sel:WORD_1
	global_store_short v[0:1], v3, off
	s_mov_b64 s[0:1], 0
	s_mov_b64 s[4:5], -1
.LBB143_2152:
	s_mov_b64 s[8:9], 0
.LBB143_2153:
	s_and_b64 vcc, exec, s[8:9]
	s_cbranch_vccz .LBB143_2155
; %bb.2154:
	s_cmp_lg_u32 s14, 11
	s_mov_b64 s[2:3], -1
	s_cselect_b64 s[0:1], -1, 0
.LBB143_2155:
	s_and_b64 vcc, exec, s[0:1]
	s_cbranch_vccnz .LBB143_2335
; %bb.2156:
	s_andn2_b64 vcc, exec, s[2:3]
	s_cbranch_vccnz .LBB143_2158
.LBB143_2157:
	v_cmp_neq_f32_e32 vcc, 0, v2
	v_cndmask_b32_e64 v3, 0, 1, vcc
	s_mov_b64 s[4:5], -1
	global_store_byte v[0:1], v3, off
.LBB143_2158:
	s_mov_b64 s[0:1], 0
	s_branch .LBB143_2160
.LBB143_2159:
	s_mov_b64 s[0:1], -1
	s_mov_b64 s[4:5], 0
.LBB143_2160:
	s_and_b64 vcc, exec, s[0:1]
	s_cbranch_vccz .LBB143_2199
; %bb.2161:
	s_and_b32 s2, 0xffff, s26
	s_cmp_lt_i32 s2, 5
	s_mov_b64 s[0:1], -1
	s_cbranch_scc1 .LBB143_2182
; %bb.2162:
	s_cmp_lt_i32 s2, 8
	s_cbranch_scc1 .LBB143_2172
; %bb.2163:
	s_cmp_lt_i32 s2, 9
	s_cbranch_scc1 .LBB143_2169
; %bb.2164:
	s_cmp_gt_i32 s2, 9
	s_cbranch_scc0 .LBB143_2166
; %bb.2165:
	v_cvt_f64_f32_e32 v[11:12], v2
	v_mov_b32_e32 v13, 0
	v_mov_b32_e32 v14, v13
	s_mov_b64 s[0:1], 0
	global_store_dwordx4 v[0:1], v[11:14], off
.LBB143_2166:
	s_andn2_b64 vcc, exec, s[0:1]
	s_cbranch_vccnz .LBB143_2168
; %bb.2167:
	v_mov_b32_e32 v3, 0
	global_store_dwordx2 v[0:1], v[2:3], off
.LBB143_2168:
	s_mov_b64 s[0:1], 0
.LBB143_2169:
	s_andn2_b64 vcc, exec, s[0:1]
	s_cbranch_vccnz .LBB143_2171
; %bb.2170:
	v_cvt_f16_f32_e32 v3, v2
	global_store_dword v[0:1], v3, off
.LBB143_2171:
	s_mov_b64 s[0:1], 0
.LBB143_2172:
	s_andn2_b64 vcc, exec, s[0:1]
	s_cbranch_vccnz .LBB143_2181
; %bb.2173:
	s_cmp_lt_i32 s2, 6
	s_mov_b64 s[0:1], -1
	s_cbranch_scc1 .LBB143_2179
; %bb.2174:
	s_cmp_gt_i32 s2, 6
	s_cbranch_scc0 .LBB143_2176
; %bb.2175:
	v_cvt_f64_f32_e32 v[5:6], v2
	s_mov_b64 s[0:1], 0
	global_store_dwordx2 v[0:1], v[5:6], off
.LBB143_2176:
	s_andn2_b64 vcc, exec, s[0:1]
	s_cbranch_vccnz .LBB143_2178
; %bb.2177:
	global_store_dword v[0:1], v2, off
.LBB143_2178:
	s_mov_b64 s[0:1], 0
.LBB143_2179:
	s_andn2_b64 vcc, exec, s[0:1]
	s_cbranch_vccnz .LBB143_2181
; %bb.2180:
	v_cvt_f16_f32_e32 v3, v2
	global_store_short v[0:1], v3, off
.LBB143_2181:
	s_mov_b64 s[0:1], 0
.LBB143_2182:
	s_andn2_b64 vcc, exec, s[0:1]
	s_cbranch_vccnz .LBB143_2198
; %bb.2183:
	s_cmp_lt_i32 s2, 2
	s_mov_b64 s[0:1], -1
	s_cbranch_scc1 .LBB143_2193
; %bb.2184:
	s_cmp_lt_i32 s2, 3
	s_cbranch_scc1 .LBB143_2190
; %bb.2185:
	s_cmp_gt_i32 s2, 3
	s_cbranch_scc0 .LBB143_2187
; %bb.2186:
	v_trunc_f32_e32 v3, v2
	s_mov_b32 s0, 0x2f800000
	v_mul_f32_e64 v5, |v3|, s0
	v_floor_f32_e32 v5, v5
	s_mov_b32 s0, 0xcf800000
	v_cvt_u32_f32_e32 v6, v5
	v_fma_f32 v5, v5, s0, |v3|
	v_cvt_u32_f32_e32 v5, v5
	v_ashrrev_i32_e32 v3, 31, v3
	v_xor_b32_e32 v6, v6, v3
	s_mov_b64 s[0:1], 0
	v_xor_b32_e32 v5, v5, v3
	v_sub_co_u32_e32 v5, vcc, v5, v3
	v_subb_co_u32_e32 v6, vcc, v6, v3, vcc
	global_store_dwordx2 v[0:1], v[5:6], off
.LBB143_2187:
	s_andn2_b64 vcc, exec, s[0:1]
	s_cbranch_vccnz .LBB143_2189
; %bb.2188:
	v_cvt_i32_f32_e32 v3, v2
	global_store_dword v[0:1], v3, off
.LBB143_2189:
	s_mov_b64 s[0:1], 0
.LBB143_2190:
	s_andn2_b64 vcc, exec, s[0:1]
	s_cbranch_vccnz .LBB143_2192
; %bb.2191:
	v_cvt_i32_f32_e32 v3, v2
	global_store_short v[0:1], v3, off
.LBB143_2192:
	s_mov_b64 s[0:1], 0
.LBB143_2193:
	s_andn2_b64 vcc, exec, s[0:1]
	s_cbranch_vccnz .LBB143_2198
; %bb.2194:
	s_cmp_gt_i32 s2, 0
	s_mov_b64 s[0:1], -1
	s_cbranch_scc0 .LBB143_2196
; %bb.2195:
	v_cvt_i32_f32_e32 v3, v2
	s_mov_b64 s[0:1], 0
	global_store_byte v[0:1], v3, off
.LBB143_2196:
	s_andn2_b64 vcc, exec, s[0:1]
	s_cbranch_vccnz .LBB143_2198
; %bb.2197:
	v_trunc_f32_e32 v2, v2
	s_mov_b32 s0, 0x2f800000
	v_mul_f32_e64 v3, |v2|, s0
	v_floor_f32_e32 v3, v3
	s_mov_b32 s0, 0xcf800000
	v_fma_f32 v3, v3, s0, |v2|
	v_cvt_u32_f32_e32 v3, v3
	v_ashrrev_i32_e32 v2, 31, v2
	v_xor_b32_e32 v3, v3, v2
	v_sub_u32_e32 v2, v3, v2
	global_store_byte v[0:1], v2, off
.LBB143_2198:
	s_mov_b64 s[4:5], -1
.LBB143_2199:
	s_andn2_b64 vcc, exec, s[4:5]
	s_cbranch_vccnz .LBB143_2276
; %bb.2200:
	s_mov_b32 s0, 0x4b000000
	v_cmp_lt_f32_e64 s[0:1], |v8|, s0
	v_mov_b32_e32 v0, 0x264
	v_mov_b32_e32 v1, 0x7f800000
	s_or_b64 vcc, s[6:7], s[0:1]
	v_cndmask_b32_e32 v2, v1, v10, vcc
	v_cmp_class_f32_e32 vcc, v8, v0
	v_cndmask_b32_e32 v0, v2, v1, vcc
	v_cmp_u_f32_e32 vcc, v8, v8
	v_cndmask_b32_e32 v2, v0, v8, vcc
	v_add_u32_e32 v0, s22, v4
	v_ashrrev_i32_e32 v1, 31, v0
	v_mov_b32_e32 v3, s13
	v_add_co_u32_e32 v0, vcc, s12, v0
	s_cmp_lt_i32 s26, 11
	v_addc_co_u32_e32 v1, vcc, v3, v1, vcc
	s_cbranch_scc1 .LBB143_2321
; %bb.2201:
	s_and_b32 s10, 0xffff, s26
	s_mov_b64 s[4:5], -1
	s_mov_b64 s[2:3], 0
	s_cmp_gt_i32 s10, 25
	s_mov_b64 s[0:1], 0
	s_cbranch_scc0 .LBB143_2234
; %bb.2202:
	s_cmp_gt_i32 s10, 28
	s_cbranch_scc0 .LBB143_2218
; %bb.2203:
	s_cmp_gt_i32 s10, 43
	;; [unrolled: 3-line block ×3, first 2 shown]
	s_cbranch_scc0 .LBB143_2208
; %bb.2205:
	s_cmp_eq_u32 s10, 46
	s_mov_b64 s[0:1], -1
	s_cbranch_scc0 .LBB143_2207
; %bb.2206:
	v_bfe_u32 v3, v2, 16, 1
	s_movk_i32 s0, 0x7fff
	v_add3_u32 v3, v2, v3, s0
	v_cmp_o_f32_e32 vcc, v2, v2
	v_mov_b32_e32 v4, 0x7fc0
	v_cndmask_b32_sdwa v3, v4, v3, vcc dst_sel:DWORD dst_unused:UNUSED_PAD src0_sel:DWORD src1_sel:WORD_1
	global_store_dword v[0:1], v3, off
	s_mov_b64 s[0:1], 0
.LBB143_2207:
	s_mov_b64 s[4:5], 0
.LBB143_2208:
	s_and_b64 vcc, exec, s[4:5]
	s_cbranch_vccz .LBB143_2213
; %bb.2209:
	s_cmp_eq_u32 s10, 44
	s_mov_b64 s[0:1], -1
	s_cbranch_scc0 .LBB143_2213
; %bb.2210:
	v_bfe_u32 v3, v2, 23, 8
	s_movk_i32 s0, 0xff
	v_cmp_ne_u32_e32 vcc, s0, v3
	v_mov_b32_e32 v4, 0xff
	s_and_saveexec_b64 s[4:5], vcc
; %bb.2211:
	s_mov_b32 s0, 0x3fffff
	v_and_b32_e32 v5, 0x400000, v2
	v_and_or_b32 v3, v2, s0, v3
	v_cmp_ne_u32_e32 vcc, 0, v5
	v_cmp_ne_u32_e64 s[0:1], 0, v3
	s_and_b64 s[0:1], vcc, s[0:1]
	v_lshrrev_b32_e32 v4, 23, v2
	v_cndmask_b32_e64 v3, 0, 1, s[0:1]
	v_add_u32_e32 v4, v4, v3
; %bb.2212:
	s_or_b64 exec, exec, s[4:5]
	s_mov_b64 s[0:1], 0
	global_store_byte v[0:1], v4, off
.LBB143_2213:
	s_mov_b64 s[4:5], 0
.LBB143_2214:
	s_and_b64 vcc, exec, s[4:5]
	s_cbranch_vccz .LBB143_2217
; %bb.2215:
	s_cmp_eq_u32 s10, 29
	s_mov_b64 s[0:1], -1
	s_cbranch_scc0 .LBB143_2217
; %bb.2216:
	v_trunc_f32_e32 v3, v2
	v_mul_f32_e32 v4, 0x2f800000, v3
	v_floor_f32_e32 v5, v4
	v_fmac_f32_e32 v3, 0xcf800000, v5
	v_cvt_u32_f32_e32 v4, v5
	v_cvt_u32_f32_e32 v3, v3
	s_mov_b64 s[0:1], 0
	global_store_dwordx2 v[0:1], v[3:4], off
.LBB143_2217:
	s_mov_b64 s[4:5], 0
.LBB143_2218:
	s_and_b64 vcc, exec, s[4:5]
	s_cbranch_vccz .LBB143_2233
; %bb.2219:
	s_cmp_lt_i32 s10, 27
	s_mov_b64 s[4:5], -1
	s_cbranch_scc1 .LBB143_2225
; %bb.2220:
	v_cvt_u32_f32_e32 v3, v2
	s_cmp_gt_i32 s10, 27
	s_cbranch_scc0 .LBB143_2222
; %bb.2221:
	global_store_dword v[0:1], v3, off
	s_mov_b64 s[4:5], 0
.LBB143_2222:
	s_andn2_b64 vcc, exec, s[4:5]
	s_cbranch_vccnz .LBB143_2224
; %bb.2223:
	global_store_short v[0:1], v3, off
.LBB143_2224:
	s_mov_b64 s[4:5], 0
.LBB143_2225:
	s_andn2_b64 vcc, exec, s[4:5]
	s_cbranch_vccnz .LBB143_2233
; %bb.2226:
	v_and_b32_e32 v3, 0x7fffffff, v2
	s_mov_b32 s4, 0x43800000
	v_cmp_gt_u32_e32 vcc, s4, v3
	v_mov_b32_e32 v4, 0x80
	s_and_saveexec_b64 s[4:5], vcc
	s_cbranch_execz .LBB143_2232
; %bb.2227:
	s_mov_b32 s6, 0x3bffffff
	v_cmp_lt_u32_e32 vcc, s6, v3
	s_mov_b64 s[6:7], 0
                                        ; implicit-def: $vgpr3
	s_and_saveexec_b64 s[8:9], vcc
	s_xor_b64 s[8:9], exec, s[8:9]
	s_cbranch_execz .LBB143_2338
; %bb.2228:
	v_bfe_u32 v3, v2, 20, 1
	s_mov_b32 s11, 0x487ffff
	v_add3_u32 v3, v2, v3, s11
	s_mov_b64 s[6:7], exec
	v_lshrrev_b32_e32 v3, 20, v3
	s_andn2_saveexec_b64 s[8:9], s[8:9]
	s_cbranch_execnz .LBB143_2339
.LBB143_2229:
	s_or_b64 exec, exec, s[8:9]
	v_mov_b32_e32 v4, 0
	s_and_saveexec_b64 s[8:9], s[6:7]
.LBB143_2230:
	v_lshrrev_b32_e32 v4, 24, v2
	s_movk_i32 s6, 0x80
	v_and_or_b32 v4, v4, s6, v3
.LBB143_2231:
	s_or_b64 exec, exec, s[8:9]
.LBB143_2232:
	s_or_b64 exec, exec, s[4:5]
	global_store_byte v[0:1], v4, off
.LBB143_2233:
	s_mov_b64 s[4:5], 0
.LBB143_2234:
	s_and_b64 vcc, exec, s[4:5]
	s_cbranch_vccz .LBB143_2274
; %bb.2235:
	s_cmp_gt_i32 s10, 22
	s_mov_b64 s[2:3], -1
	s_cbranch_scc0 .LBB143_2267
; %bb.2236:
	s_cmp_lt_i32 s10, 24
	s_cbranch_scc1 .LBB143_2256
; %bb.2237:
	s_cmp_gt_i32 s10, 24
	s_cbranch_scc0 .LBB143_2245
; %bb.2238:
	v_and_b32_e32 v3, 0x7fffffff, v2
	s_mov_b32 s2, 0x47800000
	v_cmp_gt_u32_e32 vcc, s2, v3
	v_mov_b32_e32 v4, 0x80
	s_and_saveexec_b64 s[2:3], vcc
	s_cbranch_execz .LBB143_2244
; %bb.2239:
	s_mov_b32 s4, 0x37ffffff
	v_cmp_lt_u32_e32 vcc, s4, v3
	s_mov_b64 s[4:5], 0
                                        ; implicit-def: $vgpr3
	s_and_saveexec_b64 s[6:7], vcc
	s_xor_b64 s[6:7], exec, s[6:7]
	s_cbranch_execz .LBB143_2341
; %bb.2240:
	v_bfe_u32 v3, v2, 21, 1
	s_mov_b32 s8, 0x88fffff
	v_add3_u32 v3, v2, v3, s8
	s_mov_b64 s[4:5], exec
	v_lshrrev_b32_e32 v3, 21, v3
	s_andn2_saveexec_b64 s[6:7], s[6:7]
	s_cbranch_execnz .LBB143_2342
.LBB143_2241:
	s_or_b64 exec, exec, s[6:7]
	v_mov_b32_e32 v4, 0
	s_and_saveexec_b64 s[6:7], s[4:5]
.LBB143_2242:
	v_lshrrev_b32_e32 v4, 24, v2
	s_movk_i32 s4, 0x80
	v_and_or_b32 v4, v4, s4, v3
.LBB143_2243:
	s_or_b64 exec, exec, s[6:7]
.LBB143_2244:
	s_or_b64 exec, exec, s[2:3]
	s_mov_b64 s[2:3], 0
	global_store_byte v[0:1], v4, off
.LBB143_2245:
	s_and_b64 vcc, exec, s[2:3]
	s_cbranch_vccz .LBB143_2255
; %bb.2246:
	v_and_b32_e32 v4, 0x7fffffff, v2
	s_mov_b32 s2, 0x43f00000
	v_cmp_gt_u32_e32 vcc, s2, v4
                                        ; implicit-def: $vgpr3
	s_and_saveexec_b64 s[2:3], vcc
	s_xor_b64 s[2:3], exec, s[2:3]
	s_cbranch_execz .LBB143_2252
; %bb.2247:
	s_mov_b32 s4, 0x3c7fffff
	v_cmp_lt_u32_e32 vcc, s4, v4
                                        ; implicit-def: $vgpr3
	s_and_saveexec_b64 s[4:5], vcc
	s_xor_b64 s[4:5], exec, s[4:5]
; %bb.2248:
	v_bfe_u32 v3, v2, 20, 1
	s_mov_b32 s6, 0x407ffff
	v_add3_u32 v3, v2, v3, s6
	v_lshrrev_b32_e32 v4, 20, v3
	v_and_b32_e32 v3, 0xff00000, v3
	s_mov_b32 s6, 0x7f00000
	v_mov_b32_e32 v5, 0x7e
	v_cmp_ne_u32_e32 vcc, s6, v3
	v_cndmask_b32_e32 v3, v5, v4, vcc
; %bb.2249:
	s_andn2_saveexec_b64 s[4:5], s[4:5]
; %bb.2250:
	s_mov_b32 s6, 0x46800000
	v_add_f32_e64 v3, |v2|, s6
; %bb.2251:
	s_or_b64 exec, exec, s[4:5]
                                        ; implicit-def: $vgpr4
.LBB143_2252:
	s_andn2_saveexec_b64 s[2:3], s[2:3]
; %bb.2253:
	s_mov_b32 s4, 0x7f800000
	v_mov_b32_e32 v3, 0x7e
	v_mov_b32_e32 v5, 0x7f
	v_cmp_lt_u32_e32 vcc, s4, v4
	v_cndmask_b32_e32 v3, v3, v5, vcc
; %bb.2254:
	s_or_b64 exec, exec, s[2:3]
	v_lshrrev_b32_e32 v4, 24, v2
	s_movk_i32 s2, 0x80
	v_and_or_b32 v3, v4, s2, v3
	global_store_byte v[0:1], v3, off
.LBB143_2255:
	s_mov_b64 s[2:3], 0
.LBB143_2256:
	s_andn2_b64 vcc, exec, s[2:3]
	s_cbranch_vccnz .LBB143_2266
; %bb.2257:
	v_and_b32_e32 v4, 0x7fffffff, v2
	s_mov_b32 s2, 0x47800000
	v_cmp_gt_u32_e32 vcc, s2, v4
                                        ; implicit-def: $vgpr3
	s_and_saveexec_b64 s[2:3], vcc
	s_xor_b64 s[2:3], exec, s[2:3]
	s_cbranch_execz .LBB143_2263
; %bb.2258:
	s_mov_b32 s4, 0x387fffff
	v_cmp_lt_u32_e32 vcc, s4, v4
                                        ; implicit-def: $vgpr3
	s_and_saveexec_b64 s[4:5], vcc
	s_xor_b64 s[4:5], exec, s[4:5]
; %bb.2259:
	v_bfe_u32 v3, v2, 21, 1
	s_mov_b32 s6, 0x80fffff
	v_add3_u32 v3, v2, v3, s6
	v_lshrrev_b32_e32 v3, 21, v3
; %bb.2260:
	s_andn2_saveexec_b64 s[4:5], s[4:5]
; %bb.2261:
	s_mov_b32 s6, 0x43000000
	v_add_f32_e64 v3, |v2|, s6
; %bb.2262:
	s_or_b64 exec, exec, s[4:5]
                                        ; implicit-def: $vgpr4
.LBB143_2263:
	s_andn2_saveexec_b64 s[2:3], s[2:3]
; %bb.2264:
	s_mov_b32 s4, 0x7f800000
	v_mov_b32_e32 v3, 0x7c
	v_mov_b32_e32 v5, 0x7f
	v_cmp_lt_u32_e32 vcc, s4, v4
	v_cndmask_b32_e32 v3, v3, v5, vcc
; %bb.2265:
	s_or_b64 exec, exec, s[2:3]
	v_lshrrev_b32_e32 v4, 24, v2
	s_movk_i32 s2, 0x80
	v_and_or_b32 v3, v4, s2, v3
	global_store_byte v[0:1], v3, off
.LBB143_2266:
	s_mov_b64 s[2:3], 0
.LBB143_2267:
	s_andn2_b64 vcc, exec, s[2:3]
	s_mov_b64 s[2:3], 0
	s_cbranch_vccnz .LBB143_2274
; %bb.2268:
	s_cmp_gt_i32 s10, 14
	s_mov_b64 s[4:5], -1
	s_cbranch_scc0 .LBB143_2272
; %bb.2269:
	s_cmp_eq_u32 s10, 15
	s_mov_b64 s[0:1], -1
	s_cbranch_scc0 .LBB143_2271
; %bb.2270:
	v_bfe_u32 v3, v2, 16, 1
	s_movk_i32 s0, 0x7fff
	v_add3_u32 v3, v2, v3, s0
	v_cmp_o_f32_e32 vcc, v2, v2
	v_mov_b32_e32 v4, 0x7fc0
	v_cndmask_b32_sdwa v3, v4, v3, vcc dst_sel:DWORD dst_unused:UNUSED_PAD src0_sel:DWORD src1_sel:WORD_1
	global_store_short v[0:1], v3, off
	s_mov_b64 s[0:1], 0
.LBB143_2271:
	s_mov_b64 s[4:5], 0
.LBB143_2272:
	s_and_b64 vcc, exec, s[4:5]
	s_cbranch_vccz .LBB143_2274
; %bb.2273:
	s_cmp_lg_u32 s10, 11
	s_mov_b64 s[2:3], -1
	s_cselect_b64 s[0:1], -1, 0
.LBB143_2274:
	s_and_b64 vcc, exec, s[0:1]
	s_cbranch_vccnz .LBB143_2340
.LBB143_2275:
	s_mov_b64 s[0:1], 0
	s_branch .LBB143_2277
.LBB143_2276:
	s_mov_b64 s[0:1], 0
	s_mov_b64 s[2:3], 0
                                        ; implicit-def: $sgpr26
                                        ; implicit-def: $vgpr0_vgpr1
                                        ; implicit-def: $vgpr2
.LBB143_2277:
	s_and_b64 s[8:9], s[2:3], exec
	s_andn2_b64 s[2:3], s[16:17], exec
	s_and_b64 s[4:5], s[20:21], exec
	s_and_b64 s[0:1], s[0:1], exec
	s_or_b64 s[16:17], s[2:3], s[4:5]
.LBB143_2278:
	s_or_b64 exec, exec, s[18:19]
	s_and_saveexec_b64 s[2:3], s[16:17]
	s_cbranch_execz .LBB143_2281
; %bb.2279:
	; divergent unreachable
	s_or_b64 exec, exec, s[2:3]
	s_and_saveexec_b64 s[2:3], s[8:9]
	s_xor_b64 s[2:3], exec, s[2:3]
	s_cbranch_execnz .LBB143_2282
.LBB143_2280:
	s_or_b64 exec, exec, s[2:3]
	s_and_saveexec_b64 s[2:3], s[0:1]
	s_cbranch_execnz .LBB143_2283
	s_branch .LBB143_2320
.LBB143_2281:
	s_or_b64 exec, exec, s[2:3]
	s_and_saveexec_b64 s[2:3], s[8:9]
	s_xor_b64 s[2:3], exec, s[2:3]
	s_cbranch_execz .LBB143_2280
.LBB143_2282:
	s_waitcnt vmcnt(0)
	v_cmp_neq_f32_e32 vcc, 0, v2
	v_cndmask_b32_e64 v3, 0, 1, vcc
	global_store_byte v[0:1], v3, off
	s_or_b64 exec, exec, s[2:3]
	s_and_saveexec_b64 s[2:3], s[0:1]
	s_cbranch_execz .LBB143_2320
.LBB143_2283:
	s_sext_i32_i16 s2, s26
	s_cmp_lt_i32 s2, 5
	s_mov_b64 s[0:1], -1
	s_cbranch_scc1 .LBB143_2304
; %bb.2284:
	s_cmp_lt_i32 s2, 8
	s_cbranch_scc1 .LBB143_2294
; %bb.2285:
	s_cmp_lt_i32 s2, 9
	s_cbranch_scc1 .LBB143_2291
; %bb.2286:
	s_cmp_gt_i32 s2, 9
	s_cbranch_scc0 .LBB143_2288
; %bb.2287:
	s_waitcnt vmcnt(0)
	v_cvt_f64_f32_e32 v[3:4], v2
	v_mov_b32_e32 v5, 0
	v_mov_b32_e32 v6, v5
	s_mov_b64 s[0:1], 0
	global_store_dwordx4 v[0:1], v[3:6], off
.LBB143_2288:
	s_andn2_b64 vcc, exec, s[0:1]
	s_cbranch_vccnz .LBB143_2290
; %bb.2289:
	s_waitcnt vmcnt(0)
	v_mov_b32_e32 v3, 0
	global_store_dwordx2 v[0:1], v[2:3], off
.LBB143_2290:
	s_mov_b64 s[0:1], 0
.LBB143_2291:
	s_andn2_b64 vcc, exec, s[0:1]
	s_cbranch_vccnz .LBB143_2293
; %bb.2292:
	s_waitcnt vmcnt(0)
	v_cvt_f16_f32_e32 v3, v2
	global_store_dword v[0:1], v3, off
.LBB143_2293:
	s_mov_b64 s[0:1], 0
.LBB143_2294:
	s_andn2_b64 vcc, exec, s[0:1]
	s_cbranch_vccnz .LBB143_2303
; %bb.2295:
	s_sext_i32_i16 s2, s26
	s_cmp_lt_i32 s2, 6
	s_mov_b64 s[0:1], -1
	s_cbranch_scc1 .LBB143_2301
; %bb.2296:
	s_cmp_gt_i32 s2, 6
	s_cbranch_scc0 .LBB143_2298
; %bb.2297:
	s_waitcnt vmcnt(0)
	v_cvt_f64_f32_e32 v[3:4], v2
	s_mov_b64 s[0:1], 0
	global_store_dwordx2 v[0:1], v[3:4], off
.LBB143_2298:
	s_andn2_b64 vcc, exec, s[0:1]
	s_cbranch_vccnz .LBB143_2300
; %bb.2299:
	s_waitcnt vmcnt(0)
	global_store_dword v[0:1], v2, off
.LBB143_2300:
	s_mov_b64 s[0:1], 0
.LBB143_2301:
	s_andn2_b64 vcc, exec, s[0:1]
	s_cbranch_vccnz .LBB143_2303
; %bb.2302:
	s_waitcnt vmcnt(0)
	v_cvt_f16_f32_e32 v3, v2
	global_store_short v[0:1], v3, off
.LBB143_2303:
	s_mov_b64 s[0:1], 0
.LBB143_2304:
	s_andn2_b64 vcc, exec, s[0:1]
	s_cbranch_vccnz .LBB143_2320
; %bb.2305:
	s_sext_i32_i16 s2, s26
	s_cmp_lt_i32 s2, 2
	s_mov_b64 s[0:1], -1
	s_cbranch_scc1 .LBB143_2315
; %bb.2306:
	s_cmp_lt_i32 s2, 3
	s_cbranch_scc1 .LBB143_2312
; %bb.2307:
	s_cmp_gt_i32 s2, 3
	s_cbranch_scc0 .LBB143_2309
; %bb.2308:
	s_waitcnt vmcnt(0)
	v_trunc_f32_e32 v3, v2
	s_mov_b32 s0, 0x2f800000
	v_mul_f32_e64 v4, |v3|, s0
	v_floor_f32_e32 v4, v4
	s_mov_b32 s0, 0xcf800000
	v_cvt_u32_f32_e32 v5, v4
	v_fma_f32 v4, v4, s0, |v3|
	v_cvt_u32_f32_e32 v4, v4
	v_ashrrev_i32_e32 v6, 31, v3
	v_xor_b32_e32 v5, v5, v6
	s_mov_b64 s[0:1], 0
	v_xor_b32_e32 v3, v4, v6
	v_sub_co_u32_e32 v3, vcc, v3, v6
	v_subb_co_u32_e32 v4, vcc, v5, v6, vcc
	global_store_dwordx2 v[0:1], v[3:4], off
.LBB143_2309:
	s_andn2_b64 vcc, exec, s[0:1]
	s_cbranch_vccnz .LBB143_2311
; %bb.2310:
	s_waitcnt vmcnt(0)
	v_cvt_i32_f32_e32 v3, v2
	global_store_dword v[0:1], v3, off
.LBB143_2311:
	s_mov_b64 s[0:1], 0
.LBB143_2312:
	s_andn2_b64 vcc, exec, s[0:1]
	s_cbranch_vccnz .LBB143_2314
; %bb.2313:
	s_waitcnt vmcnt(0)
	v_cvt_i32_f32_e32 v3, v2
	global_store_short v[0:1], v3, off
.LBB143_2314:
	s_mov_b64 s[0:1], 0
.LBB143_2315:
	s_andn2_b64 vcc, exec, s[0:1]
	s_cbranch_vccnz .LBB143_2320
; %bb.2316:
	s_sext_i32_i16 s0, s26
	s_cmp_gt_i32 s0, 0
	s_mov_b64 s[0:1], -1
	s_cbranch_scc0 .LBB143_2318
; %bb.2317:
	s_waitcnt vmcnt(0)
	v_cvt_i32_f32_e32 v3, v2
	s_mov_b64 s[0:1], 0
	global_store_byte v[0:1], v3, off
.LBB143_2318:
	s_andn2_b64 vcc, exec, s[0:1]
	s_cbranch_vccnz .LBB143_2320
; %bb.2319:
	s_waitcnt vmcnt(0)
	v_trunc_f32_e32 v2, v2
	s_mov_b32 s0, 0x2f800000
	v_mul_f32_e64 v3, |v2|, s0
	v_floor_f32_e32 v3, v3
	s_mov_b32 s0, 0xcf800000
	v_fma_f32 v3, v3, s0, |v2|
	v_cvt_u32_f32_e32 v3, v3
	v_ashrrev_i32_e32 v2, 31, v2
	v_xor_b32_e32 v3, v3, v2
	v_sub_u32_e32 v2, v3, v2
	global_store_byte v[0:1], v2, off
	s_endpgm
.LBB143_2320:
	s_endpgm
.LBB143_2321:
	s_mov_b64 s[2:3], 0
	s_mov_b64 s[0:1], -1
	s_branch .LBB143_2277
.LBB143_2322:
	s_trap 2
	s_or_b64 s[20:21], s[20:21], exec
	s_cbranch_execz .LBB143_1753
	s_branch .LBB143_1754
.LBB143_2323:
	s_andn2_saveexec_b64 s[24:25], s[24:25]
	s_cbranch_execz .LBB143_1871
.LBB143_2324:
	s_mov_b32 s27, 0x46000000
	v_add_f32_e64 v3, |v2|, s27
	v_and_b32_e32 v3, 0xff, v3
	v_cmp_ne_u32_e32 vcc, 0, v3
	s_andn2_b64 s[22:23], s[22:23], exec
	s_and_b64 s[28:29], vcc, exec
	s_or_b64 s[22:23], s[22:23], s[28:29]
	s_or_b64 exec, exec, s[24:25]
	v_mov_b32_e32 v11, 0
	s_and_saveexec_b64 s[24:25], s[22:23]
	s_cbranch_execnz .LBB143_1872
	s_branch .LBB143_1873
.LBB143_2325:
	s_trap 2
	s_or_b64 s[20:21], s[20:21], exec
	s_cbranch_execz .LBB143_1919
	s_branch .LBB143_1920
.LBB143_2326:
	s_andn2_saveexec_b64 s[22:23], s[22:23]
	s_cbranch_execz .LBB143_1884
.LBB143_2327:
	s_mov_b32 s24, 0x42800000
	v_add_f32_e64 v3, |v2|, s24
	v_and_b32_e32 v3, 0xff, v3
	v_cmp_ne_u32_e32 vcc, 0, v3
	s_andn2_b64 s[14:15], s[14:15], exec
	s_and_b64 s[24:25], vcc, exec
	s_or_b64 s[14:15], s[14:15], s[24:25]
	s_or_b64 exec, exec, s[22:23]
	v_mov_b32_e32 v11, 0
	s_and_saveexec_b64 s[22:23], s[14:15]
	s_cbranch_execnz .LBB143_1885
	s_branch .LBB143_1886
.LBB143_2328:
	s_andn2_saveexec_b64 s[14:15], s[14:15]
	s_cbranch_execz .LBB143_1990
.LBB143_2329:
	s_mov_b32 s24, 0x46000000
	v_add_f32_e64 v3, |v2|, s24
	v_and_b32_e32 v3, 0xff, v3
	v_cmp_ne_u32_e32 vcc, 0, v3
	s_andn2_b64 s[10:11], s[10:11], exec
	s_and_b64 s[24:25], vcc, exec
	s_or_b64 s[10:11], s[10:11], s[24:25]
	s_or_b64 exec, exec, s[14:15]
	v_mov_b32_e32 v5, 0
	s_and_saveexec_b64 s[14:15], s[10:11]
	s_cbranch_execnz .LBB143_1991
	s_branch .LBB143_1992
.LBB143_2330:
	s_trap 2
	s_or_b64 s[20:21], s[20:21], exec
	s_cbranch_execz .LBB143_2038
	s_branch .LBB143_2039
.LBB143_2331:
	s_andn2_saveexec_b64 s[10:11], s[10:11]
	s_cbranch_execz .LBB143_2003
.LBB143_2332:
	s_mov_b32 s14, 0x42800000
	v_add_f32_e64 v3, |v2|, s14
	v_and_b32_e32 v3, 0xff, v3
	v_cmp_ne_u32_e32 vcc, 0, v3
	s_andn2_b64 s[8:9], s[8:9], exec
	s_and_b64 s[14:15], vcc, exec
	s_or_b64 s[8:9], s[8:9], s[14:15]
	s_or_b64 exec, exec, s[10:11]
	v_mov_b32_e32 v5, 0
	s_and_saveexec_b64 s[10:11], s[8:9]
	s_cbranch_execnz .LBB143_2004
	s_branch .LBB143_2005
.LBB143_2333:
	s_andn2_saveexec_b64 s[10:11], s[10:11]
	s_cbranch_execz .LBB143_2109
.LBB143_2334:
	s_mov_b32 s15, 0x46000000
	v_add_f32_e64 v3, |v2|, s15
	v_and_b32_e32 v3, 0xff, v3
	v_cmp_ne_u32_e32 vcc, 0, v3
	s_andn2_b64 s[8:9], s[8:9], exec
	s_and_b64 s[24:25], vcc, exec
	s_or_b64 s[8:9], s[8:9], s[24:25]
	s_or_b64 exec, exec, s[10:11]
	v_mov_b32_e32 v5, 0
	s_and_saveexec_b64 s[10:11], s[8:9]
	s_cbranch_execnz .LBB143_2110
	s_branch .LBB143_2111
.LBB143_2335:
	s_trap 2
	s_or_b64 s[20:21], s[20:21], exec
	s_cbranch_execz .LBB143_2157
	s_branch .LBB143_2158
.LBB143_2336:
	s_andn2_saveexec_b64 s[8:9], s[8:9]
	s_cbranch_execz .LBB143_2122
.LBB143_2337:
	s_mov_b32 s10, 0x42800000
	v_add_f32_e64 v3, |v2|, s10
	v_and_b32_e32 v3, 0xff, v3
	v_cmp_ne_u32_e32 vcc, 0, v3
	s_andn2_b64 s[4:5], s[4:5], exec
	s_and_b64 s[10:11], vcc, exec
	s_or_b64 s[4:5], s[4:5], s[10:11]
	s_or_b64 exec, exec, s[8:9]
	v_mov_b32_e32 v5, 0
	s_and_saveexec_b64 s[8:9], s[4:5]
	s_cbranch_execnz .LBB143_2123
	s_branch .LBB143_2124
.LBB143_2338:
	s_andn2_saveexec_b64 s[8:9], s[8:9]
	s_cbranch_execz .LBB143_2229
.LBB143_2339:
	s_mov_b32 s11, 0x46000000
	v_add_f32_e64 v3, |v2|, s11
	v_and_b32_e32 v3, 0xff, v3
	v_cmp_ne_u32_e32 vcc, 0, v3
	s_andn2_b64 s[6:7], s[6:7], exec
	s_and_b64 s[12:13], vcc, exec
	s_or_b64 s[6:7], s[6:7], s[12:13]
	s_or_b64 exec, exec, s[8:9]
	v_mov_b32_e32 v4, 0
	s_and_saveexec_b64 s[8:9], s[6:7]
	s_cbranch_execnz .LBB143_2230
	s_branch .LBB143_2231
.LBB143_2340:
	s_mov_b64 s[2:3], 0
	s_or_b64 s[20:21], s[20:21], exec
	s_trap 2
	s_branch .LBB143_2275
.LBB143_2341:
	s_andn2_saveexec_b64 s[6:7], s[6:7]
	s_cbranch_execz .LBB143_2241
.LBB143_2342:
	s_mov_b32 s8, 0x42800000
	v_add_f32_e64 v3, |v2|, s8
	v_and_b32_e32 v3, 0xff, v3
	v_cmp_ne_u32_e32 vcc, 0, v3
	s_andn2_b64 s[4:5], s[4:5], exec
	s_and_b64 s[8:9], vcc, exec
	s_or_b64 s[4:5], s[4:5], s[8:9]
	s_or_b64 exec, exec, s[6:7]
	v_mov_b32_e32 v4, 0
	s_and_saveexec_b64 s[6:7], s[4:5]
	s_cbranch_execnz .LBB143_2242
	s_branch .LBB143_2243
	.section	.rodata,"a",@progbits
	.p2align	6, 0x0
	.amdhsa_kernel _ZN2at6native32elementwise_kernel_manual_unrollILi128ELi4EZNS0_15gpu_kernel_implIZZZNS0_18lgamma_kernel_cudaERNS_18TensorIteratorBaseEENKUlvE_clEvENKUlvE0_clEvEUlfE_EEvS4_RKT_EUlibE_EEviT1_
		.amdhsa_group_segment_fixed_size 0
		.amdhsa_private_segment_fixed_size 0
		.amdhsa_kernarg_size 40
		.amdhsa_user_sgpr_count 6
		.amdhsa_user_sgpr_private_segment_buffer 1
		.amdhsa_user_sgpr_dispatch_ptr 0
		.amdhsa_user_sgpr_queue_ptr 0
		.amdhsa_user_sgpr_kernarg_segment_ptr 1
		.amdhsa_user_sgpr_dispatch_id 0
		.amdhsa_user_sgpr_flat_scratch_init 0
		.amdhsa_user_sgpr_private_segment_size 0
		.amdhsa_uses_dynamic_stack 0
		.amdhsa_system_sgpr_private_segment_wavefront_offset 0
		.amdhsa_system_sgpr_workgroup_id_x 1
		.amdhsa_system_sgpr_workgroup_id_y 0
		.amdhsa_system_sgpr_workgroup_id_z 0
		.amdhsa_system_sgpr_workgroup_info 0
		.amdhsa_system_vgpr_workitem_id 0
		.amdhsa_next_free_vgpr 18
		.amdhsa_next_free_sgpr 44
		.amdhsa_reserve_vcc 1
		.amdhsa_reserve_flat_scratch 0
		.amdhsa_float_round_mode_32 0
		.amdhsa_float_round_mode_16_64 0
		.amdhsa_float_denorm_mode_32 3
		.amdhsa_float_denorm_mode_16_64 3
		.amdhsa_dx10_clamp 1
		.amdhsa_ieee_mode 1
		.amdhsa_fp16_overflow 0
		.amdhsa_exception_fp_ieee_invalid_op 0
		.amdhsa_exception_fp_denorm_src 0
		.amdhsa_exception_fp_ieee_div_zero 0
		.amdhsa_exception_fp_ieee_overflow 0
		.amdhsa_exception_fp_ieee_underflow 0
		.amdhsa_exception_fp_ieee_inexact 0
		.amdhsa_exception_int_div_zero 0
	.end_amdhsa_kernel
	.section	.text._ZN2at6native32elementwise_kernel_manual_unrollILi128ELi4EZNS0_15gpu_kernel_implIZZZNS0_18lgamma_kernel_cudaERNS_18TensorIteratorBaseEENKUlvE_clEvENKUlvE0_clEvEUlfE_EEvS4_RKT_EUlibE_EEviT1_,"axG",@progbits,_ZN2at6native32elementwise_kernel_manual_unrollILi128ELi4EZNS0_15gpu_kernel_implIZZZNS0_18lgamma_kernel_cudaERNS_18TensorIteratorBaseEENKUlvE_clEvENKUlvE0_clEvEUlfE_EEvS4_RKT_EUlibE_EEviT1_,comdat
.Lfunc_end143:
	.size	_ZN2at6native32elementwise_kernel_manual_unrollILi128ELi4EZNS0_15gpu_kernel_implIZZZNS0_18lgamma_kernel_cudaERNS_18TensorIteratorBaseEENKUlvE_clEvENKUlvE0_clEvEUlfE_EEvS4_RKT_EUlibE_EEviT1_, .Lfunc_end143-_ZN2at6native32elementwise_kernel_manual_unrollILi128ELi4EZNS0_15gpu_kernel_implIZZZNS0_18lgamma_kernel_cudaERNS_18TensorIteratorBaseEENKUlvE_clEvENKUlvE0_clEvEUlfE_EEvS4_RKT_EUlibE_EEviT1_
                                        ; -- End function
	.set _ZN2at6native32elementwise_kernel_manual_unrollILi128ELi4EZNS0_15gpu_kernel_implIZZZNS0_18lgamma_kernel_cudaERNS_18TensorIteratorBaseEENKUlvE_clEvENKUlvE0_clEvEUlfE_EEvS4_RKT_EUlibE_EEviT1_.num_vgpr, 18
	.set _ZN2at6native32elementwise_kernel_manual_unrollILi128ELi4EZNS0_15gpu_kernel_implIZZZNS0_18lgamma_kernel_cudaERNS_18TensorIteratorBaseEENKUlvE_clEvENKUlvE0_clEvEUlfE_EEvS4_RKT_EUlibE_EEviT1_.num_agpr, 0
	.set _ZN2at6native32elementwise_kernel_manual_unrollILi128ELi4EZNS0_15gpu_kernel_implIZZZNS0_18lgamma_kernel_cudaERNS_18TensorIteratorBaseEENKUlvE_clEvENKUlvE0_clEvEUlfE_EEvS4_RKT_EUlibE_EEviT1_.numbered_sgpr, 44
	.set _ZN2at6native32elementwise_kernel_manual_unrollILi128ELi4EZNS0_15gpu_kernel_implIZZZNS0_18lgamma_kernel_cudaERNS_18TensorIteratorBaseEENKUlvE_clEvENKUlvE0_clEvEUlfE_EEvS4_RKT_EUlibE_EEviT1_.num_named_barrier, 0
	.set _ZN2at6native32elementwise_kernel_manual_unrollILi128ELi4EZNS0_15gpu_kernel_implIZZZNS0_18lgamma_kernel_cudaERNS_18TensorIteratorBaseEENKUlvE_clEvENKUlvE0_clEvEUlfE_EEvS4_RKT_EUlibE_EEviT1_.private_seg_size, 0
	.set _ZN2at6native32elementwise_kernel_manual_unrollILi128ELi4EZNS0_15gpu_kernel_implIZZZNS0_18lgamma_kernel_cudaERNS_18TensorIteratorBaseEENKUlvE_clEvENKUlvE0_clEvEUlfE_EEvS4_RKT_EUlibE_EEviT1_.uses_vcc, 1
	.set _ZN2at6native32elementwise_kernel_manual_unrollILi128ELi4EZNS0_15gpu_kernel_implIZZZNS0_18lgamma_kernel_cudaERNS_18TensorIteratorBaseEENKUlvE_clEvENKUlvE0_clEvEUlfE_EEvS4_RKT_EUlibE_EEviT1_.uses_flat_scratch, 0
	.set _ZN2at6native32elementwise_kernel_manual_unrollILi128ELi4EZNS0_15gpu_kernel_implIZZZNS0_18lgamma_kernel_cudaERNS_18TensorIteratorBaseEENKUlvE_clEvENKUlvE0_clEvEUlfE_EEvS4_RKT_EUlibE_EEviT1_.has_dyn_sized_stack, 0
	.set _ZN2at6native32elementwise_kernel_manual_unrollILi128ELi4EZNS0_15gpu_kernel_implIZZZNS0_18lgamma_kernel_cudaERNS_18TensorIteratorBaseEENKUlvE_clEvENKUlvE0_clEvEUlfE_EEvS4_RKT_EUlibE_EEviT1_.has_recursion, 0
	.set _ZN2at6native32elementwise_kernel_manual_unrollILi128ELi4EZNS0_15gpu_kernel_implIZZZNS0_18lgamma_kernel_cudaERNS_18TensorIteratorBaseEENKUlvE_clEvENKUlvE0_clEvEUlfE_EEvS4_RKT_EUlibE_EEviT1_.has_indirect_call, 0
	.section	.AMDGPU.csdata,"",@progbits
; Kernel info:
; codeLenInByte = 52700
; TotalNumSgprs: 48
; NumVgprs: 18
; ScratchSize: 0
; MemoryBound: 1
; FloatMode: 240
; IeeeMode: 1
; LDSByteSize: 0 bytes/workgroup (compile time only)
; SGPRBlocks: 5
; VGPRBlocks: 4
; NumSGPRsForWavesPerEU: 48
; NumVGPRsForWavesPerEU: 18
; Occupancy: 10
; WaveLimiterHint : 0
; COMPUTE_PGM_RSRC2:SCRATCH_EN: 0
; COMPUTE_PGM_RSRC2:USER_SGPR: 6
; COMPUTE_PGM_RSRC2:TRAP_HANDLER: 0
; COMPUTE_PGM_RSRC2:TGID_X_EN: 1
; COMPUTE_PGM_RSRC2:TGID_Y_EN: 0
; COMPUTE_PGM_RSRC2:TGID_Z_EN: 0
; COMPUTE_PGM_RSRC2:TIDIG_COMP_CNT: 0
	.section	.text._ZN2at6native32elementwise_kernel_manual_unrollILi128ELi4EZNS0_15gpu_kernel_implIZZZNS0_18lgamma_kernel_cudaERNS_18TensorIteratorBaseEENKUlvE_clEvENKUlvE0_clEvEUlfE_EEvS4_RKT_EUlibE0_EEviT1_,"axG",@progbits,_ZN2at6native32elementwise_kernel_manual_unrollILi128ELi4EZNS0_15gpu_kernel_implIZZZNS0_18lgamma_kernel_cudaERNS_18TensorIteratorBaseEENKUlvE_clEvENKUlvE0_clEvEUlfE_EEvS4_RKT_EUlibE0_EEviT1_,comdat
	.globl	_ZN2at6native32elementwise_kernel_manual_unrollILi128ELi4EZNS0_15gpu_kernel_implIZZZNS0_18lgamma_kernel_cudaERNS_18TensorIteratorBaseEENKUlvE_clEvENKUlvE0_clEvEUlfE_EEvS4_RKT_EUlibE0_EEviT1_ ; -- Begin function _ZN2at6native32elementwise_kernel_manual_unrollILi128ELi4EZNS0_15gpu_kernel_implIZZZNS0_18lgamma_kernel_cudaERNS_18TensorIteratorBaseEENKUlvE_clEvENKUlvE0_clEvEUlfE_EEvS4_RKT_EUlibE0_EEviT1_
	.p2align	8
	.type	_ZN2at6native32elementwise_kernel_manual_unrollILi128ELi4EZNS0_15gpu_kernel_implIZZZNS0_18lgamma_kernel_cudaERNS_18TensorIteratorBaseEENKUlvE_clEvENKUlvE0_clEvEUlfE_EEvS4_RKT_EUlibE0_EEviT1_,@function
_ZN2at6native32elementwise_kernel_manual_unrollILi128ELi4EZNS0_15gpu_kernel_implIZZZNS0_18lgamma_kernel_cudaERNS_18TensorIteratorBaseEENKUlvE_clEvENKUlvE0_clEvEUlfE_EEvS4_RKT_EUlibE0_EEviT1_: ; @_ZN2at6native32elementwise_kernel_manual_unrollILi128ELi4EZNS0_15gpu_kernel_implIZZZNS0_18lgamma_kernel_cudaERNS_18TensorIteratorBaseEENKUlvE_clEvENKUlvE0_clEvEUlfE_EEvS4_RKT_EUlibE0_EEviT1_
; %bb.0:
	s_load_dword s70, s[4:5], 0x0
	s_load_dword s33, s[4:5], 0x8
	s_add_u32 s34, s4, 8
	s_addc_u32 s35, s5, 0
	v_lshl_or_b32 v8, s6, 9, v0
	v_or_b32_e32 v15, 0x180, v8
	s_waitcnt lgkmcnt(0)
	s_add_i32 s72, s33, -1
	s_cmp_gt_u32 s72, 1
	v_cmp_le_i32_e32 vcc, s70, v15
	s_cselect_b64 s[40:41], -1, 0
	s_mov_b64 s[6:7], 0
	s_mov_b64 s[28:29], 0
	s_and_saveexec_b64 s[0:1], vcc
	s_xor_b64 s[42:43], exec, s[0:1]
	s_cbranch_execz .LBB144_1238
; %bb.1:
	v_mov_b32_e32 v0, 0
	global_load_ushort v0, v0, s[34:35] offset:345
	s_load_dwordx4 s[36:39], s[34:35], 0x4
	s_load_dwordx2 s[44:45], s[34:35], 0x14
	s_load_dwordx4 s[28:31], s[34:35], 0xc4
	s_load_dwordx4 s[24:27], s[34:35], 0x148
	s_cmp_lg_u32 s33, 0
	s_cselect_b64 s[50:51], -1, 0
	s_add_u32 s48, s34, 0xc4
	s_addc_u32 s49, s35, 0
	s_min_u32 s75, s72, 15
	s_cmp_gt_u32 s33, 1
	s_cselect_b64 s[46:47], -1, 0
	v_cmp_gt_i32_e32 vcc, s70, v8
	s_mov_b64 s[2:3], -1
	s_mov_b64 s[60:61], 0
	s_mov_b64 s[54:55], 0
	;; [unrolled: 1-line block ×3, first 2 shown]
	s_waitcnt vmcnt(0)
	v_readfirstlane_b32 s73, v0
	s_and_b32 s0, 0xffff, s73
	s_lshr_b32 s74, s0, 8
	s_and_saveexec_b64 s[56:57], vcc
	s_cbranch_execz .LBB144_304
; %bb.2:
	s_andn2_b64 vcc, exec, s[40:41]
	s_cbranch_vccnz .LBB144_7
; %bb.3:
	s_andn2_b64 vcc, exec, s[50:51]
	s_cbranch_vccnz .LBB144_8
; %bb.4:
	s_add_i32 s59, s75, 1
	s_cmp_eq_u32 s72, 2
	s_cbranch_scc1 .LBB144_9
; %bb.5:
	s_and_b32 s58, s59, 28
	v_mov_b32_e32 v2, 0
	s_mov_b32 s62, 0
	s_mov_b64 s[52:53], s[34:35]
	s_mov_b64 s[54:55], s[48:49]
	v_mov_b32_e32 v0, 0
	v_mov_b32_e32 v1, v8
.LBB144_6:                              ; =>This Inner Loop Header: Depth=1
	s_load_dwordx8 s[16:23], s[52:53], 0x4
	s_load_dwordx4 s[0:3], s[52:53], 0x24
	s_load_dwordx8 s[8:15], s[54:55], 0x0
	s_add_u32 s52, s52, 48
	s_addc_u32 s53, s53, 0
	s_waitcnt lgkmcnt(0)
	v_mul_hi_u32 v3, s17, v1
	s_add_i32 s62, s62, 4
	s_add_u32 s54, s54, 32
	s_addc_u32 s55, s55, 0
	v_add_u32_e32 v3, v1, v3
	v_lshrrev_b32_e32 v3, s18, v3
	v_mul_lo_u32 v4, v3, s16
	v_mul_hi_u32 v5, s20, v3
	s_cmp_lg_u32 s58, s62
	v_sub_u32_e32 v1, v1, v4
	v_add_u32_e32 v4, v3, v5
	v_mul_lo_u32 v5, v1, s8
	v_mul_lo_u32 v6, v1, s9
	v_lshrrev_b32_e32 v1, s21, v4
	v_mul_lo_u32 v4, v1, s19
	v_mul_hi_u32 v7, s23, v1
	v_sub_u32_e32 v3, v3, v4
	v_add_u32_e32 v4, v1, v7
	v_lshrrev_b32_e32 v4, s0, v4
	v_mul_hi_u32 v9, s2, v4
	v_mul_lo_u32 v10, v4, s22
	v_mul_lo_u32 v7, v3, s10
	;; [unrolled: 1-line block ×3, first 2 shown]
	v_sub_u32_e32 v10, v1, v10
	v_add_u32_e32 v1, v4, v9
	v_lshrrev_b32_e32 v1, s3, v1
	v_mul_lo_u32 v9, v1, s1
	v_mul_lo_u32 v11, v10, s12
	;; [unrolled: 1-line block ×3, first 2 shown]
	v_add3_u32 v0, v5, v0, v7
	v_sub_u32_e32 v4, v4, v9
	v_mul_lo_u32 v9, v4, s14
	v_mul_lo_u32 v4, v4, s15
	v_add3_u32 v2, v6, v2, v3
	v_add3_u32 v0, v11, v0, v9
	;; [unrolled: 1-line block ×3, first 2 shown]
	s_cbranch_scc1 .LBB144_6
	s_branch .LBB144_10
.LBB144_7:
                                        ; implicit-def: $vgpr0
                                        ; implicit-def: $vgpr2
	s_branch .LBB144_14
.LBB144_8:
	v_mov_b32_e32 v0, 0
	v_mov_b32_e32 v2, 0
	s_branch .LBB144_13
.LBB144_9:
	s_mov_b32 s58, 0
	v_mov_b32_e32 v0, 0
	v_mov_b32_e32 v2, 0
	;; [unrolled: 1-line block ×3, first 2 shown]
.LBB144_10:
	s_and_b32 s8, s59, 3
	s_cmp_eq_u32 s8, 0
	s_cbranch_scc1 .LBB144_13
; %bb.11:
	s_lshl_b32 s0, s58, 3
	s_add_u32 s0, s34, s0
	s_addc_u32 s1, s35, 0
	s_add_u32 s0, s0, 0xc4
	s_addc_u32 s1, s1, 0
	s_mul_i32 s2, s58, 12
	s_add_u32 s2, s34, s2
	s_addc_u32 s3, s35, 0
.LBB144_12:                             ; =>This Inner Loop Header: Depth=1
	s_load_dwordx2 s[10:11], s[2:3], 0x4
	s_load_dword s9, s[2:3], 0xc
	s_load_dwordx2 s[12:13], s[0:1], 0x0
	s_add_u32 s2, s2, 12
	s_addc_u32 s3, s3, 0
	s_waitcnt lgkmcnt(0)
	v_mul_hi_u32 v3, s11, v1
	s_add_u32 s0, s0, 8
	s_addc_u32 s1, s1, 0
	s_add_i32 s8, s8, -1
	v_add_u32_e32 v3, v1, v3
	v_lshrrev_b32_e32 v4, s9, v3
	v_mul_lo_u32 v3, v4, s10
	s_cmp_lg_u32 s8, 0
	v_sub_u32_e32 v3, v1, v3
	v_mad_u64_u32 v[0:1], s[10:11], v3, s12, v[0:1]
	v_mad_u64_u32 v[2:3], s[10:11], v3, s13, v[2:3]
	v_mov_b32_e32 v1, v4
	s_cbranch_scc1 .LBB144_12
.LBB144_13:
	s_cbranch_execnz .LBB144_16
.LBB144_14:
	s_waitcnt lgkmcnt(0)
	v_mul_hi_u32 v0, s37, v8
	s_andn2_b64 vcc, exec, s[46:47]
	v_add_u32_e32 v0, v8, v0
	v_lshrrev_b32_e32 v1, s38, v0
	v_mul_lo_u32 v0, v1, s36
	v_sub_u32_e32 v2, v8, v0
	v_mul_lo_u32 v0, v2, s28
	v_mul_lo_u32 v2, v2, s29
	s_cbranch_vccnz .LBB144_16
; %bb.15:
	v_mul_hi_u32 v3, s44, v1
	v_add_u32_e32 v3, v1, v3
	v_lshrrev_b32_e32 v3, s45, v3
	v_mul_lo_u32 v3, v3, s39
	v_sub_u32_e32 v3, v1, v3
	v_mad_u64_u32 v[0:1], s[0:1], v3, s30, v[0:1]
	v_mad_u64_u32 v[2:3], s[0:1], v3, s31, v[2:3]
.LBB144_16:
	s_waitcnt lgkmcnt(0)
	v_mov_b32_e32 v3, s27
	s_and_b32 s12, 0xffff, s74
	v_add_co_u32_e32 v1, vcc, s26, v2
	s_cmp_lt_i32 s12, 11
	v_addc_co_u32_e32 v2, vcc, 0, v3, vcc
	s_cbranch_scc1 .LBB144_23
; %bb.17:
	s_cmp_gt_i32 s12, 25
	s_cbranch_scc0 .LBB144_70
; %bb.18:
	s_cmp_gt_i32 s12, 28
	s_cbranch_scc0 .LBB144_73
	;; [unrolled: 3-line block ×4, first 2 shown]
; %bb.21:
	s_cmp_eq_u32 s12, 46
	s_mov_b64 s[2:3], 0
	s_cbranch_scc0 .LBB144_79
; %bb.22:
	global_load_dword v3, v[1:2], off
	s_mov_b64 s[0:1], -1
	s_mov_b64 s[8:9], 0
	s_waitcnt vmcnt(0)
	v_lshlrev_b32_e32 v3, 16, v3
	s_branch .LBB144_81
.LBB144_23:
	s_mov_b64 s[8:9], 0
                                        ; implicit-def: $vgpr3
	s_mov_b64 s[0:1], 0
	s_cbranch_execnz .LBB144_254
.LBB144_24:
	s_andn2_b64 vcc, exec, s[0:1]
	s_cbranch_vccnz .LBB144_301
.LBB144_25:
	s_mov_b32 s0, 0x3c800000
	s_waitcnt vmcnt(0)
	v_and_b32_e32 v1, 0x7fffffff, v3
	v_cmp_nlt_f32_e64 s[0:1], |v3|, s0
                                        ; implicit-def: $vgpr2
	s_and_saveexec_b64 s[2:3], s[0:1]
	s_xor_b64 s[2:3], exec, s[2:3]
	s_cbranch_execz .LBB144_55
; %bb.26:
	v_cmp_nlt_f32_e64 s[0:1], |v3|, 2.0
                                        ; implicit-def: $vgpr2
	s_and_saveexec_b64 s[10:11], s[0:1]
	s_xor_b64 s[10:11], exec, s[10:11]
	s_cbranch_execz .LBB144_36
; %bb.27:
	s_mov_b32 s0, 0x41000000
	v_cmp_nlt_f32_e64 s[0:1], |v3|, s0
                                        ; implicit-def: $vgpr2
	s_and_saveexec_b64 s[12:13], s[0:1]
	s_xor_b64 s[12:13], exec, s[12:13]
	s_cbranch_execz .LBB144_33
; %bb.28:
	s_mov_b32 s0, 0x5c800000
	v_cmp_nlt_f32_e64 s[0:1], |v3|, s0
                                        ; implicit-def: $vgpr2
	s_and_saveexec_b64 s[14:15], s[0:1]
	s_xor_b64 s[14:15], exec, s[14:15]
	s_cbranch_execz .LBB144_30
; %bb.29:
	s_mov_b32 s0, 0x800000
	v_cmp_lt_f32_e64 vcc, |v3|, s0
	v_cndmask_b32_e64 v2, 0, 32, vcc
	v_ldexp_f32 v2, |v3|, v2
	v_log_f32_e32 v2, v2
	s_mov_b32 s0, 0x3f317217
	s_mov_b32 s1, 0x7f800000
	v_mul_f32_e32 v4, 0x3f317217, v2
	v_fma_f32 v5, v2, s0, -v4
	v_fmac_f32_e32 v5, 0x3377d1cf, v2
	v_add_f32_e32 v4, v4, v5
	v_cmp_lt_f32_e64 s[0:1], |v2|, s1
	v_cndmask_b32_e64 v2, v2, v4, s[0:1]
	v_mov_b32_e32 v4, 0x41b17218
	v_cndmask_b32_e32 v4, 0, v4, vcc
	v_sub_f32_e32 v2, v2, v4
	v_fma_f32 v2, |v3|, v2, -|v3|
.LBB144_30:
	s_andn2_saveexec_b64 s[14:15], s[14:15]
	s_cbranch_execz .LBB144_32
; %bb.31:
	v_rcp_f32_e64 v4, |v3|
	v_mov_b32_e32 v2, 0x3a5b3dd2
	v_mov_b32_e32 v5, 0xba1c065c
	;; [unrolled: 1-line block ×3, first 2 shown]
	v_mul_f32_e32 v7, v4, v4
	v_fmac_f32_e32 v2, 0xbad5c4e8, v7
	v_fmac_f32_e32 v5, v7, v2
	s_mov_b32 s0, 0x800000
	v_fmac_f32_e32 v6, v7, v5
	v_mov_b32_e32 v2, 0xbb360b61
	v_cmp_lt_f32_e64 vcc, |v3|, s0
	v_fmac_f32_e32 v2, v7, v6
	v_cndmask_b32_e64 v6, 0, 32, vcc
	v_ldexp_f32 v6, |v3|, v6
	v_log_f32_e32 v6, v6
	v_mov_b32_e32 v5, 0x3daaaaab
	v_fmac_f32_e32 v5, v7, v2
	v_mov_b32_e32 v2, 0x3ed67f1d
	v_fmac_f32_e32 v2, v4, v5
	s_mov_b32 s0, 0x3f317217
	v_mul_f32_e32 v5, 0x3f317217, v6
	v_fma_f32 v7, v6, s0, -v5
	v_fmac_f32_e32 v7, 0x3377d1cf, v6
	s_mov_b32 s0, 0x7f800000
	v_add_f32_e32 v5, v5, v7
	v_cmp_lt_f32_e64 s[0:1], |v6|, s0
	v_cndmask_b32_e64 v5, v6, v5, s[0:1]
	v_mov_b32_e32 v6, 0x41b17218
	v_cndmask_b32_e32 v6, 0, v6, vcc
	v_sub_f32_e32 v5, v5, v6
	v_add_f32_e64 v4, |v3|, -0.5
	v_add_f32_e32 v5, -1.0, v5
	v_fmac_f32_e32 v2, v4, v5
.LBB144_32:
	s_or_b64 exec, exec, s[14:15]
.LBB144_33:
	s_andn2_saveexec_b64 s[12:13], s[12:13]
	s_cbranch_execz .LBB144_35
; %bb.34:
	v_cvt_i32_f32_e32 v2, v1
	v_mov_b32_e32 v4, 0x3af135b4
	v_mov_b32_e32 v5, 0x3cda40e4
	;; [unrolled: 1-line block ×3, first 2 shown]
	v_cvt_f32_i32_e32 v7, v2
	v_mov_b32_e32 v9, 0x3ea6cc7a
	v_mov_b32_e32 v10, 0x3e5c245a
	v_cmp_lt_i32_e32 vcc, 2, v2
	v_sub_f32_e64 v7, |v3|, v7
	v_fmac_f32_e32 v4, 0x3805ff67, v7
	v_fmac_f32_e32 v5, v7, v4
	;; [unrolled: 1-line block ×3, first 2 shown]
	v_mov_b32_e32 v5, 0x3a4beed6
	v_fmac_f32_e32 v9, v7, v6
	v_fmac_f32_e32 v5, 0x36f5d7bd, v7
	v_mov_b32_e32 v6, 0x3c98bf54
	v_fmac_f32_e32 v6, v7, v5
	v_mov_b32_e32 v5, 0x3e300f6e
	;; [unrolled: 2-line block ×4, first 2 shown]
	v_fmac_f32_e32 v5, v7, v6
	v_add_f32_e32 v6, 2.0, v7
	v_mov_b32_e32 v11, 0xbd9e233f
	v_fmac_f32_e32 v10, v7, v9
	v_add_f32_e32 v9, 0x40400000, v7
	v_cndmask_b32_e32 v6, 1.0, v6, vcc
	v_cmp_lt_i32_e32 vcc, 3, v2
	v_fmac_f32_e32 v11, v7, v10
	v_add_f32_e32 v10, 4.0, v7
	v_cndmask_b32_e32 v9, 1.0, v9, vcc
	v_cmp_lt_i32_e32 vcc, 4, v2
	v_mul_f32_e32 v4, v7, v11
	v_add_f32_e32 v11, 0x40a00000, v7
	v_mul_f32_e32 v6, v6, v9
	v_cndmask_b32_e32 v9, 1.0, v10, vcc
	v_cmp_lt_i32_e32 vcc, 5, v2
	v_add_f32_e32 v12, 0x40c00000, v7
	v_mul_f32_e32 v6, v9, v6
	v_cndmask_b32_e32 v9, 1.0, v11, vcc
	v_cmp_lt_i32_e32 vcc, 6, v2
	v_mul_f32_e32 v6, v9, v6
	v_cndmask_b32_e32 v2, 1.0, v12, vcc
	v_mul_f32_e32 v2, v2, v6
	s_mov_b32 s0, 0x800000
	v_cmp_gt_f32_e32 vcc, s0, v2
	v_cndmask_b32_e64 v6, 0, 32, vcc
	v_fma_f32 v5, v7, v5, 1.0
	v_ldexp_f32 v2, v2, v6
	v_rcp_f32_e32 v5, v5
	v_log_f32_e32 v2, v2
	s_mov_b32 s0, 0x3f317217
	v_mul_f32_e32 v4, v4, v5
	v_mul_f32_e32 v5, 0x3f317217, v2
	v_fma_f32 v6, v2, s0, -v5
	v_fmac_f32_e32 v6, 0x3377d1cf, v2
	s_mov_b32 s0, 0x7f800000
	v_add_f32_e32 v5, v5, v6
	v_cmp_lt_f32_e64 s[0:1], |v2|, s0
	v_cndmask_b32_e64 v2, v2, v5, s[0:1]
	v_mov_b32_e32 v5, 0x41b17218
	v_cndmask_b32_e32 v5, 0, v5, vcc
	v_fmac_f32_e32 v4, 0.5, v7
	v_sub_f32_e32 v2, v2, v5
	v_add_f32_e32 v2, v2, v4
.LBB144_35:
	s_or_b64 exec, exec, s[12:13]
.LBB144_36:
	s_andn2_saveexec_b64 s[10:11], s[10:11]
	s_cbranch_execz .LBB144_54
; %bb.37:
	s_mov_b32 s0, 0x3f666666
	v_cmp_le_f32_e64 s[0:1], |v3|, s0
                                        ; implicit-def: $vgpr2
                                        ; implicit-def: $vgpr5
                                        ; implicit-def: $vgpr4
	s_and_saveexec_b64 s[12:13], s[0:1]
	s_xor_b64 s[12:13], exec, s[12:13]
	s_cbranch_execz .LBB144_39
; %bb.38:
	s_mov_b32 s0, 0x800000
	v_cmp_lt_f32_e64 vcc, |v3|, s0
	v_cndmask_b32_e64 v2, 0, 32, vcc
	v_ldexp_f32 v2, |v3|, v2
	v_log_f32_e32 v2, v2
	s_mov_b32 s0, 0x3f317217
	s_mov_b32 s1, 0x7f800000
	v_mul_f32_e32 v4, 0x3f317217, v2
	v_fma_f32 v5, v2, s0, -v4
	v_fmac_f32_e32 v5, 0x3377d1cf, v2
	v_add_f32_e32 v4, v4, v5
	v_cmp_lt_f32_e64 s[0:1], |v2|, s1
	v_cndmask_b32_e64 v2, v2, v4, s[0:1]
	v_mov_b32_e32 v4, 0x41b17218
	v_cndmask_b32_e32 v4, 0, v4, vcc
	s_mov_b32 s0, 0x3f3b4a23
	s_mov_b32 s1, 0xbeec5b0c
	v_sub_f32_e32 v2, v2, v4
	v_sub_f32_e64 v4, 1.0, |v3|
	v_add_f32_e64 v5, |v3|, s1
	v_cmp_lt_f32_e64 vcc, |v3|, s0
	s_mov_b32 s0, 0x3e6d3309
	v_cndmask_b32_e32 v4, v4, v5, vcc
	v_cndmask_b32_e64 v5, 0, 1, vcc
	v_cmp_lt_f32_e64 s[0:1], |v3|, s0
	v_xor_b32_e32 v2, 0x80000000, v2
	v_cndmask_b32_e64 v4, v4, |v3|, s[0:1]
	v_cndmask_b32_e64 v5, v5, 2, s[0:1]
.LBB144_39:
	s_andn2_saveexec_b64 s[0:1], s[12:13]
	s_cbranch_execz .LBB144_41
; %bb.40:
	s_mov_b32 s12, 0x3fdda512
	s_mov_b32 s13, 0xbfbb16c3
	v_sub_f32_e64 v2, 2.0, |v3|
	v_add_f32_e64 v4, |v3|, s13
	v_cmp_lt_f32_e64 vcc, |v3|, s12
	v_cndmask_b32_e32 v4, v2, v4, vcc
	v_cndmask_b32_e64 v2, v2, 1.0, vcc
	v_cvt_i32_f32_e32 v2, v2
	s_mov_b32 s12, 0x3f9d70a4
	v_add_f32_e64 v5, |v3|, -1.0
	v_cmp_lt_f32_e64 vcc, |v3|, s12
	v_cndmask_b32_e32 v4, v4, v5, vcc
	v_cndmask_b32_e64 v5, v2, 2, vcc
	v_mov_b32_e32 v2, 0
.LBB144_41:
	s_or_b64 exec, exec, s[0:1]
	v_cmp_lt_i32_e32 vcc, 0, v5
	s_and_saveexec_b64 s[0:1], vcc
	s_xor_b64 s[0:1], exec, s[0:1]
	s_cbranch_execz .LBB144_49
; %bb.42:
	v_cmp_lt_i32_e32 vcc, 1, v5
	s_and_saveexec_b64 s[12:13], vcc
	s_xor_b64 s[12:13], exec, s[12:13]
	s_cbranch_execz .LBB144_46
; %bb.43:
	v_cmp_eq_u32_e32 vcc, 2, v5
	s_and_saveexec_b64 s[14:15], vcc
	s_cbranch_execz .LBB144_45
; %bb.44:
	v_mov_b32_e32 v5, 0x3e6a7578
	v_fmac_f32_e32 v5, 0x3c5b3c5e, v4
	v_mov_b32_e32 v6, 0x3f7a4bb2
	v_fmac_f32_e32 v6, v4, v5
	;; [unrolled: 2-line block ×8, first 2 shown]
	v_fma_f32 v5, v4, v7, 1.0
	v_rcp_f32_e32 v5, v5
	v_mov_b32_e32 v7, 0xbd9e233f
	v_fmac_f32_e32 v7, v4, v6
	v_mul_f32_e32 v6, v4, v7
	v_mul_f32_e32 v5, v6, v5
	v_fmac_f32_e32 v5, -0.5, v4
	v_add_f32_e32 v2, v2, v5
.LBB144_45:
	s_or_b64 exec, exec, s[14:15]
                                        ; implicit-def: $vgpr4
.LBB144_46:
	s_andn2_saveexec_b64 s[12:13], s[12:13]
	s_cbranch_execz .LBB144_48
; %bb.47:
	v_mul_f32_e32 v5, v4, v4
	v_mul_f32_e32 v6, v4, v5
	v_mov_b32_e32 v7, 0xbab7f476
	v_fmac_f32_e32 v7, 0x39a57b6b, v6
	v_mov_b32_e32 v9, 0x3bc7e707
	v_fmac_f32_e32 v9, v6, v7
	;; [unrolled: 2-line block ×12, first 2 shown]
	v_fmac_f32_e32 v10, v4, v11
	s_mov_b32 s14, 0xa2863e55
	v_fma_f32 v4, v6, -v10, s14
	v_fma_f32 v4, v5, v9, -v4
	v_add_f32_e32 v4, 0xbdf8cdce, v4
	v_add_f32_e32 v2, v2, v4
.LBB144_48:
	s_or_b64 exec, exec, s[12:13]
                                        ; implicit-def: $vgpr5
                                        ; implicit-def: $vgpr4
.LBB144_49:
	s_andn2_saveexec_b64 s[0:1], s[0:1]
	s_cbranch_execz .LBB144_53
; %bb.50:
	v_cmp_eq_u32_e32 vcc, 0, v5
	s_and_saveexec_b64 s[12:13], vcc
	s_cbranch_execz .LBB144_52
; %bb.51:
	v_mul_f32_e32 v5, v4, v4
	v_mov_b32_e32 v6, 0x39679767
	v_fmac_f32_e32 v6, 0x37d383a2, v5
	v_mov_b32_e32 v7, 0x3a9c54a1
	v_fmac_f32_e32 v7, v5, v6
	;; [unrolled: 2-line block ×10, first 2 shown]
	v_mul_f32_e32 v5, v5, v7
	v_fmac_f32_e32 v5, v4, v6
	v_fmac_f32_e32 v5, -0.5, v4
	v_add_f32_e32 v2, v2, v5
.LBB144_52:
	s_or_b64 exec, exec, s[12:13]
.LBB144_53:
	s_or_b64 exec, exec, s[0:1]
.LBB144_54:
	s_or_b64 exec, exec, s[10:11]
.LBB144_55:
	s_andn2_saveexec_b64 s[2:3], s[2:3]
	s_cbranch_execz .LBB144_57
; %bb.56:
	s_mov_b32 s0, 0x3e8a8991
	v_mov_b32_e32 v2, 0xbecd26ab
	v_fma_f32 v2, |v3|, s0, v2
	s_mov_b32 s0, 0x3f528d33
	v_fma_f32 v2, |v3|, v2, s0
	s_mov_b32 s0, 0x800000
	v_cmp_lt_f32_e64 vcc, |v3|, s0
	v_cndmask_b32_e64 v4, 0, 32, vcc
	v_ldexp_f32 v4, |v3|, v4
	v_log_f32_e32 v4, v4
	s_mov_b32 s0, 0xbf13c468
	v_fma_f32 v2, |v3|, v2, s0
	s_mov_b32 s0, 0x3f317217
	v_mul_f32_e32 v5, 0x3f317217, v4
	v_fma_f32 v6, v4, s0, -v5
	v_fmac_f32_e32 v6, 0x3377d1cf, v4
	s_mov_b32 s0, 0x7f800000
	v_add_f32_e32 v5, v5, v6
	v_cmp_lt_f32_e64 s[0:1], |v4|, s0
	v_cndmask_b32_e64 v4, v4, v5, s[0:1]
	v_mov_b32_e32 v5, 0x41b17218
	v_cndmask_b32_e32 v5, 0, v5, vcc
	v_sub_f32_e32 v4, v4, v5
	v_fma_f32 v2, |v3|, v2, -v4
.LBB144_57:
	s_or_b64 exec, exec, s[2:3]
	v_cmp_le_f32_e32 vcc, 0, v3
	v_cmp_nle_f32_e64 s[0:1], 0, v3
	s_and_saveexec_b64 s[2:3], s[0:1]
	s_xor_b64 s[10:11], exec, s[2:3]
	s_cbranch_execz .LBB144_61
; %bb.58:
	s_mov_b32 s0, 0x4b000000
	s_mov_b32 s2, 0x35000000
	v_cmp_lt_f32_e64 s[0:1], |v3|, s0
	v_cmp_gt_f32_e64 s[2:3], |v3|, s2
	s_and_b64 s[0:1], s[0:1], s[2:3]
	s_and_saveexec_b64 s[12:13], s[0:1]
	s_cbranch_execz .LBB144_60
; %bb.59:
	v_mul_f32_e64 v4, |v3|, 0.5
	v_floor_f32_e32 v5, v4
	v_sub_f32_e32 v5, v4, v5
	v_min_f32_e32 v5, 0x3f7fffff, v5
	s_mov_b32 s2, 0x7f800000
	v_add_f32_e32 v5, v5, v5
	v_cmp_neq_f32_e64 s[0:1], s2, v4
	v_cndmask_b32_e64 v4, 0, v5, s[0:1]
	v_cmp_gt_f32_e64 s[0:1], |v3|, 1.0
	v_cndmask_b32_e64 v4, |v3|, v4, s[0:1]
	v_add_f32_e32 v5, v4, v4
	v_rndne_f32_e32 v5, v5
	v_fmac_f32_e32 v4, -0.5, v5
	v_mul_f32_e32 v6, v4, v4
	v_mov_b32_e32 v7, 0xbf1f24be
	v_fmac_f32_e32 v7, 0x3e75aa41, v6
	v_mov_b32_e32 v9, 0x40234736
	v_fmac_f32_e32 v9, v6, v7
	;; [unrolled: 2-line block ×3, first 2 shown]
	v_mul_f32_e32 v9, v4, v6
	v_mul_f32_e32 v7, v9, v7
	v_fmac_f32_e32 v7, 0x40490fdb, v4
	v_mov_b32_e32 v4, 0x3e642e9d
	v_cvt_i32_f32_e32 v5, v5
	v_fmac_f32_e32 v4, 0x3d4be544, v6
	v_mov_b32_e32 v9, 0xbfaad1da
	v_fmac_f32_e32 v9, v6, v4
	v_mov_b32_e32 v4, 0x4081e0d3
	;; [unrolled: 2-line block ×3, first 2 shown]
	v_fmac_f32_e32 v9, v6, v4
	v_fma_f32 v4, v6, v9, 1.0
	v_and_b32_e32 v6, 1, v5
	v_lshlrev_b32_e32 v5, 30, v5
	v_cmp_eq_u32_e64 s[0:1], 0, v6
	v_and_b32_e32 v5, 0x80000000, v5
	v_xor_b32_e32 v1, v1, v3
	v_cndmask_b32_e64 v4, v4, v7, s[0:1]
	v_xor_b32_e32 v1, v1, v5
	v_xor_b32_e32 v1, v1, v4
	v_mul_f32_e32 v1, v3, v1
	v_frexp_mant_f32_e64 v4, |v1|
	v_rcp_f32_e32 v4, v4
	v_frexp_exp_i32_f32_e32 v1, v1
	v_sub_u32_e32 v1, 2, v1
	s_mov_b32 s0, 0x800000
	v_mul_f32_e32 v4, 0x3f490fdb, v4
	v_ldexp_f32 v1, v4, v1
	v_cmp_gt_f32_e64 s[0:1], s0, v1
	v_cndmask_b32_e64 v4, 0, 32, s[0:1]
	v_ldexp_f32 v1, v1, v4
	v_log_f32_e32 v1, v1
	s_mov_b32 s3, 0x3f317217
	v_mul_f32_e32 v4, 0x3f317217, v1
	v_fma_f32 v5, v1, s3, -v4
	v_fmac_f32_e32 v5, 0x3377d1cf, v1
	v_add_f32_e32 v4, v4, v5
	v_cmp_lt_f32_e64 s[2:3], |v1|, s2
	v_cndmask_b32_e64 v1, v1, v4, s[2:3]
	v_mov_b32_e32 v4, 0x41b17218
	v_cndmask_b32_e64 v4, 0, v4, s[0:1]
	v_sub_f32_e32 v1, v1, v4
	v_sub_f32_e32 v1, v1, v2
	v_floor_f32_e32 v2, v3
	v_sub_f32_e32 v2, v3, v2
	v_min_f32_e32 v2, 0x3f7fffff, v2
	v_mov_b32_e32 v4, 0x7f800000
	v_cmp_neq_f32_e64 s[0:1], 0, v2
	v_cndmask_b32_e64 v2, v4, v1, s[0:1]
.LBB144_60:
	s_or_b64 exec, exec, s[12:13]
.LBB144_61:
	s_andn2_saveexec_b64 s[10:11], s[10:11]
; %bb.62:
	v_cmp_eq_f32_e64 s[0:1], 1.0, v3
	v_cmp_eq_f32_e64 s[2:3], 2.0, v3
	s_or_b64 s[0:1], s[0:1], s[2:3]
	v_cndmask_b32_e64 v2, v2, 0, s[0:1]
; %bb.63:
	s_or_b64 exec, exec, s[10:11]
	s_mov_b32 s0, 0x4b000000
	v_cmp_lt_f32_e64 s[0:1], |v3|, s0
	v_mov_b32_e32 v1, 0x264
	v_mov_b32_e32 v4, 0x7f800000
	s_or_b64 vcc, vcc, s[0:1]
	v_cndmask_b32_e32 v2, v4, v2, vcc
	v_cmp_class_f32_e32 vcc, v3, v1
	v_cndmask_b32_e32 v1, v2, v4, vcc
	v_cmp_u_f32_e32 vcc, v3, v3
	v_cndmask_b32_e32 v2, v1, v3, vcc
	v_mov_b32_e32 v1, s25
	s_and_b32 s14, s73, 0xff
	v_add_co_u32_e32 v0, vcc, s24, v0
	s_cmp_lt_i32 s14, 11
	v_addc_co_u32_e32 v1, vcc, 0, v1, vcc
	s_cbranch_scc1 .LBB144_71
; %bb.64:
	s_and_b32 s15, 0xffff, s14
	s_cmp_gt_i32 s15, 25
	s_cbranch_scc0 .LBB144_74
; %bb.65:
	s_cmp_gt_i32 s15, 28
	s_cbranch_scc0 .LBB144_76
; %bb.66:
	;; [unrolled: 3-line block ×4, first 2 shown]
	s_mov_b64 s[10:11], 0
	s_mov_b64 s[0:1], -1
	s_cmp_eq_u32 s15, 46
	s_mov_b64 s[2:3], 0
	s_cbranch_scc0 .LBB144_85
; %bb.69:
	v_bfe_u32 v3, v2, 16, 1
	s_movk_i32 s0, 0x7fff
	v_add3_u32 v3, v2, v3, s0
	v_cmp_o_f32_e32 vcc, v2, v2
	v_mov_b32_e32 v4, 0x7fc0
	v_cndmask_b32_sdwa v3, v4, v3, vcc dst_sel:DWORD dst_unused:UNUSED_PAD src0_sel:DWORD src1_sel:WORD_1
	global_store_dword v[0:1], v3, off
	s_mov_b64 s[2:3], -1
	s_mov_b64 s[0:1], 0
	s_branch .LBB144_85
.LBB144_70:
	s_mov_b64 s[8:9], 0
	s_mov_b64 s[0:1], 0
                                        ; implicit-def: $vgpr3
	s_cbranch_execnz .LBB144_219
	s_branch .LBB144_253
.LBB144_71:
	s_mov_b64 s[0:1], 0
	s_mov_b64 s[2:3], 0
	s_cbranch_execnz .LBB144_154
.LBB144_72:
	s_andn2_b64 vcc, exec, s[2:3]
	s_cbranch_vccnz .LBB144_302
	s_branch .LBB144_192
.LBB144_73:
	s_mov_b64 s[2:3], -1
	s_mov_b64 s[8:9], 0
	s_mov_b64 s[0:1], 0
                                        ; implicit-def: $vgpr3
	s_branch .LBB144_200
.LBB144_74:
	s_mov_b64 s[10:11], -1
	s_mov_b64 s[0:1], 0
	s_mov_b64 s[2:3], 0
	s_branch .LBB144_112
.LBB144_75:
	s_mov_b64 s[2:3], -1
	s_mov_b64 s[8:9], 0
	s_mov_b64 s[0:1], 0
                                        ; implicit-def: $vgpr3
	s_branch .LBB144_195
.LBB144_76:
	s_mov_b64 s[10:11], -1
	s_mov_b64 s[0:1], 0
	s_mov_b64 s[2:3], 0
	s_branch .LBB144_95
.LBB144_77:
	s_mov_b64 s[2:3], -1
	s_mov_b64 s[8:9], 0
	s_branch .LBB144_80
.LBB144_78:
	s_mov_b64 s[10:11], -1
	s_mov_b64 s[0:1], 0
	s_mov_b64 s[2:3], 0
	s_branch .LBB144_91
.LBB144_79:
	s_mov_b64 s[8:9], -1
.LBB144_80:
	s_mov_b64 s[0:1], 0
                                        ; implicit-def: $vgpr3
.LBB144_81:
	s_and_b64 vcc, exec, s[2:3]
	s_cbranch_vccz .LBB144_194
; %bb.82:
	s_cmp_eq_u32 s12, 44
	s_cbranch_scc0 .LBB144_193
; %bb.83:
	global_load_ubyte v3, v[1:2], off
	s_movk_i32 s2, 0xff
	v_mov_b32_e32 v4, 0x7f800001
	v_mov_b32_e32 v5, 0x400000
	s_mov_b64 s[0:1], -1
	s_mov_b64 s[8:9], 0
	s_waitcnt vmcnt(0)
	v_lshlrev_b32_e32 v6, 23, v3
	v_cmp_ne_u32_e32 vcc, s2, v3
	v_cndmask_b32_e32 v4, v4, v6, vcc
	v_cmp_ne_u32_e32 vcc, 0, v3
	v_cndmask_b32_e32 v3, v5, v4, vcc
	s_branch .LBB144_194
.LBB144_84:
	s_mov_b64 s[10:11], -1
	s_mov_b64 s[0:1], 0
	s_mov_b64 s[2:3], 0
.LBB144_85:
	s_and_b64 vcc, exec, s[10:11]
	s_cbranch_vccz .LBB144_90
; %bb.86:
	s_cmp_eq_u32 s15, 44
	s_mov_b64 s[0:1], -1
	s_cbranch_scc0 .LBB144_90
; %bb.87:
	v_bfe_u32 v3, v2, 23, 8
	s_movk_i32 s0, 0xff
	v_cmp_ne_u32_e32 vcc, s0, v3
	v_mov_b32_e32 v4, 0xff
	s_and_saveexec_b64 s[2:3], vcc
; %bb.88:
	s_mov_b32 s0, 0x3fffff
	v_and_b32_e32 v5, 0x400000, v2
	v_and_or_b32 v3, v2, s0, v3
	v_cmp_ne_u32_e32 vcc, 0, v5
	v_cmp_ne_u32_e64 s[0:1], 0, v3
	s_and_b64 s[0:1], vcc, s[0:1]
	v_lshrrev_b32_e32 v4, 23, v2
	v_cndmask_b32_e64 v3, 0, 1, s[0:1]
	v_add_u32_e32 v4, v4, v3
; %bb.89:
	s_or_b64 exec, exec, s[2:3]
	s_mov_b64 s[2:3], -1
	s_mov_b64 s[0:1], 0
	global_store_byte v[0:1], v4, off
.LBB144_90:
	s_mov_b64 s[10:11], 0
.LBB144_91:
	s_and_b64 vcc, exec, s[10:11]
	s_cbranch_vccz .LBB144_94
; %bb.92:
	s_cmp_eq_u32 s15, 29
	s_mov_b64 s[0:1], -1
	s_cbranch_scc0 .LBB144_94
; %bb.93:
	v_trunc_f32_e32 v3, v2
	v_mul_f32_e32 v4, 0x2f800000, v3
	v_floor_f32_e32 v5, v4
	v_fmac_f32_e32 v3, 0xcf800000, v5
	v_cvt_u32_f32_e32 v4, v5
	v_cvt_u32_f32_e32 v3, v3
	s_mov_b64 s[2:3], -1
	s_mov_b64 s[0:1], 0
	s_mov_b64 s[10:11], 0
	global_store_dwordx2 v[0:1], v[3:4], off
	s_branch .LBB144_95
.LBB144_94:
	s_mov_b64 s[10:11], 0
.LBB144_95:
	s_and_b64 vcc, exec, s[10:11]
	s_cbranch_vccz .LBB144_111
; %bb.96:
	s_cmp_lt_i32 s15, 27
	s_mov_b64 s[2:3], -1
	s_cbranch_scc1 .LBB144_102
; %bb.97:
	v_cvt_u32_f32_e32 v3, v2
	s_cmp_gt_i32 s15, 27
	s_cbranch_scc0 .LBB144_99
; %bb.98:
	s_mov_b64 s[2:3], 0
	global_store_dword v[0:1], v3, off
.LBB144_99:
	s_andn2_b64 vcc, exec, s[2:3]
	s_cbranch_vccnz .LBB144_101
; %bb.100:
	global_store_short v[0:1], v3, off
.LBB144_101:
	s_mov_b64 s[2:3], 0
.LBB144_102:
	s_andn2_b64 vcc, exec, s[2:3]
	s_cbranch_vccnz .LBB144_110
; %bb.103:
	v_and_b32_e32 v3, 0x7fffffff, v2
	s_mov_b32 s2, 0x43800000
	v_cmp_gt_u32_e32 vcc, s2, v3
	v_mov_b32_e32 v4, 0x80
	s_and_saveexec_b64 s[2:3], vcc
	s_cbranch_execz .LBB144_109
; %bb.104:
	s_mov_b32 s10, 0x3bffffff
	v_cmp_lt_u32_e32 vcc, s10, v3
	s_mov_b64 s[10:11], 0
                                        ; implicit-def: $vgpr3
	s_and_saveexec_b64 s[12:13], vcc
	s_xor_b64 s[12:13], exec, s[12:13]
	s_cbranch_execz .LBB144_383
; %bb.105:
	v_bfe_u32 v3, v2, 20, 1
	s_mov_b32 s16, 0x487ffff
	v_add3_u32 v3, v2, v3, s16
	s_mov_b64 s[10:11], exec
	v_lshrrev_b32_e32 v3, 20, v3
	s_andn2_saveexec_b64 s[12:13], s[12:13]
	s_cbranch_execnz .LBB144_384
.LBB144_106:
	s_or_b64 exec, exec, s[12:13]
	v_mov_b32_e32 v4, 0
	s_and_saveexec_b64 s[12:13], s[10:11]
.LBB144_107:
	v_lshrrev_b32_e32 v4, 24, v2
	s_movk_i32 s10, 0x80
	v_and_or_b32 v4, v4, s10, v3
.LBB144_108:
	s_or_b64 exec, exec, s[12:13]
.LBB144_109:
	s_or_b64 exec, exec, s[2:3]
	global_store_byte v[0:1], v4, off
.LBB144_110:
	s_mov_b64 s[2:3], -1
.LBB144_111:
	s_mov_b64 s[10:11], 0
.LBB144_112:
	s_and_b64 vcc, exec, s[10:11]
	s_cbranch_vccz .LBB144_153
; %bb.113:
	s_cmp_gt_i32 s15, 22
	s_mov_b64 s[10:11], -1
	s_cbranch_scc0 .LBB144_145
; %bb.114:
	s_cmp_lt_i32 s15, 24
	s_mov_b64 s[2:3], -1
	s_cbranch_scc1 .LBB144_134
; %bb.115:
	s_cmp_gt_i32 s15, 24
	s_cbranch_scc0 .LBB144_123
; %bb.116:
	v_and_b32_e32 v3, 0x7fffffff, v2
	s_mov_b32 s2, 0x47800000
	v_cmp_gt_u32_e32 vcc, s2, v3
	v_mov_b32_e32 v4, 0x80
	s_and_saveexec_b64 s[2:3], vcc
	s_cbranch_execz .LBB144_122
; %bb.117:
	s_mov_b32 s10, 0x37ffffff
	v_cmp_lt_u32_e32 vcc, s10, v3
	s_mov_b64 s[10:11], 0
                                        ; implicit-def: $vgpr3
	s_and_saveexec_b64 s[12:13], vcc
	s_xor_b64 s[12:13], exec, s[12:13]
	s_cbranch_execz .LBB144_387
; %bb.118:
	v_bfe_u32 v3, v2, 21, 1
	s_mov_b32 s16, 0x88fffff
	v_add3_u32 v3, v2, v3, s16
	s_mov_b64 s[10:11], exec
	v_lshrrev_b32_e32 v3, 21, v3
	s_andn2_saveexec_b64 s[12:13], s[12:13]
	s_cbranch_execnz .LBB144_388
.LBB144_119:
	s_or_b64 exec, exec, s[12:13]
	v_mov_b32_e32 v4, 0
	s_and_saveexec_b64 s[12:13], s[10:11]
.LBB144_120:
	v_lshrrev_b32_e32 v4, 24, v2
	s_movk_i32 s10, 0x80
	v_and_or_b32 v4, v4, s10, v3
.LBB144_121:
	s_or_b64 exec, exec, s[12:13]
.LBB144_122:
	s_or_b64 exec, exec, s[2:3]
	s_mov_b64 s[2:3], 0
	global_store_byte v[0:1], v4, off
.LBB144_123:
	s_and_b64 vcc, exec, s[2:3]
	s_cbranch_vccz .LBB144_133
; %bb.124:
	v_and_b32_e32 v4, 0x7fffffff, v2
	s_mov_b32 s2, 0x43f00000
	v_cmp_gt_u32_e32 vcc, s2, v4
                                        ; implicit-def: $vgpr3
	s_and_saveexec_b64 s[2:3], vcc
	s_xor_b64 s[2:3], exec, s[2:3]
	s_cbranch_execz .LBB144_130
; %bb.125:
	s_mov_b32 s10, 0x3c7fffff
	v_cmp_lt_u32_e32 vcc, s10, v4
                                        ; implicit-def: $vgpr3
	s_and_saveexec_b64 s[10:11], vcc
	s_xor_b64 s[10:11], exec, s[10:11]
; %bb.126:
	v_bfe_u32 v3, v2, 20, 1
	s_mov_b32 s12, 0x407ffff
	v_add3_u32 v3, v2, v3, s12
	v_lshrrev_b32_e32 v4, 20, v3
	v_and_b32_e32 v3, 0xff00000, v3
	s_mov_b32 s12, 0x7f00000
	v_mov_b32_e32 v5, 0x7e
	v_cmp_ne_u32_e32 vcc, s12, v3
	v_cndmask_b32_e32 v3, v5, v4, vcc
; %bb.127:
	s_andn2_saveexec_b64 s[10:11], s[10:11]
; %bb.128:
	s_mov_b32 s12, 0x46800000
	v_add_f32_e64 v3, |v2|, s12
; %bb.129:
	s_or_b64 exec, exec, s[10:11]
                                        ; implicit-def: $vgpr4
.LBB144_130:
	s_andn2_saveexec_b64 s[2:3], s[2:3]
; %bb.131:
	s_mov_b32 s10, 0x7f800000
	v_mov_b32_e32 v3, 0x7e
	v_mov_b32_e32 v5, 0x7f
	v_cmp_lt_u32_e32 vcc, s10, v4
	v_cndmask_b32_e32 v3, v3, v5, vcc
; %bb.132:
	s_or_b64 exec, exec, s[2:3]
	v_lshrrev_b32_e32 v4, 24, v2
	s_movk_i32 s2, 0x80
	v_and_or_b32 v3, v4, s2, v3
	global_store_byte v[0:1], v3, off
.LBB144_133:
	s_mov_b64 s[2:3], 0
.LBB144_134:
	s_andn2_b64 vcc, exec, s[2:3]
	s_cbranch_vccnz .LBB144_144
; %bb.135:
	v_and_b32_e32 v4, 0x7fffffff, v2
	s_mov_b32 s2, 0x47800000
	v_cmp_gt_u32_e32 vcc, s2, v4
                                        ; implicit-def: $vgpr3
	s_and_saveexec_b64 s[2:3], vcc
	s_xor_b64 s[2:3], exec, s[2:3]
	s_cbranch_execz .LBB144_141
; %bb.136:
	s_mov_b32 s10, 0x387fffff
	v_cmp_lt_u32_e32 vcc, s10, v4
                                        ; implicit-def: $vgpr3
	s_and_saveexec_b64 s[10:11], vcc
	s_xor_b64 s[10:11], exec, s[10:11]
; %bb.137:
	v_bfe_u32 v3, v2, 21, 1
	s_mov_b32 s12, 0x80fffff
	v_add3_u32 v3, v2, v3, s12
	v_lshrrev_b32_e32 v3, 21, v3
; %bb.138:
	s_andn2_saveexec_b64 s[10:11], s[10:11]
; %bb.139:
	s_mov_b32 s12, 0x43000000
	v_add_f32_e64 v3, |v2|, s12
; %bb.140:
	s_or_b64 exec, exec, s[10:11]
                                        ; implicit-def: $vgpr4
.LBB144_141:
	s_andn2_saveexec_b64 s[2:3], s[2:3]
; %bb.142:
	s_mov_b32 s10, 0x7f800000
	v_mov_b32_e32 v3, 0x7c
	v_mov_b32_e32 v5, 0x7f
	v_cmp_lt_u32_e32 vcc, s10, v4
	v_cndmask_b32_e32 v3, v3, v5, vcc
; %bb.143:
	s_or_b64 exec, exec, s[2:3]
	v_lshrrev_b32_e32 v4, 24, v2
	s_movk_i32 s2, 0x80
	v_and_or_b32 v3, v4, s2, v3
	global_store_byte v[0:1], v3, off
.LBB144_144:
	s_mov_b64 s[10:11], 0
	s_mov_b64 s[2:3], -1
.LBB144_145:
	s_andn2_b64 vcc, exec, s[10:11]
	s_cbranch_vccnz .LBB144_153
; %bb.146:
	s_cmp_gt_i32 s15, 14
	s_mov_b64 s[10:11], -1
	s_cbranch_scc0 .LBB144_150
; %bb.147:
	s_cmp_eq_u32 s15, 15
	s_mov_b64 s[0:1], -1
	s_cbranch_scc0 .LBB144_149
; %bb.148:
	v_bfe_u32 v3, v2, 16, 1
	s_movk_i32 s0, 0x7fff
	v_add3_u32 v3, v2, v3, s0
	v_cmp_o_f32_e32 vcc, v2, v2
	v_mov_b32_e32 v4, 0x7fc0
	v_cndmask_b32_sdwa v3, v4, v3, vcc dst_sel:DWORD dst_unused:UNUSED_PAD src0_sel:DWORD src1_sel:WORD_1
	global_store_short v[0:1], v3, off
	s_mov_b64 s[2:3], -1
	s_mov_b64 s[0:1], 0
.LBB144_149:
	s_mov_b64 s[10:11], 0
.LBB144_150:
	s_and_b64 vcc, exec, s[10:11]
	s_cbranch_vccz .LBB144_153
; %bb.151:
	s_cmp_eq_u32 s15, 11
	s_mov_b64 s[0:1], -1
	s_cbranch_scc0 .LBB144_153
; %bb.152:
	v_cmp_neq_f32_e32 vcc, 0, v2
	v_cndmask_b32_e64 v3, 0, 1, vcc
	s_mov_b64 s[2:3], -1
	s_mov_b64 s[0:1], 0
	global_store_byte v[0:1], v3, off
.LBB144_153:
	s_branch .LBB144_72
.LBB144_154:
	s_and_b32 s10, 0xffff, s14
	s_cmp_lt_i32 s10, 5
	s_mov_b64 s[2:3], -1
	s_cbranch_scc1 .LBB144_175
; %bb.155:
	s_cmp_lt_i32 s10, 8
	s_cbranch_scc1 .LBB144_165
; %bb.156:
	s_cmp_lt_i32 s10, 9
	s_cbranch_scc1 .LBB144_162
; %bb.157:
	s_cmp_gt_i32 s10, 9
	s_cbranch_scc0 .LBB144_159
; %bb.158:
	v_cvt_f64_f32_e32 v[3:4], v2
	v_mov_b32_e32 v5, 0
	v_mov_b32_e32 v6, v5
	s_mov_b64 s[2:3], 0
	global_store_dwordx4 v[0:1], v[3:6], off
.LBB144_159:
	s_andn2_b64 vcc, exec, s[2:3]
	s_cbranch_vccnz .LBB144_161
; %bb.160:
	v_mov_b32_e32 v3, 0
	global_store_dwordx2 v[0:1], v[2:3], off
.LBB144_161:
	s_mov_b64 s[2:3], 0
.LBB144_162:
	s_andn2_b64 vcc, exec, s[2:3]
	s_cbranch_vccnz .LBB144_164
; %bb.163:
	v_cvt_f16_f32_e32 v3, v2
	global_store_dword v[0:1], v3, off
.LBB144_164:
	s_mov_b64 s[2:3], 0
.LBB144_165:
	s_andn2_b64 vcc, exec, s[2:3]
	s_cbranch_vccnz .LBB144_174
; %bb.166:
	s_cmp_lt_i32 s10, 6
	s_mov_b64 s[2:3], -1
	s_cbranch_scc1 .LBB144_172
; %bb.167:
	s_cmp_gt_i32 s10, 6
	s_cbranch_scc0 .LBB144_169
; %bb.168:
	v_cvt_f64_f32_e32 v[3:4], v2
	s_mov_b64 s[2:3], 0
	global_store_dwordx2 v[0:1], v[3:4], off
.LBB144_169:
	s_andn2_b64 vcc, exec, s[2:3]
	s_cbranch_vccnz .LBB144_171
; %bb.170:
	global_store_dword v[0:1], v2, off
.LBB144_171:
	s_mov_b64 s[2:3], 0
.LBB144_172:
	s_andn2_b64 vcc, exec, s[2:3]
	s_cbranch_vccnz .LBB144_174
; %bb.173:
	v_cvt_f16_f32_e32 v3, v2
	global_store_short v[0:1], v3, off
.LBB144_174:
	s_mov_b64 s[2:3], 0
.LBB144_175:
	s_andn2_b64 vcc, exec, s[2:3]
	s_cbranch_vccnz .LBB144_191
; %bb.176:
	s_cmp_lt_i32 s10, 2
	s_mov_b64 s[2:3], -1
	s_cbranch_scc1 .LBB144_186
; %bb.177:
	s_cmp_lt_i32 s10, 3
	s_cbranch_scc1 .LBB144_183
; %bb.178:
	s_cmp_gt_i32 s10, 3
	s_cbranch_scc0 .LBB144_180
; %bb.179:
	v_trunc_f32_e32 v3, v2
	s_mov_b32 s2, 0x2f800000
	v_mul_f32_e64 v4, |v3|, s2
	v_floor_f32_e32 v4, v4
	s_mov_b32 s2, 0xcf800000
	v_cvt_u32_f32_e32 v5, v4
	v_fma_f32 v4, v4, s2, |v3|
	v_cvt_u32_f32_e32 v4, v4
	v_ashrrev_i32_e32 v6, 31, v3
	v_xor_b32_e32 v5, v5, v6
	s_mov_b64 s[2:3], 0
	v_xor_b32_e32 v3, v4, v6
	v_sub_co_u32_e32 v3, vcc, v3, v6
	v_subb_co_u32_e32 v4, vcc, v5, v6, vcc
	global_store_dwordx2 v[0:1], v[3:4], off
.LBB144_180:
	s_andn2_b64 vcc, exec, s[2:3]
	s_cbranch_vccnz .LBB144_182
; %bb.181:
	v_cvt_i32_f32_e32 v3, v2
	global_store_dword v[0:1], v3, off
.LBB144_182:
	s_mov_b64 s[2:3], 0
.LBB144_183:
	s_andn2_b64 vcc, exec, s[2:3]
	s_cbranch_vccnz .LBB144_185
; %bb.184:
	v_cvt_i32_f32_e32 v3, v2
	global_store_short v[0:1], v3, off
.LBB144_185:
	s_mov_b64 s[2:3], 0
.LBB144_186:
	s_andn2_b64 vcc, exec, s[2:3]
	s_cbranch_vccnz .LBB144_191
; %bb.187:
	s_cmp_gt_i32 s10, 0
	s_mov_b64 s[2:3], -1
	s_cbranch_scc0 .LBB144_189
; %bb.188:
	v_cvt_i32_f32_e32 v3, v2
	s_mov_b64 s[2:3], 0
	global_store_byte v[0:1], v3, off
.LBB144_189:
	s_andn2_b64 vcc, exec, s[2:3]
	s_cbranch_vccnz .LBB144_191
; %bb.190:
	v_trunc_f32_e32 v2, v2
	s_mov_b32 s2, 0x2f800000
	v_mul_f32_e64 v3, |v2|, s2
	v_floor_f32_e32 v3, v3
	s_mov_b32 s2, 0xcf800000
	v_fma_f32 v3, v3, s2, |v2|
	v_cvt_u32_f32_e32 v3, v3
	v_ashrrev_i32_e32 v2, 31, v2
	v_xor_b32_e32 v3, v3, v2
	v_sub_u32_e32 v2, v3, v2
	global_store_byte v[0:1], v2, off
.LBB144_191:
.LBB144_192:
	v_add_u32_e32 v8, 0x80, v8
	s_mov_b64 s[2:3], -1
	s_branch .LBB144_303
.LBB144_193:
	s_mov_b64 s[8:9], -1
                                        ; implicit-def: $vgpr3
.LBB144_194:
	s_mov_b64 s[2:3], 0
.LBB144_195:
	s_and_b64 vcc, exec, s[2:3]
	s_cbranch_vccz .LBB144_199
; %bb.196:
	s_cmp_eq_u32 s12, 29
	s_cbranch_scc0 .LBB144_198
; %bb.197:
	global_load_dwordx2 v[3:4], v[1:2], off
	s_mov_b64 s[0:1], -1
	s_mov_b64 s[8:9], 0
	s_mov_b64 s[2:3], 0
	s_waitcnt vmcnt(0)
	v_ffbh_u32_e32 v5, v4
	v_min_u32_e32 v5, 32, v5
	v_lshlrev_b64 v[3:4], v5, v[3:4]
	v_min_u32_e32 v3, 1, v3
	v_or_b32_e32 v3, v4, v3
	v_cvt_f32_u32_e32 v3, v3
	v_sub_u32_e32 v4, 32, v5
	v_ldexp_f32 v3, v3, v4
	s_branch .LBB144_200
.LBB144_198:
	s_mov_b64 s[8:9], -1
                                        ; implicit-def: $vgpr3
.LBB144_199:
	s_mov_b64 s[2:3], 0
.LBB144_200:
	s_and_b64 vcc, exec, s[2:3]
	s_cbranch_vccz .LBB144_218
; %bb.201:
	s_cmp_lt_i32 s12, 27
	s_cbranch_scc1 .LBB144_204
; %bb.202:
	s_cmp_gt_i32 s12, 27
	s_cbranch_scc0 .LBB144_205
; %bb.203:
	global_load_dword v3, v[1:2], off
	s_mov_b64 s[0:1], 0
	s_waitcnt vmcnt(0)
	v_cvt_f32_u32_e32 v3, v3
	s_branch .LBB144_206
.LBB144_204:
	s_mov_b64 s[0:1], -1
                                        ; implicit-def: $vgpr3
	s_branch .LBB144_209
.LBB144_205:
	s_mov_b64 s[0:1], -1
                                        ; implicit-def: $vgpr3
.LBB144_206:
	s_andn2_b64 vcc, exec, s[0:1]
	s_cbranch_vccnz .LBB144_208
; %bb.207:
	global_load_ushort v3, v[1:2], off
	s_waitcnt vmcnt(0)
	v_cvt_f32_u32_e32 v3, v3
.LBB144_208:
	s_mov_b64 s[0:1], 0
.LBB144_209:
	s_andn2_b64 vcc, exec, s[0:1]
	s_cbranch_vccnz .LBB144_217
; %bb.210:
	global_load_ubyte v4, v[1:2], off
	s_movk_i32 s0, 0x7f
	s_waitcnt vmcnt(0)
	v_cmp_lt_i16_e32 vcc, s0, v4
	s_mov_b64 s[0:1], 0
	s_and_saveexec_b64 s[2:3], vcc
	s_xor_b64 s[2:3], exec, s[2:3]
	s_cbranch_execz .LBB144_230
; %bb.211:
	s_movk_i32 s0, 0x80
	v_cmp_eq_u16_e32 vcc, s0, v4
	s_mov_b64 s[0:1], -1
	s_and_saveexec_b64 s[10:11], vcc
; %bb.212:
	s_xor_b64 s[0:1], exec, -1
; %bb.213:
	s_or_b64 exec, exec, s[10:11]
	s_and_b64 s[0:1], s[0:1], exec
	s_or_saveexec_b64 s[2:3], s[2:3]
	v_mov_b32_e32 v3, 0x7f800001
	s_xor_b64 exec, exec, s[2:3]
	s_cbranch_execnz .LBB144_231
.LBB144_214:
	s_or_b64 exec, exec, s[2:3]
	s_and_saveexec_b64 s[2:3], s[0:1]
	s_cbranch_execz .LBB144_216
.LBB144_215:
	v_lshlrev_b32_e32 v3, 24, v4
	v_and_b32_e32 v4, 0xffff, v4
	v_and_b32_e32 v5, 7, v4
	v_ffbh_u32_e32 v7, v5
	v_min_u32_e32 v7, 32, v7
	v_subrev_u32_e32 v9, 28, v7
	v_bfe_u32 v6, v4, 3, 4
	v_lshlrev_b32_e32 v4, v9, v4
	v_sub_u32_e32 v7, 29, v7
	v_and_b32_e32 v4, 7, v4
	v_cmp_eq_u32_e32 vcc, 0, v6
	v_cndmask_b32_e32 v6, v6, v7, vcc
	v_cndmask_b32_e32 v4, v5, v4, vcc
	v_mov_b32_e32 v5, 0x3b800000
	v_lshlrev_b32_e32 v4, 20, v4
	v_and_b32_e32 v3, 0x80000000, v3
	v_lshl_add_u32 v5, v6, 23, v5
	v_or3_b32 v3, v3, v5, v4
.LBB144_216:
	s_or_b64 exec, exec, s[2:3]
.LBB144_217:
	s_mov_b64 s[0:1], -1
.LBB144_218:
	s_branch .LBB144_253
.LBB144_219:
	s_cmp_gt_i32 s12, 22
	s_cbranch_scc0 .LBB144_229
; %bb.220:
	s_cmp_lt_i32 s12, 24
	s_cbranch_scc1 .LBB144_232
; %bb.221:
	s_cmp_gt_i32 s12, 24
	s_cbranch_scc0 .LBB144_233
; %bb.222:
	global_load_ubyte v4, v[1:2], off
	s_movk_i32 s0, 0x7f
	s_waitcnt vmcnt(0)
	v_cmp_lt_i16_e32 vcc, s0, v4
	s_mov_b64 s[0:1], 0
	s_and_saveexec_b64 s[2:3], vcc
	s_xor_b64 s[2:3], exec, s[2:3]
	s_cbranch_execz .LBB144_245
; %bb.223:
	s_movk_i32 s0, 0x80
	v_cmp_eq_u16_e32 vcc, s0, v4
	s_mov_b64 s[0:1], -1
	s_and_saveexec_b64 s[10:11], vcc
; %bb.224:
	s_xor_b64 s[0:1], exec, -1
; %bb.225:
	s_or_b64 exec, exec, s[10:11]
	s_and_b64 s[0:1], s[0:1], exec
	s_or_saveexec_b64 s[2:3], s[2:3]
	v_mov_b32_e32 v3, 0x7f800001
	s_xor_b64 exec, exec, s[2:3]
	s_cbranch_execnz .LBB144_246
.LBB144_226:
	s_or_b64 exec, exec, s[2:3]
	s_and_saveexec_b64 s[2:3], s[0:1]
	s_cbranch_execz .LBB144_228
.LBB144_227:
	v_lshlrev_b32_e32 v3, 24, v4
	v_and_b32_e32 v4, 0xffff, v4
	v_and_b32_e32 v5, 3, v4
	v_ffbh_u32_e32 v7, v5
	v_min_u32_e32 v7, 32, v7
	v_subrev_u32_e32 v9, 29, v7
	v_bfe_u32 v6, v4, 2, 5
	v_lshlrev_b32_e32 v4, v9, v4
	v_sub_u32_e32 v7, 30, v7
	v_and_b32_e32 v4, 3, v4
	v_cmp_eq_u32_e32 vcc, 0, v6
	v_cndmask_b32_e32 v6, v6, v7, vcc
	v_cndmask_b32_e32 v4, v5, v4, vcc
	v_mov_b32_e32 v5, 0x37800000
	v_lshlrev_b32_e32 v4, 21, v4
	v_and_b32_e32 v3, 0x80000000, v3
	v_lshl_add_u32 v5, v6, 23, v5
	v_or3_b32 v3, v3, v5, v4
.LBB144_228:
	s_or_b64 exec, exec, s[2:3]
	s_mov_b64 s[0:1], 0
	s_branch .LBB144_234
.LBB144_229:
	s_mov_b64 s[2:3], -1
                                        ; implicit-def: $vgpr3
	s_branch .LBB144_240
.LBB144_230:
	s_or_saveexec_b64 s[2:3], s[2:3]
	v_mov_b32_e32 v3, 0x7f800001
	s_xor_b64 exec, exec, s[2:3]
	s_cbranch_execz .LBB144_214
.LBB144_231:
	v_cmp_ne_u16_e32 vcc, 0, v4
	s_andn2_b64 s[0:1], s[0:1], exec
	s_and_b64 s[10:11], vcc, exec
	v_mov_b32_e32 v3, 0
	s_or_b64 s[0:1], s[0:1], s[10:11]
	s_or_b64 exec, exec, s[2:3]
	s_and_saveexec_b64 s[2:3], s[0:1]
	s_cbranch_execnz .LBB144_215
	s_branch .LBB144_216
.LBB144_232:
	s_mov_b64 s[0:1], -1
                                        ; implicit-def: $vgpr3
	s_branch .LBB144_237
.LBB144_233:
	s_mov_b64 s[0:1], -1
                                        ; implicit-def: $vgpr3
.LBB144_234:
	s_and_b64 vcc, exec, s[0:1]
	s_cbranch_vccz .LBB144_236
; %bb.235:
	global_load_ubyte v3, v[1:2], off
	s_mov_b32 s0, 0x7f800000
	s_waitcnt vmcnt(0)
	v_lshlrev_b32_e32 v3, 24, v3
	v_and_b32_e32 v4, 0x7f000000, v3
	v_ffbh_u32_e32 v5, v4
	v_min_u32_e32 v5, 32, v5
	v_sub_u32_e64 v5, v5, 4 clamp
	v_lshlrev_b32_e32 v7, v5, v4
	v_lshlrev_b32_e32 v5, 23, v5
	v_lshrrev_b32_e32 v7, 4, v7
	v_add_u32_e32 v6, 0x1000000, v4
	v_sub_u32_e32 v5, v7, v5
	v_ashrrev_i32_e32 v6, 8, v6
	v_add_u32_e32 v5, 0x3c000000, v5
	v_and_or_b32 v5, v6, s0, v5
	v_cmp_ne_u32_e32 vcc, 0, v4
	v_cndmask_b32_e32 v4, 0, v5, vcc
	s_brev_b32 s0, 1
	v_and_or_b32 v3, v3, s0, v4
.LBB144_236:
	s_mov_b64 s[0:1], 0
.LBB144_237:
	s_andn2_b64 vcc, exec, s[0:1]
	s_cbranch_vccnz .LBB144_239
; %bb.238:
	global_load_ubyte v3, v[1:2], off
	s_movk_i32 s0, 0x7f00
	s_brev_b32 s1, 16
	s_waitcnt vmcnt(0)
	v_lshlrev_b16_e32 v4, 8, v3
	v_lshlrev_b32_e32 v3, 25, v3
	v_lshrrev_b32_e32 v5, 4, v3
	v_and_or_b32 v6, v4, s0, 0.5
	v_or_b32_e32 v5, 0x70000000, v5
	v_add_f32_e32 v6, -0.5, v6
	v_mul_f32_e32 v5, 0x7800000, v5
	v_cmp_gt_u32_e32 vcc, s1, v3
	v_bfe_i32 v4, v4, 0, 16
	v_cndmask_b32_e32 v3, v5, v6, vcc
	s_brev_b32 s0, 1
	v_and_or_b32 v3, v4, s0, v3
.LBB144_239:
	s_mov_b64 s[2:3], 0
	s_mov_b64 s[0:1], -1
.LBB144_240:
	s_andn2_b64 vcc, exec, s[2:3]
	s_cbranch_vccnz .LBB144_253
; %bb.241:
	s_cmp_gt_i32 s12, 14
	s_cbranch_scc0 .LBB144_244
; %bb.242:
	s_cmp_eq_u32 s12, 15
	s_cbranch_scc0 .LBB144_247
; %bb.243:
	global_load_ushort v3, v[1:2], off
	s_mov_b64 s[0:1], -1
	s_mov_b64 s[8:9], 0
	s_waitcnt vmcnt(0)
	v_lshlrev_b32_e32 v3, 16, v3
	s_branch .LBB144_248
.LBB144_244:
	s_mov_b64 s[2:3], -1
                                        ; implicit-def: $vgpr3
	s_branch .LBB144_249
.LBB144_245:
	s_or_saveexec_b64 s[2:3], s[2:3]
	v_mov_b32_e32 v3, 0x7f800001
	s_xor_b64 exec, exec, s[2:3]
	s_cbranch_execz .LBB144_226
.LBB144_246:
	v_cmp_ne_u16_e32 vcc, 0, v4
	s_andn2_b64 s[0:1], s[0:1], exec
	s_and_b64 s[10:11], vcc, exec
	v_mov_b32_e32 v3, 0
	s_or_b64 s[0:1], s[0:1], s[10:11]
	s_or_b64 exec, exec, s[2:3]
	s_and_saveexec_b64 s[2:3], s[0:1]
	s_cbranch_execnz .LBB144_227
	s_branch .LBB144_228
.LBB144_247:
	s_mov_b64 s[8:9], -1
                                        ; implicit-def: $vgpr3
.LBB144_248:
	s_mov_b64 s[2:3], 0
.LBB144_249:
	s_and_b64 vcc, exec, s[2:3]
	s_cbranch_vccz .LBB144_253
; %bb.250:
	s_cmp_eq_u32 s12, 11
	s_cbranch_scc0 .LBB144_252
; %bb.251:
	global_load_ubyte v3, v[1:2], off
	s_mov_b64 s[0:1], -1
	s_mov_b64 s[8:9], 0
	s_waitcnt vmcnt(0)
	v_cmp_ne_u16_e32 vcc, 0, v3
	v_cndmask_b32_e64 v3, 0, 1.0, vcc
	s_branch .LBB144_253
.LBB144_252:
	s_mov_b64 s[8:9], -1
                                        ; implicit-def: $vgpr3
.LBB144_253:
	s_branch .LBB144_24
.LBB144_254:
	s_cmp_lt_i32 s12, 5
	s_cbranch_scc1 .LBB144_259
; %bb.255:
	s_cmp_lt_i32 s12, 8
	s_cbranch_scc1 .LBB144_260
; %bb.256:
	;; [unrolled: 3-line block ×3, first 2 shown]
	s_cmp_gt_i32 s12, 9
	s_cbranch_scc0 .LBB144_262
; %bb.258:
	global_load_dwordx2 v[3:4], v[1:2], off
	s_mov_b64 s[0:1], 0
	s_waitcnt vmcnt(0)
	v_cvt_f32_f64_e32 v3, v[3:4]
	s_branch .LBB144_263
.LBB144_259:
                                        ; implicit-def: $vgpr3
	s_branch .LBB144_281
.LBB144_260:
	s_mov_b64 s[0:1], -1
                                        ; implicit-def: $vgpr3
	s_branch .LBB144_269
.LBB144_261:
	s_mov_b64 s[0:1], -1
                                        ; implicit-def: $vgpr3
	s_branch .LBB144_266
.LBB144_262:
	s_mov_b64 s[0:1], -1
                                        ; implicit-def: $vgpr3
.LBB144_263:
	s_andn2_b64 vcc, exec, s[0:1]
	s_cbranch_vccnz .LBB144_265
; %bb.264:
	global_load_dword v3, v[1:2], off
.LBB144_265:
	s_mov_b64 s[0:1], 0
.LBB144_266:
	s_andn2_b64 vcc, exec, s[0:1]
	s_cbranch_vccnz .LBB144_268
; %bb.267:
	global_load_dword v3, v[1:2], off
	s_waitcnt vmcnt(0)
	v_cvt_f32_f16_e32 v3, v3
.LBB144_268:
	s_mov_b64 s[0:1], 0
.LBB144_269:
	s_andn2_b64 vcc, exec, s[0:1]
	s_cbranch_vccnz .LBB144_280
; %bb.270:
	s_cmp_lt_i32 s12, 6
	s_cbranch_scc1 .LBB144_273
; %bb.271:
	s_cmp_gt_i32 s12, 6
	s_cbranch_scc0 .LBB144_274
; %bb.272:
	global_load_dwordx2 v[3:4], v[1:2], off
	s_mov_b64 s[0:1], 0
	s_waitcnt vmcnt(0)
	v_cvt_f32_f64_e32 v3, v[3:4]
	s_branch .LBB144_275
.LBB144_273:
	s_mov_b64 s[0:1], -1
                                        ; implicit-def: $vgpr3
	s_branch .LBB144_278
.LBB144_274:
	s_mov_b64 s[0:1], -1
                                        ; implicit-def: $vgpr3
.LBB144_275:
	s_andn2_b64 vcc, exec, s[0:1]
	s_cbranch_vccnz .LBB144_277
; %bb.276:
	global_load_dword v3, v[1:2], off
.LBB144_277:
	s_mov_b64 s[0:1], 0
.LBB144_278:
	s_andn2_b64 vcc, exec, s[0:1]
	s_cbranch_vccnz .LBB144_280
; %bb.279:
	global_load_ushort v3, v[1:2], off
	s_waitcnt vmcnt(0)
	v_cvt_f32_f16_e32 v3, v3
.LBB144_280:
	s_cbranch_execnz .LBB144_300
.LBB144_281:
	s_cmp_lt_i32 s12, 2
	s_cbranch_scc1 .LBB144_285
; %bb.282:
	s_cmp_lt_i32 s12, 3
	s_cbranch_scc1 .LBB144_286
; %bb.283:
	s_cmp_gt_i32 s12, 3
	s_cbranch_scc0 .LBB144_287
; %bb.284:
	global_load_dwordx2 v[3:4], v[1:2], off
	s_mov_b64 s[0:1], 0
	s_waitcnt vmcnt(0)
	v_xor_b32_e32 v6, v3, v4
	v_ffbh_i32_e32 v5, v4
	v_ashrrev_i32_e32 v6, 31, v6
	v_add_u32_e32 v5, -1, v5
	v_add_u32_e32 v6, 32, v6
	v_min_u32_e32 v5, v5, v6
	v_lshlrev_b64 v[3:4], v5, v[3:4]
	v_min_u32_e32 v3, 1, v3
	v_or_b32_e32 v3, v4, v3
	v_cvt_f32_i32_e32 v3, v3
	v_sub_u32_e32 v4, 32, v5
	v_ldexp_f32 v3, v3, v4
	s_branch .LBB144_288
.LBB144_285:
	s_mov_b64 s[0:1], -1
                                        ; implicit-def: $vgpr3
	s_branch .LBB144_294
.LBB144_286:
	s_mov_b64 s[0:1], -1
                                        ; implicit-def: $vgpr3
	s_branch .LBB144_291
.LBB144_287:
	s_mov_b64 s[0:1], -1
                                        ; implicit-def: $vgpr3
.LBB144_288:
	s_andn2_b64 vcc, exec, s[0:1]
	s_cbranch_vccnz .LBB144_290
; %bb.289:
	global_load_dword v3, v[1:2], off
	s_waitcnt vmcnt(0)
	v_cvt_f32_i32_e32 v3, v3
.LBB144_290:
	s_mov_b64 s[0:1], 0
.LBB144_291:
	s_andn2_b64 vcc, exec, s[0:1]
	s_cbranch_vccnz .LBB144_293
; %bb.292:
	global_load_sshort v3, v[1:2], off
	s_waitcnt vmcnt(0)
	v_cvt_f32_i32_e32 v3, v3
.LBB144_293:
	s_mov_b64 s[0:1], 0
.LBB144_294:
	s_andn2_b64 vcc, exec, s[0:1]
	s_cbranch_vccnz .LBB144_300
; %bb.295:
	s_cmp_gt_i32 s12, 0
	s_cbranch_scc0 .LBB144_297
; %bb.296:
	global_load_sbyte v3, v[1:2], off
	s_mov_b64 s[0:1], 0
	s_waitcnt vmcnt(0)
	v_cvt_f32_i32_e32 v3, v3
	s_branch .LBB144_298
.LBB144_297:
	s_mov_b64 s[0:1], -1
                                        ; implicit-def: $vgpr3
.LBB144_298:
	s_andn2_b64 vcc, exec, s[0:1]
	s_cbranch_vccnz .LBB144_300
; %bb.299:
	global_load_ubyte v1, v[1:2], off
	s_waitcnt vmcnt(0)
	v_cvt_f32_ubyte0_e32 v3, v1
.LBB144_300:
	s_branch .LBB144_25
.LBB144_301:
	s_mov_b64 s[0:1], 0
.LBB144_302:
	s_mov_b64 s[2:3], 0
                                        ; implicit-def: $vgpr8
.LBB144_303:
	s_and_b64 s[52:53], s[0:1], exec
	s_and_b64 s[54:55], s[8:9], exec
	s_orn2_b64 s[2:3], s[2:3], exec
.LBB144_304:
	s_or_b64 exec, exec, s[56:57]
	s_mov_b64 s[10:11], 0
	s_mov_b64 s[0:1], 0
                                        ; implicit-def: $vgpr1_vgpr2
                                        ; implicit-def: $vgpr0
                                        ; implicit-def: $vgpr4
	s_and_saveexec_b64 s[56:57], s[2:3]
	s_cbranch_execz .LBB144_311
; %bb.305:
	v_cmp_gt_i32_e32 vcc, s70, v8
	s_mov_b64 s[0:1], -1
	s_mov_b64 s[58:59], s[54:55]
	s_mov_b64 s[60:61], s[52:53]
	s_and_saveexec_b64 s[62:63], vcc
	s_cbranch_execz .LBB144_618
; %bb.306:
	s_andn2_b64 vcc, exec, s[40:41]
	s_cbranch_vccnz .LBB144_314
; %bb.307:
	s_andn2_b64 vcc, exec, s[50:51]
	s_cbranch_vccnz .LBB144_315
; %bb.308:
	s_add_i32 s65, s75, 1
	s_cmp_eq_u32 s72, 2
	s_cbranch_scc1 .LBB144_316
; %bb.309:
	s_and_b32 s64, s65, 28
	v_mov_b32_e32 v2, 0
	s_mov_b32 s66, 0
	s_mov_b64 s[58:59], s[34:35]
	s_mov_b64 s[60:61], s[48:49]
	v_mov_b32_e32 v0, 0
	v_mov_b32_e32 v1, v8
.LBB144_310:                            ; =>This Inner Loop Header: Depth=1
	s_load_dwordx8 s[16:23], s[58:59], 0x4
	s_load_dwordx4 s[0:3], s[58:59], 0x24
	s_load_dwordx8 s[8:15], s[60:61], 0x0
	s_add_u32 s58, s58, 48
	s_addc_u32 s59, s59, 0
	s_waitcnt vmcnt(0) lgkmcnt(0)
	v_mul_hi_u32 v3, s17, v1
	s_add_i32 s66, s66, 4
	s_add_u32 s60, s60, 32
	s_addc_u32 s61, s61, 0
	v_add_u32_e32 v3, v1, v3
	v_lshrrev_b32_e32 v3, s18, v3
	v_mul_lo_u32 v4, v3, s16
	v_mul_hi_u32 v5, s20, v3
	s_cmp_eq_u32 s64, s66
	v_sub_u32_e32 v1, v1, v4
	v_add_u32_e32 v4, v3, v5
	v_mul_lo_u32 v5, v1, s8
	v_mul_lo_u32 v6, v1, s9
	v_lshrrev_b32_e32 v1, s21, v4
	v_mul_lo_u32 v4, v1, s19
	v_mul_hi_u32 v7, s23, v1
	v_sub_u32_e32 v3, v3, v4
	v_add_u32_e32 v4, v1, v7
	v_lshrrev_b32_e32 v4, s0, v4
	v_mul_hi_u32 v9, s2, v4
	v_mul_lo_u32 v10, v4, s22
	v_mul_lo_u32 v7, v3, s10
	;; [unrolled: 1-line block ×3, first 2 shown]
	v_sub_u32_e32 v10, v1, v10
	v_add_u32_e32 v1, v4, v9
	v_lshrrev_b32_e32 v1, s3, v1
	v_mul_lo_u32 v9, v1, s1
	v_mul_lo_u32 v11, v10, s12
	;; [unrolled: 1-line block ×3, first 2 shown]
	v_add3_u32 v0, v5, v0, v7
	v_sub_u32_e32 v4, v4, v9
	v_mul_lo_u32 v9, v4, s14
	v_mul_lo_u32 v4, v4, s15
	v_add3_u32 v2, v6, v2, v3
	v_add3_u32 v0, v11, v0, v9
	;; [unrolled: 1-line block ×3, first 2 shown]
	s_cbranch_scc0 .LBB144_310
	s_branch .LBB144_317
.LBB144_311:
	s_or_b64 exec, exec, s[56:57]
	s_mov_b64 s[8:9], 0
	s_and_saveexec_b64 s[2:3], s[54:55]
	s_cbranch_execnz .LBB144_1032
.LBB144_312:
	s_or_b64 exec, exec, s[2:3]
	s_and_saveexec_b64 s[2:3], s[60:61]
	s_xor_b64 s[2:3], exec, s[2:3]
	s_cbranch_execz .LBB144_1033
.LBB144_313:
	global_load_ubyte v3, v[1:2], off
	s_or_b64 s[0:1], s[0:1], exec
	s_waitcnt vmcnt(0)
	v_cmp_ne_u16_e32 vcc, 0, v3
	v_cndmask_b32_e64 v4, 0, 1.0, vcc
	s_or_b64 exec, exec, s[2:3]
	s_and_saveexec_b64 s[2:3], s[10:11]
	s_cbranch_execz .LBB144_1079
	s_branch .LBB144_1034
.LBB144_314:
                                        ; implicit-def: $vgpr0
                                        ; implicit-def: $vgpr2
	s_andn2_b64 vcc, exec, s[0:1]
	s_cbranch_vccz .LBB144_321
	s_branch .LBB144_323
.LBB144_315:
	v_mov_b32_e32 v0, 0
	v_mov_b32_e32 v2, 0
	s_branch .LBB144_320
.LBB144_316:
	s_mov_b32 s64, 0
	v_mov_b32_e32 v0, 0
	v_mov_b32_e32 v2, 0
	;; [unrolled: 1-line block ×3, first 2 shown]
.LBB144_317:
	s_and_b32 s8, s65, 3
	s_cmp_eq_u32 s8, 0
	s_cbranch_scc1 .LBB144_320
; %bb.318:
	s_lshl_b32 s0, s64, 3
	s_add_u32 s0, s34, s0
	s_addc_u32 s1, s35, 0
	s_add_u32 s0, s0, 0xc4
	s_addc_u32 s1, s1, 0
	s_mul_i32 s2, s64, 12
	s_add_u32 s2, s34, s2
	s_addc_u32 s3, s35, 0
.LBB144_319:                            ; =>This Inner Loop Header: Depth=1
	s_load_dwordx2 s[10:11], s[2:3], 0x4
	s_load_dword s9, s[2:3], 0xc
	s_load_dwordx2 s[12:13], s[0:1], 0x0
	s_add_u32 s2, s2, 12
	s_addc_u32 s3, s3, 0
	s_waitcnt vmcnt(0) lgkmcnt(0)
	v_mul_hi_u32 v3, s11, v1
	s_add_u32 s0, s0, 8
	s_addc_u32 s1, s1, 0
	s_add_i32 s8, s8, -1
	v_add_u32_e32 v3, v1, v3
	v_lshrrev_b32_e32 v4, s9, v3
	v_mul_lo_u32 v3, v4, s10
	s_cmp_lg_u32 s8, 0
	v_sub_u32_e32 v3, v1, v3
	v_mad_u64_u32 v[0:1], s[10:11], v3, s12, v[0:1]
	v_mad_u64_u32 v[2:3], s[10:11], v3, s13, v[2:3]
	v_mov_b32_e32 v1, v4
	s_cbranch_scc1 .LBB144_319
.LBB144_320:
	s_cbranch_execnz .LBB144_323
.LBB144_321:
	s_waitcnt lgkmcnt(0)
	v_mul_hi_u32 v0, s37, v8
	s_andn2_b64 vcc, exec, s[46:47]
	v_add_u32_e32 v0, v8, v0
	v_lshrrev_b32_e32 v1, s38, v0
	v_mul_lo_u32 v0, v1, s36
	v_sub_u32_e32 v2, v8, v0
	v_mul_lo_u32 v0, v2, s28
	v_mul_lo_u32 v2, v2, s29
	s_cbranch_vccnz .LBB144_323
; %bb.322:
	s_waitcnt vmcnt(0)
	v_mul_hi_u32 v3, s44, v1
	v_add_u32_e32 v3, v1, v3
	v_lshrrev_b32_e32 v3, s45, v3
	v_mul_lo_u32 v3, v3, s39
	v_sub_u32_e32 v3, v1, v3
	v_mad_u64_u32 v[0:1], s[0:1], v3, s30, v[0:1]
	v_mad_u64_u32 v[2:3], s[0:1], v3, s31, v[2:3]
.LBB144_323:
	s_waitcnt vmcnt(0) lgkmcnt(0)
	v_mov_b32_e32 v3, s27
	s_and_b32 s12, 0xffff, s74
	v_add_co_u32_e32 v1, vcc, s26, v2
	s_cmp_lt_i32 s12, 11
	v_addc_co_u32_e32 v2, vcc, 0, v3, vcc
	s_cbranch_scc1 .LBB144_330
; %bb.324:
	s_cmp_gt_i32 s12, 25
	s_cbranch_scc0 .LBB144_377
; %bb.325:
	s_cmp_gt_i32 s12, 28
	s_cbranch_scc0 .LBB144_379
	;; [unrolled: 3-line block ×4, first 2 shown]
; %bb.328:
	s_cmp_eq_u32 s12, 46
	s_mov_b64 s[2:3], 0
	s_cbranch_scc0 .LBB144_389
; %bb.329:
	global_load_dword v3, v[1:2], off
	s_mov_b64 s[0:1], -1
	s_mov_b64 s[8:9], 0
	s_waitcnt vmcnt(0)
	v_lshlrev_b32_e32 v3, 16, v3
	s_branch .LBB144_390
.LBB144_330:
	s_mov_b64 s[0:1], 0
                                        ; implicit-def: $vgpr3
	s_mov_b64 s[8:9], s[54:55]
	s_cbranch_execnz .LBB144_567
.LBB144_331:
	s_andn2_b64 vcc, exec, s[0:1]
	s_cbranch_vccnz .LBB144_615
.LBB144_332:
	s_mov_b32 s0, 0x3c800000
	s_waitcnt vmcnt(0)
	v_and_b32_e32 v1, 0x7fffffff, v3
	v_cmp_nlt_f32_e64 s[0:1], |v3|, s0
                                        ; implicit-def: $vgpr2
	s_and_saveexec_b64 s[2:3], s[0:1]
	s_xor_b64 s[2:3], exec, s[2:3]
	s_cbranch_execz .LBB144_362
; %bb.333:
	v_cmp_nlt_f32_e64 s[0:1], |v3|, 2.0
                                        ; implicit-def: $vgpr2
	s_and_saveexec_b64 s[10:11], s[0:1]
	s_xor_b64 s[10:11], exec, s[10:11]
	s_cbranch_execz .LBB144_343
; %bb.334:
	s_mov_b32 s0, 0x41000000
	v_cmp_nlt_f32_e64 s[0:1], |v3|, s0
                                        ; implicit-def: $vgpr2
	s_and_saveexec_b64 s[12:13], s[0:1]
	s_xor_b64 s[12:13], exec, s[12:13]
	s_cbranch_execz .LBB144_340
; %bb.335:
	s_mov_b32 s0, 0x5c800000
	v_cmp_nlt_f32_e64 s[0:1], |v3|, s0
                                        ; implicit-def: $vgpr2
	s_and_saveexec_b64 s[14:15], s[0:1]
	s_xor_b64 s[14:15], exec, s[14:15]
	s_cbranch_execz .LBB144_337
; %bb.336:
	s_mov_b32 s0, 0x800000
	v_cmp_lt_f32_e64 vcc, |v3|, s0
	v_cndmask_b32_e64 v2, 0, 32, vcc
	v_ldexp_f32 v2, |v3|, v2
	v_log_f32_e32 v2, v2
	s_mov_b32 s0, 0x3f317217
	s_mov_b32 s1, 0x7f800000
	v_mul_f32_e32 v4, 0x3f317217, v2
	v_fma_f32 v5, v2, s0, -v4
	v_fmac_f32_e32 v5, 0x3377d1cf, v2
	v_add_f32_e32 v4, v4, v5
	v_cmp_lt_f32_e64 s[0:1], |v2|, s1
	v_cndmask_b32_e64 v2, v2, v4, s[0:1]
	v_mov_b32_e32 v4, 0x41b17218
	v_cndmask_b32_e32 v4, 0, v4, vcc
	v_sub_f32_e32 v2, v2, v4
	v_fma_f32 v2, |v3|, v2, -|v3|
.LBB144_337:
	s_andn2_saveexec_b64 s[14:15], s[14:15]
	s_cbranch_execz .LBB144_339
; %bb.338:
	v_rcp_f32_e64 v4, |v3|
	v_mov_b32_e32 v2, 0x3a5b3dd2
	v_mov_b32_e32 v5, 0xba1c065c
	;; [unrolled: 1-line block ×3, first 2 shown]
	v_mul_f32_e32 v7, v4, v4
	v_fmac_f32_e32 v2, 0xbad5c4e8, v7
	v_fmac_f32_e32 v5, v7, v2
	s_mov_b32 s0, 0x800000
	v_fmac_f32_e32 v6, v7, v5
	v_mov_b32_e32 v2, 0xbb360b61
	v_cmp_lt_f32_e64 vcc, |v3|, s0
	v_fmac_f32_e32 v2, v7, v6
	v_cndmask_b32_e64 v6, 0, 32, vcc
	v_ldexp_f32 v6, |v3|, v6
	v_log_f32_e32 v6, v6
	v_mov_b32_e32 v5, 0x3daaaaab
	v_fmac_f32_e32 v5, v7, v2
	v_mov_b32_e32 v2, 0x3ed67f1d
	v_fmac_f32_e32 v2, v4, v5
	s_mov_b32 s0, 0x3f317217
	v_mul_f32_e32 v5, 0x3f317217, v6
	v_fma_f32 v7, v6, s0, -v5
	v_fmac_f32_e32 v7, 0x3377d1cf, v6
	s_mov_b32 s0, 0x7f800000
	v_add_f32_e32 v5, v5, v7
	v_cmp_lt_f32_e64 s[0:1], |v6|, s0
	v_cndmask_b32_e64 v5, v6, v5, s[0:1]
	v_mov_b32_e32 v6, 0x41b17218
	v_cndmask_b32_e32 v6, 0, v6, vcc
	v_sub_f32_e32 v5, v5, v6
	v_add_f32_e64 v4, |v3|, -0.5
	v_add_f32_e32 v5, -1.0, v5
	v_fmac_f32_e32 v2, v4, v5
.LBB144_339:
	s_or_b64 exec, exec, s[14:15]
.LBB144_340:
	s_andn2_saveexec_b64 s[12:13], s[12:13]
	s_cbranch_execz .LBB144_342
; %bb.341:
	v_cvt_i32_f32_e32 v2, v1
	v_mov_b32_e32 v4, 0x3af135b4
	v_mov_b32_e32 v5, 0x3cda40e4
	;; [unrolled: 1-line block ×3, first 2 shown]
	v_cvt_f32_i32_e32 v7, v2
	v_mov_b32_e32 v9, 0x3ea6cc7a
	v_mov_b32_e32 v10, 0x3e5c245a
	v_cmp_lt_i32_e32 vcc, 2, v2
	v_sub_f32_e64 v7, |v3|, v7
	v_fmac_f32_e32 v4, 0x3805ff67, v7
	v_fmac_f32_e32 v5, v7, v4
	;; [unrolled: 1-line block ×3, first 2 shown]
	v_mov_b32_e32 v5, 0x3a4beed6
	v_fmac_f32_e32 v9, v7, v6
	v_fmac_f32_e32 v5, 0x36f5d7bd, v7
	v_mov_b32_e32 v6, 0x3c98bf54
	v_fmac_f32_e32 v6, v7, v5
	v_mov_b32_e32 v5, 0x3e300f6e
	;; [unrolled: 2-line block ×4, first 2 shown]
	v_fmac_f32_e32 v5, v7, v6
	v_add_f32_e32 v6, 2.0, v7
	v_mov_b32_e32 v11, 0xbd9e233f
	v_fmac_f32_e32 v10, v7, v9
	v_add_f32_e32 v9, 0x40400000, v7
	v_cndmask_b32_e32 v6, 1.0, v6, vcc
	v_cmp_lt_i32_e32 vcc, 3, v2
	v_fmac_f32_e32 v11, v7, v10
	v_add_f32_e32 v10, 4.0, v7
	v_cndmask_b32_e32 v9, 1.0, v9, vcc
	v_cmp_lt_i32_e32 vcc, 4, v2
	v_mul_f32_e32 v4, v7, v11
	v_add_f32_e32 v11, 0x40a00000, v7
	v_mul_f32_e32 v6, v6, v9
	v_cndmask_b32_e32 v9, 1.0, v10, vcc
	v_cmp_lt_i32_e32 vcc, 5, v2
	v_add_f32_e32 v12, 0x40c00000, v7
	v_mul_f32_e32 v6, v9, v6
	v_cndmask_b32_e32 v9, 1.0, v11, vcc
	v_cmp_lt_i32_e32 vcc, 6, v2
	v_mul_f32_e32 v6, v9, v6
	v_cndmask_b32_e32 v2, 1.0, v12, vcc
	v_mul_f32_e32 v2, v2, v6
	s_mov_b32 s0, 0x800000
	v_cmp_gt_f32_e32 vcc, s0, v2
	v_cndmask_b32_e64 v6, 0, 32, vcc
	v_fma_f32 v5, v7, v5, 1.0
	v_ldexp_f32 v2, v2, v6
	v_rcp_f32_e32 v5, v5
	v_log_f32_e32 v2, v2
	s_mov_b32 s0, 0x3f317217
	v_mul_f32_e32 v4, v4, v5
	v_mul_f32_e32 v5, 0x3f317217, v2
	v_fma_f32 v6, v2, s0, -v5
	v_fmac_f32_e32 v6, 0x3377d1cf, v2
	s_mov_b32 s0, 0x7f800000
	v_add_f32_e32 v5, v5, v6
	v_cmp_lt_f32_e64 s[0:1], |v2|, s0
	v_cndmask_b32_e64 v2, v2, v5, s[0:1]
	v_mov_b32_e32 v5, 0x41b17218
	v_cndmask_b32_e32 v5, 0, v5, vcc
	v_fmac_f32_e32 v4, 0.5, v7
	v_sub_f32_e32 v2, v2, v5
	v_add_f32_e32 v2, v2, v4
.LBB144_342:
	s_or_b64 exec, exec, s[12:13]
.LBB144_343:
	s_andn2_saveexec_b64 s[10:11], s[10:11]
	s_cbranch_execz .LBB144_361
; %bb.344:
	s_mov_b32 s0, 0x3f666666
	v_cmp_le_f32_e64 s[0:1], |v3|, s0
                                        ; implicit-def: $vgpr2
                                        ; implicit-def: $vgpr5
                                        ; implicit-def: $vgpr4
	s_and_saveexec_b64 s[12:13], s[0:1]
	s_xor_b64 s[12:13], exec, s[12:13]
	s_cbranch_execz .LBB144_346
; %bb.345:
	s_mov_b32 s0, 0x800000
	v_cmp_lt_f32_e64 vcc, |v3|, s0
	v_cndmask_b32_e64 v2, 0, 32, vcc
	v_ldexp_f32 v2, |v3|, v2
	v_log_f32_e32 v2, v2
	s_mov_b32 s0, 0x3f317217
	s_mov_b32 s1, 0x7f800000
	v_mul_f32_e32 v4, 0x3f317217, v2
	v_fma_f32 v5, v2, s0, -v4
	v_fmac_f32_e32 v5, 0x3377d1cf, v2
	v_add_f32_e32 v4, v4, v5
	v_cmp_lt_f32_e64 s[0:1], |v2|, s1
	v_cndmask_b32_e64 v2, v2, v4, s[0:1]
	v_mov_b32_e32 v4, 0x41b17218
	v_cndmask_b32_e32 v4, 0, v4, vcc
	s_mov_b32 s0, 0x3f3b4a23
	s_mov_b32 s1, 0xbeec5b0c
	v_sub_f32_e32 v2, v2, v4
	v_sub_f32_e64 v4, 1.0, |v3|
	v_add_f32_e64 v5, |v3|, s1
	v_cmp_lt_f32_e64 vcc, |v3|, s0
	s_mov_b32 s0, 0x3e6d3309
	v_cndmask_b32_e32 v4, v4, v5, vcc
	v_cndmask_b32_e64 v5, 0, 1, vcc
	v_cmp_lt_f32_e64 s[0:1], |v3|, s0
	v_xor_b32_e32 v2, 0x80000000, v2
	v_cndmask_b32_e64 v4, v4, |v3|, s[0:1]
	v_cndmask_b32_e64 v5, v5, 2, s[0:1]
.LBB144_346:
	s_andn2_saveexec_b64 s[0:1], s[12:13]
	s_cbranch_execz .LBB144_348
; %bb.347:
	s_mov_b32 s12, 0x3fdda512
	s_mov_b32 s13, 0xbfbb16c3
	v_sub_f32_e64 v2, 2.0, |v3|
	v_add_f32_e64 v4, |v3|, s13
	v_cmp_lt_f32_e64 vcc, |v3|, s12
	v_cndmask_b32_e32 v4, v2, v4, vcc
	v_cndmask_b32_e64 v2, v2, 1.0, vcc
	v_cvt_i32_f32_e32 v2, v2
	s_mov_b32 s12, 0x3f9d70a4
	v_add_f32_e64 v5, |v3|, -1.0
	v_cmp_lt_f32_e64 vcc, |v3|, s12
	v_cndmask_b32_e32 v4, v4, v5, vcc
	v_cndmask_b32_e64 v5, v2, 2, vcc
	v_mov_b32_e32 v2, 0
.LBB144_348:
	s_or_b64 exec, exec, s[0:1]
	v_cmp_lt_i32_e32 vcc, 0, v5
	s_and_saveexec_b64 s[0:1], vcc
	s_xor_b64 s[0:1], exec, s[0:1]
	s_cbranch_execz .LBB144_356
; %bb.349:
	v_cmp_lt_i32_e32 vcc, 1, v5
	s_and_saveexec_b64 s[12:13], vcc
	s_xor_b64 s[12:13], exec, s[12:13]
	s_cbranch_execz .LBB144_353
; %bb.350:
	v_cmp_eq_u32_e32 vcc, 2, v5
	s_and_saveexec_b64 s[14:15], vcc
	s_cbranch_execz .LBB144_352
; %bb.351:
	v_mov_b32_e32 v5, 0x3e6a7578
	v_fmac_f32_e32 v5, 0x3c5b3c5e, v4
	v_mov_b32_e32 v6, 0x3f7a4bb2
	v_fmac_f32_e32 v6, v4, v5
	;; [unrolled: 2-line block ×8, first 2 shown]
	v_fma_f32 v5, v4, v7, 1.0
	v_rcp_f32_e32 v5, v5
	v_mov_b32_e32 v7, 0xbd9e233f
	v_fmac_f32_e32 v7, v4, v6
	v_mul_f32_e32 v6, v4, v7
	v_mul_f32_e32 v5, v6, v5
	v_fmac_f32_e32 v5, -0.5, v4
	v_add_f32_e32 v2, v2, v5
.LBB144_352:
	s_or_b64 exec, exec, s[14:15]
                                        ; implicit-def: $vgpr4
.LBB144_353:
	s_andn2_saveexec_b64 s[12:13], s[12:13]
	s_cbranch_execz .LBB144_355
; %bb.354:
	v_mul_f32_e32 v5, v4, v4
	v_mul_f32_e32 v6, v4, v5
	v_mov_b32_e32 v7, 0xbab7f476
	v_fmac_f32_e32 v7, 0x39a57b6b, v6
	v_mov_b32_e32 v9, 0x3bc7e707
	v_fmac_f32_e32 v9, v6, v7
	;; [unrolled: 2-line block ×12, first 2 shown]
	v_fmac_f32_e32 v10, v4, v11
	s_mov_b32 s14, 0xa2863e55
	v_fma_f32 v4, v6, -v10, s14
	v_fma_f32 v4, v5, v9, -v4
	v_add_f32_e32 v4, 0xbdf8cdce, v4
	v_add_f32_e32 v2, v2, v4
.LBB144_355:
	s_or_b64 exec, exec, s[12:13]
                                        ; implicit-def: $vgpr5
                                        ; implicit-def: $vgpr4
.LBB144_356:
	s_andn2_saveexec_b64 s[0:1], s[0:1]
	s_cbranch_execz .LBB144_360
; %bb.357:
	v_cmp_eq_u32_e32 vcc, 0, v5
	s_and_saveexec_b64 s[12:13], vcc
	s_cbranch_execz .LBB144_359
; %bb.358:
	v_mul_f32_e32 v5, v4, v4
	v_mov_b32_e32 v6, 0x39679767
	v_fmac_f32_e32 v6, 0x37d383a2, v5
	v_mov_b32_e32 v7, 0x3a9c54a1
	v_fmac_f32_e32 v7, v5, v6
	;; [unrolled: 2-line block ×10, first 2 shown]
	v_mul_f32_e32 v5, v5, v7
	v_fmac_f32_e32 v5, v4, v6
	v_fmac_f32_e32 v5, -0.5, v4
	v_add_f32_e32 v2, v2, v5
.LBB144_359:
	s_or_b64 exec, exec, s[12:13]
.LBB144_360:
	s_or_b64 exec, exec, s[0:1]
.LBB144_361:
	s_or_b64 exec, exec, s[10:11]
.LBB144_362:
	s_andn2_saveexec_b64 s[2:3], s[2:3]
	s_cbranch_execz .LBB144_364
; %bb.363:
	s_mov_b32 s0, 0x3e8a8991
	v_mov_b32_e32 v2, 0xbecd26ab
	v_fma_f32 v2, |v3|, s0, v2
	s_mov_b32 s0, 0x3f528d33
	v_fma_f32 v2, |v3|, v2, s0
	s_mov_b32 s0, 0x800000
	v_cmp_lt_f32_e64 vcc, |v3|, s0
	v_cndmask_b32_e64 v4, 0, 32, vcc
	v_ldexp_f32 v4, |v3|, v4
	v_log_f32_e32 v4, v4
	s_mov_b32 s0, 0xbf13c468
	v_fma_f32 v2, |v3|, v2, s0
	s_mov_b32 s0, 0x3f317217
	v_mul_f32_e32 v5, 0x3f317217, v4
	v_fma_f32 v6, v4, s0, -v5
	v_fmac_f32_e32 v6, 0x3377d1cf, v4
	s_mov_b32 s0, 0x7f800000
	v_add_f32_e32 v5, v5, v6
	v_cmp_lt_f32_e64 s[0:1], |v4|, s0
	v_cndmask_b32_e64 v4, v4, v5, s[0:1]
	v_mov_b32_e32 v5, 0x41b17218
	v_cndmask_b32_e32 v5, 0, v5, vcc
	v_sub_f32_e32 v4, v4, v5
	v_fma_f32 v2, |v3|, v2, -v4
.LBB144_364:
	s_or_b64 exec, exec, s[2:3]
	v_cmp_le_f32_e32 vcc, 0, v3
	v_cmp_nle_f32_e64 s[0:1], 0, v3
	s_and_saveexec_b64 s[2:3], s[0:1]
	s_xor_b64 s[10:11], exec, s[2:3]
	s_cbranch_execz .LBB144_368
; %bb.365:
	s_mov_b32 s0, 0x4b000000
	s_mov_b32 s2, 0x35000000
	v_cmp_lt_f32_e64 s[0:1], |v3|, s0
	v_cmp_gt_f32_e64 s[2:3], |v3|, s2
	s_and_b64 s[0:1], s[0:1], s[2:3]
	s_and_saveexec_b64 s[12:13], s[0:1]
	s_cbranch_execz .LBB144_367
; %bb.366:
	v_mul_f32_e64 v4, |v3|, 0.5
	v_floor_f32_e32 v5, v4
	v_sub_f32_e32 v5, v4, v5
	v_min_f32_e32 v5, 0x3f7fffff, v5
	s_mov_b32 s2, 0x7f800000
	v_add_f32_e32 v5, v5, v5
	v_cmp_neq_f32_e64 s[0:1], s2, v4
	v_cndmask_b32_e64 v4, 0, v5, s[0:1]
	v_cmp_gt_f32_e64 s[0:1], |v3|, 1.0
	v_cndmask_b32_e64 v4, |v3|, v4, s[0:1]
	v_add_f32_e32 v5, v4, v4
	v_rndne_f32_e32 v5, v5
	v_fmac_f32_e32 v4, -0.5, v5
	v_mul_f32_e32 v6, v4, v4
	v_mov_b32_e32 v7, 0xbf1f24be
	v_fmac_f32_e32 v7, 0x3e75aa41, v6
	v_mov_b32_e32 v9, 0x40234736
	v_fmac_f32_e32 v9, v6, v7
	;; [unrolled: 2-line block ×3, first 2 shown]
	v_mul_f32_e32 v9, v4, v6
	v_mul_f32_e32 v7, v9, v7
	v_fmac_f32_e32 v7, 0x40490fdb, v4
	v_mov_b32_e32 v4, 0x3e642e9d
	v_cvt_i32_f32_e32 v5, v5
	v_fmac_f32_e32 v4, 0x3d4be544, v6
	v_mov_b32_e32 v9, 0xbfaad1da
	v_fmac_f32_e32 v9, v6, v4
	v_mov_b32_e32 v4, 0x4081e0d3
	;; [unrolled: 2-line block ×3, first 2 shown]
	v_fmac_f32_e32 v9, v6, v4
	v_fma_f32 v4, v6, v9, 1.0
	v_and_b32_e32 v6, 1, v5
	v_lshlrev_b32_e32 v5, 30, v5
	v_cmp_eq_u32_e64 s[0:1], 0, v6
	v_and_b32_e32 v5, 0x80000000, v5
	v_xor_b32_e32 v1, v1, v3
	v_cndmask_b32_e64 v4, v4, v7, s[0:1]
	v_xor_b32_e32 v1, v1, v5
	v_xor_b32_e32 v1, v1, v4
	v_mul_f32_e32 v1, v3, v1
	v_frexp_mant_f32_e64 v4, |v1|
	v_rcp_f32_e32 v4, v4
	v_frexp_exp_i32_f32_e32 v1, v1
	v_sub_u32_e32 v1, 2, v1
	s_mov_b32 s0, 0x800000
	v_mul_f32_e32 v4, 0x3f490fdb, v4
	v_ldexp_f32 v1, v4, v1
	v_cmp_gt_f32_e64 s[0:1], s0, v1
	v_cndmask_b32_e64 v4, 0, 32, s[0:1]
	v_ldexp_f32 v1, v1, v4
	v_log_f32_e32 v1, v1
	s_mov_b32 s3, 0x3f317217
	v_mul_f32_e32 v4, 0x3f317217, v1
	v_fma_f32 v5, v1, s3, -v4
	v_fmac_f32_e32 v5, 0x3377d1cf, v1
	v_add_f32_e32 v4, v4, v5
	v_cmp_lt_f32_e64 s[2:3], |v1|, s2
	v_cndmask_b32_e64 v1, v1, v4, s[2:3]
	v_mov_b32_e32 v4, 0x41b17218
	v_cndmask_b32_e64 v4, 0, v4, s[0:1]
	v_sub_f32_e32 v1, v1, v4
	v_sub_f32_e32 v1, v1, v2
	v_floor_f32_e32 v2, v3
	v_sub_f32_e32 v2, v3, v2
	v_min_f32_e32 v2, 0x3f7fffff, v2
	v_mov_b32_e32 v4, 0x7f800000
	v_cmp_neq_f32_e64 s[0:1], 0, v2
	v_cndmask_b32_e64 v2, v4, v1, s[0:1]
.LBB144_367:
	s_or_b64 exec, exec, s[12:13]
.LBB144_368:
	s_andn2_saveexec_b64 s[10:11], s[10:11]
; %bb.369:
	v_cmp_eq_f32_e64 s[0:1], 1.0, v3
	v_cmp_eq_f32_e64 s[2:3], 2.0, v3
	s_or_b64 s[0:1], s[0:1], s[2:3]
	v_cndmask_b32_e64 v2, v2, 0, s[0:1]
; %bb.370:
	s_or_b64 exec, exec, s[10:11]
	s_mov_b32 s0, 0x4b000000
	v_cmp_lt_f32_e64 s[0:1], |v3|, s0
	v_mov_b32_e32 v1, 0x264
	v_mov_b32_e32 v4, 0x7f800000
	s_or_b64 vcc, vcc, s[0:1]
	v_cndmask_b32_e32 v2, v4, v2, vcc
	v_cmp_class_f32_e32 vcc, v3, v1
	v_cndmask_b32_e32 v1, v2, v4, vcc
	v_cmp_u_f32_e32 vcc, v3, v3
	v_cndmask_b32_e32 v2, v1, v3, vcc
	v_mov_b32_e32 v1, s25
	s_and_b32 s14, s73, 0xff
	v_add_co_u32_e32 v0, vcc, s24, v0
	s_cmp_lt_i32 s14, 11
	v_addc_co_u32_e32 v1, vcc, 0, v1, vcc
	s_cbranch_scc1 .LBB144_378
; %bb.371:
	s_and_b32 s15, 0xffff, s14
	s_cmp_gt_i32 s15, 25
	s_cbranch_scc0 .LBB144_380
; %bb.372:
	s_cmp_gt_i32 s15, 28
	s_cbranch_scc0 .LBB144_382
; %bb.373:
	;; [unrolled: 3-line block ×4, first 2 shown]
	s_mov_b64 s[10:11], 0
	s_mov_b64 s[0:1], -1
	s_cmp_eq_u32 s15, 46
	s_mov_b64 s[2:3], 0
	s_cbranch_scc0 .LBB144_394
; %bb.376:
	v_bfe_u32 v3, v2, 16, 1
	s_movk_i32 s0, 0x7fff
	v_add3_u32 v3, v2, v3, s0
	v_cmp_o_f32_e32 vcc, v2, v2
	v_mov_b32_e32 v4, 0x7fc0
	v_cndmask_b32_sdwa v3, v4, v3, vcc dst_sel:DWORD dst_unused:UNUSED_PAD src0_sel:DWORD src1_sel:WORD_1
	global_store_dword v[0:1], v3, off
	s_mov_b64 s[2:3], -1
	s_mov_b64 s[0:1], 0
	s_branch .LBB144_394
.LBB144_377:
	s_mov_b64 s[2:3], -1
	s_mov_b64 s[0:1], 0
	s_mov_b64 s[8:9], s[54:55]
                                        ; implicit-def: $vgpr3
	s_branch .LBB144_531
.LBB144_378:
	s_mov_b64 s[10:11], -1
	s_mov_b64 s[2:3], 0
	s_mov_b64 s[0:1], s[52:53]
	s_branch .LBB144_463
.LBB144_379:
	s_mov_b64 s[2:3], -1
	s_mov_b64 s[0:1], 0
	s_mov_b64 s[8:9], s[54:55]
                                        ; implicit-def: $vgpr3
	s_branch .LBB144_512
.LBB144_380:
	s_mov_b64 s[10:11], -1
	s_mov_b64 s[2:3], 0
	s_mov_b64 s[0:1], s[52:53]
	s_branch .LBB144_421
.LBB144_381:
	s_mov_b64 s[2:3], -1
	s_mov_b64 s[0:1], 0
	s_mov_b64 s[8:9], s[54:55]
                                        ; implicit-def: $vgpr3
	s_branch .LBB144_507
.LBB144_382:
	s_mov_b64 s[10:11], -1
	s_mov_b64 s[2:3], 0
	s_mov_b64 s[0:1], s[52:53]
	s_branch .LBB144_404
.LBB144_383:
	s_andn2_saveexec_b64 s[12:13], s[12:13]
	s_cbranch_execz .LBB144_106
.LBB144_384:
	s_mov_b32 s16, 0x46000000
	v_add_f32_e64 v3, |v2|, s16
	v_and_b32_e32 v3, 0xff, v3
	v_cmp_ne_u32_e32 vcc, 0, v3
	s_andn2_b64 s[10:11], s[10:11], exec
	s_and_b64 s[16:17], vcc, exec
	s_or_b64 s[10:11], s[10:11], s[16:17]
	s_or_b64 exec, exec, s[12:13]
	v_mov_b32_e32 v4, 0
	s_and_saveexec_b64 s[12:13], s[10:11]
	s_cbranch_execnz .LBB144_107
	s_branch .LBB144_108
.LBB144_385:
	s_mov_b64 s[2:3], -1
	s_mov_b64 s[0:1], 0
	s_mov_b64 s[8:9], s[54:55]
                                        ; implicit-def: $vgpr3
	s_branch .LBB144_390
.LBB144_386:
	s_mov_b64 s[10:11], -1
	s_mov_b64 s[2:3], 0
	s_mov_b64 s[0:1], s[52:53]
	s_branch .LBB144_400
.LBB144_387:
	s_andn2_saveexec_b64 s[12:13], s[12:13]
	s_cbranch_execz .LBB144_119
.LBB144_388:
	s_mov_b32 s16, 0x42800000
	v_add_f32_e64 v3, |v2|, s16
	v_and_b32_e32 v3, 0xff, v3
	v_cmp_ne_u32_e32 vcc, 0, v3
	s_andn2_b64 s[10:11], s[10:11], exec
	s_and_b64 s[16:17], vcc, exec
	s_or_b64 s[10:11], s[10:11], s[16:17]
	s_or_b64 exec, exec, s[12:13]
	v_mov_b32_e32 v4, 0
	s_and_saveexec_b64 s[12:13], s[10:11]
	s_cbranch_execnz .LBB144_120
	s_branch .LBB144_121
.LBB144_389:
	s_mov_b64 s[8:9], -1
                                        ; implicit-def: $vgpr3
	s_mov_b64 s[0:1], 0
.LBB144_390:
	s_and_b64 vcc, exec, s[2:3]
	s_cbranch_vccz .LBB144_506
; %bb.391:
	s_cmp_eq_u32 s12, 44
	s_cbranch_scc0 .LBB144_505
; %bb.392:
	global_load_ubyte v3, v[1:2], off
	s_movk_i32 s2, 0xff
	v_mov_b32_e32 v4, 0x7f800001
	v_mov_b32_e32 v5, 0x400000
	s_mov_b64 s[0:1], -1
	s_mov_b64 s[8:9], 0
	s_waitcnt vmcnt(0)
	v_lshlrev_b32_e32 v6, 23, v3
	v_cmp_ne_u32_e32 vcc, s2, v3
	v_cndmask_b32_e32 v4, v4, v6, vcc
	v_cmp_ne_u32_e32 vcc, 0, v3
	v_cndmask_b32_e32 v3, v5, v4, vcc
	s_branch .LBB144_506
.LBB144_393:
	s_mov_b64 s[10:11], -1
	s_mov_b64 s[2:3], 0
	s_mov_b64 s[0:1], s[52:53]
.LBB144_394:
	s_and_b64 vcc, exec, s[10:11]
	s_cbranch_vccz .LBB144_399
; %bb.395:
	s_cmp_eq_u32 s15, 44
	s_mov_b64 s[0:1], -1
	s_cbranch_scc0 .LBB144_399
; %bb.396:
	v_bfe_u32 v3, v2, 23, 8
	s_movk_i32 s0, 0xff
	v_cmp_ne_u32_e32 vcc, s0, v3
	v_mov_b32_e32 v4, 0xff
	s_and_saveexec_b64 s[2:3], vcc
; %bb.397:
	s_mov_b32 s0, 0x3fffff
	v_and_b32_e32 v5, 0x400000, v2
	v_and_or_b32 v3, v2, s0, v3
	v_cmp_ne_u32_e32 vcc, 0, v5
	v_cmp_ne_u32_e64 s[0:1], 0, v3
	s_and_b64 s[0:1], vcc, s[0:1]
	v_lshrrev_b32_e32 v4, 23, v2
	v_cndmask_b32_e64 v3, 0, 1, s[0:1]
	v_add_u32_e32 v4, v4, v3
; %bb.398:
	s_or_b64 exec, exec, s[2:3]
	s_mov_b64 s[2:3], -1
	s_mov_b64 s[0:1], 0
	global_store_byte v[0:1], v4, off
.LBB144_399:
	s_mov_b64 s[10:11], 0
.LBB144_400:
	s_and_b64 vcc, exec, s[10:11]
	s_cbranch_vccz .LBB144_403
; %bb.401:
	s_cmp_eq_u32 s15, 29
	s_mov_b64 s[0:1], -1
	s_cbranch_scc0 .LBB144_403
; %bb.402:
	v_trunc_f32_e32 v3, v2
	v_mul_f32_e32 v4, 0x2f800000, v3
	v_floor_f32_e32 v5, v4
	v_fmac_f32_e32 v3, 0xcf800000, v5
	v_cvt_u32_f32_e32 v4, v5
	v_cvt_u32_f32_e32 v3, v3
	s_mov_b64 s[2:3], -1
	s_mov_b64 s[0:1], 0
	s_mov_b64 s[10:11], 0
	global_store_dwordx2 v[0:1], v[3:4], off
	s_branch .LBB144_404
.LBB144_403:
	s_mov_b64 s[10:11], 0
.LBB144_404:
	s_and_b64 vcc, exec, s[10:11]
	s_cbranch_vccz .LBB144_420
; %bb.405:
	s_cmp_lt_i32 s15, 27
	s_mov_b64 s[2:3], -1
	s_cbranch_scc1 .LBB144_411
; %bb.406:
	v_cvt_u32_f32_e32 v3, v2
	s_cmp_gt_i32 s15, 27
	s_cbranch_scc0 .LBB144_408
; %bb.407:
	s_mov_b64 s[2:3], 0
	global_store_dword v[0:1], v3, off
.LBB144_408:
	s_andn2_b64 vcc, exec, s[2:3]
	s_cbranch_vccnz .LBB144_410
; %bb.409:
	global_store_short v[0:1], v3, off
.LBB144_410:
	s_mov_b64 s[2:3], 0
.LBB144_411:
	s_andn2_b64 vcc, exec, s[2:3]
	s_cbranch_vccnz .LBB144_419
; %bb.412:
	v_and_b32_e32 v3, 0x7fffffff, v2
	s_mov_b32 s2, 0x43800000
	v_cmp_gt_u32_e32 vcc, s2, v3
	v_mov_b32_e32 v4, 0x80
	s_and_saveexec_b64 s[2:3], vcc
	s_cbranch_execz .LBB144_418
; %bb.413:
	s_mov_b32 s10, 0x3bffffff
	v_cmp_lt_u32_e32 vcc, s10, v3
	s_mov_b64 s[10:11], 0
                                        ; implicit-def: $vgpr3
	s_and_saveexec_b64 s[12:13], vcc
	s_xor_b64 s[12:13], exec, s[12:13]
	s_cbranch_execz .LBB144_646
; %bb.414:
	v_bfe_u32 v3, v2, 20, 1
	s_mov_b32 s16, 0x487ffff
	v_add3_u32 v3, v2, v3, s16
	s_mov_b64 s[10:11], exec
	v_lshrrev_b32_e32 v3, 20, v3
	s_andn2_saveexec_b64 s[12:13], s[12:13]
	s_cbranch_execnz .LBB144_647
.LBB144_415:
	s_or_b64 exec, exec, s[12:13]
	v_mov_b32_e32 v4, 0
	s_and_saveexec_b64 s[12:13], s[10:11]
.LBB144_416:
	v_lshrrev_b32_e32 v4, 24, v2
	s_movk_i32 s10, 0x80
	v_and_or_b32 v4, v4, s10, v3
.LBB144_417:
	s_or_b64 exec, exec, s[12:13]
.LBB144_418:
	s_or_b64 exec, exec, s[2:3]
	global_store_byte v[0:1], v4, off
.LBB144_419:
	s_mov_b64 s[2:3], -1
.LBB144_420:
	s_mov_b64 s[10:11], 0
.LBB144_421:
	s_and_b64 vcc, exec, s[10:11]
	s_cbranch_vccz .LBB144_462
; %bb.422:
	s_cmp_gt_i32 s15, 22
	s_mov_b64 s[10:11], -1
	s_cbranch_scc0 .LBB144_454
; %bb.423:
	s_cmp_lt_i32 s15, 24
	s_mov_b64 s[2:3], -1
	s_cbranch_scc1 .LBB144_443
; %bb.424:
	s_cmp_gt_i32 s15, 24
	s_cbranch_scc0 .LBB144_432
; %bb.425:
	v_and_b32_e32 v3, 0x7fffffff, v2
	s_mov_b32 s2, 0x47800000
	v_cmp_gt_u32_e32 vcc, s2, v3
	v_mov_b32_e32 v4, 0x80
	s_and_saveexec_b64 s[2:3], vcc
	s_cbranch_execz .LBB144_431
; %bb.426:
	s_mov_b32 s10, 0x37ffffff
	v_cmp_lt_u32_e32 vcc, s10, v3
	s_mov_b64 s[10:11], 0
                                        ; implicit-def: $vgpr3
	s_and_saveexec_b64 s[12:13], vcc
	s_xor_b64 s[12:13], exec, s[12:13]
	s_cbranch_execz .LBB144_649
; %bb.427:
	v_bfe_u32 v3, v2, 21, 1
	s_mov_b32 s16, 0x88fffff
	v_add3_u32 v3, v2, v3, s16
	s_mov_b64 s[10:11], exec
	v_lshrrev_b32_e32 v3, 21, v3
	s_andn2_saveexec_b64 s[12:13], s[12:13]
	s_cbranch_execnz .LBB144_650
.LBB144_428:
	s_or_b64 exec, exec, s[12:13]
	v_mov_b32_e32 v4, 0
	s_and_saveexec_b64 s[12:13], s[10:11]
.LBB144_429:
	v_lshrrev_b32_e32 v4, 24, v2
	s_movk_i32 s10, 0x80
	v_and_or_b32 v4, v4, s10, v3
.LBB144_430:
	s_or_b64 exec, exec, s[12:13]
.LBB144_431:
	s_or_b64 exec, exec, s[2:3]
	s_mov_b64 s[2:3], 0
	global_store_byte v[0:1], v4, off
.LBB144_432:
	s_and_b64 vcc, exec, s[2:3]
	s_cbranch_vccz .LBB144_442
; %bb.433:
	v_and_b32_e32 v4, 0x7fffffff, v2
	s_mov_b32 s2, 0x43f00000
	v_cmp_gt_u32_e32 vcc, s2, v4
                                        ; implicit-def: $vgpr3
	s_and_saveexec_b64 s[2:3], vcc
	s_xor_b64 s[2:3], exec, s[2:3]
	s_cbranch_execz .LBB144_439
; %bb.434:
	s_mov_b32 s10, 0x3c7fffff
	v_cmp_lt_u32_e32 vcc, s10, v4
                                        ; implicit-def: $vgpr3
	s_and_saveexec_b64 s[10:11], vcc
	s_xor_b64 s[10:11], exec, s[10:11]
; %bb.435:
	v_bfe_u32 v3, v2, 20, 1
	s_mov_b32 s12, 0x407ffff
	v_add3_u32 v3, v2, v3, s12
	v_lshrrev_b32_e32 v4, 20, v3
	v_and_b32_e32 v3, 0xff00000, v3
	s_mov_b32 s12, 0x7f00000
	v_mov_b32_e32 v5, 0x7e
	v_cmp_ne_u32_e32 vcc, s12, v3
	v_cndmask_b32_e32 v3, v5, v4, vcc
; %bb.436:
	s_andn2_saveexec_b64 s[10:11], s[10:11]
; %bb.437:
	s_mov_b32 s12, 0x46800000
	v_add_f32_e64 v3, |v2|, s12
; %bb.438:
	s_or_b64 exec, exec, s[10:11]
                                        ; implicit-def: $vgpr4
.LBB144_439:
	s_andn2_saveexec_b64 s[2:3], s[2:3]
; %bb.440:
	s_mov_b32 s10, 0x7f800000
	v_mov_b32_e32 v3, 0x7e
	v_mov_b32_e32 v5, 0x7f
	v_cmp_lt_u32_e32 vcc, s10, v4
	v_cndmask_b32_e32 v3, v3, v5, vcc
; %bb.441:
	s_or_b64 exec, exec, s[2:3]
	v_lshrrev_b32_e32 v4, 24, v2
	s_movk_i32 s2, 0x80
	v_and_or_b32 v3, v4, s2, v3
	global_store_byte v[0:1], v3, off
.LBB144_442:
	s_mov_b64 s[2:3], 0
.LBB144_443:
	s_andn2_b64 vcc, exec, s[2:3]
	s_cbranch_vccnz .LBB144_453
; %bb.444:
	v_and_b32_e32 v4, 0x7fffffff, v2
	s_mov_b32 s2, 0x47800000
	v_cmp_gt_u32_e32 vcc, s2, v4
                                        ; implicit-def: $vgpr3
	s_and_saveexec_b64 s[2:3], vcc
	s_xor_b64 s[2:3], exec, s[2:3]
	s_cbranch_execz .LBB144_450
; %bb.445:
	s_mov_b32 s10, 0x387fffff
	v_cmp_lt_u32_e32 vcc, s10, v4
                                        ; implicit-def: $vgpr3
	s_and_saveexec_b64 s[10:11], vcc
	s_xor_b64 s[10:11], exec, s[10:11]
; %bb.446:
	v_bfe_u32 v3, v2, 21, 1
	s_mov_b32 s12, 0x80fffff
	v_add3_u32 v3, v2, v3, s12
	v_lshrrev_b32_e32 v3, 21, v3
; %bb.447:
	s_andn2_saveexec_b64 s[10:11], s[10:11]
; %bb.448:
	s_mov_b32 s12, 0x43000000
	v_add_f32_e64 v3, |v2|, s12
; %bb.449:
	s_or_b64 exec, exec, s[10:11]
                                        ; implicit-def: $vgpr4
.LBB144_450:
	s_andn2_saveexec_b64 s[2:3], s[2:3]
; %bb.451:
	s_mov_b32 s10, 0x7f800000
	v_mov_b32_e32 v3, 0x7c
	v_mov_b32_e32 v5, 0x7f
	v_cmp_lt_u32_e32 vcc, s10, v4
	v_cndmask_b32_e32 v3, v3, v5, vcc
; %bb.452:
	s_or_b64 exec, exec, s[2:3]
	v_lshrrev_b32_e32 v4, 24, v2
	s_movk_i32 s2, 0x80
	v_and_or_b32 v3, v4, s2, v3
	global_store_byte v[0:1], v3, off
.LBB144_453:
	s_mov_b64 s[10:11], 0
	s_mov_b64 s[2:3], -1
.LBB144_454:
	s_andn2_b64 vcc, exec, s[10:11]
	s_cbranch_vccnz .LBB144_462
; %bb.455:
	s_cmp_gt_i32 s15, 14
	s_mov_b64 s[10:11], -1
	s_cbranch_scc0 .LBB144_459
; %bb.456:
	s_cmp_eq_u32 s15, 15
	s_mov_b64 s[0:1], -1
	s_cbranch_scc0 .LBB144_458
; %bb.457:
	v_bfe_u32 v3, v2, 16, 1
	s_movk_i32 s0, 0x7fff
	v_add3_u32 v3, v2, v3, s0
	v_cmp_o_f32_e32 vcc, v2, v2
	v_mov_b32_e32 v4, 0x7fc0
	v_cndmask_b32_sdwa v3, v4, v3, vcc dst_sel:DWORD dst_unused:UNUSED_PAD src0_sel:DWORD src1_sel:WORD_1
	global_store_short v[0:1], v3, off
	s_mov_b64 s[2:3], -1
	s_mov_b64 s[0:1], 0
.LBB144_458:
	s_mov_b64 s[10:11], 0
.LBB144_459:
	s_and_b64 vcc, exec, s[10:11]
	s_cbranch_vccz .LBB144_462
; %bb.460:
	s_cmp_eq_u32 s15, 11
	s_mov_b64 s[0:1], -1
	s_cbranch_scc0 .LBB144_462
; %bb.461:
	v_cmp_neq_f32_e32 vcc, 0, v2
	v_cndmask_b32_e64 v3, 0, 1, vcc
	s_mov_b64 s[2:3], -1
	s_mov_b64 s[0:1], 0
	global_store_byte v[0:1], v3, off
.LBB144_462:
	s_mov_b64 s[10:11], 0
.LBB144_463:
	s_and_b64 vcc, exec, s[10:11]
	s_cbranch_vccz .LBB144_502
; %bb.464:
	s_and_b32 s10, 0xffff, s14
	s_cmp_lt_i32 s10, 5
	s_mov_b64 s[2:3], -1
	s_cbranch_scc1 .LBB144_485
; %bb.465:
	s_cmp_lt_i32 s10, 8
	s_cbranch_scc1 .LBB144_475
; %bb.466:
	s_cmp_lt_i32 s10, 9
	s_cbranch_scc1 .LBB144_472
; %bb.467:
	s_cmp_gt_i32 s10, 9
	s_cbranch_scc0 .LBB144_469
; %bb.468:
	v_cvt_f64_f32_e32 v[3:4], v2
	v_mov_b32_e32 v5, 0
	v_mov_b32_e32 v6, v5
	s_mov_b64 s[2:3], 0
	global_store_dwordx4 v[0:1], v[3:6], off
.LBB144_469:
	s_andn2_b64 vcc, exec, s[2:3]
	s_cbranch_vccnz .LBB144_471
; %bb.470:
	v_mov_b32_e32 v3, 0
	global_store_dwordx2 v[0:1], v[2:3], off
.LBB144_471:
	s_mov_b64 s[2:3], 0
.LBB144_472:
	s_andn2_b64 vcc, exec, s[2:3]
	s_cbranch_vccnz .LBB144_474
; %bb.473:
	v_cvt_f16_f32_e32 v3, v2
	global_store_dword v[0:1], v3, off
.LBB144_474:
	s_mov_b64 s[2:3], 0
.LBB144_475:
	s_andn2_b64 vcc, exec, s[2:3]
	s_cbranch_vccnz .LBB144_484
; %bb.476:
	s_cmp_lt_i32 s10, 6
	s_mov_b64 s[2:3], -1
	s_cbranch_scc1 .LBB144_482
; %bb.477:
	s_cmp_gt_i32 s10, 6
	s_cbranch_scc0 .LBB144_479
; %bb.478:
	v_cvt_f64_f32_e32 v[3:4], v2
	s_mov_b64 s[2:3], 0
	global_store_dwordx2 v[0:1], v[3:4], off
.LBB144_479:
	s_andn2_b64 vcc, exec, s[2:3]
	s_cbranch_vccnz .LBB144_481
; %bb.480:
	global_store_dword v[0:1], v2, off
.LBB144_481:
	s_mov_b64 s[2:3], 0
.LBB144_482:
	s_andn2_b64 vcc, exec, s[2:3]
	s_cbranch_vccnz .LBB144_484
; %bb.483:
	v_cvt_f16_f32_e32 v3, v2
	global_store_short v[0:1], v3, off
.LBB144_484:
	s_mov_b64 s[2:3], 0
.LBB144_485:
	s_andn2_b64 vcc, exec, s[2:3]
	s_cbranch_vccnz .LBB144_501
; %bb.486:
	s_cmp_lt_i32 s10, 2
	s_mov_b64 s[2:3], -1
	s_cbranch_scc1 .LBB144_496
; %bb.487:
	s_cmp_lt_i32 s10, 3
	s_cbranch_scc1 .LBB144_493
; %bb.488:
	s_cmp_gt_i32 s10, 3
	s_cbranch_scc0 .LBB144_490
; %bb.489:
	v_trunc_f32_e32 v3, v2
	s_mov_b32 s2, 0x2f800000
	v_mul_f32_e64 v4, |v3|, s2
	v_floor_f32_e32 v4, v4
	s_mov_b32 s2, 0xcf800000
	v_cvt_u32_f32_e32 v5, v4
	v_fma_f32 v4, v4, s2, |v3|
	v_cvt_u32_f32_e32 v4, v4
	v_ashrrev_i32_e32 v6, 31, v3
	v_xor_b32_e32 v5, v5, v6
	s_mov_b64 s[2:3], 0
	v_xor_b32_e32 v3, v4, v6
	v_sub_co_u32_e32 v3, vcc, v3, v6
	v_subb_co_u32_e32 v4, vcc, v5, v6, vcc
	global_store_dwordx2 v[0:1], v[3:4], off
.LBB144_490:
	s_andn2_b64 vcc, exec, s[2:3]
	s_cbranch_vccnz .LBB144_492
; %bb.491:
	v_cvt_i32_f32_e32 v3, v2
	global_store_dword v[0:1], v3, off
.LBB144_492:
	s_mov_b64 s[2:3], 0
.LBB144_493:
	s_andn2_b64 vcc, exec, s[2:3]
	s_cbranch_vccnz .LBB144_495
; %bb.494:
	v_cvt_i32_f32_e32 v3, v2
	global_store_short v[0:1], v3, off
.LBB144_495:
	s_mov_b64 s[2:3], 0
.LBB144_496:
	s_andn2_b64 vcc, exec, s[2:3]
	s_cbranch_vccnz .LBB144_501
; %bb.497:
	s_cmp_gt_i32 s10, 0
	s_mov_b64 s[2:3], -1
	s_cbranch_scc0 .LBB144_499
; %bb.498:
	v_cvt_i32_f32_e32 v3, v2
	s_mov_b64 s[2:3], 0
	global_store_byte v[0:1], v3, off
.LBB144_499:
	s_andn2_b64 vcc, exec, s[2:3]
	s_cbranch_vccnz .LBB144_501
; %bb.500:
	v_trunc_f32_e32 v2, v2
	s_mov_b32 s2, 0x2f800000
	v_mul_f32_e64 v3, |v2|, s2
	v_floor_f32_e32 v3, v3
	s_mov_b32 s2, 0xcf800000
	v_fma_f32 v3, v3, s2, |v2|
	v_cvt_u32_f32_e32 v3, v3
	v_ashrrev_i32_e32 v2, 31, v2
	v_xor_b32_e32 v3, v3, v2
	v_sub_u32_e32 v2, v3, v2
	global_store_byte v[0:1], v2, off
.LBB144_501:
	s_mov_b64 s[2:3], -1
.LBB144_502:
	s_andn2_b64 vcc, exec, s[2:3]
	s_cbranch_vccnz .LBB144_504
; %bb.503:
	v_add_u32_e32 v8, 0x80, v8
	s_mov_b64 s[2:3], -1
	s_branch .LBB144_617
.LBB144_504:
	s_mov_b64 s[2:3], 0
	s_branch .LBB144_616
.LBB144_505:
	s_mov_b64 s[8:9], -1
                                        ; implicit-def: $vgpr3
.LBB144_506:
	s_mov_b64 s[2:3], 0
.LBB144_507:
	s_and_b64 vcc, exec, s[2:3]
	s_cbranch_vccz .LBB144_511
; %bb.508:
	s_cmp_eq_u32 s12, 29
	s_cbranch_scc0 .LBB144_510
; %bb.509:
	global_load_dwordx2 v[3:4], v[1:2], off
	s_mov_b64 s[0:1], -1
	s_mov_b64 s[8:9], 0
	s_mov_b64 s[2:3], 0
	s_waitcnt vmcnt(0)
	v_ffbh_u32_e32 v5, v4
	v_min_u32_e32 v5, 32, v5
	v_lshlrev_b64 v[3:4], v5, v[3:4]
	v_min_u32_e32 v3, 1, v3
	v_or_b32_e32 v3, v4, v3
	v_cvt_f32_u32_e32 v3, v3
	v_sub_u32_e32 v4, 32, v5
	v_ldexp_f32 v3, v3, v4
	s_branch .LBB144_512
.LBB144_510:
	s_mov_b64 s[8:9], -1
                                        ; implicit-def: $vgpr3
.LBB144_511:
	s_mov_b64 s[2:3], 0
.LBB144_512:
	s_and_b64 vcc, exec, s[2:3]
	s_cbranch_vccz .LBB144_530
; %bb.513:
	s_cmp_lt_i32 s12, 27
	s_cbranch_scc1 .LBB144_516
; %bb.514:
	s_cmp_gt_i32 s12, 27
	s_cbranch_scc0 .LBB144_517
; %bb.515:
	global_load_dword v3, v[1:2], off
	s_mov_b64 s[0:1], 0
	s_waitcnt vmcnt(0)
	v_cvt_f32_u32_e32 v3, v3
	s_branch .LBB144_518
.LBB144_516:
	s_mov_b64 s[0:1], -1
                                        ; implicit-def: $vgpr3
	s_branch .LBB144_521
.LBB144_517:
	s_mov_b64 s[0:1], -1
                                        ; implicit-def: $vgpr3
.LBB144_518:
	s_andn2_b64 vcc, exec, s[0:1]
	s_cbranch_vccnz .LBB144_520
; %bb.519:
	global_load_ushort v3, v[1:2], off
	s_waitcnt vmcnt(0)
	v_cvt_f32_u32_e32 v3, v3
.LBB144_520:
	s_mov_b64 s[0:1], 0
.LBB144_521:
	s_andn2_b64 vcc, exec, s[0:1]
	s_cbranch_vccnz .LBB144_529
; %bb.522:
	global_load_ubyte v4, v[1:2], off
	s_movk_i32 s0, 0x7f
	s_waitcnt vmcnt(0)
	v_cmp_lt_i16_e32 vcc, s0, v4
	s_mov_b64 s[0:1], 0
	s_and_saveexec_b64 s[2:3], vcc
	s_xor_b64 s[2:3], exec, s[2:3]
	s_cbranch_execz .LBB144_543
; %bb.523:
	s_movk_i32 s0, 0x80
	v_cmp_eq_u16_e32 vcc, s0, v4
	s_mov_b64 s[0:1], -1
	s_and_saveexec_b64 s[10:11], vcc
; %bb.524:
	s_xor_b64 s[0:1], exec, -1
; %bb.525:
	s_or_b64 exec, exec, s[10:11]
	s_and_b64 s[0:1], s[0:1], exec
	s_or_saveexec_b64 s[2:3], s[2:3]
	v_mov_b32_e32 v3, 0x7f800001
	s_xor_b64 exec, exec, s[2:3]
	s_cbranch_execnz .LBB144_544
.LBB144_526:
	s_or_b64 exec, exec, s[2:3]
	s_and_saveexec_b64 s[2:3], s[0:1]
	s_cbranch_execz .LBB144_528
.LBB144_527:
	v_lshlrev_b32_e32 v3, 24, v4
	v_and_b32_e32 v4, 0xffff, v4
	v_and_b32_e32 v5, 7, v4
	v_ffbh_u32_e32 v7, v5
	v_min_u32_e32 v7, 32, v7
	v_subrev_u32_e32 v9, 28, v7
	v_bfe_u32 v6, v4, 3, 4
	v_lshlrev_b32_e32 v4, v9, v4
	v_sub_u32_e32 v7, 29, v7
	v_and_b32_e32 v4, 7, v4
	v_cmp_eq_u32_e32 vcc, 0, v6
	v_cndmask_b32_e32 v6, v6, v7, vcc
	v_cndmask_b32_e32 v4, v5, v4, vcc
	v_mov_b32_e32 v5, 0x3b800000
	v_lshlrev_b32_e32 v4, 20, v4
	v_and_b32_e32 v3, 0x80000000, v3
	v_lshl_add_u32 v5, v6, 23, v5
	v_or3_b32 v3, v3, v5, v4
.LBB144_528:
	s_or_b64 exec, exec, s[2:3]
.LBB144_529:
	s_mov_b64 s[0:1], -1
.LBB144_530:
	s_mov_b64 s[2:3], 0
.LBB144_531:
	s_and_b64 vcc, exec, s[2:3]
	s_cbranch_vccz .LBB144_566
; %bb.532:
	s_cmp_gt_i32 s12, 22
	s_cbranch_scc0 .LBB144_542
; %bb.533:
	s_cmp_lt_i32 s12, 24
	s_cbranch_scc1 .LBB144_545
; %bb.534:
	s_cmp_gt_i32 s12, 24
	s_cbranch_scc0 .LBB144_546
; %bb.535:
	global_load_ubyte v4, v[1:2], off
	s_movk_i32 s0, 0x7f
	s_waitcnt vmcnt(0)
	v_cmp_lt_i16_e32 vcc, s0, v4
	s_mov_b64 s[0:1], 0
	s_and_saveexec_b64 s[2:3], vcc
	s_xor_b64 s[2:3], exec, s[2:3]
	s_cbranch_execz .LBB144_558
; %bb.536:
	s_movk_i32 s0, 0x80
	v_cmp_eq_u16_e32 vcc, s0, v4
	s_mov_b64 s[0:1], -1
	s_and_saveexec_b64 s[10:11], vcc
; %bb.537:
	s_xor_b64 s[0:1], exec, -1
; %bb.538:
	s_or_b64 exec, exec, s[10:11]
	s_and_b64 s[0:1], s[0:1], exec
	s_or_saveexec_b64 s[2:3], s[2:3]
	v_mov_b32_e32 v3, 0x7f800001
	s_xor_b64 exec, exec, s[2:3]
	s_cbranch_execnz .LBB144_559
.LBB144_539:
	s_or_b64 exec, exec, s[2:3]
	s_and_saveexec_b64 s[2:3], s[0:1]
	s_cbranch_execz .LBB144_541
.LBB144_540:
	v_lshlrev_b32_e32 v3, 24, v4
	v_and_b32_e32 v4, 0xffff, v4
	v_and_b32_e32 v5, 3, v4
	v_ffbh_u32_e32 v7, v5
	v_min_u32_e32 v7, 32, v7
	v_subrev_u32_e32 v9, 29, v7
	v_bfe_u32 v6, v4, 2, 5
	v_lshlrev_b32_e32 v4, v9, v4
	v_sub_u32_e32 v7, 30, v7
	v_and_b32_e32 v4, 3, v4
	v_cmp_eq_u32_e32 vcc, 0, v6
	v_cndmask_b32_e32 v6, v6, v7, vcc
	v_cndmask_b32_e32 v4, v5, v4, vcc
	v_mov_b32_e32 v5, 0x37800000
	v_lshlrev_b32_e32 v4, 21, v4
	v_and_b32_e32 v3, 0x80000000, v3
	v_lshl_add_u32 v5, v6, 23, v5
	v_or3_b32 v3, v3, v5, v4
.LBB144_541:
	s_or_b64 exec, exec, s[2:3]
	s_mov_b64 s[0:1], 0
	s_branch .LBB144_547
.LBB144_542:
	s_mov_b64 s[2:3], -1
                                        ; implicit-def: $vgpr3
	s_branch .LBB144_553
.LBB144_543:
	s_or_saveexec_b64 s[2:3], s[2:3]
	v_mov_b32_e32 v3, 0x7f800001
	s_xor_b64 exec, exec, s[2:3]
	s_cbranch_execz .LBB144_526
.LBB144_544:
	v_cmp_ne_u16_e32 vcc, 0, v4
	s_andn2_b64 s[0:1], s[0:1], exec
	s_and_b64 s[10:11], vcc, exec
	v_mov_b32_e32 v3, 0
	s_or_b64 s[0:1], s[0:1], s[10:11]
	s_or_b64 exec, exec, s[2:3]
	s_and_saveexec_b64 s[2:3], s[0:1]
	s_cbranch_execnz .LBB144_527
	s_branch .LBB144_528
.LBB144_545:
	s_mov_b64 s[0:1], -1
                                        ; implicit-def: $vgpr3
	s_branch .LBB144_550
.LBB144_546:
	s_mov_b64 s[0:1], -1
                                        ; implicit-def: $vgpr3
.LBB144_547:
	s_and_b64 vcc, exec, s[0:1]
	s_cbranch_vccz .LBB144_549
; %bb.548:
	global_load_ubyte v3, v[1:2], off
	s_mov_b32 s0, 0x7f800000
	s_waitcnt vmcnt(0)
	v_lshlrev_b32_e32 v3, 24, v3
	v_and_b32_e32 v4, 0x7f000000, v3
	v_ffbh_u32_e32 v5, v4
	v_min_u32_e32 v5, 32, v5
	v_sub_u32_e64 v5, v5, 4 clamp
	v_lshlrev_b32_e32 v7, v5, v4
	v_lshlrev_b32_e32 v5, 23, v5
	v_lshrrev_b32_e32 v7, 4, v7
	v_add_u32_e32 v6, 0x1000000, v4
	v_sub_u32_e32 v5, v7, v5
	v_ashrrev_i32_e32 v6, 8, v6
	v_add_u32_e32 v5, 0x3c000000, v5
	v_and_or_b32 v5, v6, s0, v5
	v_cmp_ne_u32_e32 vcc, 0, v4
	v_cndmask_b32_e32 v4, 0, v5, vcc
	s_brev_b32 s0, 1
	v_and_or_b32 v3, v3, s0, v4
.LBB144_549:
	s_mov_b64 s[0:1], 0
.LBB144_550:
	s_andn2_b64 vcc, exec, s[0:1]
	s_cbranch_vccnz .LBB144_552
; %bb.551:
	global_load_ubyte v3, v[1:2], off
	s_movk_i32 s0, 0x7f00
	s_brev_b32 s1, 16
	s_waitcnt vmcnt(0)
	v_lshlrev_b16_e32 v4, 8, v3
	v_lshlrev_b32_e32 v3, 25, v3
	v_lshrrev_b32_e32 v5, 4, v3
	v_and_or_b32 v6, v4, s0, 0.5
	v_or_b32_e32 v5, 0x70000000, v5
	v_add_f32_e32 v6, -0.5, v6
	v_mul_f32_e32 v5, 0x7800000, v5
	v_cmp_gt_u32_e32 vcc, s1, v3
	v_bfe_i32 v4, v4, 0, 16
	v_cndmask_b32_e32 v3, v5, v6, vcc
	s_brev_b32 s0, 1
	v_and_or_b32 v3, v4, s0, v3
.LBB144_552:
	s_mov_b64 s[2:3], 0
	s_mov_b64 s[0:1], -1
.LBB144_553:
	s_andn2_b64 vcc, exec, s[2:3]
	s_cbranch_vccnz .LBB144_566
; %bb.554:
	s_cmp_gt_i32 s12, 14
	s_cbranch_scc0 .LBB144_557
; %bb.555:
	s_cmp_eq_u32 s12, 15
	s_cbranch_scc0 .LBB144_560
; %bb.556:
	global_load_ushort v3, v[1:2], off
	s_mov_b64 s[0:1], -1
	s_mov_b64 s[8:9], 0
	s_waitcnt vmcnt(0)
	v_lshlrev_b32_e32 v3, 16, v3
	s_branch .LBB144_561
.LBB144_557:
	s_mov_b64 s[2:3], -1
                                        ; implicit-def: $vgpr3
	s_branch .LBB144_562
.LBB144_558:
	s_or_saveexec_b64 s[2:3], s[2:3]
	v_mov_b32_e32 v3, 0x7f800001
	s_xor_b64 exec, exec, s[2:3]
	s_cbranch_execz .LBB144_539
.LBB144_559:
	v_cmp_ne_u16_e32 vcc, 0, v4
	s_andn2_b64 s[0:1], s[0:1], exec
	s_and_b64 s[10:11], vcc, exec
	v_mov_b32_e32 v3, 0
	s_or_b64 s[0:1], s[0:1], s[10:11]
	s_or_b64 exec, exec, s[2:3]
	s_and_saveexec_b64 s[2:3], s[0:1]
	s_cbranch_execnz .LBB144_540
	s_branch .LBB144_541
.LBB144_560:
	s_mov_b64 s[8:9], -1
                                        ; implicit-def: $vgpr3
.LBB144_561:
	s_mov_b64 s[2:3], 0
.LBB144_562:
	s_and_b64 vcc, exec, s[2:3]
	s_cbranch_vccz .LBB144_566
; %bb.563:
	s_cmp_eq_u32 s12, 11
	s_cbranch_scc0 .LBB144_565
; %bb.564:
	global_load_ubyte v3, v[1:2], off
	s_mov_b64 s[0:1], -1
	s_mov_b64 s[8:9], 0
	s_waitcnt vmcnt(0)
	v_cmp_ne_u16_e32 vcc, 0, v3
	v_cndmask_b32_e64 v3, 0, 1.0, vcc
	s_branch .LBB144_566
.LBB144_565:
	s_mov_b64 s[8:9], -1
                                        ; implicit-def: $vgpr3
.LBB144_566:
	s_branch .LBB144_331
.LBB144_567:
	s_cmp_lt_i32 s12, 5
	s_cbranch_scc1 .LBB144_572
; %bb.568:
	s_cmp_lt_i32 s12, 8
	s_cbranch_scc1 .LBB144_573
; %bb.569:
	;; [unrolled: 3-line block ×3, first 2 shown]
	s_cmp_gt_i32 s12, 9
	s_cbranch_scc0 .LBB144_575
; %bb.571:
	global_load_dwordx2 v[3:4], v[1:2], off
	s_mov_b64 s[0:1], 0
	s_waitcnt vmcnt(0)
	v_cvt_f32_f64_e32 v3, v[3:4]
	s_branch .LBB144_576
.LBB144_572:
	s_mov_b64 s[0:1], -1
                                        ; implicit-def: $vgpr3
	s_branch .LBB144_594
.LBB144_573:
	s_mov_b64 s[0:1], -1
                                        ; implicit-def: $vgpr3
	s_branch .LBB144_582
.LBB144_574:
	s_mov_b64 s[0:1], -1
                                        ; implicit-def: $vgpr3
	s_branch .LBB144_579
.LBB144_575:
	s_mov_b64 s[0:1], -1
                                        ; implicit-def: $vgpr3
.LBB144_576:
	s_andn2_b64 vcc, exec, s[0:1]
	s_cbranch_vccnz .LBB144_578
; %bb.577:
	global_load_dword v3, v[1:2], off
.LBB144_578:
	s_mov_b64 s[0:1], 0
.LBB144_579:
	s_andn2_b64 vcc, exec, s[0:1]
	s_cbranch_vccnz .LBB144_581
; %bb.580:
	global_load_dword v3, v[1:2], off
	s_waitcnt vmcnt(0)
	v_cvt_f32_f16_e32 v3, v3
.LBB144_581:
	s_mov_b64 s[0:1], 0
.LBB144_582:
	s_andn2_b64 vcc, exec, s[0:1]
	s_cbranch_vccnz .LBB144_593
; %bb.583:
	s_cmp_lt_i32 s12, 6
	s_cbranch_scc1 .LBB144_586
; %bb.584:
	s_cmp_gt_i32 s12, 6
	s_cbranch_scc0 .LBB144_587
; %bb.585:
	global_load_dwordx2 v[3:4], v[1:2], off
	s_mov_b64 s[0:1], 0
	s_waitcnt vmcnt(0)
	v_cvt_f32_f64_e32 v3, v[3:4]
	s_branch .LBB144_588
.LBB144_586:
	s_mov_b64 s[0:1], -1
                                        ; implicit-def: $vgpr3
	s_branch .LBB144_591
.LBB144_587:
	s_mov_b64 s[0:1], -1
                                        ; implicit-def: $vgpr3
.LBB144_588:
	s_andn2_b64 vcc, exec, s[0:1]
	s_cbranch_vccnz .LBB144_590
; %bb.589:
	global_load_dword v3, v[1:2], off
.LBB144_590:
	s_mov_b64 s[0:1], 0
.LBB144_591:
	s_andn2_b64 vcc, exec, s[0:1]
	s_cbranch_vccnz .LBB144_593
; %bb.592:
	global_load_ushort v3, v[1:2], off
	s_waitcnt vmcnt(0)
	v_cvt_f32_f16_e32 v3, v3
.LBB144_593:
	s_mov_b64 s[0:1], 0
.LBB144_594:
	s_andn2_b64 vcc, exec, s[0:1]
	s_cbranch_vccnz .LBB144_614
; %bb.595:
	s_cmp_lt_i32 s12, 2
	s_cbranch_scc1 .LBB144_599
; %bb.596:
	s_cmp_lt_i32 s12, 3
	s_cbranch_scc1 .LBB144_600
; %bb.597:
	s_cmp_gt_i32 s12, 3
	s_cbranch_scc0 .LBB144_601
; %bb.598:
	global_load_dwordx2 v[3:4], v[1:2], off
	s_mov_b64 s[0:1], 0
	s_waitcnt vmcnt(0)
	v_xor_b32_e32 v6, v3, v4
	v_ffbh_i32_e32 v5, v4
	v_ashrrev_i32_e32 v6, 31, v6
	v_add_u32_e32 v5, -1, v5
	v_add_u32_e32 v6, 32, v6
	v_min_u32_e32 v5, v5, v6
	v_lshlrev_b64 v[3:4], v5, v[3:4]
	v_min_u32_e32 v3, 1, v3
	v_or_b32_e32 v3, v4, v3
	v_cvt_f32_i32_e32 v3, v3
	v_sub_u32_e32 v4, 32, v5
	v_ldexp_f32 v3, v3, v4
	s_branch .LBB144_602
.LBB144_599:
	s_mov_b64 s[0:1], -1
                                        ; implicit-def: $vgpr3
	s_branch .LBB144_608
.LBB144_600:
	s_mov_b64 s[0:1], -1
                                        ; implicit-def: $vgpr3
	s_branch .LBB144_605
.LBB144_601:
	s_mov_b64 s[0:1], -1
                                        ; implicit-def: $vgpr3
.LBB144_602:
	s_andn2_b64 vcc, exec, s[0:1]
	s_cbranch_vccnz .LBB144_604
; %bb.603:
	global_load_dword v3, v[1:2], off
	s_waitcnt vmcnt(0)
	v_cvt_f32_i32_e32 v3, v3
.LBB144_604:
	s_mov_b64 s[0:1], 0
.LBB144_605:
	s_andn2_b64 vcc, exec, s[0:1]
	s_cbranch_vccnz .LBB144_607
; %bb.606:
	global_load_sshort v3, v[1:2], off
	s_waitcnt vmcnt(0)
	v_cvt_f32_i32_e32 v3, v3
.LBB144_607:
	s_mov_b64 s[0:1], 0
.LBB144_608:
	s_andn2_b64 vcc, exec, s[0:1]
	s_cbranch_vccnz .LBB144_614
; %bb.609:
	s_cmp_gt_i32 s12, 0
	s_cbranch_scc0 .LBB144_611
; %bb.610:
	global_load_sbyte v3, v[1:2], off
	s_mov_b64 s[0:1], 0
	s_waitcnt vmcnt(0)
	v_cvt_f32_i32_e32 v3, v3
	s_branch .LBB144_612
.LBB144_611:
	s_mov_b64 s[0:1], -1
                                        ; implicit-def: $vgpr3
.LBB144_612:
	s_andn2_b64 vcc, exec, s[0:1]
	s_cbranch_vccnz .LBB144_614
; %bb.613:
	global_load_ubyte v1, v[1:2], off
	s_waitcnt vmcnt(0)
	v_cvt_f32_ubyte0_e32 v3, v1
.LBB144_614:
	s_branch .LBB144_332
.LBB144_615:
	s_mov_b64 s[2:3], 0
	s_mov_b64 s[0:1], s[52:53]
.LBB144_616:
                                        ; implicit-def: $vgpr8
.LBB144_617:
	s_andn2_b64 s[10:11], s[52:53], exec
	s_and_b64 s[0:1], s[0:1], exec
	s_or_b64 s[60:61], s[10:11], s[0:1]
	s_andn2_b64 s[0:1], s[54:55], exec
	s_and_b64 s[8:9], s[8:9], exec
	s_or_b64 s[58:59], s[0:1], s[8:9]
	s_orn2_b64 s[0:1], s[2:3], exec
.LBB144_618:
	s_or_b64 exec, exec, s[62:63]
	s_mov_b64 s[2:3], 0
	s_mov_b64 s[8:9], 0
	;; [unrolled: 1-line block ×3, first 2 shown]
                                        ; implicit-def: $vgpr1_vgpr2
                                        ; implicit-def: $vgpr0
                                        ; implicit-def: $vgpr4
	s_and_saveexec_b64 s[62:63], s[0:1]
	s_cbranch_execz .LBB144_1031
; %bb.619:
	v_cmp_gt_i32_e32 vcc, s70, v8
	s_mov_b64 s[2:3], -1
	s_mov_b64 s[66:67], s[58:59]
	s_mov_b64 s[68:69], s[60:61]
	s_and_saveexec_b64 s[64:65], vcc
	s_cbranch_execz .LBB144_931
; %bb.620:
	s_andn2_b64 vcc, exec, s[40:41]
	s_cbranch_vccnz .LBB144_625
; %bb.621:
	s_andn2_b64 vcc, exec, s[50:51]
	s_cbranch_vccnz .LBB144_626
; %bb.622:
	s_add_i32 s76, s75, 1
	s_cmp_eq_u32 s72, 2
	s_cbranch_scc1 .LBB144_627
; %bb.623:
	s_and_b32 s71, s76, 28
	v_mov_b32_e32 v2, 0
	s_mov_b32 s77, 0
	s_mov_b64 s[66:67], s[34:35]
	s_mov_b64 s[68:69], s[48:49]
	v_mov_b32_e32 v0, 0
	v_mov_b32_e32 v1, v8
.LBB144_624:                            ; =>This Inner Loop Header: Depth=1
	s_load_dwordx8 s[16:23], s[66:67], 0x4
	s_load_dwordx4 s[0:3], s[66:67], 0x24
	s_load_dwordx8 s[8:15], s[68:69], 0x0
	s_add_u32 s66, s66, 48
	s_addc_u32 s67, s67, 0
	s_waitcnt vmcnt(0) lgkmcnt(0)
	v_mul_hi_u32 v3, s17, v1
	s_add_i32 s77, s77, 4
	s_add_u32 s68, s68, 32
	s_addc_u32 s69, s69, 0
	v_add_u32_e32 v3, v1, v3
	v_lshrrev_b32_e32 v3, s18, v3
	v_mul_lo_u32 v4, v3, s16
	v_mul_hi_u32 v5, s20, v3
	s_cmp_eq_u32 s71, s77
	v_sub_u32_e32 v1, v1, v4
	v_add_u32_e32 v4, v3, v5
	v_mul_lo_u32 v5, v1, s8
	v_mul_lo_u32 v6, v1, s9
	v_lshrrev_b32_e32 v1, s21, v4
	v_mul_lo_u32 v4, v1, s19
	v_mul_hi_u32 v7, s23, v1
	v_sub_u32_e32 v3, v3, v4
	v_add_u32_e32 v4, v1, v7
	v_lshrrev_b32_e32 v4, s0, v4
	v_mul_hi_u32 v9, s2, v4
	v_mul_lo_u32 v10, v4, s22
	v_mul_lo_u32 v7, v3, s10
	;; [unrolled: 1-line block ×3, first 2 shown]
	v_sub_u32_e32 v10, v1, v10
	v_add_u32_e32 v1, v4, v9
	v_lshrrev_b32_e32 v1, s3, v1
	v_mul_lo_u32 v9, v1, s1
	v_mul_lo_u32 v11, v10, s12
	v_mul_lo_u32 v10, v10, s13
	v_add3_u32 v0, v5, v0, v7
	v_sub_u32_e32 v4, v4, v9
	v_mul_lo_u32 v9, v4, s14
	v_mul_lo_u32 v4, v4, s15
	v_add3_u32 v2, v6, v2, v3
	v_add3_u32 v0, v11, v0, v9
	;; [unrolled: 1-line block ×3, first 2 shown]
	s_cbranch_scc0 .LBB144_624
	s_branch .LBB144_628
.LBB144_625:
	s_mov_b64 s[0:1], -1
                                        ; implicit-def: $vgpr0
                                        ; implicit-def: $vgpr2
	s_branch .LBB144_632
.LBB144_626:
	v_mov_b32_e32 v0, 0
	v_mov_b32_e32 v2, 0
	s_branch .LBB144_631
.LBB144_627:
	s_mov_b32 s71, 0
	v_mov_b32_e32 v0, 0
	v_mov_b32_e32 v2, 0
	;; [unrolled: 1-line block ×3, first 2 shown]
.LBB144_628:
	s_and_b32 s8, s76, 3
	s_cmp_eq_u32 s8, 0
	s_cbranch_scc1 .LBB144_631
; %bb.629:
	s_lshl_b32 s0, s71, 3
	s_add_u32 s0, s34, s0
	s_addc_u32 s1, s35, 0
	s_add_u32 s0, s0, 0xc4
	s_addc_u32 s1, s1, 0
	s_mul_i32 s2, s71, 12
	s_add_u32 s2, s34, s2
	s_addc_u32 s3, s35, 0
.LBB144_630:                            ; =>This Inner Loop Header: Depth=1
	s_load_dwordx2 s[10:11], s[2:3], 0x4
	s_load_dword s9, s[2:3], 0xc
	s_load_dwordx2 s[12:13], s[0:1], 0x0
	s_add_u32 s2, s2, 12
	s_addc_u32 s3, s3, 0
	s_waitcnt vmcnt(0) lgkmcnt(0)
	v_mul_hi_u32 v3, s11, v1
	s_add_u32 s0, s0, 8
	s_addc_u32 s1, s1, 0
	s_add_i32 s8, s8, -1
	v_add_u32_e32 v3, v1, v3
	v_lshrrev_b32_e32 v4, s9, v3
	v_mul_lo_u32 v3, v4, s10
	s_cmp_lg_u32 s8, 0
	v_sub_u32_e32 v3, v1, v3
	v_mad_u64_u32 v[0:1], s[10:11], v3, s12, v[0:1]
	v_mad_u64_u32 v[2:3], s[10:11], v3, s13, v[2:3]
	v_mov_b32_e32 v1, v4
	s_cbranch_scc1 .LBB144_630
.LBB144_631:
	s_mov_b64 s[0:1], 0
.LBB144_632:
	s_andn2_b64 vcc, exec, s[0:1]
	s_cbranch_vccnz .LBB144_635
; %bb.633:
	s_waitcnt lgkmcnt(0)
	v_mul_hi_u32 v0, s37, v8
	s_andn2_b64 vcc, exec, s[46:47]
	v_add_u32_e32 v0, v8, v0
	v_lshrrev_b32_e32 v1, s38, v0
	v_mul_lo_u32 v0, v1, s36
	v_sub_u32_e32 v2, v8, v0
	v_mul_lo_u32 v0, v2, s28
	v_mul_lo_u32 v2, v2, s29
	s_cbranch_vccnz .LBB144_635
; %bb.634:
	s_waitcnt vmcnt(0)
	v_mul_hi_u32 v3, s44, v1
	v_add_u32_e32 v3, v1, v3
	v_lshrrev_b32_e32 v3, s45, v3
	v_mul_lo_u32 v3, v3, s39
	v_sub_u32_e32 v3, v1, v3
	v_mad_u64_u32 v[0:1], s[0:1], v3, s30, v[0:1]
	v_mad_u64_u32 v[2:3], s[0:1], v3, s31, v[2:3]
.LBB144_635:
	s_waitcnt vmcnt(0) lgkmcnt(0)
	v_mov_b32_e32 v3, s27
	s_and_b32 s12, 0xffff, s74
	v_add_co_u32_e32 v1, vcc, s26, v2
	s_cmp_lt_i32 s12, 11
	v_addc_co_u32_e32 v2, vcc, 0, v3, vcc
	s_cbranch_scc1 .LBB144_642
; %bb.636:
	s_cmp_gt_i32 s12, 25
	s_cbranch_scc0 .LBB144_643
; %bb.637:
	s_cmp_gt_i32 s12, 28
	s_cbranch_scc0 .LBB144_644
	;; [unrolled: 3-line block ×4, first 2 shown]
; %bb.640:
	s_cmp_eq_u32 s12, 46
	s_mov_b64 s[2:3], 0
	s_cbranch_scc0 .LBB144_651
; %bb.641:
	global_load_dword v3, v[1:2], off
	s_mov_b64 s[0:1], -1
	s_mov_b64 s[8:9], 0
	s_waitcnt vmcnt(0)
	v_lshlrev_b32_e32 v3, 16, v3
	s_branch .LBB144_652
.LBB144_642:
	s_mov_b64 s[2:3], -1
	s_mov_b64 s[0:1], 0
                                        ; implicit-def: $vgpr3
	s_mov_b64 s[8:9], s[58:59]
	s_branch .LBB144_717
.LBB144_643:
	s_mov_b64 s[2:3], -1
	s_mov_b64 s[0:1], 0
	s_mov_b64 s[8:9], s[58:59]
                                        ; implicit-def: $vgpr3
	s_branch .LBB144_681
.LBB144_644:
	s_mov_b64 s[2:3], -1
	s_mov_b64 s[0:1], 0
	s_mov_b64 s[8:9], s[58:59]
                                        ; implicit-def: $vgpr3
	s_branch .LBB144_662
.LBB144_645:
	s_mov_b64 s[2:3], -1
	s_mov_b64 s[0:1], 0
	s_mov_b64 s[8:9], s[58:59]
                                        ; implicit-def: $vgpr3
	s_branch .LBB144_657
.LBB144_646:
	s_andn2_saveexec_b64 s[12:13], s[12:13]
	s_cbranch_execz .LBB144_415
.LBB144_647:
	s_mov_b32 s16, 0x46000000
	v_add_f32_e64 v3, |v2|, s16
	v_and_b32_e32 v3, 0xff, v3
	v_cmp_ne_u32_e32 vcc, 0, v3
	s_andn2_b64 s[10:11], s[10:11], exec
	s_and_b64 s[16:17], vcc, exec
	s_or_b64 s[10:11], s[10:11], s[16:17]
	s_or_b64 exec, exec, s[12:13]
	v_mov_b32_e32 v4, 0
	s_and_saveexec_b64 s[12:13], s[10:11]
	s_cbranch_execnz .LBB144_416
	s_branch .LBB144_417
.LBB144_648:
	s_mov_b64 s[2:3], -1
	s_mov_b64 s[0:1], 0
	s_mov_b64 s[8:9], s[58:59]
                                        ; implicit-def: $vgpr3
	s_branch .LBB144_652
.LBB144_649:
	s_andn2_saveexec_b64 s[12:13], s[12:13]
	s_cbranch_execz .LBB144_428
.LBB144_650:
	s_mov_b32 s16, 0x42800000
	v_add_f32_e64 v3, |v2|, s16
	v_and_b32_e32 v3, 0xff, v3
	v_cmp_ne_u32_e32 vcc, 0, v3
	s_andn2_b64 s[10:11], s[10:11], exec
	s_and_b64 s[16:17], vcc, exec
	s_or_b64 s[10:11], s[10:11], s[16:17]
	s_or_b64 exec, exec, s[12:13]
	v_mov_b32_e32 v4, 0
	s_and_saveexec_b64 s[12:13], s[10:11]
	s_cbranch_execnz .LBB144_429
	s_branch .LBB144_430
.LBB144_651:
	s_mov_b64 s[8:9], -1
                                        ; implicit-def: $vgpr3
	s_mov_b64 s[0:1], 0
.LBB144_652:
	s_and_b64 vcc, exec, s[2:3]
	s_cbranch_vccz .LBB144_656
; %bb.653:
	s_cmp_eq_u32 s12, 44
	s_cbranch_scc0 .LBB144_655
; %bb.654:
	global_load_ubyte v3, v[1:2], off
	s_movk_i32 s2, 0xff
	v_mov_b32_e32 v4, 0x7f800001
	v_mov_b32_e32 v5, 0x400000
	s_mov_b64 s[0:1], -1
	s_mov_b64 s[8:9], 0
	s_waitcnt vmcnt(0)
	v_lshlrev_b32_e32 v6, 23, v3
	v_cmp_ne_u32_e32 vcc, s2, v3
	v_cndmask_b32_e32 v4, v4, v6, vcc
	v_cmp_ne_u32_e32 vcc, 0, v3
	v_cndmask_b32_e32 v3, v5, v4, vcc
	s_branch .LBB144_656
.LBB144_655:
	s_mov_b64 s[8:9], -1
                                        ; implicit-def: $vgpr3
.LBB144_656:
	s_mov_b64 s[2:3], 0
.LBB144_657:
	s_and_b64 vcc, exec, s[2:3]
	s_cbranch_vccz .LBB144_661
; %bb.658:
	s_cmp_eq_u32 s12, 29
	s_cbranch_scc0 .LBB144_660
; %bb.659:
	global_load_dwordx2 v[3:4], v[1:2], off
	s_mov_b64 s[0:1], -1
	s_mov_b64 s[8:9], 0
	s_mov_b64 s[2:3], 0
	s_waitcnt vmcnt(0)
	v_ffbh_u32_e32 v5, v4
	v_min_u32_e32 v5, 32, v5
	v_lshlrev_b64 v[3:4], v5, v[3:4]
	v_min_u32_e32 v3, 1, v3
	v_or_b32_e32 v3, v4, v3
	v_cvt_f32_u32_e32 v3, v3
	v_sub_u32_e32 v4, 32, v5
	v_ldexp_f32 v3, v3, v4
	s_branch .LBB144_662
.LBB144_660:
	s_mov_b64 s[8:9], -1
                                        ; implicit-def: $vgpr3
.LBB144_661:
	s_mov_b64 s[2:3], 0
.LBB144_662:
	s_and_b64 vcc, exec, s[2:3]
	s_cbranch_vccz .LBB144_680
; %bb.663:
	s_cmp_lt_i32 s12, 27
	s_cbranch_scc1 .LBB144_666
; %bb.664:
	s_cmp_gt_i32 s12, 27
	s_cbranch_scc0 .LBB144_667
; %bb.665:
	global_load_dword v3, v[1:2], off
	s_mov_b64 s[0:1], 0
	s_waitcnt vmcnt(0)
	v_cvt_f32_u32_e32 v3, v3
	s_branch .LBB144_668
.LBB144_666:
	s_mov_b64 s[0:1], -1
                                        ; implicit-def: $vgpr3
	s_branch .LBB144_671
.LBB144_667:
	s_mov_b64 s[0:1], -1
                                        ; implicit-def: $vgpr3
.LBB144_668:
	s_andn2_b64 vcc, exec, s[0:1]
	s_cbranch_vccnz .LBB144_670
; %bb.669:
	global_load_ushort v3, v[1:2], off
	s_waitcnt vmcnt(0)
	v_cvt_f32_u32_e32 v3, v3
.LBB144_670:
	s_mov_b64 s[0:1], 0
.LBB144_671:
	s_andn2_b64 vcc, exec, s[0:1]
	s_cbranch_vccnz .LBB144_679
; %bb.672:
	global_load_ubyte v4, v[1:2], off
	s_movk_i32 s0, 0x7f
	s_waitcnt vmcnt(0)
	v_cmp_lt_i16_e32 vcc, s0, v4
	s_mov_b64 s[0:1], 0
	s_and_saveexec_b64 s[2:3], vcc
	s_xor_b64 s[2:3], exec, s[2:3]
	s_cbranch_execz .LBB144_693
; %bb.673:
	s_movk_i32 s0, 0x80
	v_cmp_eq_u16_e32 vcc, s0, v4
	s_mov_b64 s[0:1], -1
	s_and_saveexec_b64 s[10:11], vcc
; %bb.674:
	s_xor_b64 s[0:1], exec, -1
; %bb.675:
	s_or_b64 exec, exec, s[10:11]
	s_and_b64 s[0:1], s[0:1], exec
	s_or_saveexec_b64 s[2:3], s[2:3]
	v_mov_b32_e32 v3, 0x7f800001
	s_xor_b64 exec, exec, s[2:3]
	s_cbranch_execnz .LBB144_694
.LBB144_676:
	s_or_b64 exec, exec, s[2:3]
	s_and_saveexec_b64 s[2:3], s[0:1]
	s_cbranch_execz .LBB144_678
.LBB144_677:
	v_lshlrev_b32_e32 v3, 24, v4
	v_and_b32_e32 v4, 0xffff, v4
	v_and_b32_e32 v5, 7, v4
	v_ffbh_u32_e32 v7, v5
	v_min_u32_e32 v7, 32, v7
	v_subrev_u32_e32 v9, 28, v7
	v_bfe_u32 v6, v4, 3, 4
	v_lshlrev_b32_e32 v4, v9, v4
	v_sub_u32_e32 v7, 29, v7
	v_and_b32_e32 v4, 7, v4
	v_cmp_eq_u32_e32 vcc, 0, v6
	v_cndmask_b32_e32 v6, v6, v7, vcc
	v_cndmask_b32_e32 v4, v5, v4, vcc
	v_mov_b32_e32 v5, 0x3b800000
	v_lshlrev_b32_e32 v4, 20, v4
	v_and_b32_e32 v3, 0x80000000, v3
	v_lshl_add_u32 v5, v6, 23, v5
	v_or3_b32 v3, v3, v5, v4
.LBB144_678:
	s_or_b64 exec, exec, s[2:3]
.LBB144_679:
	s_mov_b64 s[0:1], -1
.LBB144_680:
	s_mov_b64 s[2:3], 0
.LBB144_681:
	s_and_b64 vcc, exec, s[2:3]
	s_cbranch_vccz .LBB144_716
; %bb.682:
	s_cmp_gt_i32 s12, 22
	s_cbranch_scc0 .LBB144_692
; %bb.683:
	s_cmp_lt_i32 s12, 24
	s_cbranch_scc1 .LBB144_695
; %bb.684:
	s_cmp_gt_i32 s12, 24
	s_cbranch_scc0 .LBB144_696
; %bb.685:
	global_load_ubyte v4, v[1:2], off
	s_movk_i32 s0, 0x7f
	s_waitcnt vmcnt(0)
	v_cmp_lt_i16_e32 vcc, s0, v4
	s_mov_b64 s[0:1], 0
	s_and_saveexec_b64 s[2:3], vcc
	s_xor_b64 s[2:3], exec, s[2:3]
	s_cbranch_execz .LBB144_708
; %bb.686:
	s_movk_i32 s0, 0x80
	v_cmp_eq_u16_e32 vcc, s0, v4
	s_mov_b64 s[0:1], -1
	s_and_saveexec_b64 s[10:11], vcc
; %bb.687:
	s_xor_b64 s[0:1], exec, -1
; %bb.688:
	s_or_b64 exec, exec, s[10:11]
	s_and_b64 s[0:1], s[0:1], exec
	s_or_saveexec_b64 s[2:3], s[2:3]
	v_mov_b32_e32 v3, 0x7f800001
	s_xor_b64 exec, exec, s[2:3]
	s_cbranch_execnz .LBB144_709
.LBB144_689:
	s_or_b64 exec, exec, s[2:3]
	s_and_saveexec_b64 s[2:3], s[0:1]
	s_cbranch_execz .LBB144_691
.LBB144_690:
	v_lshlrev_b32_e32 v3, 24, v4
	v_and_b32_e32 v4, 0xffff, v4
	v_and_b32_e32 v5, 3, v4
	v_ffbh_u32_e32 v7, v5
	v_min_u32_e32 v7, 32, v7
	v_subrev_u32_e32 v9, 29, v7
	v_bfe_u32 v6, v4, 2, 5
	v_lshlrev_b32_e32 v4, v9, v4
	v_sub_u32_e32 v7, 30, v7
	v_and_b32_e32 v4, 3, v4
	v_cmp_eq_u32_e32 vcc, 0, v6
	v_cndmask_b32_e32 v6, v6, v7, vcc
	v_cndmask_b32_e32 v4, v5, v4, vcc
	v_mov_b32_e32 v5, 0x37800000
	v_lshlrev_b32_e32 v4, 21, v4
	v_and_b32_e32 v3, 0x80000000, v3
	v_lshl_add_u32 v5, v6, 23, v5
	v_or3_b32 v3, v3, v5, v4
.LBB144_691:
	s_or_b64 exec, exec, s[2:3]
	s_mov_b64 s[0:1], 0
	s_branch .LBB144_697
.LBB144_692:
	s_mov_b64 s[2:3], -1
                                        ; implicit-def: $vgpr3
	s_branch .LBB144_703
.LBB144_693:
	s_or_saveexec_b64 s[2:3], s[2:3]
	v_mov_b32_e32 v3, 0x7f800001
	s_xor_b64 exec, exec, s[2:3]
	s_cbranch_execz .LBB144_676
.LBB144_694:
	v_cmp_ne_u16_e32 vcc, 0, v4
	s_andn2_b64 s[0:1], s[0:1], exec
	s_and_b64 s[10:11], vcc, exec
	v_mov_b32_e32 v3, 0
	s_or_b64 s[0:1], s[0:1], s[10:11]
	s_or_b64 exec, exec, s[2:3]
	s_and_saveexec_b64 s[2:3], s[0:1]
	s_cbranch_execnz .LBB144_677
	s_branch .LBB144_678
.LBB144_695:
	s_mov_b64 s[0:1], -1
                                        ; implicit-def: $vgpr3
	s_branch .LBB144_700
.LBB144_696:
	s_mov_b64 s[0:1], -1
                                        ; implicit-def: $vgpr3
.LBB144_697:
	s_and_b64 vcc, exec, s[0:1]
	s_cbranch_vccz .LBB144_699
; %bb.698:
	global_load_ubyte v3, v[1:2], off
	s_mov_b32 s0, 0x7f800000
	s_waitcnt vmcnt(0)
	v_lshlrev_b32_e32 v3, 24, v3
	v_and_b32_e32 v4, 0x7f000000, v3
	v_ffbh_u32_e32 v5, v4
	v_min_u32_e32 v5, 32, v5
	v_sub_u32_e64 v5, v5, 4 clamp
	v_lshlrev_b32_e32 v7, v5, v4
	v_lshlrev_b32_e32 v5, 23, v5
	v_lshrrev_b32_e32 v7, 4, v7
	v_add_u32_e32 v6, 0x1000000, v4
	v_sub_u32_e32 v5, v7, v5
	v_ashrrev_i32_e32 v6, 8, v6
	v_add_u32_e32 v5, 0x3c000000, v5
	v_and_or_b32 v5, v6, s0, v5
	v_cmp_ne_u32_e32 vcc, 0, v4
	v_cndmask_b32_e32 v4, 0, v5, vcc
	s_brev_b32 s0, 1
	v_and_or_b32 v3, v3, s0, v4
.LBB144_699:
	s_mov_b64 s[0:1], 0
.LBB144_700:
	s_andn2_b64 vcc, exec, s[0:1]
	s_cbranch_vccnz .LBB144_702
; %bb.701:
	global_load_ubyte v3, v[1:2], off
	s_movk_i32 s0, 0x7f00
	s_brev_b32 s1, 16
	s_waitcnt vmcnt(0)
	v_lshlrev_b16_e32 v4, 8, v3
	v_lshlrev_b32_e32 v3, 25, v3
	v_lshrrev_b32_e32 v5, 4, v3
	v_and_or_b32 v6, v4, s0, 0.5
	v_or_b32_e32 v5, 0x70000000, v5
	v_add_f32_e32 v6, -0.5, v6
	v_mul_f32_e32 v5, 0x7800000, v5
	v_cmp_gt_u32_e32 vcc, s1, v3
	v_bfe_i32 v4, v4, 0, 16
	v_cndmask_b32_e32 v3, v5, v6, vcc
	s_brev_b32 s0, 1
	v_and_or_b32 v3, v4, s0, v3
.LBB144_702:
	s_mov_b64 s[2:3], 0
	s_mov_b64 s[0:1], -1
.LBB144_703:
	s_andn2_b64 vcc, exec, s[2:3]
	s_cbranch_vccnz .LBB144_716
; %bb.704:
	s_cmp_gt_i32 s12, 14
	s_cbranch_scc0 .LBB144_707
; %bb.705:
	s_cmp_eq_u32 s12, 15
	s_cbranch_scc0 .LBB144_710
; %bb.706:
	global_load_ushort v3, v[1:2], off
	s_mov_b64 s[0:1], -1
	s_mov_b64 s[8:9], 0
	s_waitcnt vmcnt(0)
	v_lshlrev_b32_e32 v3, 16, v3
	s_branch .LBB144_711
.LBB144_707:
	s_mov_b64 s[2:3], -1
                                        ; implicit-def: $vgpr3
	s_branch .LBB144_712
.LBB144_708:
	s_or_saveexec_b64 s[2:3], s[2:3]
	v_mov_b32_e32 v3, 0x7f800001
	s_xor_b64 exec, exec, s[2:3]
	s_cbranch_execz .LBB144_689
.LBB144_709:
	v_cmp_ne_u16_e32 vcc, 0, v4
	s_andn2_b64 s[0:1], s[0:1], exec
	s_and_b64 s[10:11], vcc, exec
	v_mov_b32_e32 v3, 0
	s_or_b64 s[0:1], s[0:1], s[10:11]
	s_or_b64 exec, exec, s[2:3]
	s_and_saveexec_b64 s[2:3], s[0:1]
	s_cbranch_execnz .LBB144_690
	s_branch .LBB144_691
.LBB144_710:
	s_mov_b64 s[8:9], -1
                                        ; implicit-def: $vgpr3
.LBB144_711:
	s_mov_b64 s[2:3], 0
.LBB144_712:
	s_and_b64 vcc, exec, s[2:3]
	s_cbranch_vccz .LBB144_716
; %bb.713:
	s_cmp_eq_u32 s12, 11
	s_cbranch_scc0 .LBB144_715
; %bb.714:
	global_load_ubyte v3, v[1:2], off
	s_mov_b64 s[0:1], -1
	s_mov_b64 s[8:9], 0
	s_waitcnt vmcnt(0)
	v_cmp_ne_u16_e32 vcc, 0, v3
	v_cndmask_b32_e64 v3, 0, 1.0, vcc
	s_branch .LBB144_716
.LBB144_715:
	s_mov_b64 s[8:9], -1
                                        ; implicit-def: $vgpr3
.LBB144_716:
	s_mov_b64 s[2:3], 0
.LBB144_717:
	s_and_b64 vcc, exec, s[2:3]
	s_cbranch_vccz .LBB144_766
; %bb.718:
	s_cmp_lt_i32 s12, 5
	s_cbranch_scc1 .LBB144_723
; %bb.719:
	s_cmp_lt_i32 s12, 8
	s_cbranch_scc1 .LBB144_724
; %bb.720:
	s_cmp_lt_i32 s12, 9
	s_cbranch_scc1 .LBB144_725
; %bb.721:
	s_cmp_gt_i32 s12, 9
	s_cbranch_scc0 .LBB144_726
; %bb.722:
	global_load_dwordx2 v[3:4], v[1:2], off
	s_mov_b64 s[0:1], 0
	s_waitcnt vmcnt(0)
	v_cvt_f32_f64_e32 v3, v[3:4]
	s_branch .LBB144_727
.LBB144_723:
	s_mov_b64 s[0:1], -1
                                        ; implicit-def: $vgpr3
	s_branch .LBB144_745
.LBB144_724:
	s_mov_b64 s[0:1], -1
                                        ; implicit-def: $vgpr3
	s_branch .LBB144_733
.LBB144_725:
	s_mov_b64 s[0:1], -1
                                        ; implicit-def: $vgpr3
	s_branch .LBB144_730
.LBB144_726:
	s_mov_b64 s[0:1], -1
                                        ; implicit-def: $vgpr3
.LBB144_727:
	s_andn2_b64 vcc, exec, s[0:1]
	s_cbranch_vccnz .LBB144_729
; %bb.728:
	global_load_dword v3, v[1:2], off
.LBB144_729:
	s_mov_b64 s[0:1], 0
.LBB144_730:
	s_andn2_b64 vcc, exec, s[0:1]
	s_cbranch_vccnz .LBB144_732
; %bb.731:
	global_load_dword v3, v[1:2], off
	s_waitcnt vmcnt(0)
	v_cvt_f32_f16_e32 v3, v3
.LBB144_732:
	s_mov_b64 s[0:1], 0
.LBB144_733:
	s_andn2_b64 vcc, exec, s[0:1]
	s_cbranch_vccnz .LBB144_744
; %bb.734:
	s_cmp_lt_i32 s12, 6
	s_cbranch_scc1 .LBB144_737
; %bb.735:
	s_cmp_gt_i32 s12, 6
	s_cbranch_scc0 .LBB144_738
; %bb.736:
	global_load_dwordx2 v[3:4], v[1:2], off
	s_mov_b64 s[0:1], 0
	s_waitcnt vmcnt(0)
	v_cvt_f32_f64_e32 v3, v[3:4]
	s_branch .LBB144_739
.LBB144_737:
	s_mov_b64 s[0:1], -1
                                        ; implicit-def: $vgpr3
	s_branch .LBB144_742
.LBB144_738:
	s_mov_b64 s[0:1], -1
                                        ; implicit-def: $vgpr3
.LBB144_739:
	s_andn2_b64 vcc, exec, s[0:1]
	s_cbranch_vccnz .LBB144_741
; %bb.740:
	global_load_dword v3, v[1:2], off
.LBB144_741:
	s_mov_b64 s[0:1], 0
.LBB144_742:
	s_andn2_b64 vcc, exec, s[0:1]
	s_cbranch_vccnz .LBB144_744
; %bb.743:
	global_load_ushort v3, v[1:2], off
	s_waitcnt vmcnt(0)
	v_cvt_f32_f16_e32 v3, v3
.LBB144_744:
	s_mov_b64 s[0:1], 0
.LBB144_745:
	s_andn2_b64 vcc, exec, s[0:1]
	s_cbranch_vccnz .LBB144_765
; %bb.746:
	s_cmp_lt_i32 s12, 2
	s_cbranch_scc1 .LBB144_750
; %bb.747:
	s_cmp_lt_i32 s12, 3
	s_cbranch_scc1 .LBB144_751
; %bb.748:
	s_cmp_gt_i32 s12, 3
	s_cbranch_scc0 .LBB144_752
; %bb.749:
	global_load_dwordx2 v[3:4], v[1:2], off
	s_mov_b64 s[0:1], 0
	s_waitcnt vmcnt(0)
	v_xor_b32_e32 v6, v3, v4
	v_ffbh_i32_e32 v5, v4
	v_ashrrev_i32_e32 v6, 31, v6
	v_add_u32_e32 v5, -1, v5
	v_add_u32_e32 v6, 32, v6
	v_min_u32_e32 v5, v5, v6
	v_lshlrev_b64 v[3:4], v5, v[3:4]
	v_min_u32_e32 v3, 1, v3
	v_or_b32_e32 v3, v4, v3
	v_cvt_f32_i32_e32 v3, v3
	v_sub_u32_e32 v4, 32, v5
	v_ldexp_f32 v3, v3, v4
	s_branch .LBB144_753
.LBB144_750:
	s_mov_b64 s[0:1], -1
                                        ; implicit-def: $vgpr3
	s_branch .LBB144_759
.LBB144_751:
	s_mov_b64 s[0:1], -1
                                        ; implicit-def: $vgpr3
	s_branch .LBB144_756
.LBB144_752:
	s_mov_b64 s[0:1], -1
                                        ; implicit-def: $vgpr3
.LBB144_753:
	s_andn2_b64 vcc, exec, s[0:1]
	s_cbranch_vccnz .LBB144_755
; %bb.754:
	global_load_dword v3, v[1:2], off
	s_waitcnt vmcnt(0)
	v_cvt_f32_i32_e32 v3, v3
.LBB144_755:
	s_mov_b64 s[0:1], 0
.LBB144_756:
	s_andn2_b64 vcc, exec, s[0:1]
	s_cbranch_vccnz .LBB144_758
; %bb.757:
	global_load_sshort v3, v[1:2], off
	s_waitcnt vmcnt(0)
	v_cvt_f32_i32_e32 v3, v3
.LBB144_758:
	s_mov_b64 s[0:1], 0
.LBB144_759:
	s_andn2_b64 vcc, exec, s[0:1]
	s_cbranch_vccnz .LBB144_765
; %bb.760:
	s_cmp_gt_i32 s12, 0
	s_cbranch_scc0 .LBB144_762
; %bb.761:
	global_load_sbyte v3, v[1:2], off
	s_mov_b64 s[0:1], 0
	s_waitcnt vmcnt(0)
	v_cvt_f32_i32_e32 v3, v3
	s_branch .LBB144_763
.LBB144_762:
	s_mov_b64 s[0:1], -1
                                        ; implicit-def: $vgpr3
.LBB144_763:
	s_andn2_b64 vcc, exec, s[0:1]
	s_cbranch_vccnz .LBB144_765
; %bb.764:
	global_load_ubyte v1, v[1:2], off
	s_waitcnt vmcnt(0)
	v_cvt_f32_ubyte0_e32 v3, v1
.LBB144_765:
	s_mov_b64 s[0:1], -1
.LBB144_766:
	s_andn2_b64 vcc, exec, s[0:1]
	s_cbranch_vccnz .LBB144_812
; %bb.767:
	s_mov_b32 s0, 0x3c800000
	s_waitcnt vmcnt(0)
	v_and_b32_e32 v1, 0x7fffffff, v3
	v_cmp_nlt_f32_e64 s[0:1], |v3|, s0
                                        ; implicit-def: $vgpr2
	s_and_saveexec_b64 s[2:3], s[0:1]
	s_xor_b64 s[2:3], exec, s[2:3]
	s_cbranch_execz .LBB144_797
; %bb.768:
	v_cmp_nlt_f32_e64 s[0:1], |v3|, 2.0
                                        ; implicit-def: $vgpr2
	s_and_saveexec_b64 s[10:11], s[0:1]
	s_xor_b64 s[10:11], exec, s[10:11]
	s_cbranch_execz .LBB144_778
; %bb.769:
	s_mov_b32 s0, 0x41000000
	v_cmp_nlt_f32_e64 s[0:1], |v3|, s0
                                        ; implicit-def: $vgpr2
	s_and_saveexec_b64 s[12:13], s[0:1]
	s_xor_b64 s[12:13], exec, s[12:13]
	s_cbranch_execz .LBB144_775
; %bb.770:
	s_mov_b32 s0, 0x5c800000
	v_cmp_nlt_f32_e64 s[0:1], |v3|, s0
                                        ; implicit-def: $vgpr2
	s_and_saveexec_b64 s[14:15], s[0:1]
	s_xor_b64 s[14:15], exec, s[14:15]
	s_cbranch_execz .LBB144_772
; %bb.771:
	s_mov_b32 s0, 0x800000
	v_cmp_lt_f32_e64 vcc, |v3|, s0
	v_cndmask_b32_e64 v2, 0, 32, vcc
	v_ldexp_f32 v2, |v3|, v2
	v_log_f32_e32 v2, v2
	s_mov_b32 s0, 0x3f317217
	s_mov_b32 s1, 0x7f800000
	v_mul_f32_e32 v4, 0x3f317217, v2
	v_fma_f32 v5, v2, s0, -v4
	v_fmac_f32_e32 v5, 0x3377d1cf, v2
	v_add_f32_e32 v4, v4, v5
	v_cmp_lt_f32_e64 s[0:1], |v2|, s1
	v_cndmask_b32_e64 v2, v2, v4, s[0:1]
	v_mov_b32_e32 v4, 0x41b17218
	v_cndmask_b32_e32 v4, 0, v4, vcc
	v_sub_f32_e32 v2, v2, v4
	v_fma_f32 v2, |v3|, v2, -|v3|
.LBB144_772:
	s_andn2_saveexec_b64 s[14:15], s[14:15]
	s_cbranch_execz .LBB144_774
; %bb.773:
	v_rcp_f32_e64 v4, |v3|
	v_mov_b32_e32 v2, 0x3a5b3dd2
	v_mov_b32_e32 v5, 0xba1c065c
	;; [unrolled: 1-line block ×3, first 2 shown]
	v_mul_f32_e32 v7, v4, v4
	v_fmac_f32_e32 v2, 0xbad5c4e8, v7
	v_fmac_f32_e32 v5, v7, v2
	s_mov_b32 s0, 0x800000
	v_fmac_f32_e32 v6, v7, v5
	v_mov_b32_e32 v2, 0xbb360b61
	v_cmp_lt_f32_e64 vcc, |v3|, s0
	v_fmac_f32_e32 v2, v7, v6
	v_cndmask_b32_e64 v6, 0, 32, vcc
	v_ldexp_f32 v6, |v3|, v6
	v_log_f32_e32 v6, v6
	v_mov_b32_e32 v5, 0x3daaaaab
	v_fmac_f32_e32 v5, v7, v2
	v_mov_b32_e32 v2, 0x3ed67f1d
	v_fmac_f32_e32 v2, v4, v5
	s_mov_b32 s0, 0x3f317217
	v_mul_f32_e32 v5, 0x3f317217, v6
	v_fma_f32 v7, v6, s0, -v5
	v_fmac_f32_e32 v7, 0x3377d1cf, v6
	s_mov_b32 s0, 0x7f800000
	v_add_f32_e32 v5, v5, v7
	v_cmp_lt_f32_e64 s[0:1], |v6|, s0
	v_cndmask_b32_e64 v5, v6, v5, s[0:1]
	v_mov_b32_e32 v6, 0x41b17218
	v_cndmask_b32_e32 v6, 0, v6, vcc
	v_sub_f32_e32 v5, v5, v6
	v_add_f32_e64 v4, |v3|, -0.5
	v_add_f32_e32 v5, -1.0, v5
	v_fmac_f32_e32 v2, v4, v5
.LBB144_774:
	s_or_b64 exec, exec, s[14:15]
.LBB144_775:
	s_andn2_saveexec_b64 s[12:13], s[12:13]
	s_cbranch_execz .LBB144_777
; %bb.776:
	v_cvt_i32_f32_e32 v2, v1
	v_mov_b32_e32 v4, 0x3af135b4
	v_mov_b32_e32 v5, 0x3cda40e4
	;; [unrolled: 1-line block ×3, first 2 shown]
	v_cvt_f32_i32_e32 v7, v2
	v_mov_b32_e32 v9, 0x3ea6cc7a
	v_mov_b32_e32 v10, 0x3e5c245a
	v_cmp_lt_i32_e32 vcc, 2, v2
	v_sub_f32_e64 v7, |v3|, v7
	v_fmac_f32_e32 v4, 0x3805ff67, v7
	v_fmac_f32_e32 v5, v7, v4
	;; [unrolled: 1-line block ×3, first 2 shown]
	v_mov_b32_e32 v5, 0x3a4beed6
	v_fmac_f32_e32 v9, v7, v6
	v_fmac_f32_e32 v5, 0x36f5d7bd, v7
	v_mov_b32_e32 v6, 0x3c98bf54
	v_fmac_f32_e32 v6, v7, v5
	v_mov_b32_e32 v5, 0x3e300f6e
	;; [unrolled: 2-line block ×4, first 2 shown]
	v_fmac_f32_e32 v5, v7, v6
	v_add_f32_e32 v6, 2.0, v7
	v_mov_b32_e32 v11, 0xbd9e233f
	v_fmac_f32_e32 v10, v7, v9
	v_add_f32_e32 v9, 0x40400000, v7
	v_cndmask_b32_e32 v6, 1.0, v6, vcc
	v_cmp_lt_i32_e32 vcc, 3, v2
	v_fmac_f32_e32 v11, v7, v10
	v_add_f32_e32 v10, 4.0, v7
	v_cndmask_b32_e32 v9, 1.0, v9, vcc
	v_cmp_lt_i32_e32 vcc, 4, v2
	v_mul_f32_e32 v4, v7, v11
	v_add_f32_e32 v11, 0x40a00000, v7
	v_mul_f32_e32 v6, v6, v9
	v_cndmask_b32_e32 v9, 1.0, v10, vcc
	v_cmp_lt_i32_e32 vcc, 5, v2
	v_add_f32_e32 v12, 0x40c00000, v7
	v_mul_f32_e32 v6, v9, v6
	v_cndmask_b32_e32 v9, 1.0, v11, vcc
	v_cmp_lt_i32_e32 vcc, 6, v2
	v_mul_f32_e32 v6, v9, v6
	v_cndmask_b32_e32 v2, 1.0, v12, vcc
	v_mul_f32_e32 v2, v2, v6
	s_mov_b32 s0, 0x800000
	v_cmp_gt_f32_e32 vcc, s0, v2
	v_cndmask_b32_e64 v6, 0, 32, vcc
	v_fma_f32 v5, v7, v5, 1.0
	v_ldexp_f32 v2, v2, v6
	v_rcp_f32_e32 v5, v5
	v_log_f32_e32 v2, v2
	s_mov_b32 s0, 0x3f317217
	v_mul_f32_e32 v4, v4, v5
	v_mul_f32_e32 v5, 0x3f317217, v2
	v_fma_f32 v6, v2, s0, -v5
	v_fmac_f32_e32 v6, 0x3377d1cf, v2
	s_mov_b32 s0, 0x7f800000
	v_add_f32_e32 v5, v5, v6
	v_cmp_lt_f32_e64 s[0:1], |v2|, s0
	v_cndmask_b32_e64 v2, v2, v5, s[0:1]
	v_mov_b32_e32 v5, 0x41b17218
	v_cndmask_b32_e32 v5, 0, v5, vcc
	v_fmac_f32_e32 v4, 0.5, v7
	v_sub_f32_e32 v2, v2, v5
	v_add_f32_e32 v2, v2, v4
.LBB144_777:
	s_or_b64 exec, exec, s[12:13]
.LBB144_778:
	s_andn2_saveexec_b64 s[10:11], s[10:11]
	s_cbranch_execz .LBB144_796
; %bb.779:
	s_mov_b32 s0, 0x3f666666
	v_cmp_le_f32_e64 s[0:1], |v3|, s0
                                        ; implicit-def: $vgpr2
                                        ; implicit-def: $vgpr5
                                        ; implicit-def: $vgpr4
	s_and_saveexec_b64 s[12:13], s[0:1]
	s_xor_b64 s[12:13], exec, s[12:13]
	s_cbranch_execz .LBB144_781
; %bb.780:
	s_mov_b32 s0, 0x800000
	v_cmp_lt_f32_e64 vcc, |v3|, s0
	v_cndmask_b32_e64 v2, 0, 32, vcc
	v_ldexp_f32 v2, |v3|, v2
	v_log_f32_e32 v2, v2
	s_mov_b32 s0, 0x3f317217
	s_mov_b32 s1, 0x7f800000
	v_mul_f32_e32 v4, 0x3f317217, v2
	v_fma_f32 v5, v2, s0, -v4
	v_fmac_f32_e32 v5, 0x3377d1cf, v2
	v_add_f32_e32 v4, v4, v5
	v_cmp_lt_f32_e64 s[0:1], |v2|, s1
	v_cndmask_b32_e64 v2, v2, v4, s[0:1]
	v_mov_b32_e32 v4, 0x41b17218
	v_cndmask_b32_e32 v4, 0, v4, vcc
	s_mov_b32 s0, 0x3f3b4a23
	s_mov_b32 s1, 0xbeec5b0c
	v_sub_f32_e32 v2, v2, v4
	v_sub_f32_e64 v4, 1.0, |v3|
	v_add_f32_e64 v5, |v3|, s1
	v_cmp_lt_f32_e64 vcc, |v3|, s0
	s_mov_b32 s0, 0x3e6d3309
	v_cndmask_b32_e32 v4, v4, v5, vcc
	v_cndmask_b32_e64 v5, 0, 1, vcc
	v_cmp_lt_f32_e64 s[0:1], |v3|, s0
	v_xor_b32_e32 v2, 0x80000000, v2
	v_cndmask_b32_e64 v4, v4, |v3|, s[0:1]
	v_cndmask_b32_e64 v5, v5, 2, s[0:1]
.LBB144_781:
	s_andn2_saveexec_b64 s[0:1], s[12:13]
	s_cbranch_execz .LBB144_783
; %bb.782:
	s_mov_b32 s12, 0x3fdda512
	s_mov_b32 s13, 0xbfbb16c3
	v_sub_f32_e64 v2, 2.0, |v3|
	v_add_f32_e64 v4, |v3|, s13
	v_cmp_lt_f32_e64 vcc, |v3|, s12
	v_cndmask_b32_e32 v4, v2, v4, vcc
	v_cndmask_b32_e64 v2, v2, 1.0, vcc
	v_cvt_i32_f32_e32 v2, v2
	s_mov_b32 s12, 0x3f9d70a4
	v_add_f32_e64 v5, |v3|, -1.0
	v_cmp_lt_f32_e64 vcc, |v3|, s12
	v_cndmask_b32_e32 v4, v4, v5, vcc
	v_cndmask_b32_e64 v5, v2, 2, vcc
	v_mov_b32_e32 v2, 0
.LBB144_783:
	s_or_b64 exec, exec, s[0:1]
	v_cmp_lt_i32_e32 vcc, 0, v5
	s_and_saveexec_b64 s[0:1], vcc
	s_xor_b64 s[0:1], exec, s[0:1]
	s_cbranch_execz .LBB144_791
; %bb.784:
	v_cmp_lt_i32_e32 vcc, 1, v5
	s_and_saveexec_b64 s[12:13], vcc
	s_xor_b64 s[12:13], exec, s[12:13]
	s_cbranch_execz .LBB144_788
; %bb.785:
	v_cmp_eq_u32_e32 vcc, 2, v5
	s_and_saveexec_b64 s[14:15], vcc
	s_cbranch_execz .LBB144_787
; %bb.786:
	v_mov_b32_e32 v5, 0x3e6a7578
	v_fmac_f32_e32 v5, 0x3c5b3c5e, v4
	v_mov_b32_e32 v6, 0x3f7a4bb2
	v_fmac_f32_e32 v6, v4, v5
	;; [unrolled: 2-line block ×8, first 2 shown]
	v_fma_f32 v5, v4, v7, 1.0
	v_rcp_f32_e32 v5, v5
	v_mov_b32_e32 v7, 0xbd9e233f
	v_fmac_f32_e32 v7, v4, v6
	v_mul_f32_e32 v6, v4, v7
	v_mul_f32_e32 v5, v6, v5
	v_fmac_f32_e32 v5, -0.5, v4
	v_add_f32_e32 v2, v2, v5
.LBB144_787:
	s_or_b64 exec, exec, s[14:15]
                                        ; implicit-def: $vgpr4
.LBB144_788:
	s_andn2_saveexec_b64 s[12:13], s[12:13]
	s_cbranch_execz .LBB144_790
; %bb.789:
	v_mul_f32_e32 v5, v4, v4
	v_mul_f32_e32 v6, v4, v5
	v_mov_b32_e32 v7, 0xbab7f476
	v_fmac_f32_e32 v7, 0x39a57b6b, v6
	v_mov_b32_e32 v9, 0x3bc7e707
	v_fmac_f32_e32 v9, v6, v7
	;; [unrolled: 2-line block ×12, first 2 shown]
	v_fmac_f32_e32 v10, v4, v11
	s_mov_b32 s14, 0xa2863e55
	v_fma_f32 v4, v6, -v10, s14
	v_fma_f32 v4, v5, v9, -v4
	v_add_f32_e32 v4, 0xbdf8cdce, v4
	v_add_f32_e32 v2, v2, v4
.LBB144_790:
	s_or_b64 exec, exec, s[12:13]
                                        ; implicit-def: $vgpr5
                                        ; implicit-def: $vgpr4
.LBB144_791:
	s_andn2_saveexec_b64 s[0:1], s[0:1]
	s_cbranch_execz .LBB144_795
; %bb.792:
	v_cmp_eq_u32_e32 vcc, 0, v5
	s_and_saveexec_b64 s[12:13], vcc
	s_cbranch_execz .LBB144_794
; %bb.793:
	v_mul_f32_e32 v5, v4, v4
	v_mov_b32_e32 v6, 0x39679767
	v_fmac_f32_e32 v6, 0x37d383a2, v5
	v_mov_b32_e32 v7, 0x3a9c54a1
	v_fmac_f32_e32 v7, v5, v6
	;; [unrolled: 2-line block ×10, first 2 shown]
	v_mul_f32_e32 v5, v5, v7
	v_fmac_f32_e32 v5, v4, v6
	v_fmac_f32_e32 v5, -0.5, v4
	v_add_f32_e32 v2, v2, v5
.LBB144_794:
	s_or_b64 exec, exec, s[12:13]
.LBB144_795:
	s_or_b64 exec, exec, s[0:1]
.LBB144_796:
	s_or_b64 exec, exec, s[10:11]
.LBB144_797:
	s_andn2_saveexec_b64 s[2:3], s[2:3]
	s_cbranch_execz .LBB144_799
; %bb.798:
	s_mov_b32 s0, 0x3e8a8991
	v_mov_b32_e32 v2, 0xbecd26ab
	v_fma_f32 v2, |v3|, s0, v2
	s_mov_b32 s0, 0x3f528d33
	v_fma_f32 v2, |v3|, v2, s0
	s_mov_b32 s0, 0x800000
	v_cmp_lt_f32_e64 vcc, |v3|, s0
	v_cndmask_b32_e64 v4, 0, 32, vcc
	v_ldexp_f32 v4, |v3|, v4
	v_log_f32_e32 v4, v4
	s_mov_b32 s0, 0xbf13c468
	v_fma_f32 v2, |v3|, v2, s0
	s_mov_b32 s0, 0x3f317217
	v_mul_f32_e32 v5, 0x3f317217, v4
	v_fma_f32 v6, v4, s0, -v5
	v_fmac_f32_e32 v6, 0x3377d1cf, v4
	s_mov_b32 s0, 0x7f800000
	v_add_f32_e32 v5, v5, v6
	v_cmp_lt_f32_e64 s[0:1], |v4|, s0
	v_cndmask_b32_e64 v4, v4, v5, s[0:1]
	v_mov_b32_e32 v5, 0x41b17218
	v_cndmask_b32_e32 v5, 0, v5, vcc
	v_sub_f32_e32 v4, v4, v5
	v_fma_f32 v2, |v3|, v2, -v4
.LBB144_799:
	s_or_b64 exec, exec, s[2:3]
	v_cmp_le_f32_e32 vcc, 0, v3
	v_cmp_nle_f32_e64 s[0:1], 0, v3
	s_and_saveexec_b64 s[2:3], s[0:1]
	s_xor_b64 s[10:11], exec, s[2:3]
	s_cbranch_execz .LBB144_803
; %bb.800:
	s_mov_b32 s0, 0x4b000000
	s_mov_b32 s2, 0x35000000
	v_cmp_lt_f32_e64 s[0:1], |v3|, s0
	v_cmp_gt_f32_e64 s[2:3], |v3|, s2
	s_and_b64 s[0:1], s[0:1], s[2:3]
	s_and_saveexec_b64 s[12:13], s[0:1]
	s_cbranch_execz .LBB144_802
; %bb.801:
	v_mul_f32_e64 v4, |v3|, 0.5
	v_floor_f32_e32 v5, v4
	v_sub_f32_e32 v5, v4, v5
	v_min_f32_e32 v5, 0x3f7fffff, v5
	s_mov_b32 s2, 0x7f800000
	v_add_f32_e32 v5, v5, v5
	v_cmp_neq_f32_e64 s[0:1], s2, v4
	v_cndmask_b32_e64 v4, 0, v5, s[0:1]
	v_cmp_gt_f32_e64 s[0:1], |v3|, 1.0
	v_cndmask_b32_e64 v4, |v3|, v4, s[0:1]
	v_add_f32_e32 v5, v4, v4
	v_rndne_f32_e32 v5, v5
	v_fmac_f32_e32 v4, -0.5, v5
	v_mul_f32_e32 v6, v4, v4
	v_mov_b32_e32 v7, 0xbf1f24be
	v_fmac_f32_e32 v7, 0x3e75aa41, v6
	v_mov_b32_e32 v9, 0x40234736
	v_fmac_f32_e32 v9, v6, v7
	;; [unrolled: 2-line block ×3, first 2 shown]
	v_mul_f32_e32 v9, v4, v6
	v_mul_f32_e32 v7, v9, v7
	v_fmac_f32_e32 v7, 0x40490fdb, v4
	v_mov_b32_e32 v4, 0x3e642e9d
	v_cvt_i32_f32_e32 v5, v5
	v_fmac_f32_e32 v4, 0x3d4be544, v6
	v_mov_b32_e32 v9, 0xbfaad1da
	v_fmac_f32_e32 v9, v6, v4
	v_mov_b32_e32 v4, 0x4081e0d3
	;; [unrolled: 2-line block ×3, first 2 shown]
	v_fmac_f32_e32 v9, v6, v4
	v_fma_f32 v4, v6, v9, 1.0
	v_and_b32_e32 v6, 1, v5
	v_lshlrev_b32_e32 v5, 30, v5
	v_cmp_eq_u32_e64 s[0:1], 0, v6
	v_and_b32_e32 v5, 0x80000000, v5
	v_xor_b32_e32 v1, v1, v3
	v_cndmask_b32_e64 v4, v4, v7, s[0:1]
	v_xor_b32_e32 v1, v1, v5
	v_xor_b32_e32 v1, v1, v4
	v_mul_f32_e32 v1, v3, v1
	v_frexp_mant_f32_e64 v4, |v1|
	v_rcp_f32_e32 v4, v4
	v_frexp_exp_i32_f32_e32 v1, v1
	v_sub_u32_e32 v1, 2, v1
	s_mov_b32 s0, 0x800000
	v_mul_f32_e32 v4, 0x3f490fdb, v4
	v_ldexp_f32 v1, v4, v1
	v_cmp_gt_f32_e64 s[0:1], s0, v1
	v_cndmask_b32_e64 v4, 0, 32, s[0:1]
	v_ldexp_f32 v1, v1, v4
	v_log_f32_e32 v1, v1
	s_mov_b32 s3, 0x3f317217
	v_mul_f32_e32 v4, 0x3f317217, v1
	v_fma_f32 v5, v1, s3, -v4
	v_fmac_f32_e32 v5, 0x3377d1cf, v1
	v_add_f32_e32 v4, v4, v5
	v_cmp_lt_f32_e64 s[2:3], |v1|, s2
	v_cndmask_b32_e64 v1, v1, v4, s[2:3]
	v_mov_b32_e32 v4, 0x41b17218
	v_cndmask_b32_e64 v4, 0, v4, s[0:1]
	v_sub_f32_e32 v1, v1, v4
	v_sub_f32_e32 v1, v1, v2
	v_floor_f32_e32 v2, v3
	v_sub_f32_e32 v2, v3, v2
	v_min_f32_e32 v2, 0x3f7fffff, v2
	v_mov_b32_e32 v4, 0x7f800000
	v_cmp_neq_f32_e64 s[0:1], 0, v2
	v_cndmask_b32_e64 v2, v4, v1, s[0:1]
.LBB144_802:
	s_or_b64 exec, exec, s[12:13]
.LBB144_803:
	s_andn2_saveexec_b64 s[10:11], s[10:11]
; %bb.804:
	v_cmp_eq_f32_e64 s[0:1], 1.0, v3
	v_cmp_eq_f32_e64 s[2:3], 2.0, v3
	s_or_b64 s[0:1], s[0:1], s[2:3]
	v_cndmask_b32_e64 v2, v2, 0, s[0:1]
; %bb.805:
	s_or_b64 exec, exec, s[10:11]
	s_mov_b32 s0, 0x4b000000
	v_cmp_lt_f32_e64 s[0:1], |v3|, s0
	v_mov_b32_e32 v1, 0x264
	v_mov_b32_e32 v4, 0x7f800000
	s_or_b64 vcc, vcc, s[0:1]
	v_cndmask_b32_e32 v2, v4, v2, vcc
	v_cmp_class_f32_e32 vcc, v3, v1
	v_cndmask_b32_e32 v1, v2, v4, vcc
	v_cmp_u_f32_e32 vcc, v3, v3
	v_cndmask_b32_e32 v2, v1, v3, vcc
	v_mov_b32_e32 v1, s25
	s_and_b32 s14, s73, 0xff
	v_add_co_u32_e32 v0, vcc, s24, v0
	s_cmp_lt_i32 s14, 11
	v_addc_co_u32_e32 v1, vcc, 0, v1, vcc
	s_cbranch_scc1 .LBB144_813
; %bb.806:
	s_and_b32 s15, 0xffff, s14
	s_cmp_gt_i32 s15, 25
	s_cbranch_scc0 .LBB144_814
; %bb.807:
	s_cmp_gt_i32 s15, 28
	s_cbranch_scc0 .LBB144_815
; %bb.808:
	;; [unrolled: 3-line block ×4, first 2 shown]
	s_mov_b64 s[10:11], 0
	s_mov_b64 s[0:1], -1
	s_cmp_eq_u32 s15, 46
	s_mov_b64 s[2:3], 0
	s_cbranch_scc0 .LBB144_818
; %bb.811:
	v_bfe_u32 v3, v2, 16, 1
	s_movk_i32 s0, 0x7fff
	v_add3_u32 v3, v2, v3, s0
	v_cmp_o_f32_e32 vcc, v2, v2
	v_mov_b32_e32 v4, 0x7fc0
	v_cndmask_b32_sdwa v3, v4, v3, vcc dst_sel:DWORD dst_unused:UNUSED_PAD src0_sel:DWORD src1_sel:WORD_1
	global_store_dword v[0:1], v3, off
	s_mov_b64 s[2:3], -1
	s_mov_b64 s[0:1], 0
	s_branch .LBB144_818
.LBB144_812:
	s_mov_b64 s[2:3], 0
	s_mov_b64 s[0:1], s[60:61]
	s_branch .LBB144_929
.LBB144_813:
	s_mov_b64 s[10:11], -1
	s_mov_b64 s[2:3], 0
	s_mov_b64 s[0:1], s[60:61]
	s_branch .LBB144_887
.LBB144_814:
	s_mov_b64 s[10:11], -1
	s_mov_b64 s[2:3], 0
	s_mov_b64 s[0:1], s[60:61]
	s_branch .LBB144_845
.LBB144_815:
	s_mov_b64 s[10:11], -1
	s_mov_b64 s[2:3], 0
	s_mov_b64 s[0:1], s[60:61]
	s_branch .LBB144_828
.LBB144_816:
	s_mov_b64 s[10:11], -1
	s_mov_b64 s[2:3], 0
	s_mov_b64 s[0:1], s[60:61]
	s_branch .LBB144_824
.LBB144_817:
	s_mov_b64 s[10:11], -1
	s_mov_b64 s[2:3], 0
	s_mov_b64 s[0:1], s[60:61]
.LBB144_818:
	s_and_b64 vcc, exec, s[10:11]
	s_cbranch_vccz .LBB144_823
; %bb.819:
	s_cmp_eq_u32 s15, 44
	s_mov_b64 s[0:1], -1
	s_cbranch_scc0 .LBB144_823
; %bb.820:
	v_bfe_u32 v3, v2, 23, 8
	s_movk_i32 s0, 0xff
	v_cmp_ne_u32_e32 vcc, s0, v3
	v_mov_b32_e32 v4, 0xff
	s_and_saveexec_b64 s[2:3], vcc
; %bb.821:
	s_mov_b32 s0, 0x3fffff
	v_and_b32_e32 v5, 0x400000, v2
	v_and_or_b32 v3, v2, s0, v3
	v_cmp_ne_u32_e32 vcc, 0, v5
	v_cmp_ne_u32_e64 s[0:1], 0, v3
	s_and_b64 s[0:1], vcc, s[0:1]
	v_lshrrev_b32_e32 v4, 23, v2
	v_cndmask_b32_e64 v3, 0, 1, s[0:1]
	v_add_u32_e32 v4, v4, v3
; %bb.822:
	s_or_b64 exec, exec, s[2:3]
	s_mov_b64 s[2:3], -1
	s_mov_b64 s[0:1], 0
	global_store_byte v[0:1], v4, off
.LBB144_823:
	s_mov_b64 s[10:11], 0
.LBB144_824:
	s_and_b64 vcc, exec, s[10:11]
	s_cbranch_vccz .LBB144_827
; %bb.825:
	s_cmp_eq_u32 s15, 29
	s_mov_b64 s[0:1], -1
	s_cbranch_scc0 .LBB144_827
; %bb.826:
	v_trunc_f32_e32 v3, v2
	v_mul_f32_e32 v4, 0x2f800000, v3
	v_floor_f32_e32 v5, v4
	v_fmac_f32_e32 v3, 0xcf800000, v5
	v_cvt_u32_f32_e32 v4, v5
	v_cvt_u32_f32_e32 v3, v3
	s_mov_b64 s[2:3], -1
	s_mov_b64 s[0:1], 0
	s_mov_b64 s[10:11], 0
	global_store_dwordx2 v[0:1], v[3:4], off
	s_branch .LBB144_828
.LBB144_827:
	s_mov_b64 s[10:11], 0
.LBB144_828:
	s_and_b64 vcc, exec, s[10:11]
	s_cbranch_vccz .LBB144_844
; %bb.829:
	s_cmp_lt_i32 s15, 27
	s_mov_b64 s[2:3], -1
	s_cbranch_scc1 .LBB144_835
; %bb.830:
	v_cvt_u32_f32_e32 v3, v2
	s_cmp_gt_i32 s15, 27
	s_cbranch_scc0 .LBB144_832
; %bb.831:
	s_mov_b64 s[2:3], 0
	global_store_dword v[0:1], v3, off
.LBB144_832:
	s_andn2_b64 vcc, exec, s[2:3]
	s_cbranch_vccnz .LBB144_834
; %bb.833:
	global_store_short v[0:1], v3, off
.LBB144_834:
	s_mov_b64 s[2:3], 0
.LBB144_835:
	s_andn2_b64 vcc, exec, s[2:3]
	s_cbranch_vccnz .LBB144_843
; %bb.836:
	v_and_b32_e32 v3, 0x7fffffff, v2
	s_mov_b32 s2, 0x43800000
	v_cmp_gt_u32_e32 vcc, s2, v3
	v_mov_b32_e32 v4, 0x80
	s_and_saveexec_b64 s[2:3], vcc
	s_cbranch_execz .LBB144_842
; %bb.837:
	s_mov_b32 s10, 0x3bffffff
	v_cmp_lt_u32_e32 vcc, s10, v3
	s_mov_b64 s[10:11], 0
                                        ; implicit-def: $vgpr3
	s_and_saveexec_b64 s[12:13], vcc
	s_xor_b64 s[12:13], exec, s[12:13]
	s_cbranch_execz .LBB144_959
; %bb.838:
	v_bfe_u32 v3, v2, 20, 1
	s_mov_b32 s16, 0x487ffff
	v_add3_u32 v3, v2, v3, s16
	s_mov_b64 s[10:11], exec
	v_lshrrev_b32_e32 v3, 20, v3
	s_andn2_saveexec_b64 s[12:13], s[12:13]
	s_cbranch_execnz .LBB144_960
.LBB144_839:
	s_or_b64 exec, exec, s[12:13]
	v_mov_b32_e32 v4, 0
	s_and_saveexec_b64 s[12:13], s[10:11]
.LBB144_840:
	v_lshrrev_b32_e32 v4, 24, v2
	s_movk_i32 s10, 0x80
	v_and_or_b32 v4, v4, s10, v3
.LBB144_841:
	s_or_b64 exec, exec, s[12:13]
.LBB144_842:
	s_or_b64 exec, exec, s[2:3]
	global_store_byte v[0:1], v4, off
.LBB144_843:
	s_mov_b64 s[2:3], -1
.LBB144_844:
	s_mov_b64 s[10:11], 0
.LBB144_845:
	s_and_b64 vcc, exec, s[10:11]
	s_cbranch_vccz .LBB144_886
; %bb.846:
	s_cmp_gt_i32 s15, 22
	s_mov_b64 s[10:11], -1
	s_cbranch_scc0 .LBB144_878
; %bb.847:
	s_cmp_lt_i32 s15, 24
	s_mov_b64 s[2:3], -1
	s_cbranch_scc1 .LBB144_867
; %bb.848:
	s_cmp_gt_i32 s15, 24
	s_cbranch_scc0 .LBB144_856
; %bb.849:
	v_and_b32_e32 v3, 0x7fffffff, v2
	s_mov_b32 s2, 0x47800000
	v_cmp_gt_u32_e32 vcc, s2, v3
	v_mov_b32_e32 v4, 0x80
	s_and_saveexec_b64 s[2:3], vcc
	s_cbranch_execz .LBB144_855
; %bb.850:
	s_mov_b32 s10, 0x37ffffff
	v_cmp_lt_u32_e32 vcc, s10, v3
	s_mov_b64 s[10:11], 0
                                        ; implicit-def: $vgpr3
	s_and_saveexec_b64 s[12:13], vcc
	s_xor_b64 s[12:13], exec, s[12:13]
	s_cbranch_execz .LBB144_962
; %bb.851:
	v_bfe_u32 v3, v2, 21, 1
	s_mov_b32 s16, 0x88fffff
	v_add3_u32 v3, v2, v3, s16
	s_mov_b64 s[10:11], exec
	v_lshrrev_b32_e32 v3, 21, v3
	s_andn2_saveexec_b64 s[12:13], s[12:13]
	s_cbranch_execnz .LBB144_963
.LBB144_852:
	s_or_b64 exec, exec, s[12:13]
	v_mov_b32_e32 v4, 0
	s_and_saveexec_b64 s[12:13], s[10:11]
.LBB144_853:
	v_lshrrev_b32_e32 v4, 24, v2
	s_movk_i32 s10, 0x80
	v_and_or_b32 v4, v4, s10, v3
.LBB144_854:
	s_or_b64 exec, exec, s[12:13]
.LBB144_855:
	s_or_b64 exec, exec, s[2:3]
	s_mov_b64 s[2:3], 0
	global_store_byte v[0:1], v4, off
.LBB144_856:
	s_and_b64 vcc, exec, s[2:3]
	s_cbranch_vccz .LBB144_866
; %bb.857:
	v_and_b32_e32 v4, 0x7fffffff, v2
	s_mov_b32 s2, 0x43f00000
	v_cmp_gt_u32_e32 vcc, s2, v4
                                        ; implicit-def: $vgpr3
	s_and_saveexec_b64 s[2:3], vcc
	s_xor_b64 s[2:3], exec, s[2:3]
	s_cbranch_execz .LBB144_863
; %bb.858:
	s_mov_b32 s10, 0x3c7fffff
	v_cmp_lt_u32_e32 vcc, s10, v4
                                        ; implicit-def: $vgpr3
	s_and_saveexec_b64 s[10:11], vcc
	s_xor_b64 s[10:11], exec, s[10:11]
; %bb.859:
	v_bfe_u32 v3, v2, 20, 1
	s_mov_b32 s12, 0x407ffff
	v_add3_u32 v3, v2, v3, s12
	v_lshrrev_b32_e32 v4, 20, v3
	v_and_b32_e32 v3, 0xff00000, v3
	s_mov_b32 s12, 0x7f00000
	v_mov_b32_e32 v5, 0x7e
	v_cmp_ne_u32_e32 vcc, s12, v3
	v_cndmask_b32_e32 v3, v5, v4, vcc
; %bb.860:
	s_andn2_saveexec_b64 s[10:11], s[10:11]
; %bb.861:
	s_mov_b32 s12, 0x46800000
	v_add_f32_e64 v3, |v2|, s12
; %bb.862:
	s_or_b64 exec, exec, s[10:11]
                                        ; implicit-def: $vgpr4
.LBB144_863:
	s_andn2_saveexec_b64 s[2:3], s[2:3]
; %bb.864:
	s_mov_b32 s10, 0x7f800000
	v_mov_b32_e32 v3, 0x7e
	v_mov_b32_e32 v5, 0x7f
	v_cmp_lt_u32_e32 vcc, s10, v4
	v_cndmask_b32_e32 v3, v3, v5, vcc
; %bb.865:
	s_or_b64 exec, exec, s[2:3]
	v_lshrrev_b32_e32 v4, 24, v2
	s_movk_i32 s2, 0x80
	v_and_or_b32 v3, v4, s2, v3
	global_store_byte v[0:1], v3, off
.LBB144_866:
	s_mov_b64 s[2:3], 0
.LBB144_867:
	s_andn2_b64 vcc, exec, s[2:3]
	s_cbranch_vccnz .LBB144_877
; %bb.868:
	v_and_b32_e32 v4, 0x7fffffff, v2
	s_mov_b32 s2, 0x47800000
	v_cmp_gt_u32_e32 vcc, s2, v4
                                        ; implicit-def: $vgpr3
	s_and_saveexec_b64 s[2:3], vcc
	s_xor_b64 s[2:3], exec, s[2:3]
	s_cbranch_execz .LBB144_874
; %bb.869:
	s_mov_b32 s10, 0x387fffff
	v_cmp_lt_u32_e32 vcc, s10, v4
                                        ; implicit-def: $vgpr3
	s_and_saveexec_b64 s[10:11], vcc
	s_xor_b64 s[10:11], exec, s[10:11]
; %bb.870:
	v_bfe_u32 v3, v2, 21, 1
	s_mov_b32 s12, 0x80fffff
	v_add3_u32 v3, v2, v3, s12
	v_lshrrev_b32_e32 v3, 21, v3
; %bb.871:
	s_andn2_saveexec_b64 s[10:11], s[10:11]
; %bb.872:
	s_mov_b32 s12, 0x43000000
	v_add_f32_e64 v3, |v2|, s12
; %bb.873:
	s_or_b64 exec, exec, s[10:11]
                                        ; implicit-def: $vgpr4
.LBB144_874:
	s_andn2_saveexec_b64 s[2:3], s[2:3]
; %bb.875:
	s_mov_b32 s10, 0x7f800000
	v_mov_b32_e32 v3, 0x7c
	v_mov_b32_e32 v5, 0x7f
	v_cmp_lt_u32_e32 vcc, s10, v4
	v_cndmask_b32_e32 v3, v3, v5, vcc
; %bb.876:
	s_or_b64 exec, exec, s[2:3]
	v_lshrrev_b32_e32 v4, 24, v2
	s_movk_i32 s2, 0x80
	v_and_or_b32 v3, v4, s2, v3
	global_store_byte v[0:1], v3, off
.LBB144_877:
	s_mov_b64 s[10:11], 0
	s_mov_b64 s[2:3], -1
.LBB144_878:
	s_andn2_b64 vcc, exec, s[10:11]
	s_cbranch_vccnz .LBB144_886
; %bb.879:
	s_cmp_gt_i32 s15, 14
	s_mov_b64 s[10:11], -1
	s_cbranch_scc0 .LBB144_883
; %bb.880:
	s_cmp_eq_u32 s15, 15
	s_mov_b64 s[0:1], -1
	s_cbranch_scc0 .LBB144_882
; %bb.881:
	v_bfe_u32 v3, v2, 16, 1
	s_movk_i32 s0, 0x7fff
	v_add3_u32 v3, v2, v3, s0
	v_cmp_o_f32_e32 vcc, v2, v2
	v_mov_b32_e32 v4, 0x7fc0
	v_cndmask_b32_sdwa v3, v4, v3, vcc dst_sel:DWORD dst_unused:UNUSED_PAD src0_sel:DWORD src1_sel:WORD_1
	global_store_short v[0:1], v3, off
	s_mov_b64 s[2:3], -1
	s_mov_b64 s[0:1], 0
.LBB144_882:
	s_mov_b64 s[10:11], 0
.LBB144_883:
	s_and_b64 vcc, exec, s[10:11]
	s_cbranch_vccz .LBB144_886
; %bb.884:
	s_cmp_eq_u32 s15, 11
	s_mov_b64 s[0:1], -1
	s_cbranch_scc0 .LBB144_886
; %bb.885:
	v_cmp_neq_f32_e32 vcc, 0, v2
	v_cndmask_b32_e64 v3, 0, 1, vcc
	s_mov_b64 s[2:3], -1
	s_mov_b64 s[0:1], 0
	global_store_byte v[0:1], v3, off
.LBB144_886:
	s_mov_b64 s[10:11], 0
.LBB144_887:
	s_and_b64 vcc, exec, s[10:11]
	s_cbranch_vccz .LBB144_926
; %bb.888:
	s_and_b32 s10, 0xffff, s14
	s_cmp_lt_i32 s10, 5
	s_mov_b64 s[2:3], -1
	s_cbranch_scc1 .LBB144_909
; %bb.889:
	s_cmp_lt_i32 s10, 8
	s_cbranch_scc1 .LBB144_899
; %bb.890:
	s_cmp_lt_i32 s10, 9
	s_cbranch_scc1 .LBB144_896
; %bb.891:
	s_cmp_gt_i32 s10, 9
	s_cbranch_scc0 .LBB144_893
; %bb.892:
	v_cvt_f64_f32_e32 v[3:4], v2
	v_mov_b32_e32 v5, 0
	v_mov_b32_e32 v6, v5
	s_mov_b64 s[2:3], 0
	global_store_dwordx4 v[0:1], v[3:6], off
.LBB144_893:
	s_andn2_b64 vcc, exec, s[2:3]
	s_cbranch_vccnz .LBB144_895
; %bb.894:
	v_mov_b32_e32 v3, 0
	global_store_dwordx2 v[0:1], v[2:3], off
.LBB144_895:
	s_mov_b64 s[2:3], 0
.LBB144_896:
	s_andn2_b64 vcc, exec, s[2:3]
	s_cbranch_vccnz .LBB144_898
; %bb.897:
	v_cvt_f16_f32_e32 v3, v2
	global_store_dword v[0:1], v3, off
.LBB144_898:
	s_mov_b64 s[2:3], 0
.LBB144_899:
	s_andn2_b64 vcc, exec, s[2:3]
	s_cbranch_vccnz .LBB144_908
; %bb.900:
	s_cmp_lt_i32 s10, 6
	s_mov_b64 s[2:3], -1
	s_cbranch_scc1 .LBB144_906
; %bb.901:
	s_cmp_gt_i32 s10, 6
	s_cbranch_scc0 .LBB144_903
; %bb.902:
	v_cvt_f64_f32_e32 v[3:4], v2
	s_mov_b64 s[2:3], 0
	global_store_dwordx2 v[0:1], v[3:4], off
.LBB144_903:
	s_andn2_b64 vcc, exec, s[2:3]
	s_cbranch_vccnz .LBB144_905
; %bb.904:
	global_store_dword v[0:1], v2, off
.LBB144_905:
	s_mov_b64 s[2:3], 0
.LBB144_906:
	s_andn2_b64 vcc, exec, s[2:3]
	s_cbranch_vccnz .LBB144_908
; %bb.907:
	v_cvt_f16_f32_e32 v3, v2
	global_store_short v[0:1], v3, off
.LBB144_908:
	s_mov_b64 s[2:3], 0
.LBB144_909:
	s_andn2_b64 vcc, exec, s[2:3]
	s_cbranch_vccnz .LBB144_925
; %bb.910:
	s_cmp_lt_i32 s10, 2
	s_mov_b64 s[2:3], -1
	s_cbranch_scc1 .LBB144_920
; %bb.911:
	s_cmp_lt_i32 s10, 3
	s_cbranch_scc1 .LBB144_917
; %bb.912:
	s_cmp_gt_i32 s10, 3
	s_cbranch_scc0 .LBB144_914
; %bb.913:
	v_trunc_f32_e32 v3, v2
	s_mov_b32 s2, 0x2f800000
	v_mul_f32_e64 v4, |v3|, s2
	v_floor_f32_e32 v4, v4
	s_mov_b32 s2, 0xcf800000
	v_cvt_u32_f32_e32 v5, v4
	v_fma_f32 v4, v4, s2, |v3|
	v_cvt_u32_f32_e32 v4, v4
	v_ashrrev_i32_e32 v6, 31, v3
	v_xor_b32_e32 v5, v5, v6
	s_mov_b64 s[2:3], 0
	v_xor_b32_e32 v3, v4, v6
	v_sub_co_u32_e32 v3, vcc, v3, v6
	v_subb_co_u32_e32 v4, vcc, v5, v6, vcc
	global_store_dwordx2 v[0:1], v[3:4], off
.LBB144_914:
	s_andn2_b64 vcc, exec, s[2:3]
	s_cbranch_vccnz .LBB144_916
; %bb.915:
	v_cvt_i32_f32_e32 v3, v2
	global_store_dword v[0:1], v3, off
.LBB144_916:
	s_mov_b64 s[2:3], 0
.LBB144_917:
	s_andn2_b64 vcc, exec, s[2:3]
	s_cbranch_vccnz .LBB144_919
; %bb.918:
	v_cvt_i32_f32_e32 v3, v2
	global_store_short v[0:1], v3, off
.LBB144_919:
	s_mov_b64 s[2:3], 0
.LBB144_920:
	s_andn2_b64 vcc, exec, s[2:3]
	s_cbranch_vccnz .LBB144_925
; %bb.921:
	s_cmp_gt_i32 s10, 0
	s_mov_b64 s[2:3], -1
	s_cbranch_scc0 .LBB144_923
; %bb.922:
	v_cvt_i32_f32_e32 v3, v2
	s_mov_b64 s[2:3], 0
	global_store_byte v[0:1], v3, off
.LBB144_923:
	s_andn2_b64 vcc, exec, s[2:3]
	s_cbranch_vccnz .LBB144_925
; %bb.924:
	v_trunc_f32_e32 v2, v2
	s_mov_b32 s2, 0x2f800000
	v_mul_f32_e64 v3, |v2|, s2
	v_floor_f32_e32 v3, v3
	s_mov_b32 s2, 0xcf800000
	v_fma_f32 v3, v3, s2, |v2|
	v_cvt_u32_f32_e32 v3, v3
	v_ashrrev_i32_e32 v2, 31, v2
	v_xor_b32_e32 v3, v3, v2
	v_sub_u32_e32 v2, v3, v2
	global_store_byte v[0:1], v2, off
.LBB144_925:
	s_mov_b64 s[2:3], -1
.LBB144_926:
	s_andn2_b64 vcc, exec, s[2:3]
	s_cbranch_vccnz .LBB144_928
; %bb.927:
	v_add_u32_e32 v8, 0x80, v8
	s_mov_b64 s[2:3], -1
	s_branch .LBB144_930
.LBB144_928:
	s_mov_b64 s[2:3], 0
.LBB144_929:
                                        ; implicit-def: $vgpr8
.LBB144_930:
	s_andn2_b64 s[10:11], s[60:61], exec
	s_and_b64 s[0:1], s[0:1], exec
	s_or_b64 s[68:69], s[10:11], s[0:1]
	s_andn2_b64 s[0:1], s[58:59], exec
	s_and_b64 s[8:9], s[8:9], exec
	s_or_b64 s[66:67], s[0:1], s[8:9]
	s_orn2_b64 s[2:3], s[2:3], exec
.LBB144_931:
	s_or_b64 exec, exec, s[64:65]
	s_mov_b64 s[0:1], 0
	s_mov_b64 s[8:9], 0
	;; [unrolled: 1-line block ×3, first 2 shown]
                                        ; implicit-def: $vgpr1_vgpr2
                                        ; implicit-def: $vgpr0
                                        ; implicit-def: $vgpr4
	s_and_saveexec_b64 s[64:65], s[2:3]
	s_cbranch_execz .LBB144_1030
; %bb.932:
	v_cmp_gt_i32_e32 vcc, s70, v8
	s_mov_b64 s[2:3], 0
	s_mov_b64 s[12:13], s[66:67]
                                        ; implicit-def: $vgpr1_vgpr2
                                        ; implicit-def: $vgpr0
                                        ; implicit-def: $vgpr4
	s_and_saveexec_b64 s[70:71], vcc
	s_cbranch_execz .LBB144_1029
; %bb.933:
	s_andn2_b64 vcc, exec, s[40:41]
	s_cbranch_vccnz .LBB144_938
; %bb.934:
	s_andn2_b64 vcc, exec, s[50:51]
	s_cbranch_vccnz .LBB144_939
; %bb.935:
	s_add_i32 s76, s75, 1
	s_cmp_eq_u32 s72, 2
	s_cbranch_scc1 .LBB144_940
; %bb.936:
	s_and_b32 s75, s76, 28
	v_mov_b32_e32 v2, 0
	s_mov_b32 s77, 0
	s_mov_b64 s[50:51], s[34:35]
	v_mov_b32_e32 v0, 0
	v_mov_b32_e32 v1, v8
.LBB144_937:                            ; =>This Inner Loop Header: Depth=1
	s_load_dwordx8 s[16:23], s[50:51], 0x4
	s_load_dwordx4 s[0:3], s[50:51], 0x24
	s_load_dwordx8 s[8:15], s[48:49], 0x0
	s_add_u32 s50, s50, 48
	s_addc_u32 s51, s51, 0
	s_waitcnt vmcnt(0) lgkmcnt(0)
	v_mul_hi_u32 v3, s17, v1
	s_add_i32 s77, s77, 4
	s_add_u32 s48, s48, 32
	s_addc_u32 s49, s49, 0
	v_add_u32_e32 v3, v1, v3
	v_lshrrev_b32_e32 v3, s18, v3
	v_mul_lo_u32 v4, v3, s16
	v_mul_hi_u32 v5, s20, v3
	s_cmp_eq_u32 s75, s77
	v_sub_u32_e32 v1, v1, v4
	v_add_u32_e32 v4, v3, v5
	v_mul_lo_u32 v5, v1, s8
	v_mul_lo_u32 v6, v1, s9
	v_lshrrev_b32_e32 v1, s21, v4
	v_mul_lo_u32 v4, v1, s19
	v_mul_hi_u32 v7, s23, v1
	v_sub_u32_e32 v3, v3, v4
	v_add_u32_e32 v4, v1, v7
	v_lshrrev_b32_e32 v4, s0, v4
	v_mul_hi_u32 v9, s2, v4
	v_mul_lo_u32 v10, v4, s22
	v_mul_lo_u32 v7, v3, s10
	;; [unrolled: 1-line block ×3, first 2 shown]
	v_sub_u32_e32 v10, v1, v10
	v_add_u32_e32 v1, v4, v9
	v_lshrrev_b32_e32 v1, s3, v1
	v_mul_lo_u32 v9, v1, s1
	v_mul_lo_u32 v11, v10, s12
	;; [unrolled: 1-line block ×3, first 2 shown]
	v_add3_u32 v0, v5, v0, v7
	v_sub_u32_e32 v4, v4, v9
	v_mul_lo_u32 v9, v4, s14
	v_mul_lo_u32 v4, v4, s15
	v_add3_u32 v2, v6, v2, v3
	v_add3_u32 v0, v11, v0, v9
	;; [unrolled: 1-line block ×3, first 2 shown]
	s_cbranch_scc0 .LBB144_937
	s_branch .LBB144_941
.LBB144_938:
	s_mov_b64 s[0:1], -1
                                        ; implicit-def: $vgpr0
                                        ; implicit-def: $vgpr2
	s_branch .LBB144_945
.LBB144_939:
	v_mov_b32_e32 v0, 0
	v_mov_b32_e32 v2, 0
	s_branch .LBB144_944
.LBB144_940:
	s_mov_b32 s75, 0
	v_mov_b32_e32 v0, 0
	v_mov_b32_e32 v2, 0
	;; [unrolled: 1-line block ×3, first 2 shown]
.LBB144_941:
	s_and_b32 s8, s76, 3
	s_cmp_eq_u32 s8, 0
	s_cbranch_scc1 .LBB144_944
; %bb.942:
	s_lshl_b32 s0, s75, 3
	s_add_u32 s0, s34, s0
	s_addc_u32 s1, s35, 0
	s_add_u32 s0, s0, 0xc4
	s_addc_u32 s1, s1, 0
	s_mul_i32 s2, s75, 12
	s_add_u32 s2, s34, s2
	s_addc_u32 s3, s35, 0
.LBB144_943:                            ; =>This Inner Loop Header: Depth=1
	s_load_dwordx2 s[10:11], s[2:3], 0x4
	s_load_dword s9, s[2:3], 0xc
	s_load_dwordx2 s[12:13], s[0:1], 0x0
	s_add_u32 s2, s2, 12
	s_addc_u32 s3, s3, 0
	s_waitcnt vmcnt(0) lgkmcnt(0)
	v_mul_hi_u32 v3, s11, v1
	s_add_u32 s0, s0, 8
	s_addc_u32 s1, s1, 0
	s_add_i32 s8, s8, -1
	v_add_u32_e32 v3, v1, v3
	v_lshrrev_b32_e32 v4, s9, v3
	v_mul_lo_u32 v3, v4, s10
	s_cmp_lg_u32 s8, 0
	v_sub_u32_e32 v3, v1, v3
	v_mad_u64_u32 v[0:1], s[10:11], v3, s12, v[0:1]
	v_mad_u64_u32 v[2:3], s[10:11], v3, s13, v[2:3]
	v_mov_b32_e32 v1, v4
	s_cbranch_scc1 .LBB144_943
.LBB144_944:
	s_mov_b64 s[0:1], 0
.LBB144_945:
	s_andn2_b64 vcc, exec, s[0:1]
	s_cbranch_vccnz .LBB144_948
; %bb.946:
	s_waitcnt lgkmcnt(0)
	v_mul_hi_u32 v0, s37, v8
	s_andn2_b64 vcc, exec, s[46:47]
	v_add_u32_e32 v0, v8, v0
	v_lshrrev_b32_e32 v1, s38, v0
	v_mul_lo_u32 v0, v1, s36
	v_sub_u32_e32 v2, v8, v0
	v_mul_lo_u32 v0, v2, s28
	v_mul_lo_u32 v2, v2, s29
	s_cbranch_vccnz .LBB144_948
; %bb.947:
	s_waitcnt vmcnt(0)
	v_mul_hi_u32 v3, s44, v1
	v_add_u32_e32 v3, v1, v3
	v_lshrrev_b32_e32 v3, s45, v3
	v_mul_lo_u32 v3, v3, s39
	v_sub_u32_e32 v3, v1, v3
	v_mad_u64_u32 v[0:1], s[0:1], v3, s30, v[0:1]
	v_mad_u64_u32 v[2:3], s[0:1], v3, s31, v[2:3]
.LBB144_948:
	s_waitcnt vmcnt(0) lgkmcnt(0)
	v_mov_b32_e32 v3, s27
	s_and_b32 s14, 0xffff, s74
	v_add_co_u32_e32 v1, vcc, s26, v2
	s_cmp_lt_i32 s14, 11
	v_addc_co_u32_e32 v2, vcc, 0, v3, vcc
	s_cbranch_scc1 .LBB144_955
; %bb.949:
	s_cmp_gt_i32 s14, 25
	s_mov_b64 s[2:3], 0
	s_cbranch_scc0 .LBB144_956
; %bb.950:
	s_cmp_gt_i32 s14, 28
	s_cbranch_scc0 .LBB144_957
; %bb.951:
	s_cmp_gt_i32 s14, 43
	;; [unrolled: 3-line block ×3, first 2 shown]
	s_cbranch_scc0 .LBB144_961
; %bb.953:
	s_cmp_eq_u32 s14, 46
	s_mov_b64 s[10:11], 0
	s_cbranch_scc0 .LBB144_964
; %bb.954:
	global_load_dword v3, v[1:2], off
	s_mov_b64 s[0:1], 0
	s_mov_b64 s[8:9], -1
	s_waitcnt vmcnt(0)
	v_lshlrev_b32_e32 v4, 16, v3
	s_branch .LBB144_965
.LBB144_955:
	s_mov_b64 s[12:13], -1
	s_mov_b64 s[8:9], 0
	s_mov_b64 s[2:3], 0
	;; [unrolled: 1-line block ×3, first 2 shown]
                                        ; implicit-def: $vgpr4
	s_branch .LBB144_1028
.LBB144_956:
	s_mov_b64 s[10:11], -1
	s_mov_b64 s[8:9], 0
	s_mov_b64 s[0:1], s[66:67]
                                        ; implicit-def: $vgpr4
	s_branch .LBB144_994
.LBB144_957:
	s_mov_b64 s[10:11], -1
	s_mov_b64 s[8:9], 0
	s_mov_b64 s[0:1], s[66:67]
                                        ; implicit-def: $vgpr4
	s_branch .LBB144_975
.LBB144_958:
	s_mov_b64 s[10:11], -1
	s_mov_b64 s[8:9], 0
	s_mov_b64 s[0:1], s[66:67]
                                        ; implicit-def: $vgpr4
	s_branch .LBB144_970
.LBB144_959:
	s_andn2_saveexec_b64 s[12:13], s[12:13]
	s_cbranch_execz .LBB144_839
.LBB144_960:
	s_mov_b32 s16, 0x46000000
	v_add_f32_e64 v3, |v2|, s16
	v_and_b32_e32 v3, 0xff, v3
	v_cmp_ne_u32_e32 vcc, 0, v3
	s_andn2_b64 s[10:11], s[10:11], exec
	s_and_b64 s[16:17], vcc, exec
	s_or_b64 s[10:11], s[10:11], s[16:17]
	s_or_b64 exec, exec, s[12:13]
	v_mov_b32_e32 v4, 0
	s_and_saveexec_b64 s[12:13], s[10:11]
	s_cbranch_execnz .LBB144_840
	s_branch .LBB144_841
.LBB144_961:
	s_mov_b64 s[10:11], -1
	s_mov_b64 s[8:9], 0
	s_mov_b64 s[0:1], s[66:67]
                                        ; implicit-def: $vgpr4
	s_branch .LBB144_965
.LBB144_962:
	s_andn2_saveexec_b64 s[12:13], s[12:13]
	s_cbranch_execz .LBB144_852
.LBB144_963:
	s_mov_b32 s16, 0x42800000
	v_add_f32_e64 v3, |v2|, s16
	v_and_b32_e32 v3, 0xff, v3
	v_cmp_ne_u32_e32 vcc, 0, v3
	s_andn2_b64 s[10:11], s[10:11], exec
	s_and_b64 s[16:17], vcc, exec
	s_or_b64 s[10:11], s[10:11], s[16:17]
	s_or_b64 exec, exec, s[12:13]
	v_mov_b32_e32 v4, 0
	s_and_saveexec_b64 s[12:13], s[10:11]
	s_cbranch_execnz .LBB144_853
	s_branch .LBB144_854
.LBB144_964:
	s_mov_b64 s[0:1], -1
                                        ; implicit-def: $vgpr4
	s_mov_b64 s[8:9], 0
.LBB144_965:
	s_and_b64 vcc, exec, s[10:11]
	s_cbranch_vccz .LBB144_969
; %bb.966:
	s_cmp_eq_u32 s14, 44
	s_cbranch_scc0 .LBB144_968
; %bb.967:
	global_load_ubyte v3, v[1:2], off
	s_movk_i32 s8, 0xff
	v_mov_b32_e32 v4, 0x7f800001
	v_mov_b32_e32 v5, 0x400000
	s_mov_b64 s[0:1], 0
	s_waitcnt vmcnt(0)
	v_lshlrev_b32_e32 v6, 23, v3
	v_cmp_ne_u32_e32 vcc, s8, v3
	v_cndmask_b32_e32 v4, v4, v6, vcc
	v_cmp_ne_u32_e32 vcc, 0, v3
	v_cndmask_b32_e32 v4, v5, v4, vcc
	s_mov_b64 s[8:9], -1
	s_branch .LBB144_969
.LBB144_968:
	s_mov_b64 s[0:1], -1
                                        ; implicit-def: $vgpr4
.LBB144_969:
	s_mov_b64 s[10:11], 0
.LBB144_970:
	s_and_b64 vcc, exec, s[10:11]
	s_cbranch_vccz .LBB144_974
; %bb.971:
	s_cmp_eq_u32 s14, 29
	s_cbranch_scc0 .LBB144_973
; %bb.972:
	global_load_dwordx2 v[3:4], v[1:2], off
	s_mov_b64 s[0:1], 0
	s_mov_b64 s[8:9], -1
	s_mov_b64 s[10:11], 0
	s_waitcnt vmcnt(0)
	v_ffbh_u32_e32 v5, v4
	v_min_u32_e32 v5, 32, v5
	v_lshlrev_b64 v[3:4], v5, v[3:4]
	v_min_u32_e32 v3, 1, v3
	v_or_b32_e32 v3, v4, v3
	v_cvt_f32_u32_e32 v3, v3
	v_sub_u32_e32 v4, 32, v5
	v_ldexp_f32 v4, v3, v4
	s_branch .LBB144_975
.LBB144_973:
	s_mov_b64 s[0:1], -1
                                        ; implicit-def: $vgpr4
.LBB144_974:
	s_mov_b64 s[10:11], 0
.LBB144_975:
	s_and_b64 vcc, exec, s[10:11]
	s_cbranch_vccz .LBB144_993
; %bb.976:
	s_cmp_lt_i32 s14, 27
	s_cbranch_scc1 .LBB144_979
; %bb.977:
	s_cmp_gt_i32 s14, 27
	s_cbranch_scc0 .LBB144_980
; %bb.978:
	global_load_dword v3, v[1:2], off
	s_mov_b64 s[8:9], 0
	s_waitcnt vmcnt(0)
	v_cvt_f32_u32_e32 v4, v3
	s_branch .LBB144_981
.LBB144_979:
	s_mov_b64 s[8:9], -1
                                        ; implicit-def: $vgpr4
	s_branch .LBB144_984
.LBB144_980:
	s_mov_b64 s[8:9], -1
                                        ; implicit-def: $vgpr4
.LBB144_981:
	s_andn2_b64 vcc, exec, s[8:9]
	s_cbranch_vccnz .LBB144_983
; %bb.982:
	global_load_ushort v3, v[1:2], off
	s_waitcnt vmcnt(0)
	v_cvt_f32_u32_e32 v4, v3
.LBB144_983:
	s_mov_b64 s[8:9], 0
.LBB144_984:
	s_andn2_b64 vcc, exec, s[8:9]
	s_cbranch_vccnz .LBB144_992
; %bb.985:
	global_load_ubyte v3, v[1:2], off
	s_movk_i32 s8, 0x7f
	s_waitcnt vmcnt(0)
	v_cmp_lt_i16_e32 vcc, s8, v3
	s_mov_b64 s[8:9], 0
	s_and_saveexec_b64 s[10:11], vcc
	s_xor_b64 s[10:11], exec, s[10:11]
	s_cbranch_execz .LBB144_1006
; %bb.986:
	s_movk_i32 s8, 0x80
	v_cmp_eq_u16_e32 vcc, s8, v3
	s_mov_b64 s[8:9], -1
	s_and_saveexec_b64 s[12:13], vcc
; %bb.987:
	s_xor_b64 s[8:9], exec, -1
; %bb.988:
	s_or_b64 exec, exec, s[12:13]
	s_and_b64 s[8:9], s[8:9], exec
	s_or_saveexec_b64 s[10:11], s[10:11]
	v_mov_b32_e32 v4, 0x7f800001
	s_xor_b64 exec, exec, s[10:11]
	s_cbranch_execnz .LBB144_1007
.LBB144_989:
	s_or_b64 exec, exec, s[10:11]
	s_and_saveexec_b64 s[10:11], s[8:9]
	s_cbranch_execz .LBB144_991
.LBB144_990:
	v_lshlrev_b32_e32 v4, 24, v3
	v_and_b32_e32 v3, 0xffff, v3
	v_and_b32_e32 v5, 7, v3
	v_ffbh_u32_e32 v7, v5
	v_min_u32_e32 v7, 32, v7
	v_subrev_u32_e32 v8, 28, v7
	v_bfe_u32 v6, v3, 3, 4
	v_lshlrev_b32_e32 v3, v8, v3
	v_sub_u32_e32 v7, 29, v7
	v_and_b32_e32 v3, 7, v3
	v_cmp_eq_u32_e32 vcc, 0, v6
	v_cndmask_b32_e32 v6, v6, v7, vcc
	v_cndmask_b32_e32 v3, v5, v3, vcc
	v_mov_b32_e32 v5, 0x3b800000
	v_lshlrev_b32_e32 v3, 20, v3
	v_and_b32_e32 v4, 0x80000000, v4
	v_lshl_add_u32 v5, v6, 23, v5
	v_or3_b32 v4, v4, v5, v3
.LBB144_991:
	s_or_b64 exec, exec, s[10:11]
.LBB144_992:
	s_mov_b64 s[8:9], -1
.LBB144_993:
	s_mov_b64 s[10:11], 0
.LBB144_994:
	s_and_b64 vcc, exec, s[10:11]
	s_cbranch_vccz .LBB144_1027
; %bb.995:
	s_cmp_gt_i32 s14, 22
	s_cbranch_scc0 .LBB144_1005
; %bb.996:
	s_cmp_lt_i32 s14, 24
	s_cbranch_scc1 .LBB144_1008
; %bb.997:
	s_cmp_gt_i32 s14, 24
	s_cbranch_scc0 .LBB144_1009
; %bb.998:
	global_load_ubyte v3, v[1:2], off
	s_movk_i32 s2, 0x7f
	s_waitcnt vmcnt(0)
	v_cmp_lt_i16_e32 vcc, s2, v3
	s_mov_b64 s[2:3], 0
	s_and_saveexec_b64 s[8:9], vcc
	s_xor_b64 s[8:9], exec, s[8:9]
	s_cbranch_execz .LBB144_1021
; %bb.999:
	s_movk_i32 s2, 0x80
	v_cmp_eq_u16_e32 vcc, s2, v3
	s_mov_b64 s[2:3], -1
	s_and_saveexec_b64 s[10:11], vcc
; %bb.1000:
	s_xor_b64 s[2:3], exec, -1
; %bb.1001:
	s_or_b64 exec, exec, s[10:11]
	s_and_b64 s[2:3], s[2:3], exec
	s_or_saveexec_b64 s[8:9], s[8:9]
	v_mov_b32_e32 v4, 0x7f800001
	s_xor_b64 exec, exec, s[8:9]
	s_cbranch_execnz .LBB144_1022
.LBB144_1002:
	s_or_b64 exec, exec, s[8:9]
	s_and_saveexec_b64 s[8:9], s[2:3]
	s_cbranch_execz .LBB144_1004
.LBB144_1003:
	v_lshlrev_b32_e32 v4, 24, v3
	v_and_b32_e32 v3, 0xffff, v3
	v_and_b32_e32 v5, 3, v3
	v_ffbh_u32_e32 v7, v5
	v_min_u32_e32 v7, 32, v7
	v_subrev_u32_e32 v8, 29, v7
	v_bfe_u32 v6, v3, 2, 5
	v_lshlrev_b32_e32 v3, v8, v3
	v_sub_u32_e32 v7, 30, v7
	v_and_b32_e32 v3, 3, v3
	v_cmp_eq_u32_e32 vcc, 0, v6
	v_cndmask_b32_e32 v6, v6, v7, vcc
	v_cndmask_b32_e32 v3, v5, v3, vcc
	v_mov_b32_e32 v5, 0x37800000
	v_lshlrev_b32_e32 v3, 21, v3
	v_and_b32_e32 v4, 0x80000000, v4
	v_lshl_add_u32 v5, v6, 23, v5
	v_or3_b32 v4, v4, v5, v3
.LBB144_1004:
	s_or_b64 exec, exec, s[8:9]
	s_mov_b64 s[2:3], 0
	s_branch .LBB144_1010
.LBB144_1005:
	s_mov_b64 s[2:3], -1
                                        ; implicit-def: $vgpr4
	s_branch .LBB144_1016
.LBB144_1006:
	s_or_saveexec_b64 s[10:11], s[10:11]
	v_mov_b32_e32 v4, 0x7f800001
	s_xor_b64 exec, exec, s[10:11]
	s_cbranch_execz .LBB144_989
.LBB144_1007:
	v_cmp_ne_u16_e32 vcc, 0, v3
	s_andn2_b64 s[8:9], s[8:9], exec
	s_and_b64 s[12:13], vcc, exec
	v_mov_b32_e32 v4, 0
	s_or_b64 s[8:9], s[8:9], s[12:13]
	s_or_b64 exec, exec, s[10:11]
	s_and_saveexec_b64 s[10:11], s[8:9]
	s_cbranch_execnz .LBB144_990
	s_branch .LBB144_991
.LBB144_1008:
	s_mov_b64 s[2:3], -1
                                        ; implicit-def: $vgpr4
	s_branch .LBB144_1013
.LBB144_1009:
	s_mov_b64 s[2:3], -1
                                        ; implicit-def: $vgpr4
.LBB144_1010:
	s_and_b64 vcc, exec, s[2:3]
	s_cbranch_vccz .LBB144_1012
; %bb.1011:
	global_load_ubyte v3, v[1:2], off
	s_mov_b32 s2, 0x7f800000
	s_waitcnt vmcnt(0)
	v_lshlrev_b32_e32 v3, 24, v3
	v_and_b32_e32 v4, 0x7f000000, v3
	v_ffbh_u32_e32 v5, v4
	v_min_u32_e32 v5, 32, v5
	v_sub_u32_e64 v5, v5, 4 clamp
	v_lshlrev_b32_e32 v7, v5, v4
	v_lshlrev_b32_e32 v5, 23, v5
	v_lshrrev_b32_e32 v7, 4, v7
	v_add_u32_e32 v6, 0x1000000, v4
	v_sub_u32_e32 v5, v7, v5
	v_ashrrev_i32_e32 v6, 8, v6
	v_add_u32_e32 v5, 0x3c000000, v5
	v_and_or_b32 v5, v6, s2, v5
	v_cmp_ne_u32_e32 vcc, 0, v4
	v_cndmask_b32_e32 v4, 0, v5, vcc
	s_brev_b32 s2, 1
	v_and_or_b32 v4, v3, s2, v4
.LBB144_1012:
	s_mov_b64 s[2:3], 0
.LBB144_1013:
	s_andn2_b64 vcc, exec, s[2:3]
	s_cbranch_vccnz .LBB144_1015
; %bb.1014:
	global_load_ubyte v3, v[1:2], off
	s_movk_i32 s2, 0x7f00
	s_brev_b32 s3, 16
	s_waitcnt vmcnt(0)
	v_lshlrev_b16_e32 v4, 8, v3
	v_lshlrev_b32_e32 v3, 25, v3
	v_lshrrev_b32_e32 v5, 4, v3
	v_and_or_b32 v6, v4, s2, 0.5
	v_or_b32_e32 v5, 0x70000000, v5
	v_add_f32_e32 v6, -0.5, v6
	v_mul_f32_e32 v5, 0x7800000, v5
	v_cmp_gt_u32_e32 vcc, s3, v3
	v_bfe_i32 v4, v4, 0, 16
	v_cndmask_b32_e32 v3, v5, v6, vcc
	s_brev_b32 s2, 1
	v_and_or_b32 v4, v4, s2, v3
.LBB144_1015:
	s_mov_b64 s[2:3], 0
	s_mov_b64 s[8:9], -1
.LBB144_1016:
	s_andn2_b64 vcc, exec, s[2:3]
	s_mov_b64 s[2:3], 0
	s_cbranch_vccnz .LBB144_1027
; %bb.1017:
	s_cmp_gt_i32 s14, 14
	s_cbranch_scc0 .LBB144_1020
; %bb.1018:
	s_cmp_eq_u32 s14, 15
	s_cbranch_scc0 .LBB144_1023
; %bb.1019:
	global_load_ushort v3, v[1:2], off
	s_mov_b64 s[0:1], 0
	s_mov_b64 s[8:9], -1
	s_waitcnt vmcnt(0)
	v_lshlrev_b32_e32 v4, 16, v3
	s_branch .LBB144_1024
.LBB144_1020:
	s_mov_b64 s[10:11], -1
                                        ; implicit-def: $vgpr4
	s_branch .LBB144_1025
.LBB144_1021:
	s_or_saveexec_b64 s[8:9], s[8:9]
	v_mov_b32_e32 v4, 0x7f800001
	s_xor_b64 exec, exec, s[8:9]
	s_cbranch_execz .LBB144_1002
.LBB144_1022:
	v_cmp_ne_u16_e32 vcc, 0, v3
	s_andn2_b64 s[2:3], s[2:3], exec
	s_and_b64 s[10:11], vcc, exec
	v_mov_b32_e32 v4, 0
	s_or_b64 s[2:3], s[2:3], s[10:11]
	s_or_b64 exec, exec, s[8:9]
	s_and_saveexec_b64 s[8:9], s[2:3]
	s_cbranch_execnz .LBB144_1003
	s_branch .LBB144_1004
.LBB144_1023:
	s_mov_b64 s[0:1], -1
                                        ; implicit-def: $vgpr4
.LBB144_1024:
	s_mov_b64 s[10:11], 0
.LBB144_1025:
	s_and_b64 vcc, exec, s[10:11]
	s_cbranch_vccz .LBB144_1027
; %bb.1026:
	s_cmp_lg_u32 s14, 11
	s_cselect_b64 s[10:11], -1, 0
	s_andn2_b64 s[0:1], s[0:1], exec
	s_and_b64 s[10:11], s[10:11], exec
	s_mov_b64 s[2:3], -1
	s_or_b64 s[0:1], s[0:1], s[10:11]
.LBB144_1027:
	s_mov_b64 s[12:13], 0
.LBB144_1028:
	s_and_b64 s[10:11], s[8:9], exec
	s_and_b64 s[8:9], s[12:13], exec
	s_andn2_b64 s[12:13], s[66:67], exec
	s_and_b64 s[0:1], s[0:1], exec
	s_and_b64 s[2:3], s[2:3], exec
	s_or_b64 s[12:13], s[12:13], s[0:1]
.LBB144_1029:
	s_or_b64 exec, exec, s[70:71]
	s_and_b64 s[0:1], s[2:3], exec
	s_andn2_b64 s[2:3], s[66:67], exec
	s_and_b64 s[12:13], s[12:13], exec
	s_and_b64 s[10:11], s[10:11], exec
	;; [unrolled: 1-line block ×3, first 2 shown]
	s_or_b64 s[66:67], s[2:3], s[12:13]
.LBB144_1030:
	s_or_b64 exec, exec, s[64:65]
	s_andn2_b64 s[2:3], s[60:61], exec
	s_and_b64 s[12:13], s[68:69], exec
	s_or_b64 s[60:61], s[2:3], s[12:13]
	s_and_b64 s[2:3], s[0:1], exec
	s_andn2_b64 s[0:1], s[58:59], exec
	s_and_b64 s[12:13], s[66:67], exec
	s_and_b64 s[10:11], s[10:11], exec
	;; [unrolled: 1-line block ×3, first 2 shown]
	s_or_b64 s[58:59], s[0:1], s[12:13]
.LBB144_1031:
	s_or_b64 exec, exec, s[62:63]
	s_andn2_b64 s[0:1], s[52:53], exec
	s_and_b64 s[12:13], s[60:61], exec
	s_or_b64 s[52:53], s[0:1], s[12:13]
	s_and_b64 s[0:1], s[10:11], exec
	s_and_b64 s[10:11], s[8:9], exec
	;; [unrolled: 1-line block ×3, first 2 shown]
	s_andn2_b64 s[2:3], s[54:55], exec
	s_and_b64 s[8:9], s[58:59], exec
	s_or_b64 s[54:55], s[2:3], s[8:9]
	s_or_b64 exec, exec, s[56:57]
	s_mov_b64 s[8:9], 0
	s_and_saveexec_b64 s[2:3], s[54:55]
	s_cbranch_execz .LBB144_312
.LBB144_1032:
	s_mov_b64 s[8:9], exec
	s_andn2_b64 s[60:61], s[60:61], exec
	s_trap 2
	s_or_b64 exec, exec, s[2:3]
	s_and_saveexec_b64 s[2:3], s[60:61]
	s_xor_b64 s[2:3], exec, s[2:3]
	s_cbranch_execnz .LBB144_313
.LBB144_1033:
	s_or_b64 exec, exec, s[2:3]
	s_and_saveexec_b64 s[2:3], s[10:11]
	s_cbranch_execz .LBB144_1079
.LBB144_1034:
	s_sext_i32_i16 s10, s74
	s_cmp_lt_i32 s10, 5
	s_cbranch_scc1 .LBB144_1039
; %bb.1035:
	s_cmp_lt_i32 s10, 8
	s_cbranch_scc1 .LBB144_1040
; %bb.1036:
	;; [unrolled: 3-line block ×3, first 2 shown]
	s_cmp_gt_i32 s10, 9
	s_cbranch_scc0 .LBB144_1042
; %bb.1038:
	global_load_dwordx2 v[3:4], v[1:2], off
	s_mov_b64 s[10:11], 0
	s_waitcnt vmcnt(0)
	v_cvt_f32_f64_e32 v4, v[3:4]
	s_branch .LBB144_1043
.LBB144_1039:
                                        ; implicit-def: $vgpr4
	s_branch .LBB144_1060
.LBB144_1040:
                                        ; implicit-def: $vgpr4
	s_branch .LBB144_1049
.LBB144_1041:
	s_mov_b64 s[10:11], -1
                                        ; implicit-def: $vgpr4
	s_branch .LBB144_1046
.LBB144_1042:
	s_mov_b64 s[10:11], -1
                                        ; implicit-def: $vgpr4
.LBB144_1043:
	s_andn2_b64 vcc, exec, s[10:11]
	s_cbranch_vccnz .LBB144_1045
; %bb.1044:
	global_load_dword v4, v[1:2], off
.LBB144_1045:
	s_mov_b64 s[10:11], 0
.LBB144_1046:
	s_andn2_b64 vcc, exec, s[10:11]
	s_cbranch_vccnz .LBB144_1048
; %bb.1047:
	global_load_dword v3, v[1:2], off
	s_waitcnt vmcnt(0)
	v_cvt_f32_f16_e32 v4, v3
.LBB144_1048:
	s_cbranch_execnz .LBB144_1059
.LBB144_1049:
	s_sext_i32_i16 s10, s74
	s_cmp_lt_i32 s10, 6
	s_cbranch_scc1 .LBB144_1052
; %bb.1050:
	s_cmp_gt_i32 s10, 6
	s_cbranch_scc0 .LBB144_1053
; %bb.1051:
	global_load_dwordx2 v[3:4], v[1:2], off
	s_mov_b64 s[10:11], 0
	s_waitcnt vmcnt(0)
	v_cvt_f32_f64_e32 v4, v[3:4]
	s_branch .LBB144_1054
.LBB144_1052:
	s_mov_b64 s[10:11], -1
                                        ; implicit-def: $vgpr4
	s_branch .LBB144_1057
.LBB144_1053:
	s_mov_b64 s[10:11], -1
                                        ; implicit-def: $vgpr4
.LBB144_1054:
	s_andn2_b64 vcc, exec, s[10:11]
	s_cbranch_vccnz .LBB144_1056
; %bb.1055:
	global_load_dword v4, v[1:2], off
.LBB144_1056:
	s_mov_b64 s[10:11], 0
.LBB144_1057:
	s_andn2_b64 vcc, exec, s[10:11]
	s_cbranch_vccnz .LBB144_1059
; %bb.1058:
	global_load_ushort v3, v[1:2], off
	s_waitcnt vmcnt(0)
	v_cvt_f32_f16_e32 v4, v3
.LBB144_1059:
	s_cbranch_execnz .LBB144_1078
.LBB144_1060:
	s_sext_i32_i16 s10, s74
	s_cmp_lt_i32 s10, 2
	s_cbranch_scc1 .LBB144_1064
; %bb.1061:
	s_cmp_lt_i32 s10, 3
	s_cbranch_scc1 .LBB144_1065
; %bb.1062:
	s_cmp_gt_i32 s10, 3
	s_cbranch_scc0 .LBB144_1066
; %bb.1063:
	global_load_dwordx2 v[3:4], v[1:2], off
	s_mov_b64 s[10:11], 0
	s_waitcnt vmcnt(0)
	v_xor_b32_e32 v6, v3, v4
	v_ffbh_i32_e32 v5, v4
	v_ashrrev_i32_e32 v6, 31, v6
	v_add_u32_e32 v5, -1, v5
	v_add_u32_e32 v6, 32, v6
	v_min_u32_e32 v5, v5, v6
	v_lshlrev_b64 v[3:4], v5, v[3:4]
	v_min_u32_e32 v3, 1, v3
	v_or_b32_e32 v3, v4, v3
	v_cvt_f32_i32_e32 v3, v3
	v_sub_u32_e32 v4, 32, v5
	v_ldexp_f32 v4, v3, v4
	s_branch .LBB144_1067
.LBB144_1064:
                                        ; implicit-def: $vgpr4
	s_branch .LBB144_1073
.LBB144_1065:
	s_mov_b64 s[10:11], -1
                                        ; implicit-def: $vgpr4
	s_branch .LBB144_1070
.LBB144_1066:
	s_mov_b64 s[10:11], -1
                                        ; implicit-def: $vgpr4
.LBB144_1067:
	s_andn2_b64 vcc, exec, s[10:11]
	s_cbranch_vccnz .LBB144_1069
; %bb.1068:
	global_load_dword v3, v[1:2], off
	s_waitcnt vmcnt(0)
	v_cvt_f32_i32_e32 v4, v3
.LBB144_1069:
	s_mov_b64 s[10:11], 0
.LBB144_1070:
	s_andn2_b64 vcc, exec, s[10:11]
	s_cbranch_vccnz .LBB144_1072
; %bb.1071:
	global_load_sshort v3, v[1:2], off
	s_waitcnt vmcnt(0)
	v_cvt_f32_i32_e32 v4, v3
.LBB144_1072:
	s_cbranch_execnz .LBB144_1078
.LBB144_1073:
	s_sext_i32_i16 s10, s74
	s_cmp_gt_i32 s10, 0
	s_cbranch_scc0 .LBB144_1075
; %bb.1074:
	global_load_sbyte v3, v[1:2], off
	s_mov_b64 s[10:11], 0
	s_waitcnt vmcnt(0)
	v_cvt_f32_i32_e32 v4, v3
	s_branch .LBB144_1076
.LBB144_1075:
	s_mov_b64 s[10:11], -1
                                        ; implicit-def: $vgpr4
.LBB144_1076:
	s_andn2_b64 vcc, exec, s[10:11]
	s_cbranch_vccnz .LBB144_1078
; %bb.1077:
	global_load_ubyte v1, v[1:2], off
	s_waitcnt vmcnt(0)
	v_cvt_f32_ubyte0_e32 v4, v1
.LBB144_1078:
	s_or_b64 s[0:1], s[0:1], exec
.LBB144_1079:
	s_or_b64 exec, exec, s[2:3]
	s_mov_b64 s[12:13], 0
	s_mov_b64 s[2:3], 0
                                        ; implicit-def: $sgpr18
                                        ; implicit-def: $vgpr1_vgpr2
                                        ; implicit-def: $vgpr3
	s_and_saveexec_b64 s[10:11], s[0:1]
	s_cbranch_execz .LBB144_1135
; %bb.1080:
	s_mov_b32 s0, 0x3c800000
	s_waitcnt vmcnt(0)
	v_and_b32_e32 v1, 0x7fffffff, v4
	v_cmp_nlt_f32_e64 s[0:1], |v4|, s0
                                        ; implicit-def: $vgpr2
	s_and_saveexec_b64 s[2:3], s[0:1]
	s_xor_b64 s[2:3], exec, s[2:3]
	s_cbranch_execz .LBB144_1110
; %bb.1081:
	v_cmp_nlt_f32_e64 s[0:1], |v4|, 2.0
                                        ; implicit-def: $vgpr2
	s_and_saveexec_b64 s[12:13], s[0:1]
	s_xor_b64 s[12:13], exec, s[12:13]
	s_cbranch_execz .LBB144_1091
; %bb.1082:
	s_mov_b32 s0, 0x41000000
	v_cmp_nlt_f32_e64 s[0:1], |v4|, s0
                                        ; implicit-def: $vgpr2
	s_and_saveexec_b64 s[14:15], s[0:1]
	s_xor_b64 s[14:15], exec, s[14:15]
	s_cbranch_execz .LBB144_1088
; %bb.1083:
	s_mov_b32 s0, 0x5c800000
	v_cmp_nlt_f32_e64 s[0:1], |v4|, s0
                                        ; implicit-def: $vgpr2
	s_and_saveexec_b64 s[16:17], s[0:1]
	s_xor_b64 s[16:17], exec, s[16:17]
	s_cbranch_execz .LBB144_1085
; %bb.1084:
	s_mov_b32 s0, 0x800000
	v_cmp_lt_f32_e64 vcc, |v4|, s0
	v_cndmask_b32_e64 v2, 0, 32, vcc
	v_ldexp_f32 v2, |v4|, v2
	v_log_f32_e32 v2, v2
	s_mov_b32 s0, 0x3f317217
	s_mov_b32 s1, 0x7f800000
	v_mul_f32_e32 v3, 0x3f317217, v2
	v_fma_f32 v5, v2, s0, -v3
	v_fmac_f32_e32 v5, 0x3377d1cf, v2
	v_add_f32_e32 v3, v3, v5
	v_cmp_lt_f32_e64 s[0:1], |v2|, s1
	v_cndmask_b32_e64 v2, v2, v3, s[0:1]
	v_mov_b32_e32 v3, 0x41b17218
	v_cndmask_b32_e32 v3, 0, v3, vcc
	v_sub_f32_e32 v2, v2, v3
	v_fma_f32 v2, |v4|, v2, -|v4|
.LBB144_1085:
	s_andn2_saveexec_b64 s[16:17], s[16:17]
	s_cbranch_execz .LBB144_1087
; %bb.1086:
	v_rcp_f32_e64 v3, |v4|
	v_mov_b32_e32 v2, 0x3a5b3dd2
	v_mov_b32_e32 v5, 0xba1c065c
	;; [unrolled: 1-line block ×3, first 2 shown]
	v_mul_f32_e32 v7, v3, v3
	v_fmac_f32_e32 v2, 0xbad5c4e8, v7
	v_fmac_f32_e32 v5, v7, v2
	s_mov_b32 s0, 0x800000
	v_fmac_f32_e32 v6, v7, v5
	v_mov_b32_e32 v2, 0xbb360b61
	v_cmp_lt_f32_e64 vcc, |v4|, s0
	v_fmac_f32_e32 v2, v7, v6
	v_cndmask_b32_e64 v6, 0, 32, vcc
	v_ldexp_f32 v6, |v4|, v6
	v_log_f32_e32 v6, v6
	v_mov_b32_e32 v5, 0x3daaaaab
	v_fmac_f32_e32 v5, v7, v2
	v_mov_b32_e32 v2, 0x3ed67f1d
	v_fmac_f32_e32 v2, v3, v5
	s_mov_b32 s0, 0x3f317217
	v_mul_f32_e32 v5, 0x3f317217, v6
	v_fma_f32 v7, v6, s0, -v5
	v_fmac_f32_e32 v7, 0x3377d1cf, v6
	s_mov_b32 s0, 0x7f800000
	v_add_f32_e32 v5, v5, v7
	v_cmp_lt_f32_e64 s[0:1], |v6|, s0
	v_cndmask_b32_e64 v5, v6, v5, s[0:1]
	v_mov_b32_e32 v6, 0x41b17218
	v_cndmask_b32_e32 v6, 0, v6, vcc
	v_sub_f32_e32 v5, v5, v6
	v_add_f32_e64 v3, |v4|, -0.5
	v_add_f32_e32 v5, -1.0, v5
	v_fmac_f32_e32 v2, v3, v5
.LBB144_1087:
	s_or_b64 exec, exec, s[16:17]
.LBB144_1088:
	s_andn2_saveexec_b64 s[14:15], s[14:15]
	s_cbranch_execz .LBB144_1090
; %bb.1089:
	v_cvt_i32_f32_e32 v2, v1
	v_mov_b32_e32 v3, 0x3af135b4
	v_mov_b32_e32 v5, 0x3cda40e4
	;; [unrolled: 1-line block ×3, first 2 shown]
	v_cvt_f32_i32_e32 v7, v2
	v_mov_b32_e32 v8, 0x3ea6cc7a
	v_mov_b32_e32 v9, 0x3e5c245a
	v_cmp_lt_i32_e32 vcc, 2, v2
	v_sub_f32_e64 v7, |v4|, v7
	v_fmac_f32_e32 v3, 0x3805ff67, v7
	v_fmac_f32_e32 v5, v7, v3
	;; [unrolled: 1-line block ×3, first 2 shown]
	v_mov_b32_e32 v5, 0x3a4beed6
	v_fmac_f32_e32 v8, v7, v6
	v_fmac_f32_e32 v5, 0x36f5d7bd, v7
	v_mov_b32_e32 v6, 0x3c98bf54
	v_fmac_f32_e32 v6, v7, v5
	v_mov_b32_e32 v5, 0x3e300f6e
	;; [unrolled: 2-line block ×4, first 2 shown]
	v_fmac_f32_e32 v5, v7, v6
	v_add_f32_e32 v6, 2.0, v7
	v_mov_b32_e32 v10, 0xbd9e233f
	v_fmac_f32_e32 v9, v7, v8
	v_add_f32_e32 v8, 0x40400000, v7
	v_cndmask_b32_e32 v6, 1.0, v6, vcc
	v_cmp_lt_i32_e32 vcc, 3, v2
	v_fmac_f32_e32 v10, v7, v9
	v_add_f32_e32 v9, 4.0, v7
	v_cndmask_b32_e32 v8, 1.0, v8, vcc
	v_cmp_lt_i32_e32 vcc, 4, v2
	v_mul_f32_e32 v3, v7, v10
	v_add_f32_e32 v10, 0x40a00000, v7
	v_mul_f32_e32 v6, v6, v8
	v_cndmask_b32_e32 v8, 1.0, v9, vcc
	v_cmp_lt_i32_e32 vcc, 5, v2
	v_add_f32_e32 v11, 0x40c00000, v7
	v_mul_f32_e32 v6, v8, v6
	v_cndmask_b32_e32 v8, 1.0, v10, vcc
	v_cmp_lt_i32_e32 vcc, 6, v2
	v_mul_f32_e32 v6, v8, v6
	v_cndmask_b32_e32 v2, 1.0, v11, vcc
	v_mul_f32_e32 v2, v2, v6
	s_mov_b32 s0, 0x800000
	v_cmp_gt_f32_e32 vcc, s0, v2
	v_cndmask_b32_e64 v6, 0, 32, vcc
	v_fma_f32 v5, v7, v5, 1.0
	v_ldexp_f32 v2, v2, v6
	v_rcp_f32_e32 v5, v5
	v_log_f32_e32 v2, v2
	s_mov_b32 s0, 0x3f317217
	v_mul_f32_e32 v3, v3, v5
	v_mul_f32_e32 v5, 0x3f317217, v2
	v_fma_f32 v6, v2, s0, -v5
	v_fmac_f32_e32 v6, 0x3377d1cf, v2
	s_mov_b32 s0, 0x7f800000
	v_add_f32_e32 v5, v5, v6
	v_cmp_lt_f32_e64 s[0:1], |v2|, s0
	v_cndmask_b32_e64 v2, v2, v5, s[0:1]
	v_mov_b32_e32 v5, 0x41b17218
	v_cndmask_b32_e32 v5, 0, v5, vcc
	v_fmac_f32_e32 v3, 0.5, v7
	v_sub_f32_e32 v2, v2, v5
	v_add_f32_e32 v2, v2, v3
.LBB144_1090:
	s_or_b64 exec, exec, s[14:15]
.LBB144_1091:
	s_andn2_saveexec_b64 s[12:13], s[12:13]
	s_cbranch_execz .LBB144_1109
; %bb.1092:
	s_mov_b32 s0, 0x3f666666
	v_cmp_le_f32_e64 s[0:1], |v4|, s0
                                        ; implicit-def: $vgpr2
                                        ; implicit-def: $vgpr5
                                        ; implicit-def: $vgpr3
	s_and_saveexec_b64 s[14:15], s[0:1]
	s_xor_b64 s[14:15], exec, s[14:15]
	s_cbranch_execz .LBB144_1094
; %bb.1093:
	s_mov_b32 s0, 0x800000
	v_cmp_lt_f32_e64 vcc, |v4|, s0
	v_cndmask_b32_e64 v2, 0, 32, vcc
	v_ldexp_f32 v2, |v4|, v2
	v_log_f32_e32 v2, v2
	s_mov_b32 s0, 0x3f317217
	s_mov_b32 s1, 0x7f800000
	v_mul_f32_e32 v3, 0x3f317217, v2
	v_fma_f32 v5, v2, s0, -v3
	v_fmac_f32_e32 v5, 0x3377d1cf, v2
	v_add_f32_e32 v3, v3, v5
	v_cmp_lt_f32_e64 s[0:1], |v2|, s1
	v_cndmask_b32_e64 v2, v2, v3, s[0:1]
	v_mov_b32_e32 v3, 0x41b17218
	v_cndmask_b32_e32 v3, 0, v3, vcc
	s_mov_b32 s0, 0x3f3b4a23
	s_mov_b32 s1, 0xbeec5b0c
	v_sub_f32_e32 v2, v2, v3
	v_sub_f32_e64 v3, 1.0, |v4|
	v_add_f32_e64 v5, |v4|, s1
	v_cmp_lt_f32_e64 vcc, |v4|, s0
	s_mov_b32 s0, 0x3e6d3309
	v_cndmask_b32_e32 v3, v3, v5, vcc
	v_cndmask_b32_e64 v5, 0, 1, vcc
	v_cmp_lt_f32_e64 s[0:1], |v4|, s0
	v_xor_b32_e32 v2, 0x80000000, v2
	v_cndmask_b32_e64 v3, v3, |v4|, s[0:1]
	v_cndmask_b32_e64 v5, v5, 2, s[0:1]
.LBB144_1094:
	s_andn2_saveexec_b64 s[0:1], s[14:15]
	s_cbranch_execz .LBB144_1096
; %bb.1095:
	s_mov_b32 s14, 0x3fdda512
	s_mov_b32 s15, 0xbfbb16c3
	v_sub_f32_e64 v2, 2.0, |v4|
	v_add_f32_e64 v3, |v4|, s15
	v_cmp_lt_f32_e64 vcc, |v4|, s14
	v_cndmask_b32_e32 v3, v2, v3, vcc
	v_cndmask_b32_e64 v2, v2, 1.0, vcc
	v_cvt_i32_f32_e32 v2, v2
	s_mov_b32 s14, 0x3f9d70a4
	v_add_f32_e64 v5, |v4|, -1.0
	v_cmp_lt_f32_e64 vcc, |v4|, s14
	v_cndmask_b32_e32 v3, v3, v5, vcc
	v_cndmask_b32_e64 v5, v2, 2, vcc
	v_mov_b32_e32 v2, 0
.LBB144_1096:
	s_or_b64 exec, exec, s[0:1]
	v_cmp_lt_i32_e32 vcc, 0, v5
	s_and_saveexec_b64 s[0:1], vcc
	s_xor_b64 s[0:1], exec, s[0:1]
	s_cbranch_execz .LBB144_1104
; %bb.1097:
	v_cmp_lt_i32_e32 vcc, 1, v5
	s_and_saveexec_b64 s[14:15], vcc
	s_xor_b64 s[14:15], exec, s[14:15]
	s_cbranch_execz .LBB144_1101
; %bb.1098:
	v_cmp_eq_u32_e32 vcc, 2, v5
	s_and_saveexec_b64 s[16:17], vcc
	s_cbranch_execz .LBB144_1100
; %bb.1099:
	v_mov_b32_e32 v5, 0x3e6a7578
	v_fmac_f32_e32 v5, 0x3c5b3c5e, v3
	v_mov_b32_e32 v6, 0x3f7a4bb2
	v_fmac_f32_e32 v6, v3, v5
	;; [unrolled: 2-line block ×8, first 2 shown]
	v_fma_f32 v5, v3, v7, 1.0
	v_rcp_f32_e32 v5, v5
	v_mov_b32_e32 v7, 0xbd9e233f
	v_fmac_f32_e32 v7, v3, v6
	v_mul_f32_e32 v6, v3, v7
	v_mul_f32_e32 v5, v6, v5
	v_fmac_f32_e32 v5, -0.5, v3
	v_add_f32_e32 v2, v2, v5
.LBB144_1100:
	s_or_b64 exec, exec, s[16:17]
                                        ; implicit-def: $vgpr3
.LBB144_1101:
	s_andn2_saveexec_b64 s[14:15], s[14:15]
	s_cbranch_execz .LBB144_1103
; %bb.1102:
	v_mul_f32_e32 v5, v3, v3
	v_mul_f32_e32 v6, v3, v5
	v_mov_b32_e32 v7, 0xbab7f476
	v_fmac_f32_e32 v7, 0x39a57b6b, v6
	v_mov_b32_e32 v8, 0x3bc7e707
	v_fmac_f32_e32 v8, v6, v7
	;; [unrolled: 2-line block ×12, first 2 shown]
	v_fmac_f32_e32 v9, v3, v10
	s_mov_b32 s16, 0xa2863e55
	v_fma_f32 v3, v6, -v9, s16
	v_fma_f32 v3, v5, v8, -v3
	v_add_f32_e32 v3, 0xbdf8cdce, v3
	v_add_f32_e32 v2, v2, v3
.LBB144_1103:
	s_or_b64 exec, exec, s[14:15]
                                        ; implicit-def: $vgpr5
                                        ; implicit-def: $vgpr3
.LBB144_1104:
	s_andn2_saveexec_b64 s[0:1], s[0:1]
	s_cbranch_execz .LBB144_1108
; %bb.1105:
	v_cmp_eq_u32_e32 vcc, 0, v5
	s_and_saveexec_b64 s[14:15], vcc
	s_cbranch_execz .LBB144_1107
; %bb.1106:
	v_mul_f32_e32 v5, v3, v3
	v_mov_b32_e32 v6, 0x39679767
	v_fmac_f32_e32 v6, 0x37d383a2, v5
	v_mov_b32_e32 v7, 0x3a9c54a1
	v_fmac_f32_e32 v7, v5, v6
	v_mov_b32_e32 v6, 0x3bf2027e
	v_fmac_f32_e32 v6, v5, v7
	v_mov_b32_e32 v7, 0x3d89f001
	v_fmac_f32_e32 v7, v5, v6
	v_mov_b32_e32 v6, 0x3d9e233f
	v_fmac_f32_e32 v6, v5, v7
	v_mov_b32_e32 v7, 0x38e28445
	v_fmac_f32_e32 v7, 0x383c2c75, v5
	v_mov_b32_e32 v8, 0x3a05b634
	v_fmac_f32_e32 v8, v5, v7
	v_mov_b32_e32 v7, 0x3b3d6ec6
	v_fmac_f32_e32 v7, v5, v8
	v_mov_b32_e32 v8, 0x3ca89915
	v_fmac_f32_e32 v8, v5, v7
	v_mov_b32_e32 v7, 0x3ea51a66
	v_fmac_f32_e32 v7, v5, v8
	v_mul_f32_e32 v5, v5, v7
	v_fmac_f32_e32 v5, v3, v6
	v_fmac_f32_e32 v5, -0.5, v3
	v_add_f32_e32 v2, v2, v5
.LBB144_1107:
	s_or_b64 exec, exec, s[14:15]
.LBB144_1108:
	s_or_b64 exec, exec, s[0:1]
.LBB144_1109:
	s_or_b64 exec, exec, s[12:13]
.LBB144_1110:
	s_andn2_saveexec_b64 s[2:3], s[2:3]
	s_cbranch_execz .LBB144_1112
; %bb.1111:
	s_mov_b32 s0, 0x3e8a8991
	v_mov_b32_e32 v2, 0xbecd26ab
	v_fma_f32 v2, |v4|, s0, v2
	s_mov_b32 s0, 0x3f528d33
	v_fma_f32 v2, |v4|, v2, s0
	s_mov_b32 s0, 0x800000
	v_cmp_lt_f32_e64 vcc, |v4|, s0
	v_cndmask_b32_e64 v3, 0, 32, vcc
	v_ldexp_f32 v3, |v4|, v3
	v_log_f32_e32 v3, v3
	s_mov_b32 s0, 0xbf13c468
	v_fma_f32 v2, |v4|, v2, s0
	s_mov_b32 s0, 0x3f317217
	v_mul_f32_e32 v5, 0x3f317217, v3
	v_fma_f32 v6, v3, s0, -v5
	v_fmac_f32_e32 v6, 0x3377d1cf, v3
	s_mov_b32 s0, 0x7f800000
	v_add_f32_e32 v5, v5, v6
	v_cmp_lt_f32_e64 s[0:1], |v3|, s0
	v_cndmask_b32_e64 v3, v3, v5, s[0:1]
	v_mov_b32_e32 v5, 0x41b17218
	v_cndmask_b32_e32 v5, 0, v5, vcc
	v_sub_f32_e32 v3, v3, v5
	v_fma_f32 v2, |v4|, v2, -v3
.LBB144_1112:
	s_or_b64 exec, exec, s[2:3]
	v_cmp_le_f32_e32 vcc, 0, v4
	v_cmp_nle_f32_e64 s[0:1], 0, v4
	s_and_saveexec_b64 s[2:3], s[0:1]
	s_xor_b64 s[12:13], exec, s[2:3]
	s_cbranch_execz .LBB144_1116
; %bb.1113:
	s_mov_b32 s0, 0x4b000000
	s_mov_b32 s2, 0x35000000
	v_cmp_lt_f32_e64 s[0:1], |v4|, s0
	v_cmp_gt_f32_e64 s[2:3], |v4|, s2
	s_and_b64 s[0:1], s[0:1], s[2:3]
	s_and_saveexec_b64 s[14:15], s[0:1]
	s_cbranch_execz .LBB144_1115
; %bb.1114:
	v_mul_f32_e64 v3, |v4|, 0.5
	v_floor_f32_e32 v5, v3
	v_sub_f32_e32 v5, v3, v5
	v_min_f32_e32 v5, 0x3f7fffff, v5
	s_mov_b32 s2, 0x7f800000
	v_add_f32_e32 v5, v5, v5
	v_cmp_neq_f32_e64 s[0:1], s2, v3
	v_cndmask_b32_e64 v3, 0, v5, s[0:1]
	v_cmp_gt_f32_e64 s[0:1], |v4|, 1.0
	v_cndmask_b32_e64 v3, |v4|, v3, s[0:1]
	v_add_f32_e32 v5, v3, v3
	v_rndne_f32_e32 v5, v5
	v_fmac_f32_e32 v3, -0.5, v5
	v_mul_f32_e32 v6, v3, v3
	v_mov_b32_e32 v7, 0xbf1f24be
	v_fmac_f32_e32 v7, 0x3e75aa41, v6
	v_mov_b32_e32 v8, 0x40234736
	v_fmac_f32_e32 v8, v6, v7
	;; [unrolled: 2-line block ×3, first 2 shown]
	v_mul_f32_e32 v8, v3, v6
	v_mul_f32_e32 v7, v8, v7
	v_fmac_f32_e32 v7, 0x40490fdb, v3
	v_mov_b32_e32 v3, 0x3e642e9d
	v_cvt_i32_f32_e32 v5, v5
	v_fmac_f32_e32 v3, 0x3d4be544, v6
	v_mov_b32_e32 v8, 0xbfaad1da
	v_fmac_f32_e32 v8, v6, v3
	v_mov_b32_e32 v3, 0x4081e0d3
	;; [unrolled: 2-line block ×3, first 2 shown]
	v_fmac_f32_e32 v8, v6, v3
	v_fma_f32 v3, v6, v8, 1.0
	v_and_b32_e32 v6, 1, v5
	v_lshlrev_b32_e32 v5, 30, v5
	v_cmp_eq_u32_e64 s[0:1], 0, v6
	v_and_b32_e32 v5, 0x80000000, v5
	v_xor_b32_e32 v1, v1, v4
	v_cndmask_b32_e64 v3, v3, v7, s[0:1]
	v_xor_b32_e32 v1, v1, v5
	v_xor_b32_e32 v1, v1, v3
	v_mul_f32_e32 v1, v4, v1
	v_frexp_mant_f32_e64 v3, |v1|
	v_rcp_f32_e32 v3, v3
	v_frexp_exp_i32_f32_e32 v1, v1
	v_sub_u32_e32 v1, 2, v1
	s_mov_b32 s0, 0x800000
	v_mul_f32_e32 v3, 0x3f490fdb, v3
	v_ldexp_f32 v1, v3, v1
	v_cmp_gt_f32_e64 s[0:1], s0, v1
	v_cndmask_b32_e64 v3, 0, 32, s[0:1]
	v_ldexp_f32 v1, v1, v3
	v_log_f32_e32 v1, v1
	s_mov_b32 s3, 0x3f317217
	v_mul_f32_e32 v3, 0x3f317217, v1
	v_fma_f32 v5, v1, s3, -v3
	v_fmac_f32_e32 v5, 0x3377d1cf, v1
	v_add_f32_e32 v3, v3, v5
	v_cmp_lt_f32_e64 s[2:3], |v1|, s2
	v_cndmask_b32_e64 v1, v1, v3, s[2:3]
	v_mov_b32_e32 v3, 0x41b17218
	v_cndmask_b32_e64 v3, 0, v3, s[0:1]
	v_sub_f32_e32 v1, v1, v3
	v_sub_f32_e32 v1, v1, v2
	v_floor_f32_e32 v2, v4
	v_sub_f32_e32 v2, v4, v2
	v_min_f32_e32 v2, 0x3f7fffff, v2
	v_mov_b32_e32 v3, 0x7f800000
	v_cmp_neq_f32_e64 s[0:1], 0, v2
	v_cndmask_b32_e64 v2, v3, v1, s[0:1]
.LBB144_1115:
	s_or_b64 exec, exec, s[14:15]
.LBB144_1116:
	s_andn2_saveexec_b64 s[12:13], s[12:13]
; %bb.1117:
	v_cmp_eq_f32_e64 s[0:1], 1.0, v4
	v_cmp_eq_f32_e64 s[2:3], 2.0, v4
	s_or_b64 s[0:1], s[0:1], s[2:3]
	v_cndmask_b32_e64 v2, v2, 0, s[0:1]
; %bb.1118:
	s_or_b64 exec, exec, s[12:13]
	s_mov_b32 s0, 0x4b000000
	v_cmp_lt_f32_e64 s[0:1], |v4|, s0
	v_mov_b32_e32 v1, 0x264
	v_mov_b32_e32 v3, 0x7f800000
	s_or_b64 vcc, vcc, s[0:1]
	v_cndmask_b32_e32 v2, v3, v2, vcc
	v_cmp_class_f32_e32 vcc, v4, v1
	v_cndmask_b32_e32 v1, v2, v3, vcc
	v_cmp_u_f32_e32 vcc, v4, v4
	v_cndmask_b32_e32 v3, v1, v4, vcc
	s_waitcnt lgkmcnt(0)
	v_mov_b32_e32 v2, s25
	s_and_b32 s18, s73, 0xff
	v_add_co_u32_e32 v1, vcc, s24, v0
	s_cmp_lt_i32 s18, 11
	v_addc_co_u32_e32 v2, vcc, 0, v2, vcc
	s_cbranch_scc1 .LBB144_1138
; %bb.1119:
	s_and_b32 s19, 0xffff, s18
	s_mov_b64 s[12:13], -1
	s_cmp_gt_i32 s19, 25
	s_mov_b64 s[0:1], s[52:53]
	s_cbranch_scc0 .LBB144_1156
; %bb.1120:
	s_mov_b64 s[2:3], -1
	s_cmp_gt_i32 s19, 28
	s_mov_b64 s[0:1], s[52:53]
	s_cbranch_scc0 .LBB144_1140
; %bb.1121:
	s_cmp_gt_i32 s19, 43
	s_mov_b64 s[0:1], s[52:53]
	s_cbranch_scc0 .LBB144_1132
; %bb.1122:
	s_cmp_gt_i32 s19, 45
	s_mov_b64 s[0:1], s[52:53]
	s_cbranch_scc0 .LBB144_1126
; %bb.1123:
	s_cmp_eq_u32 s19, 46
	s_mov_b64 s[0:1], -1
	s_cbranch_scc0 .LBB144_1125
; %bb.1124:
	v_bfe_u32 v0, v3, 16, 1
	s_movk_i32 s0, 0x7fff
	v_add3_u32 v0, v3, v0, s0
	v_cmp_o_f32_e32 vcc, v3, v3
	v_mov_b32_e32 v4, 0x7fc0
	v_cndmask_b32_sdwa v0, v4, v0, vcc dst_sel:DWORD dst_unused:UNUSED_PAD src0_sel:DWORD src1_sel:WORD_1
	global_store_dword v[1:2], v0, off
	s_mov_b64 s[0:1], 0
.LBB144_1125:
	s_mov_b64 s[2:3], 0
.LBB144_1126:
	s_and_b64 vcc, exec, s[2:3]
	s_cbranch_vccz .LBB144_1131
; %bb.1127:
	s_cmp_eq_u32 s19, 44
	s_mov_b64 s[0:1], -1
	s_cbranch_scc0 .LBB144_1131
; %bb.1128:
	v_bfe_u32 v0, v3, 23, 8
	s_movk_i32 s0, 0xff
	v_cmp_ne_u32_e32 vcc, s0, v0
	v_mov_b32_e32 v4, 0xff
	s_and_saveexec_b64 s[2:3], vcc
; %bb.1129:
	s_mov_b32 s0, 0x3fffff
	v_and_b32_e32 v5, 0x400000, v3
	v_and_or_b32 v0, v3, s0, v0
	v_cmp_ne_u32_e32 vcc, 0, v5
	v_cmp_ne_u32_e64 s[0:1], 0, v0
	s_and_b64 s[0:1], vcc, s[0:1]
	v_lshrrev_b32_e32 v4, 23, v3
	v_cndmask_b32_e64 v0, 0, 1, s[0:1]
	v_add_u32_e32 v4, v4, v0
; %bb.1130:
	s_or_b64 exec, exec, s[2:3]
	s_mov_b64 s[0:1], 0
	global_store_byte v[1:2], v4, off
.LBB144_1131:
	s_mov_b64 s[2:3], 0
.LBB144_1132:
	s_and_b64 vcc, exec, s[2:3]
	s_cbranch_vccz .LBB144_1139
; %bb.1133:
	s_cmp_eq_u32 s19, 29
	s_mov_b64 s[0:1], -1
	s_cbranch_scc0 .LBB144_1139
; %bb.1134:
	v_trunc_f32_e32 v0, v3
	v_mul_f32_e32 v4, 0x2f800000, v0
	v_floor_f32_e32 v4, v4
	v_fmac_f32_e32 v0, 0xcf800000, v4
	v_cvt_u32_f32_e32 v5, v4
	v_cvt_u32_f32_e32 v4, v0
	s_mov_b64 s[0:1], 0
	s_mov_b64 s[2:3], 0
	global_store_dwordx2 v[1:2], v[4:5], off
	s_branch .LBB144_1140
.LBB144_1135:
	s_or_b64 exec, exec, s[10:11]
	s_and_saveexec_b64 s[0:1], s[52:53]
	s_cbranch_execnz .LBB144_1198
.LBB144_1136:
	s_or_b64 exec, exec, s[0:1]
	s_and_saveexec_b64 s[0:1], s[12:13]
	s_xor_b64 s[0:1], exec, s[0:1]
	s_cbranch_execz .LBB144_1199
.LBB144_1137:
	s_waitcnt vmcnt(0)
	v_cmp_neq_f32_e32 vcc, 0, v3
	v_cndmask_b32_e64 v0, 0, 1, vcc
	global_store_byte v[1:2], v0, off
	s_or_b64 exec, exec, s[0:1]
	s_and_saveexec_b64 s[0:1], s[2:3]
	s_xor_b64 s[0:1], exec, s[0:1]
	s_cbranch_execz .LBB144_1237
	s_branch .LBB144_1200
.LBB144_1138:
	s_mov_b64 s[12:13], 0
	s_mov_b64 s[2:3], -1
	s_mov_b64 s[0:1], s[52:53]
	s_branch .LBB144_1197
.LBB144_1139:
	s_mov_b64 s[2:3], 0
.LBB144_1140:
	s_and_b64 vcc, exec, s[2:3]
	s_cbranch_vccz .LBB144_1155
; %bb.1141:
	s_cmp_lt_i32 s19, 27
	s_mov_b64 s[2:3], -1
	s_cbranch_scc1 .LBB144_1147
; %bb.1142:
	s_cmp_gt_i32 s19, 27
	s_cbranch_scc0 .LBB144_1144
; %bb.1143:
	v_cvt_u32_f32_e32 v0, v3
	s_mov_b64 s[2:3], 0
	global_store_dword v[1:2], v0, off
.LBB144_1144:
	s_andn2_b64 vcc, exec, s[2:3]
	s_cbranch_vccnz .LBB144_1146
; %bb.1145:
	v_cvt_u32_f32_e32 v0, v3
	global_store_short v[1:2], v0, off
.LBB144_1146:
	s_mov_b64 s[2:3], 0
.LBB144_1147:
	s_andn2_b64 vcc, exec, s[2:3]
	s_cbranch_vccnz .LBB144_1155
; %bb.1148:
	v_and_b32_e32 v0, 0x7fffffff, v3
	s_mov_b32 s2, 0x43800000
	v_cmp_gt_u32_e32 vcc, s2, v0
	v_mov_b32_e32 v4, 0x80
	s_and_saveexec_b64 s[2:3], vcc
	s_cbranch_execz .LBB144_1154
; %bb.1149:
	s_mov_b32 s12, 0x3bffffff
	v_cmp_lt_u32_e32 vcc, s12, v0
	s_mov_b64 s[12:13], 0
                                        ; implicit-def: $vgpr0
	s_and_saveexec_b64 s[14:15], vcc
	s_xor_b64 s[14:15], exec, s[14:15]
	s_cbranch_execz .LBB144_1308
; %bb.1150:
	v_bfe_u32 v0, v3, 20, 1
	s_mov_b32 s16, 0x487ffff
	v_add3_u32 v0, v3, v0, s16
	s_mov_b64 s[12:13], exec
	v_lshrrev_b32_e32 v0, 20, v0
	s_andn2_saveexec_b64 s[14:15], s[14:15]
	s_cbranch_execnz .LBB144_1309
.LBB144_1151:
	s_or_b64 exec, exec, s[14:15]
	v_mov_b32_e32 v4, 0
	s_and_saveexec_b64 s[14:15], s[12:13]
.LBB144_1152:
	v_lshrrev_b32_e32 v4, 24, v3
	s_movk_i32 s12, 0x80
	v_and_or_b32 v4, v4, s12, v0
.LBB144_1153:
	s_or_b64 exec, exec, s[14:15]
.LBB144_1154:
	s_or_b64 exec, exec, s[2:3]
	global_store_byte v[1:2], v4, off
.LBB144_1155:
	s_mov_b64 s[12:13], 0
.LBB144_1156:
	s_mov_b64 s[2:3], 0
	s_and_b64 vcc, exec, s[12:13]
	s_cbranch_vccz .LBB144_1196
; %bb.1157:
	s_cmp_gt_i32 s19, 22
	s_mov_b64 s[12:13], -1
	s_cbranch_scc0 .LBB144_1189
; %bb.1158:
	s_cmp_lt_i32 s19, 24
	s_cbranch_scc1 .LBB144_1178
; %bb.1159:
	s_cmp_gt_i32 s19, 24
	s_cbranch_scc0 .LBB144_1167
; %bb.1160:
	v_and_b32_e32 v0, 0x7fffffff, v3
	s_mov_b32 s12, 0x47800000
	v_cmp_gt_u32_e32 vcc, s12, v0
	v_mov_b32_e32 v4, 0x80
	s_and_saveexec_b64 s[12:13], vcc
	s_cbranch_execz .LBB144_1166
; %bb.1161:
	s_mov_b32 s14, 0x37ffffff
	v_cmp_lt_u32_e32 vcc, s14, v0
	s_mov_b64 s[14:15], 0
                                        ; implicit-def: $vgpr0
	s_and_saveexec_b64 s[16:17], vcc
	s_xor_b64 s[16:17], exec, s[16:17]
	s_cbranch_execz .LBB144_1471
; %bb.1162:
	v_bfe_u32 v0, v3, 21, 1
	s_mov_b32 s20, 0x88fffff
	v_add3_u32 v0, v3, v0, s20
	s_mov_b64 s[14:15], exec
	v_lshrrev_b32_e32 v0, 21, v0
	s_andn2_saveexec_b64 s[16:17], s[16:17]
	s_cbranch_execnz .LBB144_1472
.LBB144_1163:
	s_or_b64 exec, exec, s[16:17]
	v_mov_b32_e32 v4, 0
	s_and_saveexec_b64 s[16:17], s[14:15]
.LBB144_1164:
	v_lshrrev_b32_e32 v4, 24, v3
	s_movk_i32 s14, 0x80
	v_and_or_b32 v4, v4, s14, v0
.LBB144_1165:
	s_or_b64 exec, exec, s[16:17]
.LBB144_1166:
	s_or_b64 exec, exec, s[12:13]
	s_mov_b64 s[12:13], 0
	global_store_byte v[1:2], v4, off
.LBB144_1167:
	s_and_b64 vcc, exec, s[12:13]
	s_cbranch_vccz .LBB144_1177
; %bb.1168:
	v_and_b32_e32 v4, 0x7fffffff, v3
	s_mov_b32 s12, 0x43f00000
	v_cmp_gt_u32_e32 vcc, s12, v4
                                        ; implicit-def: $vgpr0
	s_and_saveexec_b64 s[12:13], vcc
	s_xor_b64 s[12:13], exec, s[12:13]
	s_cbranch_execz .LBB144_1174
; %bb.1169:
	s_mov_b32 s14, 0x3c7fffff
	v_cmp_lt_u32_e32 vcc, s14, v4
                                        ; implicit-def: $vgpr0
	s_and_saveexec_b64 s[14:15], vcc
	s_xor_b64 s[14:15], exec, s[14:15]
; %bb.1170:
	v_bfe_u32 v0, v3, 20, 1
	s_mov_b32 s16, 0x407ffff
	v_add3_u32 v0, v3, v0, s16
	v_lshrrev_b32_e32 v4, 20, v0
	v_and_b32_e32 v0, 0xff00000, v0
	s_mov_b32 s16, 0x7f00000
	v_mov_b32_e32 v5, 0x7e
	v_cmp_ne_u32_e32 vcc, s16, v0
	v_cndmask_b32_e32 v0, v5, v4, vcc
; %bb.1171:
	s_andn2_saveexec_b64 s[14:15], s[14:15]
; %bb.1172:
	s_mov_b32 s16, 0x46800000
	v_add_f32_e64 v0, |v3|, s16
; %bb.1173:
	s_or_b64 exec, exec, s[14:15]
                                        ; implicit-def: $vgpr4
.LBB144_1174:
	s_andn2_saveexec_b64 s[12:13], s[12:13]
; %bb.1175:
	s_mov_b32 s14, 0x7f800000
	v_mov_b32_e32 v0, 0x7e
	v_mov_b32_e32 v5, 0x7f
	v_cmp_lt_u32_e32 vcc, s14, v4
	v_cndmask_b32_e32 v0, v0, v5, vcc
; %bb.1176:
	s_or_b64 exec, exec, s[12:13]
	v_lshrrev_b32_e32 v4, 24, v3
	s_movk_i32 s12, 0x80
	v_and_or_b32 v0, v4, s12, v0
	global_store_byte v[1:2], v0, off
.LBB144_1177:
	s_mov_b64 s[12:13], 0
.LBB144_1178:
	s_andn2_b64 vcc, exec, s[12:13]
	s_cbranch_vccnz .LBB144_1188
; %bb.1179:
	v_and_b32_e32 v4, 0x7fffffff, v3
	s_mov_b32 s12, 0x47800000
	v_cmp_gt_u32_e32 vcc, s12, v4
                                        ; implicit-def: $vgpr0
	s_and_saveexec_b64 s[12:13], vcc
	s_xor_b64 s[12:13], exec, s[12:13]
	s_cbranch_execz .LBB144_1185
; %bb.1180:
	s_mov_b32 s14, 0x387fffff
	v_cmp_lt_u32_e32 vcc, s14, v4
                                        ; implicit-def: $vgpr0
	s_and_saveexec_b64 s[14:15], vcc
	s_xor_b64 s[14:15], exec, s[14:15]
; %bb.1181:
	v_bfe_u32 v0, v3, 21, 1
	s_mov_b32 s16, 0x80fffff
	v_add3_u32 v0, v3, v0, s16
	v_lshrrev_b32_e32 v0, 21, v0
; %bb.1182:
	s_andn2_saveexec_b64 s[14:15], s[14:15]
; %bb.1183:
	s_mov_b32 s16, 0x43000000
	v_add_f32_e64 v0, |v3|, s16
; %bb.1184:
	s_or_b64 exec, exec, s[14:15]
                                        ; implicit-def: $vgpr4
.LBB144_1185:
	s_andn2_saveexec_b64 s[12:13], s[12:13]
; %bb.1186:
	s_mov_b32 s14, 0x7f800000
	v_mov_b32_e32 v0, 0x7c
	v_mov_b32_e32 v5, 0x7f
	v_cmp_lt_u32_e32 vcc, s14, v4
	v_cndmask_b32_e32 v0, v0, v5, vcc
; %bb.1187:
	s_or_b64 exec, exec, s[12:13]
	v_lshrrev_b32_e32 v4, 24, v3
	s_movk_i32 s12, 0x80
	v_and_or_b32 v0, v4, s12, v0
	global_store_byte v[1:2], v0, off
.LBB144_1188:
	s_mov_b64 s[12:13], 0
.LBB144_1189:
	s_andn2_b64 vcc, exec, s[12:13]
	s_mov_b64 s[12:13], 0
	s_cbranch_vccnz .LBB144_1197
; %bb.1190:
	s_cmp_gt_i32 s19, 14
	s_mov_b64 s[14:15], -1
	s_cbranch_scc0 .LBB144_1194
; %bb.1191:
	s_cmp_eq_u32 s19, 15
	s_mov_b64 s[0:1], -1
	s_cbranch_scc0 .LBB144_1193
; %bb.1192:
	v_bfe_u32 v0, v3, 16, 1
	s_movk_i32 s0, 0x7fff
	v_add3_u32 v0, v3, v0, s0
	v_cmp_o_f32_e32 vcc, v3, v3
	v_mov_b32_e32 v4, 0x7fc0
	v_cndmask_b32_sdwa v0, v4, v0, vcc dst_sel:DWORD dst_unused:UNUSED_PAD src0_sel:DWORD src1_sel:WORD_1
	global_store_short v[1:2], v0, off
	s_mov_b64 s[0:1], 0
.LBB144_1193:
	s_mov_b64 s[14:15], 0
.LBB144_1194:
	s_and_b64 vcc, exec, s[14:15]
	s_cbranch_vccz .LBB144_1197
; %bb.1195:
	s_cmp_lg_u32 s19, 11
	s_cselect_b64 s[14:15], -1, 0
	s_andn2_b64 s[0:1], s[0:1], exec
	s_and_b64 s[14:15], s[14:15], exec
	s_mov_b64 s[12:13], -1
	s_or_b64 s[0:1], s[0:1], s[14:15]
	s_branch .LBB144_1197
.LBB144_1196:
	s_mov_b64 s[12:13], 0
.LBB144_1197:
	s_andn2_b64 s[14:15], s[52:53], exec
	s_and_b64 s[0:1], s[0:1], exec
	s_and_b64 s[2:3], s[2:3], exec
	;; [unrolled: 1-line block ×3, first 2 shown]
	s_or_b64 s[52:53], s[14:15], s[0:1]
	s_or_b64 exec, exec, s[10:11]
	s_and_saveexec_b64 s[0:1], s[52:53]
	s_cbranch_execz .LBB144_1136
.LBB144_1198:
	s_or_b64 s[8:9], s[8:9], exec
	s_andn2_b64 s[12:13], s[12:13], exec
	s_trap 2
	s_or_b64 exec, exec, s[0:1]
	s_and_saveexec_b64 s[0:1], s[12:13]
	s_xor_b64 s[0:1], exec, s[0:1]
	s_cbranch_execnz .LBB144_1137
.LBB144_1199:
	s_or_b64 exec, exec, s[0:1]
	s_and_saveexec_b64 s[0:1], s[2:3]
	s_xor_b64 s[0:1], exec, s[0:1]
	s_cbranch_execz .LBB144_1237
.LBB144_1200:
	s_sext_i32_i16 s10, s18
	s_cmp_lt_i32 s10, 5
	s_mov_b64 s[2:3], -1
	s_cbranch_scc1 .LBB144_1221
; %bb.1201:
	s_cmp_lt_i32 s10, 8
	s_cbranch_scc1 .LBB144_1211
; %bb.1202:
	s_cmp_lt_i32 s10, 9
	s_cbranch_scc1 .LBB144_1208
; %bb.1203:
	s_cmp_gt_i32 s10, 9
	s_cbranch_scc0 .LBB144_1205
; %bb.1204:
	s_waitcnt vmcnt(0)
	v_cvt_f64_f32_e32 v[4:5], v3
	v_mov_b32_e32 v6, 0
	v_mov_b32_e32 v7, v6
	s_mov_b64 s[2:3], 0
	global_store_dwordx4 v[1:2], v[4:7], off
.LBB144_1205:
	s_andn2_b64 vcc, exec, s[2:3]
	s_cbranch_vccnz .LBB144_1207
; %bb.1206:
	s_waitcnt vmcnt(0)
	v_mov_b32_e32 v4, 0
	global_store_dwordx2 v[1:2], v[3:4], off
.LBB144_1207:
	s_mov_b64 s[2:3], 0
.LBB144_1208:
	s_andn2_b64 vcc, exec, s[2:3]
	s_cbranch_vccnz .LBB144_1210
; %bb.1209:
	s_waitcnt vmcnt(0)
	v_cvt_f16_f32_e32 v0, v3
	global_store_dword v[1:2], v0, off
.LBB144_1210:
	s_mov_b64 s[2:3], 0
.LBB144_1211:
	s_andn2_b64 vcc, exec, s[2:3]
	s_cbranch_vccnz .LBB144_1220
; %bb.1212:
	s_sext_i32_i16 s10, s18
	s_cmp_lt_i32 s10, 6
	s_mov_b64 s[2:3], -1
	s_cbranch_scc1 .LBB144_1218
; %bb.1213:
	s_cmp_gt_i32 s10, 6
	s_cbranch_scc0 .LBB144_1215
; %bb.1214:
	s_waitcnt vmcnt(0)
	v_cvt_f64_f32_e32 v[4:5], v3
	s_mov_b64 s[2:3], 0
	global_store_dwordx2 v[1:2], v[4:5], off
.LBB144_1215:
	s_andn2_b64 vcc, exec, s[2:3]
	s_cbranch_vccnz .LBB144_1217
; %bb.1216:
	s_waitcnt vmcnt(0)
	global_store_dword v[1:2], v3, off
.LBB144_1217:
	s_mov_b64 s[2:3], 0
.LBB144_1218:
	s_andn2_b64 vcc, exec, s[2:3]
	s_cbranch_vccnz .LBB144_1220
; %bb.1219:
	s_waitcnt vmcnt(0)
	v_cvt_f16_f32_e32 v0, v3
	global_store_short v[1:2], v0, off
.LBB144_1220:
	s_mov_b64 s[2:3], 0
.LBB144_1221:
	s_andn2_b64 vcc, exec, s[2:3]
	s_cbranch_vccnz .LBB144_1237
; %bb.1222:
	s_sext_i32_i16 s10, s18
	s_cmp_lt_i32 s10, 2
	s_mov_b64 s[2:3], -1
	s_cbranch_scc1 .LBB144_1232
; %bb.1223:
	s_cmp_lt_i32 s10, 3
	s_cbranch_scc1 .LBB144_1229
; %bb.1224:
	s_cmp_gt_i32 s10, 3
	s_cbranch_scc0 .LBB144_1226
; %bb.1225:
	s_waitcnt vmcnt(0)
	v_trunc_f32_e32 v0, v3
	s_mov_b32 s2, 0x2f800000
	v_mul_f32_e64 v4, |v0|, s2
	v_floor_f32_e32 v4, v4
	s_mov_b32 s2, 0xcf800000
	v_cvt_u32_f32_e32 v5, v4
	v_fma_f32 v4, v4, s2, |v0|
	v_cvt_u32_f32_e32 v4, v4
	v_ashrrev_i32_e32 v0, 31, v0
	v_xor_b32_e32 v5, v5, v0
	s_mov_b64 s[2:3], 0
	v_xor_b32_e32 v4, v4, v0
	v_sub_co_u32_e32 v4, vcc, v4, v0
	v_subb_co_u32_e32 v5, vcc, v5, v0, vcc
	global_store_dwordx2 v[1:2], v[4:5], off
.LBB144_1226:
	s_andn2_b64 vcc, exec, s[2:3]
	s_cbranch_vccnz .LBB144_1228
; %bb.1227:
	s_waitcnt vmcnt(0)
	v_cvt_i32_f32_e32 v0, v3
	global_store_dword v[1:2], v0, off
.LBB144_1228:
	s_mov_b64 s[2:3], 0
.LBB144_1229:
	s_andn2_b64 vcc, exec, s[2:3]
	s_cbranch_vccnz .LBB144_1231
; %bb.1230:
	s_waitcnt vmcnt(0)
	v_cvt_i32_f32_e32 v0, v3
	global_store_short v[1:2], v0, off
.LBB144_1231:
	s_mov_b64 s[2:3], 0
.LBB144_1232:
	s_andn2_b64 vcc, exec, s[2:3]
	s_cbranch_vccnz .LBB144_1237
; %bb.1233:
	s_sext_i32_i16 s2, s18
	s_cmp_gt_i32 s2, 0
	s_mov_b64 s[2:3], -1
	s_cbranch_scc0 .LBB144_1235
; %bb.1234:
	s_waitcnt vmcnt(0)
	v_cvt_i32_f32_e32 v0, v3
	s_mov_b64 s[2:3], 0
	global_store_byte v[1:2], v0, off
.LBB144_1235:
	s_andn2_b64 vcc, exec, s[2:3]
	s_cbranch_vccnz .LBB144_1237
; %bb.1236:
	s_waitcnt vmcnt(0)
	v_trunc_f32_e32 v0, v3
	s_mov_b32 s2, 0x2f800000
	v_mul_f32_e64 v3, |v0|, s2
	v_floor_f32_e32 v3, v3
	s_mov_b32 s2, 0xcf800000
	v_fma_f32 v3, v3, s2, |v0|
	v_cvt_u32_f32_e32 v3, v3
	v_ashrrev_i32_e32 v0, 31, v0
	v_xor_b32_e32 v3, v3, v0
	v_sub_u32_e32 v0, v3, v0
	global_store_byte v[1:2], v0, off
.LBB144_1237:
	s_or_b64 exec, exec, s[0:1]
	s_waitcnt lgkmcnt(0)
	s_and_b64 s[28:29], s[8:9], exec
                                        ; implicit-def: $vgpr15
                                        ; implicit-def: $vgpr8
.LBB144_1238:
	s_or_saveexec_b64 s[30:31], s[42:43]
	s_mov_b64 s[0:1], 0
                                        ; implicit-def: $vgpr0_vgpr1
                                        ; implicit-def: $sgpr18
                                        ; implicit-def: $vgpr2
	s_xor_b64 exec, exec, s[30:31]
	s_cbranch_execz .LBB144_2394
; %bb.1239:
	v_cndmask_b32_e64 v0, 0, 1, s[40:41]
	v_cmp_ne_u32_e64 s[0:1], 1, v0
	s_andn2_b64 vcc, exec, s[40:41]
	s_cbranch_vccnz .LBB144_1245
; %bb.1240:
	s_cmp_lg_u32 s33, 0
	s_mov_b32 s36, 0
	s_cbranch_scc0 .LBB144_1246
; %bb.1241:
	s_min_u32 s37, s72, 15
	s_add_i32 s37, s37, 1
	s_cmp_eq_u32 s72, 2
	s_cbranch_scc1 .LBB144_1247
; %bb.1242:
	s_and_b32 s36, s37, 28
	s_add_u32 s2, s34, 0xc4
	s_addc_u32 s3, s35, 0
	v_mov_b32_e32 v13, 0
	s_mov_b32 s38, 0
	s_mov_b64 s[6:7], s[34:35]
	v_mov_b32_e32 v6, 0
	v_mov_b32_e32 v0, v8
.LBB144_1243:                           ; =>This Inner Loop Header: Depth=1
	s_load_dwordx8 s[16:23], s[6:7], 0x4
	s_load_dwordx4 s[24:27], s[6:7], 0x24
	s_load_dwordx8 s[8:15], s[2:3], 0x0
	s_add_u32 s6, s6, 48
	s_addc_u32 s7, s7, 0
	s_waitcnt lgkmcnt(0)
	v_mul_hi_u32 v1, s17, v0
	s_add_i32 s38, s38, 4
	s_add_u32 s2, s2, 32
	s_addc_u32 s3, s3, 0
	v_add_u32_e32 v1, v0, v1
	v_lshrrev_b32_e32 v1, s18, v1
	v_mul_lo_u32 v2, v1, s16
	s_waitcnt vmcnt(0)
	v_mul_hi_u32 v3, s20, v1
	s_cmp_lg_u32 s36, s38
	v_sub_u32_e32 v0, v0, v2
	v_add_u32_e32 v2, v1, v3
	v_mul_lo_u32 v3, v0, s8
	v_mul_lo_u32 v4, v0, s9
	v_lshrrev_b32_e32 v0, s21, v2
	v_mul_lo_u32 v2, v0, s19
	v_mul_hi_u32 v5, s23, v0
	v_sub_u32_e32 v1, v1, v2
	v_add_u32_e32 v2, v0, v5
	v_lshrrev_b32_e32 v2, s24, v2
	v_mul_hi_u32 v7, s26, v2
	v_mul_lo_u32 v9, v2, s22
	v_mul_lo_u32 v5, v1, s10
	;; [unrolled: 1-line block ×3, first 2 shown]
	v_sub_u32_e32 v9, v0, v9
	v_add_u32_e32 v0, v2, v7
	v_lshrrev_b32_e32 v0, s27, v0
	v_mul_lo_u32 v7, v0, s25
	v_mul_lo_u32 v10, v9, s12
	;; [unrolled: 1-line block ×3, first 2 shown]
	v_add3_u32 v3, v3, v6, v5
	v_sub_u32_e32 v2, v2, v7
	v_mul_lo_u32 v7, v2, s14
	v_mul_lo_u32 v2, v2, s15
	v_add3_u32 v1, v4, v13, v1
	v_add3_u32 v6, v10, v3, v7
	;; [unrolled: 1-line block ×3, first 2 shown]
	s_cbranch_scc1 .LBB144_1243
; %bb.1244:
	s_and_b32 s8, s37, 3
	s_cmp_eq_u32 s8, 0
	s_cbranch_scc0 .LBB144_1248
	s_branch .LBB144_1250
.LBB144_1245:
                                        ; implicit-def: $vgpr6
                                        ; implicit-def: $vgpr13
	s_branch .LBB144_1251
.LBB144_1246:
	v_mov_b32_e32 v6, 0
	v_mov_b32_e32 v13, 0
	s_branch .LBB144_1250
.LBB144_1247:
	v_mov_b32_e32 v6, 0
	v_mov_b32_e32 v13, 0
	;; [unrolled: 1-line block ×3, first 2 shown]
	s_and_b32 s8, s37, 3
	s_cmp_eq_u32 s8, 0
	s_cbranch_scc1 .LBB144_1250
.LBB144_1248:
	s_lshl_b32 s2, s36, 3
	s_add_u32 s2, s34, s2
	s_addc_u32 s3, s35, 0
	s_add_u32 s2, s2, 0xc4
	s_addc_u32 s3, s3, 0
	s_mul_i32 s6, s36, 12
	s_add_u32 s6, s34, s6
	s_addc_u32 s7, s35, 0
.LBB144_1249:                           ; =>This Inner Loop Header: Depth=1
	s_load_dwordx2 s[10:11], s[6:7], 0x4
	s_load_dword s9, s[6:7], 0xc
	s_load_dwordx2 s[12:13], s[2:3], 0x0
	s_add_u32 s6, s6, 12
	s_addc_u32 s7, s7, 0
	s_waitcnt lgkmcnt(0)
	v_mul_hi_u32 v1, s11, v0
	s_add_u32 s2, s2, 8
	s_addc_u32 s3, s3, 0
	s_add_i32 s8, s8, -1
	v_add_u32_e32 v1, v0, v1
	v_lshrrev_b32_e32 v1, s9, v1
	v_mul_lo_u32 v2, v1, s10
	s_cmp_lg_u32 s8, 0
	v_sub_u32_e32 v0, v0, v2
	v_mad_u64_u32 v[6:7], s[10:11], v0, s12, v[6:7]
	v_mad_u64_u32 v[13:14], s[10:11], v0, s13, v[13:14]
	v_mov_b32_e32 v0, v1
	s_cbranch_scc1 .LBB144_1249
.LBB144_1250:
	s_cbranch_execnz .LBB144_1253
.LBB144_1251:
	s_load_dwordx4 s[8:11], s[34:35], 0x4
	s_load_dwordx2 s[2:3], s[34:35], 0xc4
	s_cmp_lt_u32 s33, 2
	s_waitcnt lgkmcnt(0)
	v_mul_hi_u32 v0, s9, v8
	v_add_u32_e32 v0, v8, v0
	v_lshrrev_b32_e32 v0, s10, v0
	v_mul_lo_u32 v1, v0, s8
	v_sub_u32_e32 v1, v8, v1
	v_mul_lo_u32 v6, v1, s2
	v_mul_lo_u32 v13, v1, s3
	s_cbranch_scc1 .LBB144_1253
; %bb.1252:
	s_load_dwordx4 s[8:11], s[34:35], 0x10
	s_load_dwordx2 s[2:3], s[34:35], 0xcc
	s_waitcnt lgkmcnt(0)
	v_mul_hi_u32 v1, s9, v0
	v_add_u32_e32 v1, v0, v1
	v_lshrrev_b32_e32 v1, s10, v1
	v_mul_lo_u32 v1, v1, s8
	v_sub_u32_e32 v0, v0, v1
	v_mad_u64_u32 v[6:7], s[6:7], v0, s2, v[6:7]
	v_mad_u64_u32 v[13:14], s[2:3], v0, s3, v[13:14]
.LBB144_1253:
	s_and_b64 vcc, exec, s[0:1]
	v_add_u32_e32 v0, 0x80, v8
	s_cbranch_vccnz .LBB144_1259
; %bb.1254:
	s_cmp_lg_u32 s33, 0
	s_mov_b32 s36, 0
	s_cbranch_scc0 .LBB144_1260
; %bb.1255:
	s_min_u32 s37, s72, 15
	s_add_i32 s37, s37, 1
	s_cmp_eq_u32 s72, 2
	s_cbranch_scc1 .LBB144_1261
; %bb.1256:
	s_and_b32 s36, s37, 28
	s_add_u32 s2, s34, 0xc4
	s_addc_u32 s3, s35, 0
	v_mov_b32_e32 v11, 0
	s_mov_b32 s38, 0
	s_mov_b64 s[6:7], s[34:35]
	s_waitcnt vmcnt(0)
	v_mov_b32_e32 v4, 0
	v_mov_b32_e32 v1, v0
.LBB144_1257:                           ; =>This Inner Loop Header: Depth=1
	s_load_dwordx8 s[16:23], s[6:7], 0x4
	s_load_dwordx4 s[24:27], s[6:7], 0x24
	s_load_dwordx8 s[8:15], s[2:3], 0x0
	s_add_u32 s6, s6, 48
	s_addc_u32 s7, s7, 0
	s_waitcnt lgkmcnt(0)
	v_mul_hi_u32 v2, s17, v1
	s_add_i32 s38, s38, 4
	s_add_u32 s2, s2, 32
	s_addc_u32 s3, s3, 0
	v_add_u32_e32 v2, v1, v2
	v_lshrrev_b32_e32 v2, s18, v2
	v_mul_lo_u32 v3, v2, s16
	v_mul_hi_u32 v5, s20, v2
	s_cmp_lg_u32 s36, s38
	v_sub_u32_e32 v1, v1, v3
	v_add_u32_e32 v3, v2, v5
	v_mul_lo_u32 v5, v1, s8
	v_mul_lo_u32 v7, v1, s9
	v_lshrrev_b32_e32 v1, s21, v3
	v_mul_lo_u32 v3, v1, s19
	v_mul_hi_u32 v9, s23, v1
	v_sub_u32_e32 v2, v2, v3
	v_add_u32_e32 v3, v1, v9
	v_lshrrev_b32_e32 v3, s24, v3
	v_mul_hi_u32 v10, s26, v3
	v_mul_lo_u32 v12, v3, s22
	v_mul_lo_u32 v9, v2, s10
	;; [unrolled: 1-line block ×3, first 2 shown]
	v_sub_u32_e32 v12, v1, v12
	v_add_u32_e32 v1, v3, v10
	v_lshrrev_b32_e32 v1, s27, v1
	v_mul_lo_u32 v10, v1, s25
	v_mul_lo_u32 v14, v12, s12
	;; [unrolled: 1-line block ×3, first 2 shown]
	v_add3_u32 v4, v5, v4, v9
	v_sub_u32_e32 v3, v3, v10
	v_mul_lo_u32 v10, v3, s14
	v_mul_lo_u32 v3, v3, s15
	v_add3_u32 v2, v7, v11, v2
	v_add3_u32 v4, v14, v4, v10
	;; [unrolled: 1-line block ×3, first 2 shown]
	s_cbranch_scc1 .LBB144_1257
; %bb.1258:
	s_and_b32 s8, s37, 3
	s_cmp_eq_u32 s8, 0
	s_cbranch_scc0 .LBB144_1262
	s_branch .LBB144_1264
.LBB144_1259:
                                        ; implicit-def: $vgpr4
                                        ; implicit-def: $vgpr11
	s_branch .LBB144_1265
.LBB144_1260:
	s_waitcnt vmcnt(0)
	v_mov_b32_e32 v4, 0
	v_mov_b32_e32 v11, 0
	s_branch .LBB144_1264
.LBB144_1261:
	s_waitcnt vmcnt(0)
	v_mov_b32_e32 v4, 0
	v_mov_b32_e32 v11, 0
	v_mov_b32_e32 v1, v0
	s_and_b32 s8, s37, 3
	s_cmp_eq_u32 s8, 0
	s_cbranch_scc1 .LBB144_1264
.LBB144_1262:
	s_lshl_b32 s2, s36, 3
	s_add_u32 s2, s34, s2
	s_addc_u32 s3, s35, 0
	s_add_u32 s2, s2, 0xc4
	s_addc_u32 s3, s3, 0
	s_mul_i32 s6, s36, 12
	s_add_u32 s6, s34, s6
	s_addc_u32 s7, s35, 0
.LBB144_1263:                           ; =>This Inner Loop Header: Depth=1
	s_load_dwordx2 s[10:11], s[6:7], 0x4
	s_load_dword s9, s[6:7], 0xc
	s_load_dwordx2 s[12:13], s[2:3], 0x0
	s_add_u32 s6, s6, 12
	s_addc_u32 s7, s7, 0
	s_waitcnt lgkmcnt(0)
	v_mul_hi_u32 v2, s11, v1
	s_add_u32 s2, s2, 8
	s_addc_u32 s3, s3, 0
	s_add_i32 s8, s8, -1
	v_add_u32_e32 v2, v1, v2
	v_lshrrev_b32_e32 v2, s9, v2
	v_mul_lo_u32 v3, v2, s10
	s_cmp_lg_u32 s8, 0
	v_sub_u32_e32 v1, v1, v3
	v_mad_u64_u32 v[4:5], s[10:11], v1, s12, v[4:5]
	v_mad_u64_u32 v[11:12], s[10:11], v1, s13, v[11:12]
	v_mov_b32_e32 v1, v2
	s_cbranch_scc1 .LBB144_1263
.LBB144_1264:
	s_cbranch_execnz .LBB144_1267
.LBB144_1265:
	s_load_dwordx4 s[8:11], s[34:35], 0x4
	s_load_dwordx2 s[2:3], s[34:35], 0xc4
	s_cmp_lt_u32 s33, 2
	s_waitcnt lgkmcnt(0)
	v_mul_hi_u32 v1, s9, v0
	v_add_u32_e32 v1, v0, v1
	v_lshrrev_b32_e32 v1, s10, v1
	v_mul_lo_u32 v2, v1, s8
	v_sub_u32_e32 v0, v0, v2
	s_waitcnt vmcnt(0)
	v_mul_lo_u32 v4, v0, s2
	v_mul_lo_u32 v11, v0, s3
	s_cbranch_scc1 .LBB144_1267
; %bb.1266:
	s_load_dwordx4 s[8:11], s[34:35], 0x10
	s_load_dwordx2 s[2:3], s[34:35], 0xcc
	s_waitcnt lgkmcnt(0)
	v_mul_hi_u32 v0, s9, v1
	v_add_u32_e32 v0, v1, v0
	v_lshrrev_b32_e32 v0, s10, v0
	v_mul_lo_u32 v0, v0, s8
	v_sub_u32_e32 v0, v1, v0
	v_mad_u64_u32 v[4:5], s[6:7], v0, s2, v[4:5]
	v_mad_u64_u32 v[11:12], s[2:3], v0, s3, v[11:12]
.LBB144_1267:
	s_and_b64 vcc, exec, s[0:1]
	v_add_u32_e32 v0, 0x100, v8
	s_cbranch_vccnz .LBB144_1273
; %bb.1268:
	s_cmp_lg_u32 s33, 0
	s_mov_b32 s36, 0
	s_cbranch_scc0 .LBB144_1274
; %bb.1269:
	s_min_u32 s37, s72, 15
	s_add_i32 s37, s37, 1
	s_cmp_eq_u32 s72, 2
	s_cbranch_scc1 .LBB144_1275
; %bb.1270:
	s_and_b32 s36, s37, 28
	s_add_u32 s2, s34, 0xc4
	s_addc_u32 s3, s35, 0
	v_mov_b32_e32 v9, 0
	s_mov_b32 s38, 0
	s_mov_b64 s[6:7], s[34:35]
	v_mov_b32_e32 v2, 0
	v_mov_b32_e32 v1, v0
.LBB144_1271:                           ; =>This Inner Loop Header: Depth=1
	s_load_dwordx8 s[16:23], s[6:7], 0x4
	s_load_dwordx4 s[24:27], s[6:7], 0x24
	s_load_dwordx8 s[8:15], s[2:3], 0x0
	s_add_u32 s6, s6, 48
	s_addc_u32 s7, s7, 0
	s_waitcnt vmcnt(0) lgkmcnt(0)
	v_mul_hi_u32 v3, s17, v1
	s_add_i32 s38, s38, 4
	s_add_u32 s2, s2, 32
	s_addc_u32 s3, s3, 0
	v_add_u32_e32 v3, v1, v3
	v_lshrrev_b32_e32 v3, s18, v3
	v_mul_lo_u32 v5, v3, s16
	v_mul_hi_u32 v7, s20, v3
	s_cmp_lg_u32 s36, s38
	v_sub_u32_e32 v1, v1, v5
	v_add_u32_e32 v5, v3, v7
	v_mul_lo_u32 v7, v1, s8
	v_mul_lo_u32 v8, v1, s9
	v_lshrrev_b32_e32 v1, s21, v5
	v_mul_lo_u32 v5, v1, s19
	v_mul_hi_u32 v10, s23, v1
	v_sub_u32_e32 v3, v3, v5
	v_add_u32_e32 v5, v1, v10
	v_lshrrev_b32_e32 v5, s24, v5
	v_mul_hi_u32 v12, s26, v5
	v_mul_lo_u32 v14, v5, s22
	v_mul_lo_u32 v10, v3, s10
	;; [unrolled: 1-line block ×3, first 2 shown]
	v_sub_u32_e32 v14, v1, v14
	v_add_u32_e32 v1, v5, v12
	v_lshrrev_b32_e32 v1, s27, v1
	v_mul_lo_u32 v12, v1, s25
	v_mul_lo_u32 v16, v14, s12
	v_mul_lo_u32 v14, v14, s13
	v_add3_u32 v2, v7, v2, v10
	v_sub_u32_e32 v5, v5, v12
	v_mul_lo_u32 v12, v5, s14
	v_mul_lo_u32 v5, v5, s15
	v_add3_u32 v3, v8, v9, v3
	v_add3_u32 v2, v16, v2, v12
	;; [unrolled: 1-line block ×3, first 2 shown]
	s_cbranch_scc1 .LBB144_1271
; %bb.1272:
	s_and_b32 s8, s37, 3
	s_cmp_eq_u32 s8, 0
	s_cbranch_scc0 .LBB144_1276
	s_branch .LBB144_1278
.LBB144_1273:
                                        ; implicit-def: $vgpr2
                                        ; implicit-def: $vgpr9
	s_branch .LBB144_1279
.LBB144_1274:
	v_mov_b32_e32 v2, 0
	v_mov_b32_e32 v9, 0
	s_branch .LBB144_1278
.LBB144_1275:
	v_mov_b32_e32 v2, 0
	v_mov_b32_e32 v9, 0
	;; [unrolled: 1-line block ×3, first 2 shown]
	s_and_b32 s8, s37, 3
	s_cmp_eq_u32 s8, 0
	s_cbranch_scc1 .LBB144_1278
.LBB144_1276:
	s_lshl_b32 s2, s36, 3
	s_add_u32 s2, s34, s2
	s_addc_u32 s3, s35, 0
	s_add_u32 s2, s2, 0xc4
	s_addc_u32 s3, s3, 0
	s_mul_i32 s6, s36, 12
	s_add_u32 s6, s34, s6
	s_addc_u32 s7, s35, 0
.LBB144_1277:                           ; =>This Inner Loop Header: Depth=1
	s_load_dwordx2 s[10:11], s[6:7], 0x4
	s_load_dword s9, s[6:7], 0xc
	s_load_dwordx2 s[12:13], s[2:3], 0x0
	s_add_u32 s6, s6, 12
	s_addc_u32 s7, s7, 0
	s_waitcnt vmcnt(0) lgkmcnt(0)
	v_mul_hi_u32 v3, s11, v1
	s_add_u32 s2, s2, 8
	s_addc_u32 s3, s3, 0
	s_add_i32 s8, s8, -1
	v_add_u32_e32 v3, v1, v3
	v_lshrrev_b32_e32 v5, s9, v3
	v_mul_lo_u32 v3, v5, s10
	s_cmp_lg_u32 s8, 0
	v_sub_u32_e32 v1, v1, v3
	v_mad_u64_u32 v[2:3], s[10:11], v1, s12, v[2:3]
	v_mad_u64_u32 v[9:10], s[10:11], v1, s13, v[9:10]
	v_mov_b32_e32 v1, v5
	s_cbranch_scc1 .LBB144_1277
.LBB144_1278:
	s_cbranch_execnz .LBB144_1281
.LBB144_1279:
	s_load_dwordx4 s[8:11], s[34:35], 0x4
	s_load_dwordx2 s[2:3], s[34:35], 0xc4
	s_cmp_lt_u32 s33, 2
	s_waitcnt lgkmcnt(0)
	v_mul_hi_u32 v1, s9, v0
	v_add_u32_e32 v1, v0, v1
	v_lshrrev_b32_e32 v1, s10, v1
	v_mul_lo_u32 v2, v1, s8
	v_sub_u32_e32 v0, v0, v2
	v_mul_lo_u32 v2, v0, s2
	v_mul_lo_u32 v9, v0, s3
	s_cbranch_scc1 .LBB144_1281
; %bb.1280:
	s_load_dwordx4 s[8:11], s[34:35], 0x10
	s_load_dwordx2 s[2:3], s[34:35], 0xcc
	s_waitcnt lgkmcnt(0)
	v_mul_hi_u32 v0, s9, v1
	v_add_u32_e32 v0, v1, v0
	v_lshrrev_b32_e32 v0, s10, v0
	v_mul_lo_u32 v0, v0, s8
	v_sub_u32_e32 v0, v1, v0
	s_waitcnt vmcnt(0)
	v_mad_u64_u32 v[2:3], s[6:7], v0, s2, v[2:3]
	v_mad_u64_u32 v[9:10], s[2:3], v0, s3, v[9:10]
.LBB144_1281:
	s_and_b64 vcc, exec, s[0:1]
	s_cbranch_vccnz .LBB144_1287
; %bb.1282:
	s_cmp_lg_u32 s33, 0
	s_mov_b32 s26, 0
	s_cbranch_scc0 .LBB144_1288
; %bb.1283:
	s_min_u32 s27, s72, 15
	s_add_i32 s27, s27, 1
	s_cmp_eq_u32 s72, 2
	s_cbranch_scc1 .LBB144_1289
; %bb.1284:
	s_and_b32 s26, s27, 28
	s_add_u32 s6, s34, 0xc4
	s_addc_u32 s7, s35, 0
	v_mov_b32_e32 v7, 0
	s_mov_b32 s36, 0
	s_mov_b64 s[24:25], s[34:35]
	v_mov_b32_e32 v0, 0
	v_mov_b32_e32 v1, v15
.LBB144_1285:                           ; =>This Inner Loop Header: Depth=1
	s_load_dwordx8 s[16:23], s[24:25], 0x4
	s_load_dwordx4 s[0:3], s[24:25], 0x24
	s_load_dwordx8 s[8:15], s[6:7], 0x0
	s_add_u32 s24, s24, 48
	s_addc_u32 s25, s25, 0
	s_waitcnt vmcnt(0) lgkmcnt(0)
	v_mul_hi_u32 v3, s17, v1
	s_add_i32 s36, s36, 4
	s_add_u32 s6, s6, 32
	s_addc_u32 s7, s7, 0
	v_add_u32_e32 v3, v1, v3
	v_lshrrev_b32_e32 v3, s18, v3
	v_mul_lo_u32 v5, v3, s16
	v_mul_hi_u32 v8, s20, v3
	s_cmp_lg_u32 s26, s36
	v_sub_u32_e32 v1, v1, v5
	v_add_u32_e32 v5, v3, v8
	v_mul_lo_u32 v8, v1, s8
	v_mul_lo_u32 v10, v1, s9
	v_lshrrev_b32_e32 v1, s21, v5
	v_mul_lo_u32 v5, v1, s19
	v_mul_hi_u32 v12, s23, v1
	v_sub_u32_e32 v3, v3, v5
	v_add_u32_e32 v5, v1, v12
	v_lshrrev_b32_e32 v5, s0, v5
	v_mul_hi_u32 v14, s2, v5
	v_mul_lo_u32 v16, v5, s22
	v_mul_lo_u32 v12, v3, s10
	;; [unrolled: 1-line block ×3, first 2 shown]
	v_sub_u32_e32 v16, v1, v16
	v_add_u32_e32 v1, v5, v14
	v_lshrrev_b32_e32 v1, s3, v1
	v_mul_lo_u32 v14, v1, s1
	v_mul_lo_u32 v17, v16, s12
	;; [unrolled: 1-line block ×3, first 2 shown]
	v_add3_u32 v0, v8, v0, v12
	v_sub_u32_e32 v5, v5, v14
	v_mul_lo_u32 v14, v5, s14
	v_mul_lo_u32 v5, v5, s15
	v_add3_u32 v3, v10, v7, v3
	v_add3_u32 v0, v17, v0, v14
	v_add3_u32 v7, v16, v3, v5
	s_cbranch_scc1 .LBB144_1285
; %bb.1286:
	s_and_b32 s6, s27, 3
	s_cmp_eq_u32 s6, 0
	s_cbranch_scc0 .LBB144_1290
	s_branch .LBB144_1292
.LBB144_1287:
                                        ; implicit-def: $vgpr0
                                        ; implicit-def: $vgpr7
	s_branch .LBB144_1293
.LBB144_1288:
	v_mov_b32_e32 v0, 0
	v_mov_b32_e32 v7, 0
	s_branch .LBB144_1292
.LBB144_1289:
	v_mov_b32_e32 v0, 0
	v_mov_b32_e32 v7, 0
	;; [unrolled: 1-line block ×3, first 2 shown]
	s_and_b32 s6, s27, 3
	s_cmp_eq_u32 s6, 0
	s_cbranch_scc1 .LBB144_1292
.LBB144_1290:
	s_lshl_b32 s0, s26, 3
	s_add_u32 s0, s34, s0
	s_addc_u32 s1, s35, 0
	s_add_u32 s0, s0, 0xc4
	s_addc_u32 s1, s1, 0
	s_mul_i32 s2, s26, 12
	s_add_u32 s2, s34, s2
	s_addc_u32 s3, s35, 0
.LBB144_1291:                           ; =>This Inner Loop Header: Depth=1
	s_load_dwordx2 s[8:9], s[2:3], 0x4
	s_load_dword s7, s[2:3], 0xc
	s_load_dwordx2 s[10:11], s[0:1], 0x0
	s_add_u32 s2, s2, 12
	s_addc_u32 s3, s3, 0
	s_waitcnt vmcnt(0) lgkmcnt(0)
	v_mul_hi_u32 v3, s9, v1
	s_add_u32 s0, s0, 8
	s_addc_u32 s1, s1, 0
	s_add_i32 s6, s6, -1
	v_add_u32_e32 v3, v1, v3
	v_lshrrev_b32_e32 v3, s7, v3
	v_mul_lo_u32 v5, v3, s8
	s_cmp_lg_u32 s6, 0
	v_sub_u32_e32 v5, v1, v5
	v_mad_u64_u32 v[0:1], s[8:9], v5, s10, v[0:1]
	v_mad_u64_u32 v[7:8], s[8:9], v5, s11, v[7:8]
	v_mov_b32_e32 v1, v3
	s_cbranch_scc1 .LBB144_1291
.LBB144_1292:
	s_cbranch_execnz .LBB144_1295
.LBB144_1293:
	s_load_dwordx4 s[0:3], s[34:35], 0x4
	s_load_dwordx2 s[6:7], s[34:35], 0xc4
	s_cmp_lt_u32 s33, 2
	s_waitcnt lgkmcnt(0)
	v_mul_hi_u32 v0, s1, v15
	v_add_u32_e32 v0, v15, v0
	v_lshrrev_b32_e32 v1, s2, v0
	v_mul_lo_u32 v0, v1, s0
	s_waitcnt vmcnt(0)
	v_sub_u32_e32 v3, v15, v0
	v_mul_lo_u32 v0, v3, s6
	v_mul_lo_u32 v7, v3, s7
	s_cbranch_scc1 .LBB144_1295
; %bb.1294:
	s_load_dwordx4 s[0:3], s[34:35], 0x10
	s_load_dwordx2 s[6:7], s[34:35], 0xcc
	s_waitcnt lgkmcnt(0)
	v_mul_hi_u32 v3, s1, v1
	v_add_u32_e32 v3, v1, v3
	v_lshrrev_b32_e32 v3, s2, v3
	v_mul_lo_u32 v3, v3, s0
	v_sub_u32_e32 v3, v1, v3
	v_mad_u64_u32 v[0:1], s[0:1], v3, s6, v[0:1]
	v_mad_u64_u32 v[7:8], s[0:1], v3, s7, v[7:8]
.LBB144_1295:
	s_load_dwordx4 s[12:15], s[34:35], 0x148
	s_load_dword s20, s[4:5], 0x160
	s_waitcnt lgkmcnt(0)
	v_mov_b32_e32 v1, s15
	s_bfe_u32 s16, s20, 0x80010
	v_add_co_u32_e32 v12, vcc, s14, v13
	s_cmp_lt_i32 s16, 11
	v_addc_co_u32_e32 v13, vcc, 0, v1, vcc
	s_cbranch_scc1 .LBB144_1302
; %bb.1296:
	s_and_b32 s10, 0xffff, s16
	s_cmp_gt_i32 s10, 25
	s_mov_b64 s[2:3], 0
	s_cbranch_scc0 .LBB144_1304
; %bb.1297:
	s_cmp_gt_i32 s10, 28
	s_cbranch_scc0 .LBB144_1305
; %bb.1298:
	s_cmp_gt_i32 s10, 43
	s_cbranch_scc0 .LBB144_1306
; %bb.1299:
	s_cmp_gt_i32 s10, 45
	s_cbranch_scc0 .LBB144_1307
; %bb.1300:
	s_cmp_eq_u32 s10, 46
	s_mov_b64 s[6:7], 0
	s_cbranch_scc0 .LBB144_1310
; %bb.1301:
	global_load_dword v1, v[12:13], off
	s_mov_b64 s[0:1], 0
	s_mov_b64 s[4:5], -1
	s_waitcnt vmcnt(0)
	v_lshlrev_b32_e32 v1, 16, v1
	s_branch .LBB144_1311
.LBB144_1302:
	s_mov_b64 s[4:5], 0
                                        ; implicit-def: $vgpr1
	s_mov_b64 s[10:11], s[28:29]
	s_cbranch_execnz .LBB144_1374
.LBB144_1303:
	s_andn2_b64 vcc, exec, s[4:5]
	s_cbranch_vccz .LBB144_1419
	s_branch .LBB144_2392
.LBB144_1304:
	s_mov_b64 s[4:5], 0
	s_mov_b64 s[0:1], 0
                                        ; implicit-def: $vgpr1
	s_cbranch_execnz .LBB144_1339
	s_branch .LBB144_1370
.LBB144_1305:
	s_mov_b64 s[6:7], -1
	s_mov_b64 s[4:5], 0
	s_mov_b64 s[0:1], 0
                                        ; implicit-def: $vgpr1
	s_branch .LBB144_1320
.LBB144_1306:
	s_mov_b64 s[4:5], 0
	s_mov_b64 s[0:1], 0
                                        ; implicit-def: $vgpr1
	s_cbranch_execnz .LBB144_1316
	s_branch .LBB144_1319
.LBB144_1307:
	s_mov_b64 s[6:7], -1
	s_mov_b64 s[4:5], 0
	s_mov_b64 s[0:1], 0
                                        ; implicit-def: $vgpr1
	s_branch .LBB144_1311
.LBB144_1308:
	s_andn2_saveexec_b64 s[14:15], s[14:15]
	s_cbranch_execz .LBB144_1151
.LBB144_1309:
	s_mov_b32 s16, 0x46000000
	v_add_f32_e64 v0, |v3|, s16
	v_and_b32_e32 v0, 0xff, v0
	v_cmp_ne_u32_e32 vcc, 0, v0
	s_andn2_b64 s[12:13], s[12:13], exec
	s_and_b64 s[16:17], vcc, exec
	s_or_b64 s[12:13], s[12:13], s[16:17]
	s_or_b64 exec, exec, s[14:15]
	v_mov_b32_e32 v4, 0
	s_and_saveexec_b64 s[14:15], s[12:13]
	s_cbranch_execnz .LBB144_1152
	s_branch .LBB144_1153
.LBB144_1310:
	s_mov_b64 s[0:1], -1
                                        ; implicit-def: $vgpr1
	s_mov_b64 s[4:5], 0
.LBB144_1311:
	s_and_b64 vcc, exec, s[6:7]
	s_cbranch_vccz .LBB144_1314
; %bb.1312:
	s_cmp_eq_u32 s10, 44
	s_cbranch_scc0 .LBB144_1315
; %bb.1313:
	global_load_ubyte v1, v[12:13], off
	s_movk_i32 s4, 0xff
	s_waitcnt vmcnt(1)
	v_mov_b32_e32 v3, 0x7f800001
	v_mov_b32_e32 v5, 0x400000
	s_mov_b64 s[0:1], 0
	s_waitcnt vmcnt(0)
	v_lshlrev_b32_e32 v8, 23, v1
	v_cmp_ne_u32_e32 vcc, s4, v1
	v_cndmask_b32_e32 v3, v3, v8, vcc
	v_cmp_ne_u32_e32 vcc, 0, v1
	v_cndmask_b32_e32 v1, v5, v3, vcc
	s_mov_b64 s[4:5], -1
.LBB144_1314:
	s_branch .LBB144_1319
.LBB144_1315:
	s_mov_b64 s[0:1], -1
                                        ; implicit-def: $vgpr1
	s_branch .LBB144_1319
.LBB144_1316:
	s_cmp_eq_u32 s10, 29
	s_cbranch_scc0 .LBB144_1318
; %bb.1317:
	global_load_dwordx2 v[14:15], v[12:13], off
	s_mov_b64 s[0:1], 0
	s_mov_b64 s[4:5], -1
	s_mov_b64 s[6:7], 0
	s_waitcnt vmcnt(0)
	v_ffbh_u32_e32 v1, v15
	v_min_u32_e32 v1, 32, v1
	v_lshlrev_b64 v[14:15], v1, v[14:15]
	v_sub_u32_e32 v1, 32, v1
	v_min_u32_e32 v3, 1, v14
	v_or_b32_e32 v3, v15, v3
	v_cvt_f32_u32_e32 v3, v3
	v_ldexp_f32 v1, v3, v1
	s_branch .LBB144_1320
.LBB144_1318:
	s_mov_b64 s[0:1], -1
                                        ; implicit-def: $vgpr1
.LBB144_1319:
	s_mov_b64 s[6:7], 0
.LBB144_1320:
	s_and_b64 vcc, exec, s[6:7]
	s_cbranch_vccz .LBB144_1338
; %bb.1321:
	s_cmp_lt_i32 s10, 27
	s_cbranch_scc1 .LBB144_1324
; %bb.1322:
	s_cmp_gt_i32 s10, 27
	s_cbranch_scc0 .LBB144_1325
; %bb.1323:
	global_load_dword v1, v[12:13], off
	s_mov_b64 s[4:5], 0
	s_waitcnt vmcnt(0)
	v_cvt_f32_u32_e32 v1, v1
	s_branch .LBB144_1326
.LBB144_1324:
	s_mov_b64 s[4:5], -1
                                        ; implicit-def: $vgpr1
	s_branch .LBB144_1329
.LBB144_1325:
	s_mov_b64 s[4:5], -1
                                        ; implicit-def: $vgpr1
.LBB144_1326:
	s_andn2_b64 vcc, exec, s[4:5]
	s_cbranch_vccnz .LBB144_1328
; %bb.1327:
	global_load_ushort v1, v[12:13], off
	s_waitcnt vmcnt(0)
	v_cvt_f32_u32_e32 v1, v1
.LBB144_1328:
	s_mov_b64 s[4:5], 0
.LBB144_1329:
	s_andn2_b64 vcc, exec, s[4:5]
	s_cbranch_vccnz .LBB144_1337
; %bb.1330:
	global_load_ubyte v3, v[12:13], off
	s_movk_i32 s4, 0x7f
	s_waitcnt vmcnt(0)
	v_cmp_lt_i16_e32 vcc, s4, v3
	s_mov_b64 s[4:5], 0
	s_and_saveexec_b64 s[6:7], vcc
	s_xor_b64 s[6:7], exec, s[6:7]
	s_cbranch_execz .LBB144_1350
; %bb.1331:
	s_movk_i32 s4, 0x80
	v_cmp_eq_u16_e32 vcc, s4, v3
	s_mov_b64 s[4:5], -1
	s_and_saveexec_b64 s[8:9], vcc
; %bb.1332:
	s_xor_b64 s[4:5], exec, -1
; %bb.1333:
	s_or_b64 exec, exec, s[8:9]
	s_and_b64 s[4:5], s[4:5], exec
	s_or_saveexec_b64 s[6:7], s[6:7]
	v_mov_b32_e32 v1, 0x7f800001
	s_xor_b64 exec, exec, s[6:7]
	s_cbranch_execnz .LBB144_1351
.LBB144_1334:
	s_or_b64 exec, exec, s[6:7]
	s_and_saveexec_b64 s[6:7], s[4:5]
	s_cbranch_execz .LBB144_1336
.LBB144_1335:
	v_lshlrev_b32_e32 v1, 24, v3
	v_and_b32_e32 v3, 0xffff, v3
	v_and_b32_e32 v5, 7, v3
	v_ffbh_u32_e32 v10, v5
	v_min_u32_e32 v10, 32, v10
	v_subrev_u32_e32 v14, 28, v10
	v_bfe_u32 v8, v3, 3, 4
	v_lshlrev_b32_e32 v3, v14, v3
	v_sub_u32_e32 v10, 29, v10
	v_and_b32_e32 v3, 7, v3
	v_cmp_eq_u32_e32 vcc, 0, v8
	v_cndmask_b32_e32 v8, v8, v10, vcc
	v_cndmask_b32_e32 v3, v5, v3, vcc
	v_mov_b32_e32 v5, 0x3b800000
	v_lshlrev_b32_e32 v3, 20, v3
	v_and_b32_e32 v1, 0x80000000, v1
	v_lshl_add_u32 v5, v8, 23, v5
	v_or3_b32 v1, v1, v5, v3
.LBB144_1336:
	s_or_b64 exec, exec, s[6:7]
.LBB144_1337:
	s_mov_b64 s[4:5], -1
.LBB144_1338:
	s_branch .LBB144_1370
.LBB144_1339:
	s_cmp_gt_i32 s10, 22
	s_cbranch_scc0 .LBB144_1349
; %bb.1340:
	s_cmp_lt_i32 s10, 24
	s_cbranch_scc1 .LBB144_1352
; %bb.1341:
	s_cmp_gt_i32 s10, 24
	s_cbranch_scc0 .LBB144_1353
; %bb.1342:
	global_load_ubyte v3, v[12:13], off
	s_movk_i32 s2, 0x7f
	s_waitcnt vmcnt(0)
	v_cmp_lt_i16_e32 vcc, s2, v3
	s_mov_b64 s[2:3], 0
	s_and_saveexec_b64 s[4:5], vcc
	s_xor_b64 s[4:5], exec, s[4:5]
	s_cbranch_execz .LBB144_1364
; %bb.1343:
	s_movk_i32 s2, 0x80
	v_cmp_eq_u16_e32 vcc, s2, v3
	s_mov_b64 s[2:3], -1
	s_and_saveexec_b64 s[6:7], vcc
; %bb.1344:
	s_xor_b64 s[2:3], exec, -1
; %bb.1345:
	s_or_b64 exec, exec, s[6:7]
	s_and_b64 s[2:3], s[2:3], exec
	s_or_saveexec_b64 s[4:5], s[4:5]
	v_mov_b32_e32 v1, 0x7f800001
	s_xor_b64 exec, exec, s[4:5]
	s_cbranch_execnz .LBB144_1365
.LBB144_1346:
	s_or_b64 exec, exec, s[4:5]
	s_and_saveexec_b64 s[4:5], s[2:3]
	s_cbranch_execz .LBB144_1348
.LBB144_1347:
	v_lshlrev_b32_e32 v1, 24, v3
	v_and_b32_e32 v3, 0xffff, v3
	v_and_b32_e32 v5, 3, v3
	v_ffbh_u32_e32 v10, v5
	v_min_u32_e32 v10, 32, v10
	v_subrev_u32_e32 v14, 29, v10
	v_bfe_u32 v8, v3, 2, 5
	v_lshlrev_b32_e32 v3, v14, v3
	v_sub_u32_e32 v10, 30, v10
	v_and_b32_e32 v3, 3, v3
	v_cmp_eq_u32_e32 vcc, 0, v8
	v_cndmask_b32_e32 v8, v8, v10, vcc
	v_cndmask_b32_e32 v3, v5, v3, vcc
	v_mov_b32_e32 v5, 0x37800000
	v_lshlrev_b32_e32 v3, 21, v3
	v_and_b32_e32 v1, 0x80000000, v1
	v_lshl_add_u32 v5, v8, 23, v5
	v_or3_b32 v1, v1, v5, v3
.LBB144_1348:
	s_or_b64 exec, exec, s[4:5]
	s_mov_b64 s[2:3], 0
	s_branch .LBB144_1354
.LBB144_1349:
                                        ; implicit-def: $vgpr1
	s_mov_b64 s[2:3], 0
	s_branch .LBB144_1360
.LBB144_1350:
	s_or_saveexec_b64 s[6:7], s[6:7]
	v_mov_b32_e32 v1, 0x7f800001
	s_xor_b64 exec, exec, s[6:7]
	s_cbranch_execz .LBB144_1334
.LBB144_1351:
	v_cmp_ne_u16_e32 vcc, 0, v3
	s_andn2_b64 s[4:5], s[4:5], exec
	s_and_b64 s[8:9], vcc, exec
	v_mov_b32_e32 v1, 0
	s_or_b64 s[4:5], s[4:5], s[8:9]
	s_or_b64 exec, exec, s[6:7]
	s_and_saveexec_b64 s[6:7], s[4:5]
	s_cbranch_execnz .LBB144_1335
	s_branch .LBB144_1336
.LBB144_1352:
	s_mov_b64 s[2:3], -1
                                        ; implicit-def: $vgpr1
	s_branch .LBB144_1357
.LBB144_1353:
	s_mov_b64 s[2:3], -1
                                        ; implicit-def: $vgpr1
.LBB144_1354:
	s_and_b64 vcc, exec, s[2:3]
	s_cbranch_vccz .LBB144_1356
; %bb.1355:
	global_load_ubyte v1, v[12:13], off
	s_mov_b32 s2, 0x7f800000
	s_waitcnt vmcnt(0)
	v_lshlrev_b32_e32 v1, 24, v1
	v_and_b32_e32 v3, 0x7f000000, v1
	v_ffbh_u32_e32 v5, v3
	v_min_u32_e32 v5, 32, v5
	v_sub_u32_e64 v5, v5, 4 clamp
	v_lshlrev_b32_e32 v10, v5, v3
	v_lshlrev_b32_e32 v5, 23, v5
	v_lshrrev_b32_e32 v10, 4, v10
	v_add_u32_e32 v8, 0x1000000, v3
	v_sub_u32_e32 v5, v10, v5
	v_ashrrev_i32_e32 v8, 8, v8
	v_add_u32_e32 v5, 0x3c000000, v5
	v_and_or_b32 v5, v8, s2, v5
	v_cmp_ne_u32_e32 vcc, 0, v3
	v_cndmask_b32_e32 v3, 0, v5, vcc
	s_brev_b32 s2, 1
	v_and_or_b32 v1, v1, s2, v3
.LBB144_1356:
	s_mov_b64 s[2:3], 0
.LBB144_1357:
	s_andn2_b64 vcc, exec, s[2:3]
	s_cbranch_vccnz .LBB144_1359
; %bb.1358:
	global_load_ubyte v1, v[12:13], off
	s_movk_i32 s2, 0x7f00
	s_brev_b32 s3, 16
	s_waitcnt vmcnt(0)
	v_lshlrev_b16_e32 v3, 8, v1
	v_lshlrev_b32_e32 v1, 25, v1
	v_lshrrev_b32_e32 v5, 4, v1
	v_and_or_b32 v8, v3, s2, 0.5
	v_or_b32_e32 v5, 0x70000000, v5
	v_add_f32_e32 v8, -0.5, v8
	v_mul_f32_e32 v5, 0x7800000, v5
	v_cmp_gt_u32_e32 vcc, s3, v1
	v_bfe_i32 v3, v3, 0, 16
	v_cndmask_b32_e32 v1, v5, v8, vcc
	s_brev_b32 s2, 1
	v_and_or_b32 v1, v3, s2, v1
.LBB144_1359:
	s_mov_b64 s[4:5], -1
	s_mov_b64 s[2:3], 0
	s_cbranch_execnz .LBB144_1370
.LBB144_1360:
	s_cmp_gt_i32 s10, 14
	s_cbranch_scc0 .LBB144_1363
; %bb.1361:
	s_cmp_eq_u32 s10, 15
	s_cbranch_scc0 .LBB144_1366
; %bb.1362:
	global_load_ushort v1, v[12:13], off
	s_mov_b64 s[0:1], 0
	s_mov_b64 s[4:5], -1
	s_waitcnt vmcnt(0)
	v_lshlrev_b32_e32 v1, 16, v1
	s_branch .LBB144_1367
.LBB144_1363:
	s_mov_b64 s[6:7], -1
                                        ; implicit-def: $vgpr1
	s_branch .LBB144_1368
.LBB144_1364:
	s_or_saveexec_b64 s[4:5], s[4:5]
	v_mov_b32_e32 v1, 0x7f800001
	s_xor_b64 exec, exec, s[4:5]
	s_cbranch_execz .LBB144_1346
.LBB144_1365:
	v_cmp_ne_u16_e32 vcc, 0, v3
	s_andn2_b64 s[2:3], s[2:3], exec
	s_and_b64 s[6:7], vcc, exec
	v_mov_b32_e32 v1, 0
	s_or_b64 s[2:3], s[2:3], s[6:7]
	s_or_b64 exec, exec, s[4:5]
	s_and_saveexec_b64 s[4:5], s[2:3]
	s_cbranch_execnz .LBB144_1347
	s_branch .LBB144_1348
.LBB144_1366:
	s_mov_b64 s[0:1], -1
                                        ; implicit-def: $vgpr1
.LBB144_1367:
	s_mov_b64 s[6:7], 0
.LBB144_1368:
	s_and_b64 vcc, exec, s[6:7]
	s_cbranch_vccz .LBB144_1370
; %bb.1369:
	s_cmp_lg_u32 s10, 11
	s_mov_b64 s[2:3], -1
	s_cselect_b64 s[0:1], -1, 0
.LBB144_1370:
	s_and_b64 vcc, exec, s[0:1]
	s_mov_b64 s[10:11], s[28:29]
	s_cbranch_vccnz .LBB144_1469
; %bb.1371:
	s_andn2_b64 vcc, exec, s[2:3]
	s_cbranch_vccnz .LBB144_1373
.LBB144_1372:
	global_load_ubyte v1, v[12:13], off
	s_mov_b64 s[4:5], -1
	s_waitcnt vmcnt(0)
	v_cmp_ne_u16_e32 vcc, 0, v1
	v_cndmask_b32_e64 v1, 0, 1.0, vcc
.LBB144_1373:
	s_branch .LBB144_1303
.LBB144_1374:
	s_and_b32 s2, 0xffff, s16
	s_cmp_lt_i32 s2, 5
	s_cbranch_scc1 .LBB144_1379
; %bb.1375:
	s_cmp_lt_i32 s2, 8
	s_cbranch_scc1 .LBB144_1380
; %bb.1376:
	s_cmp_lt_i32 s2, 9
	s_cbranch_scc1 .LBB144_1381
; %bb.1377:
	s_cmp_gt_i32 s2, 9
	s_cbranch_scc0 .LBB144_1382
; %bb.1378:
	global_load_dwordx2 v[14:15], v[12:13], off
	s_mov_b64 s[0:1], 0
	s_waitcnt vmcnt(0)
	v_cvt_f32_f64_e32 v1, v[14:15]
	s_branch .LBB144_1383
.LBB144_1379:
                                        ; implicit-def: $vgpr1
	s_branch .LBB144_1400
.LBB144_1380:
                                        ; implicit-def: $vgpr1
	s_branch .LBB144_1389
.LBB144_1381:
	s_mov_b64 s[0:1], -1
                                        ; implicit-def: $vgpr1
	s_branch .LBB144_1386
.LBB144_1382:
	s_mov_b64 s[0:1], -1
                                        ; implicit-def: $vgpr1
.LBB144_1383:
	s_andn2_b64 vcc, exec, s[0:1]
	s_cbranch_vccnz .LBB144_1385
; %bb.1384:
	global_load_dword v1, v[12:13], off
.LBB144_1385:
	s_mov_b64 s[0:1], 0
.LBB144_1386:
	s_andn2_b64 vcc, exec, s[0:1]
	s_cbranch_vccnz .LBB144_1388
; %bb.1387:
	global_load_dword v1, v[12:13], off
	s_waitcnt vmcnt(0)
	v_cvt_f32_f16_e32 v1, v1
.LBB144_1388:
	s_cbranch_execnz .LBB144_1399
.LBB144_1389:
	s_cmp_lt_i32 s2, 6
	s_cbranch_scc1 .LBB144_1392
; %bb.1390:
	s_cmp_gt_i32 s2, 6
	s_cbranch_scc0 .LBB144_1393
; %bb.1391:
	global_load_dwordx2 v[14:15], v[12:13], off
	s_mov_b64 s[0:1], 0
	s_waitcnt vmcnt(0)
	v_cvt_f32_f64_e32 v1, v[14:15]
	s_branch .LBB144_1394
.LBB144_1392:
	s_mov_b64 s[0:1], -1
                                        ; implicit-def: $vgpr1
	s_branch .LBB144_1397
.LBB144_1393:
	s_mov_b64 s[0:1], -1
                                        ; implicit-def: $vgpr1
.LBB144_1394:
	s_andn2_b64 vcc, exec, s[0:1]
	s_cbranch_vccnz .LBB144_1396
; %bb.1395:
	global_load_dword v1, v[12:13], off
.LBB144_1396:
	s_mov_b64 s[0:1], 0
.LBB144_1397:
	s_andn2_b64 vcc, exec, s[0:1]
	s_cbranch_vccnz .LBB144_1399
; %bb.1398:
	global_load_ushort v1, v[12:13], off
	s_waitcnt vmcnt(0)
	v_cvt_f32_f16_e32 v1, v1
.LBB144_1399:
	s_cbranch_execnz .LBB144_1418
.LBB144_1400:
	s_cmp_lt_i32 s2, 2
	s_cbranch_scc1 .LBB144_1404
; %bb.1401:
	s_cmp_lt_i32 s2, 3
	s_cbranch_scc1 .LBB144_1405
; %bb.1402:
	s_cmp_gt_i32 s2, 3
	s_cbranch_scc0 .LBB144_1406
; %bb.1403:
	global_load_dwordx2 v[14:15], v[12:13], off
	s_mov_b64 s[0:1], 0
	s_waitcnt vmcnt(0)
	v_xor_b32_e32 v3, v14, v15
	v_ffbh_i32_e32 v1, v15
	v_ashrrev_i32_e32 v3, 31, v3
	v_add_u32_e32 v1, -1, v1
	v_add_u32_e32 v3, 32, v3
	v_min_u32_e32 v1, v1, v3
	v_lshlrev_b64 v[14:15], v1, v[14:15]
	v_sub_u32_e32 v1, 32, v1
	v_min_u32_e32 v3, 1, v14
	v_or_b32_e32 v3, v15, v3
	v_cvt_f32_i32_e32 v3, v3
	v_ldexp_f32 v1, v3, v1
	s_branch .LBB144_1407
.LBB144_1404:
                                        ; implicit-def: $vgpr1
	s_branch .LBB144_1413
.LBB144_1405:
	s_mov_b64 s[0:1], -1
                                        ; implicit-def: $vgpr1
	s_branch .LBB144_1410
.LBB144_1406:
	s_mov_b64 s[0:1], -1
                                        ; implicit-def: $vgpr1
.LBB144_1407:
	s_andn2_b64 vcc, exec, s[0:1]
	s_cbranch_vccnz .LBB144_1409
; %bb.1408:
	global_load_dword v1, v[12:13], off
	s_waitcnt vmcnt(0)
	v_cvt_f32_i32_e32 v1, v1
.LBB144_1409:
	s_mov_b64 s[0:1], 0
.LBB144_1410:
	s_andn2_b64 vcc, exec, s[0:1]
	s_cbranch_vccnz .LBB144_1412
; %bb.1411:
	global_load_sshort v1, v[12:13], off
	s_waitcnt vmcnt(0)
	v_cvt_f32_i32_e32 v1, v1
.LBB144_1412:
	s_cbranch_execnz .LBB144_1418
.LBB144_1413:
	s_cmp_gt_i32 s2, 0
	s_cbranch_scc0 .LBB144_1415
; %bb.1414:
	global_load_sbyte v1, v[12:13], off
	s_mov_b64 s[0:1], 0
	s_waitcnt vmcnt(0)
	v_cvt_f32_i32_e32 v1, v1
	s_branch .LBB144_1416
.LBB144_1415:
	s_mov_b64 s[0:1], -1
                                        ; implicit-def: $vgpr1
.LBB144_1416:
	s_andn2_b64 vcc, exec, s[0:1]
	s_cbranch_vccnz .LBB144_1418
; %bb.1417:
	global_load_ubyte v1, v[12:13], off
	s_waitcnt vmcnt(0)
	v_cvt_f32_ubyte0_e32 v1, v1
.LBB144_1418:
.LBB144_1419:
	s_mov_b32 s0, 0x3c800000
	s_waitcnt vmcnt(0)
	v_and_b32_e32 v3, 0x7fffffff, v1
	v_cmp_nlt_f32_e64 s[0:1], |v1|, s0
                                        ; implicit-def: $vgpr5
	s_and_saveexec_b64 s[2:3], s[0:1]
	s_xor_b64 s[2:3], exec, s[2:3]
	s_cbranch_execz .LBB144_1449
; %bb.1420:
	v_cmp_nlt_f32_e64 s[0:1], |v1|, 2.0
                                        ; implicit-def: $vgpr5
	s_and_saveexec_b64 s[4:5], s[0:1]
	s_xor_b64 s[4:5], exec, s[4:5]
	s_cbranch_execz .LBB144_1430
; %bb.1421:
	s_mov_b32 s0, 0x41000000
	v_cmp_nlt_f32_e64 s[0:1], |v1|, s0
                                        ; implicit-def: $vgpr5
	s_and_saveexec_b64 s[6:7], s[0:1]
	s_xor_b64 s[6:7], exec, s[6:7]
	s_cbranch_execz .LBB144_1427
; %bb.1422:
	s_mov_b32 s0, 0x5c800000
	v_cmp_nlt_f32_e64 s[0:1], |v1|, s0
                                        ; implicit-def: $vgpr5
	s_and_saveexec_b64 s[8:9], s[0:1]
	s_xor_b64 s[8:9], exec, s[8:9]
	s_cbranch_execz .LBB144_1424
; %bb.1423:
	s_mov_b32 s0, 0x800000
	v_cmp_lt_f32_e64 vcc, |v1|, s0
	v_cndmask_b32_e64 v5, 0, 32, vcc
	v_ldexp_f32 v5, |v1|, v5
	v_log_f32_e32 v5, v5
	s_mov_b32 s0, 0x3f317217
	s_mov_b32 s1, 0x7f800000
	v_mul_f32_e32 v8, 0x3f317217, v5
	v_fma_f32 v10, v5, s0, -v8
	v_fmac_f32_e32 v10, 0x3377d1cf, v5
	v_add_f32_e32 v8, v8, v10
	v_cmp_lt_f32_e64 s[0:1], |v5|, s1
	v_cndmask_b32_e64 v5, v5, v8, s[0:1]
	v_mov_b32_e32 v8, 0x41b17218
	v_cndmask_b32_e32 v8, 0, v8, vcc
	v_sub_f32_e32 v5, v5, v8
	v_fma_f32 v5, |v1|, v5, -|v1|
.LBB144_1424:
	s_andn2_saveexec_b64 s[8:9], s[8:9]
	s_cbranch_execz .LBB144_1426
; %bb.1425:
	v_rcp_f32_e64 v8, |v1|
	v_mov_b32_e32 v5, 0x3a5b3dd2
	v_mov_b32_e32 v10, 0xba1c065c
	;; [unrolled: 1-line block ×3, first 2 shown]
	v_mul_f32_e32 v13, v8, v8
	v_fmac_f32_e32 v5, 0xbad5c4e8, v13
	v_fmac_f32_e32 v10, v13, v5
	s_mov_b32 s0, 0x800000
	v_fmac_f32_e32 v12, v13, v10
	v_mov_b32_e32 v5, 0xbb360b61
	v_cmp_lt_f32_e64 vcc, |v1|, s0
	v_fmac_f32_e32 v5, v13, v12
	v_cndmask_b32_e64 v12, 0, 32, vcc
	v_ldexp_f32 v12, |v1|, v12
	v_log_f32_e32 v12, v12
	v_mov_b32_e32 v10, 0x3daaaaab
	v_fmac_f32_e32 v10, v13, v5
	v_mov_b32_e32 v5, 0x3ed67f1d
	v_fmac_f32_e32 v5, v8, v10
	s_mov_b32 s0, 0x3f317217
	v_mul_f32_e32 v10, 0x3f317217, v12
	v_fma_f32 v13, v12, s0, -v10
	v_fmac_f32_e32 v13, 0x3377d1cf, v12
	s_mov_b32 s0, 0x7f800000
	v_add_f32_e32 v10, v10, v13
	v_cmp_lt_f32_e64 s[0:1], |v12|, s0
	v_cndmask_b32_e64 v10, v12, v10, s[0:1]
	v_mov_b32_e32 v12, 0x41b17218
	v_cndmask_b32_e32 v12, 0, v12, vcc
	v_sub_f32_e32 v10, v10, v12
	v_add_f32_e64 v8, |v1|, -0.5
	v_add_f32_e32 v10, -1.0, v10
	v_fmac_f32_e32 v5, v8, v10
.LBB144_1426:
	s_or_b64 exec, exec, s[8:9]
.LBB144_1427:
	s_andn2_saveexec_b64 s[6:7], s[6:7]
	s_cbranch_execz .LBB144_1429
; %bb.1428:
	v_cvt_i32_f32_e32 v5, v3
	v_mov_b32_e32 v8, 0x3af135b4
	v_mov_b32_e32 v10, 0x3cda40e4
	;; [unrolled: 1-line block ×3, first 2 shown]
	v_cvt_f32_i32_e32 v13, v5
	v_mov_b32_e32 v14, 0x3ea6cc7a
	v_mov_b32_e32 v15, 0x3e5c245a
	v_cmp_lt_i32_e32 vcc, 2, v5
	v_sub_f32_e64 v13, |v1|, v13
	v_fmac_f32_e32 v8, 0x3805ff67, v13
	v_fmac_f32_e32 v10, v13, v8
	;; [unrolled: 1-line block ×3, first 2 shown]
	v_mov_b32_e32 v10, 0x3a4beed6
	v_fmac_f32_e32 v14, v13, v12
	v_fmac_f32_e32 v10, 0x36f5d7bd, v13
	v_mov_b32_e32 v12, 0x3c98bf54
	v_fmac_f32_e32 v12, v13, v10
	v_mov_b32_e32 v10, 0x3e300f6e
	;; [unrolled: 2-line block ×4, first 2 shown]
	v_fmac_f32_e32 v10, v13, v12
	v_add_f32_e32 v12, 2.0, v13
	v_mov_b32_e32 v16, 0xbd9e233f
	v_fmac_f32_e32 v15, v13, v14
	v_add_f32_e32 v14, 0x40400000, v13
	v_cndmask_b32_e32 v12, 1.0, v12, vcc
	v_cmp_lt_i32_e32 vcc, 3, v5
	v_fmac_f32_e32 v16, v13, v15
	v_add_f32_e32 v15, 4.0, v13
	v_cndmask_b32_e32 v14, 1.0, v14, vcc
	v_cmp_lt_i32_e32 vcc, 4, v5
	v_mul_f32_e32 v8, v13, v16
	v_add_f32_e32 v16, 0x40a00000, v13
	v_mul_f32_e32 v12, v12, v14
	v_cndmask_b32_e32 v14, 1.0, v15, vcc
	v_cmp_lt_i32_e32 vcc, 5, v5
	v_add_f32_e32 v17, 0x40c00000, v13
	v_mul_f32_e32 v12, v14, v12
	v_cndmask_b32_e32 v14, 1.0, v16, vcc
	v_cmp_lt_i32_e32 vcc, 6, v5
	v_mul_f32_e32 v12, v14, v12
	v_cndmask_b32_e32 v5, 1.0, v17, vcc
	v_mul_f32_e32 v5, v5, v12
	s_mov_b32 s0, 0x800000
	v_cmp_gt_f32_e32 vcc, s0, v5
	v_cndmask_b32_e64 v12, 0, 32, vcc
	v_fma_f32 v10, v13, v10, 1.0
	v_ldexp_f32 v5, v5, v12
	v_rcp_f32_e32 v10, v10
	v_log_f32_e32 v5, v5
	s_mov_b32 s0, 0x3f317217
	v_mul_f32_e32 v8, v8, v10
	v_mul_f32_e32 v10, 0x3f317217, v5
	v_fma_f32 v12, v5, s0, -v10
	v_fmac_f32_e32 v12, 0x3377d1cf, v5
	s_mov_b32 s0, 0x7f800000
	v_add_f32_e32 v10, v10, v12
	v_cmp_lt_f32_e64 s[0:1], |v5|, s0
	v_cndmask_b32_e64 v5, v5, v10, s[0:1]
	v_mov_b32_e32 v10, 0x41b17218
	v_cndmask_b32_e32 v10, 0, v10, vcc
	v_fmac_f32_e32 v8, 0.5, v13
	v_sub_f32_e32 v5, v5, v10
	v_add_f32_e32 v5, v5, v8
.LBB144_1429:
	s_or_b64 exec, exec, s[6:7]
.LBB144_1430:
	s_andn2_saveexec_b64 s[4:5], s[4:5]
	s_cbranch_execz .LBB144_1448
; %bb.1431:
	s_mov_b32 s0, 0x3f666666
	v_cmp_le_f32_e64 s[0:1], |v1|, s0
                                        ; implicit-def: $vgpr5
                                        ; implicit-def: $vgpr10
                                        ; implicit-def: $vgpr8
	s_and_saveexec_b64 s[6:7], s[0:1]
	s_xor_b64 s[6:7], exec, s[6:7]
	s_cbranch_execz .LBB144_1433
; %bb.1432:
	s_mov_b32 s0, 0x800000
	v_cmp_lt_f32_e64 vcc, |v1|, s0
	v_cndmask_b32_e64 v5, 0, 32, vcc
	v_ldexp_f32 v5, |v1|, v5
	v_log_f32_e32 v5, v5
	s_mov_b32 s0, 0x3f317217
	s_mov_b32 s1, 0x7f800000
	v_mul_f32_e32 v8, 0x3f317217, v5
	v_fma_f32 v10, v5, s0, -v8
	v_fmac_f32_e32 v10, 0x3377d1cf, v5
	v_add_f32_e32 v8, v8, v10
	v_cmp_lt_f32_e64 s[0:1], |v5|, s1
	v_cndmask_b32_e64 v5, v5, v8, s[0:1]
	v_mov_b32_e32 v8, 0x41b17218
	v_cndmask_b32_e32 v8, 0, v8, vcc
	s_mov_b32 s0, 0x3f3b4a23
	s_mov_b32 s1, 0xbeec5b0c
	v_sub_f32_e32 v5, v5, v8
	v_sub_f32_e64 v8, 1.0, |v1|
	v_add_f32_e64 v10, |v1|, s1
	v_cmp_lt_f32_e64 vcc, |v1|, s0
	s_mov_b32 s0, 0x3e6d3309
	v_cndmask_b32_e32 v8, v8, v10, vcc
	v_cndmask_b32_e64 v10, 0, 1, vcc
	v_cmp_lt_f32_e64 s[0:1], |v1|, s0
	v_xor_b32_e32 v5, 0x80000000, v5
	v_cndmask_b32_e64 v8, v8, |v1|, s[0:1]
	v_cndmask_b32_e64 v10, v10, 2, s[0:1]
.LBB144_1433:
	s_andn2_saveexec_b64 s[0:1], s[6:7]
	s_cbranch_execz .LBB144_1435
; %bb.1434:
	s_mov_b32 s6, 0x3fdda512
	s_mov_b32 s7, 0xbfbb16c3
	v_sub_f32_e64 v5, 2.0, |v1|
	v_add_f32_e64 v8, |v1|, s7
	v_cmp_lt_f32_e64 vcc, |v1|, s6
	v_cndmask_b32_e32 v8, v5, v8, vcc
	v_cndmask_b32_e64 v5, v5, 1.0, vcc
	v_cvt_i32_f32_e32 v5, v5
	s_mov_b32 s6, 0x3f9d70a4
	v_add_f32_e64 v10, |v1|, -1.0
	v_cmp_lt_f32_e64 vcc, |v1|, s6
	v_cndmask_b32_e32 v8, v8, v10, vcc
	v_cndmask_b32_e64 v10, v5, 2, vcc
	v_mov_b32_e32 v5, 0
.LBB144_1435:
	s_or_b64 exec, exec, s[0:1]
	v_cmp_lt_i32_e32 vcc, 0, v10
	s_and_saveexec_b64 s[0:1], vcc
	s_xor_b64 s[0:1], exec, s[0:1]
	s_cbranch_execz .LBB144_1443
; %bb.1436:
	v_cmp_lt_i32_e32 vcc, 1, v10
	s_and_saveexec_b64 s[6:7], vcc
	s_xor_b64 s[6:7], exec, s[6:7]
	s_cbranch_execz .LBB144_1440
; %bb.1437:
	v_cmp_eq_u32_e32 vcc, 2, v10
	s_and_saveexec_b64 s[8:9], vcc
	s_cbranch_execz .LBB144_1439
; %bb.1438:
	v_mov_b32_e32 v10, 0x3e6a7578
	v_fmac_f32_e32 v10, 0x3c5b3c5e, v8
	v_mov_b32_e32 v12, 0x3f7a4bb2
	v_fmac_f32_e32 v12, v8, v10
	;; [unrolled: 2-line block ×8, first 2 shown]
	v_fma_f32 v10, v8, v13, 1.0
	v_rcp_f32_e32 v10, v10
	v_mov_b32_e32 v13, 0xbd9e233f
	v_fmac_f32_e32 v13, v8, v12
	v_mul_f32_e32 v12, v8, v13
	v_mul_f32_e32 v10, v12, v10
	v_fmac_f32_e32 v10, -0.5, v8
	v_add_f32_e32 v5, v5, v10
.LBB144_1439:
	s_or_b64 exec, exec, s[8:9]
                                        ; implicit-def: $vgpr8
.LBB144_1440:
	s_andn2_saveexec_b64 s[6:7], s[6:7]
	s_cbranch_execz .LBB144_1442
; %bb.1441:
	v_mul_f32_e32 v10, v8, v8
	v_mul_f32_e32 v12, v8, v10
	v_mov_b32_e32 v13, 0xbab7f476
	v_fmac_f32_e32 v13, 0x39a57b6b, v12
	v_mov_b32_e32 v14, 0x3bc7e707
	v_fmac_f32_e32 v14, v12, v13
	;; [unrolled: 2-line block ×12, first 2 shown]
	v_fmac_f32_e32 v15, v8, v16
	s_mov_b32 s8, 0xa2863e55
	v_fma_f32 v8, v12, -v15, s8
	v_fma_f32 v8, v10, v14, -v8
	v_add_f32_e32 v8, 0xbdf8cdce, v8
	v_add_f32_e32 v5, v5, v8
.LBB144_1442:
	s_or_b64 exec, exec, s[6:7]
                                        ; implicit-def: $vgpr10
                                        ; implicit-def: $vgpr8
.LBB144_1443:
	s_andn2_saveexec_b64 s[0:1], s[0:1]
	s_cbranch_execz .LBB144_1447
; %bb.1444:
	v_cmp_eq_u32_e32 vcc, 0, v10
	s_and_saveexec_b64 s[6:7], vcc
	s_cbranch_execz .LBB144_1446
; %bb.1445:
	v_mul_f32_e32 v10, v8, v8
	v_mov_b32_e32 v12, 0x39679767
	v_fmac_f32_e32 v12, 0x37d383a2, v10
	v_mov_b32_e32 v13, 0x3a9c54a1
	v_fmac_f32_e32 v13, v10, v12
	;; [unrolled: 2-line block ×10, first 2 shown]
	v_mul_f32_e32 v10, v10, v13
	v_fmac_f32_e32 v10, v8, v12
	v_fmac_f32_e32 v10, -0.5, v8
	v_add_f32_e32 v5, v5, v10
.LBB144_1446:
	s_or_b64 exec, exec, s[6:7]
.LBB144_1447:
	s_or_b64 exec, exec, s[0:1]
.LBB144_1448:
	s_or_b64 exec, exec, s[4:5]
.LBB144_1449:
	s_andn2_saveexec_b64 s[2:3], s[2:3]
	s_cbranch_execz .LBB144_1451
; %bb.1450:
	s_mov_b32 s0, 0x3e8a8991
	v_mov_b32_e32 v5, 0xbecd26ab
	v_fma_f32 v5, |v1|, s0, v5
	s_mov_b32 s0, 0x3f528d33
	v_fma_f32 v5, |v1|, v5, s0
	s_mov_b32 s0, 0x800000
	v_cmp_lt_f32_e64 vcc, |v1|, s0
	v_cndmask_b32_e64 v8, 0, 32, vcc
	v_ldexp_f32 v8, |v1|, v8
	v_log_f32_e32 v8, v8
	s_mov_b32 s0, 0xbf13c468
	v_fma_f32 v5, |v1|, v5, s0
	s_mov_b32 s0, 0x3f317217
	v_mul_f32_e32 v10, 0x3f317217, v8
	v_fma_f32 v12, v8, s0, -v10
	v_fmac_f32_e32 v12, 0x3377d1cf, v8
	s_mov_b32 s0, 0x7f800000
	v_add_f32_e32 v10, v10, v12
	v_cmp_lt_f32_e64 s[0:1], |v8|, s0
	v_cndmask_b32_e64 v8, v8, v10, s[0:1]
	v_mov_b32_e32 v10, 0x41b17218
	v_cndmask_b32_e32 v10, 0, v10, vcc
	v_sub_f32_e32 v8, v8, v10
	v_fma_f32 v5, |v1|, v5, -v8
.LBB144_1451:
	s_or_b64 exec, exec, s[2:3]
	v_cmp_le_f32_e64 s[0:1], 0, v1
	v_cmp_nle_f32_e32 vcc, 0, v1
	s_and_saveexec_b64 s[2:3], vcc
	s_xor_b64 s[4:5], exec, s[2:3]
	s_cbranch_execz .LBB144_1455
; %bb.1452:
	s_mov_b32 s2, 0x4b000000
	s_mov_b32 s6, 0x35000000
	v_cmp_lt_f32_e64 s[2:3], |v1|, s2
	v_cmp_gt_f32_e64 s[6:7], |v1|, s6
	s_and_b64 s[2:3], s[2:3], s[6:7]
	s_and_saveexec_b64 s[6:7], s[2:3]
	s_cbranch_execz .LBB144_1454
; %bb.1453:
	v_mul_f32_e64 v8, |v1|, 0.5
	v_floor_f32_e32 v10, v8
	v_sub_f32_e32 v10, v8, v10
	v_min_f32_e32 v10, 0x3f7fffff, v10
	s_mov_b32 s8, 0x7f800000
	v_add_f32_e32 v10, v10, v10
	v_cmp_neq_f32_e32 vcc, s8, v8
	v_cndmask_b32_e32 v8, 0, v10, vcc
	v_cmp_gt_f32_e64 s[2:3], |v1|, 1.0
	v_cndmask_b32_e64 v8, |v1|, v8, s[2:3]
	v_add_f32_e32 v10, v8, v8
	v_rndne_f32_e32 v10, v10
	v_fmac_f32_e32 v8, -0.5, v10
	v_mul_f32_e32 v12, v8, v8
	v_mov_b32_e32 v13, 0xbf1f24be
	v_fmac_f32_e32 v13, 0x3e75aa41, v12
	v_mov_b32_e32 v14, 0x40234736
	v_fmac_f32_e32 v14, v12, v13
	;; [unrolled: 2-line block ×3, first 2 shown]
	v_mul_f32_e32 v14, v8, v12
	v_mul_f32_e32 v13, v14, v13
	v_fmac_f32_e32 v13, 0x40490fdb, v8
	v_mov_b32_e32 v8, 0x3e642e9d
	v_cvt_i32_f32_e32 v10, v10
	v_fmac_f32_e32 v8, 0x3d4be544, v12
	v_mov_b32_e32 v14, 0xbfaad1da
	v_fmac_f32_e32 v14, v12, v8
	v_mov_b32_e32 v8, 0x4081e0d3
	;; [unrolled: 2-line block ×3, first 2 shown]
	v_fmac_f32_e32 v14, v12, v8
	v_fma_f32 v8, v12, v14, 1.0
	v_and_b32_e32 v12, 1, v10
	v_lshlrev_b32_e32 v10, 30, v10
	v_cmp_eq_u32_e32 vcc, 0, v12
	v_and_b32_e32 v10, 0x80000000, v10
	v_xor_b32_e32 v3, v3, v1
	v_cndmask_b32_e32 v8, v8, v13, vcc
	v_xor_b32_e32 v3, v3, v10
	v_xor_b32_e32 v3, v3, v8
	v_mul_f32_e32 v3, v1, v3
	v_frexp_mant_f32_e64 v8, |v3|
	v_rcp_f32_e32 v8, v8
	v_frexp_exp_i32_f32_e32 v3, v3
	v_sub_u32_e32 v3, 2, v3
	s_mov_b32 s2, 0x800000
	v_mul_f32_e32 v8, 0x3f490fdb, v8
	v_ldexp_f32 v3, v8, v3
	v_cmp_gt_f32_e32 vcc, s2, v3
	v_cndmask_b32_e64 v8, 0, 32, vcc
	v_ldexp_f32 v3, v3, v8
	v_log_f32_e32 v3, v3
	s_mov_b32 s2, 0x3f317217
	v_mul_f32_e32 v8, 0x3f317217, v3
	v_fma_f32 v10, v3, s2, -v8
	v_fmac_f32_e32 v10, 0x3377d1cf, v3
	v_add_f32_e32 v8, v8, v10
	v_cmp_lt_f32_e64 s[2:3], |v3|, s8
	v_cndmask_b32_e64 v3, v3, v8, s[2:3]
	v_mov_b32_e32 v8, 0x41b17218
	v_cndmask_b32_e32 v8, 0, v8, vcc
	v_sub_f32_e32 v3, v3, v8
	v_sub_f32_e32 v3, v3, v5
	v_floor_f32_e32 v5, v1
	v_sub_f32_e32 v5, v1, v5
	v_min_f32_e32 v5, 0x3f7fffff, v5
	v_mov_b32_e32 v8, 0x7f800000
	v_cmp_neq_f32_e32 vcc, 0, v5
	v_cndmask_b32_e32 v5, v8, v3, vcc
.LBB144_1454:
	s_or_b64 exec, exec, s[6:7]
.LBB144_1455:
	s_andn2_saveexec_b64 s[4:5], s[4:5]
; %bb.1456:
	v_cmp_eq_f32_e32 vcc, 1.0, v1
	v_cmp_eq_f32_e64 s[2:3], 2.0, v1
	s_or_b64 s[2:3], vcc, s[2:3]
	v_cndmask_b32_e64 v5, v5, 0, s[2:3]
; %bb.1457:
	s_or_b64 exec, exec, s[4:5]
	s_lshr_b32 s2, s20, 16
	v_mov_b32_e32 v3, s15
	s_and_b32 s21, s2, 0xff
	v_add_co_u32_e32 v10, vcc, s14, v11
	s_cmp_lt_i32 s21, 11
	v_addc_co_u32_e32 v11, vcc, 0, v3, vcc
	s_cbranch_scc1 .LBB144_1464
; %bb.1458:
	s_and_b32 s18, 0xffff, s21
	s_cmp_gt_i32 s18, 25
	s_mov_b64 s[4:5], 0
	s_cbranch_scc0 .LBB144_1466
; %bb.1459:
	s_cmp_gt_i32 s18, 28
	s_cbranch_scc0 .LBB144_1467
; %bb.1460:
	s_cmp_gt_i32 s18, 43
	;; [unrolled: 3-line block ×3, first 2 shown]
	s_cbranch_scc0 .LBB144_1470
; %bb.1462:
	s_cmp_eq_u32 s18, 46
	s_mov_b64 s[8:9], 0
	s_cbranch_scc0 .LBB144_1473
; %bb.1463:
	global_load_dword v3, v[10:11], off
	s_mov_b64 s[2:3], 0
	s_mov_b64 s[6:7], -1
	s_waitcnt vmcnt(0)
	v_lshlrev_b32_e32 v3, 16, v3
	s_branch .LBB144_1474
.LBB144_1464:
	s_mov_b64 s[6:7], 0
                                        ; implicit-def: $vgpr3
	s_cbranch_execnz .LBB144_1539
.LBB144_1465:
	s_andn2_b64 vcc, exec, s[6:7]
	s_cbranch_vccnz .LBB144_2392
	s_branch .LBB144_1586
.LBB144_1466:
	s_mov_b64 s[6:7], 0
	s_mov_b64 s[2:3], 0
                                        ; implicit-def: $vgpr3
	s_cbranch_execnz .LBB144_1503
	s_branch .LBB144_1535
.LBB144_1467:
	s_mov_b64 s[8:9], -1
	s_mov_b64 s[6:7], 0
	s_mov_b64 s[2:3], 0
                                        ; implicit-def: $vgpr3
	s_branch .LBB144_1484
.LBB144_1468:
	s_mov_b64 s[8:9], -1
	s_mov_b64 s[6:7], 0
	s_mov_b64 s[2:3], 0
                                        ; implicit-def: $vgpr3
	s_branch .LBB144_1479
.LBB144_1469:
	s_or_b64 s[10:11], s[28:29], exec
	s_trap 2
	s_cbranch_execz .LBB144_1372
	s_branch .LBB144_1373
.LBB144_1470:
	s_mov_b64 s[8:9], -1
	s_mov_b64 s[6:7], 0
	s_mov_b64 s[2:3], 0
                                        ; implicit-def: $vgpr3
	s_branch .LBB144_1474
.LBB144_1471:
	s_andn2_saveexec_b64 s[16:17], s[16:17]
	s_cbranch_execz .LBB144_1163
.LBB144_1472:
	s_mov_b32 s20, 0x42800000
	v_add_f32_e64 v0, |v3|, s20
	v_and_b32_e32 v0, 0xff, v0
	v_cmp_ne_u32_e32 vcc, 0, v0
	s_andn2_b64 s[14:15], s[14:15], exec
	s_and_b64 s[20:21], vcc, exec
	s_or_b64 s[14:15], s[14:15], s[20:21]
	s_or_b64 exec, exec, s[16:17]
	v_mov_b32_e32 v4, 0
	s_and_saveexec_b64 s[16:17], s[14:15]
	s_cbranch_execnz .LBB144_1164
	s_branch .LBB144_1165
.LBB144_1473:
	s_mov_b64 s[2:3], -1
                                        ; implicit-def: $vgpr3
	s_mov_b64 s[6:7], 0
.LBB144_1474:
	s_and_b64 vcc, exec, s[8:9]
	s_cbranch_vccz .LBB144_1478
; %bb.1475:
	s_cmp_eq_u32 s18, 44
	s_cbranch_scc0 .LBB144_1477
; %bb.1476:
	global_load_ubyte v3, v[10:11], off
	s_movk_i32 s6, 0xff
	v_mov_b32_e32 v8, 0x7f800001
	v_mov_b32_e32 v12, 0x400000
	s_mov_b64 s[2:3], 0
	s_waitcnt vmcnt(0)
	v_lshlrev_b32_e32 v13, 23, v3
	v_cmp_ne_u32_e32 vcc, s6, v3
	v_cndmask_b32_e32 v8, v8, v13, vcc
	v_cmp_ne_u32_e32 vcc, 0, v3
	v_cndmask_b32_e32 v3, v12, v8, vcc
	s_mov_b64 s[6:7], -1
	s_branch .LBB144_1478
.LBB144_1477:
	s_mov_b64 s[2:3], -1
                                        ; implicit-def: $vgpr3
.LBB144_1478:
	s_mov_b64 s[8:9], 0
.LBB144_1479:
	s_and_b64 vcc, exec, s[8:9]
	s_cbranch_vccz .LBB144_1483
; %bb.1480:
	s_cmp_eq_u32 s18, 29
	s_cbranch_scc0 .LBB144_1482
; %bb.1481:
	global_load_dwordx2 v[12:13], v[10:11], off
	s_mov_b64 s[2:3], 0
	s_mov_b64 s[6:7], -1
	s_mov_b64 s[8:9], 0
	s_waitcnt vmcnt(0)
	v_ffbh_u32_e32 v3, v13
	v_min_u32_e32 v3, 32, v3
	v_lshlrev_b64 v[12:13], v3, v[12:13]
	v_sub_u32_e32 v3, 32, v3
	v_min_u32_e32 v8, 1, v12
	v_or_b32_e32 v8, v13, v8
	v_cvt_f32_u32_e32 v8, v8
	v_ldexp_f32 v3, v8, v3
	s_branch .LBB144_1484
.LBB144_1482:
	s_mov_b64 s[2:3], -1
                                        ; implicit-def: $vgpr3
.LBB144_1483:
	s_mov_b64 s[8:9], 0
.LBB144_1484:
	s_and_b64 vcc, exec, s[8:9]
	s_cbranch_vccz .LBB144_1502
; %bb.1485:
	s_cmp_lt_i32 s18, 27
	s_cbranch_scc1 .LBB144_1488
; %bb.1486:
	s_cmp_gt_i32 s18, 27
	s_cbranch_scc0 .LBB144_1489
; %bb.1487:
	global_load_dword v3, v[10:11], off
	s_mov_b64 s[6:7], 0
	s_waitcnt vmcnt(0)
	v_cvt_f32_u32_e32 v3, v3
	s_branch .LBB144_1490
.LBB144_1488:
	s_mov_b64 s[6:7], -1
                                        ; implicit-def: $vgpr3
	s_branch .LBB144_1493
.LBB144_1489:
	s_mov_b64 s[6:7], -1
                                        ; implicit-def: $vgpr3
.LBB144_1490:
	s_andn2_b64 vcc, exec, s[6:7]
	s_cbranch_vccnz .LBB144_1492
; %bb.1491:
	global_load_ushort v3, v[10:11], off
	s_waitcnt vmcnt(0)
	v_cvt_f32_u32_e32 v3, v3
.LBB144_1492:
	s_mov_b64 s[6:7], 0
.LBB144_1493:
	s_andn2_b64 vcc, exec, s[6:7]
	s_cbranch_vccnz .LBB144_1501
; %bb.1494:
	global_load_ubyte v8, v[10:11], off
	s_movk_i32 s6, 0x7f
	s_waitcnt vmcnt(0)
	v_cmp_lt_i16_e32 vcc, s6, v8
	s_mov_b64 s[6:7], 0
	s_and_saveexec_b64 s[8:9], vcc
	s_xor_b64 s[8:9], exec, s[8:9]
	s_cbranch_execz .LBB144_1514
; %bb.1495:
	s_movk_i32 s6, 0x80
	v_cmp_eq_u16_e32 vcc, s6, v8
	s_mov_b64 s[6:7], -1
	s_and_saveexec_b64 s[16:17], vcc
; %bb.1496:
	s_xor_b64 s[6:7], exec, -1
; %bb.1497:
	s_or_b64 exec, exec, s[16:17]
	s_and_b64 s[6:7], s[6:7], exec
	s_or_saveexec_b64 s[8:9], s[8:9]
	v_mov_b32_e32 v3, 0x7f800001
	s_xor_b64 exec, exec, s[8:9]
	s_cbranch_execnz .LBB144_1515
.LBB144_1498:
	s_or_b64 exec, exec, s[8:9]
	s_and_saveexec_b64 s[8:9], s[6:7]
	s_cbranch_execz .LBB144_1500
.LBB144_1499:
	v_lshlrev_b32_e32 v3, 24, v8
	v_and_b32_e32 v8, 0xffff, v8
	v_and_b32_e32 v12, 7, v8
	v_ffbh_u32_e32 v14, v12
	v_min_u32_e32 v14, 32, v14
	v_subrev_u32_e32 v15, 28, v14
	v_bfe_u32 v13, v8, 3, 4
	v_lshlrev_b32_e32 v8, v15, v8
	v_sub_u32_e32 v14, 29, v14
	v_and_b32_e32 v8, 7, v8
	v_cmp_eq_u32_e32 vcc, 0, v13
	v_cndmask_b32_e32 v13, v13, v14, vcc
	v_cndmask_b32_e32 v8, v12, v8, vcc
	v_mov_b32_e32 v12, 0x3b800000
	v_lshlrev_b32_e32 v8, 20, v8
	v_and_b32_e32 v3, 0x80000000, v3
	v_lshl_add_u32 v12, v13, 23, v12
	v_or3_b32 v3, v3, v12, v8
.LBB144_1500:
	s_or_b64 exec, exec, s[8:9]
.LBB144_1501:
	s_mov_b64 s[6:7], -1
.LBB144_1502:
	s_branch .LBB144_1535
.LBB144_1503:
	s_cmp_gt_i32 s18, 22
	s_cbranch_scc0 .LBB144_1513
; %bb.1504:
	s_cmp_lt_i32 s18, 24
	s_cbranch_scc1 .LBB144_1516
; %bb.1505:
	s_cmp_gt_i32 s18, 24
	s_cbranch_scc0 .LBB144_1517
; %bb.1506:
	global_load_ubyte v8, v[10:11], off
	s_movk_i32 s4, 0x7f
	s_waitcnt vmcnt(0)
	v_cmp_lt_i16_e32 vcc, s4, v8
	s_mov_b64 s[4:5], 0
	s_and_saveexec_b64 s[6:7], vcc
	s_xor_b64 s[6:7], exec, s[6:7]
	s_cbranch_execz .LBB144_1529
; %bb.1507:
	s_movk_i32 s4, 0x80
	v_cmp_eq_u16_e32 vcc, s4, v8
	s_mov_b64 s[4:5], -1
	s_and_saveexec_b64 s[8:9], vcc
; %bb.1508:
	s_xor_b64 s[4:5], exec, -1
; %bb.1509:
	s_or_b64 exec, exec, s[8:9]
	s_and_b64 s[4:5], s[4:5], exec
	s_or_saveexec_b64 s[6:7], s[6:7]
	v_mov_b32_e32 v3, 0x7f800001
	s_xor_b64 exec, exec, s[6:7]
	s_cbranch_execnz .LBB144_1530
.LBB144_1510:
	s_or_b64 exec, exec, s[6:7]
	s_and_saveexec_b64 s[6:7], s[4:5]
	s_cbranch_execz .LBB144_1512
.LBB144_1511:
	v_lshlrev_b32_e32 v3, 24, v8
	v_and_b32_e32 v8, 0xffff, v8
	v_and_b32_e32 v12, 3, v8
	v_ffbh_u32_e32 v14, v12
	v_min_u32_e32 v14, 32, v14
	v_subrev_u32_e32 v15, 29, v14
	v_bfe_u32 v13, v8, 2, 5
	v_lshlrev_b32_e32 v8, v15, v8
	v_sub_u32_e32 v14, 30, v14
	v_and_b32_e32 v8, 3, v8
	v_cmp_eq_u32_e32 vcc, 0, v13
	v_cndmask_b32_e32 v13, v13, v14, vcc
	v_cndmask_b32_e32 v8, v12, v8, vcc
	v_mov_b32_e32 v12, 0x37800000
	v_lshlrev_b32_e32 v8, 21, v8
	v_and_b32_e32 v3, 0x80000000, v3
	v_lshl_add_u32 v12, v13, 23, v12
	v_or3_b32 v3, v3, v12, v8
.LBB144_1512:
	s_or_b64 exec, exec, s[6:7]
	s_mov_b64 s[4:5], 0
	s_branch .LBB144_1518
.LBB144_1513:
	s_mov_b64 s[4:5], -1
                                        ; implicit-def: $vgpr3
	s_branch .LBB144_1524
.LBB144_1514:
	s_or_saveexec_b64 s[8:9], s[8:9]
	v_mov_b32_e32 v3, 0x7f800001
	s_xor_b64 exec, exec, s[8:9]
	s_cbranch_execz .LBB144_1498
.LBB144_1515:
	v_cmp_ne_u16_e32 vcc, 0, v8
	s_andn2_b64 s[6:7], s[6:7], exec
	s_and_b64 s[16:17], vcc, exec
	v_mov_b32_e32 v3, 0
	s_or_b64 s[6:7], s[6:7], s[16:17]
	s_or_b64 exec, exec, s[8:9]
	s_and_saveexec_b64 s[8:9], s[6:7]
	s_cbranch_execnz .LBB144_1499
	s_branch .LBB144_1500
.LBB144_1516:
	s_mov_b64 s[4:5], -1
                                        ; implicit-def: $vgpr3
	s_branch .LBB144_1521
.LBB144_1517:
	s_mov_b64 s[4:5], -1
                                        ; implicit-def: $vgpr3
.LBB144_1518:
	s_and_b64 vcc, exec, s[4:5]
	s_cbranch_vccz .LBB144_1520
; %bb.1519:
	global_load_ubyte v3, v[10:11], off
	s_mov_b32 s4, 0x7f800000
	s_waitcnt vmcnt(0)
	v_lshlrev_b32_e32 v3, 24, v3
	v_and_b32_e32 v8, 0x7f000000, v3
	v_ffbh_u32_e32 v12, v8
	v_min_u32_e32 v12, 32, v12
	v_sub_u32_e64 v12, v12, 4 clamp
	v_lshlrev_b32_e32 v14, v12, v8
	v_lshlrev_b32_e32 v12, 23, v12
	v_lshrrev_b32_e32 v14, 4, v14
	v_add_u32_e32 v13, 0x1000000, v8
	v_sub_u32_e32 v12, v14, v12
	v_ashrrev_i32_e32 v13, 8, v13
	v_add_u32_e32 v12, 0x3c000000, v12
	v_and_or_b32 v12, v13, s4, v12
	v_cmp_ne_u32_e32 vcc, 0, v8
	v_cndmask_b32_e32 v8, 0, v12, vcc
	s_brev_b32 s4, 1
	v_and_or_b32 v3, v3, s4, v8
.LBB144_1520:
	s_mov_b64 s[4:5], 0
.LBB144_1521:
	s_andn2_b64 vcc, exec, s[4:5]
	s_cbranch_vccnz .LBB144_1523
; %bb.1522:
	global_load_ubyte v3, v[10:11], off
	s_movk_i32 s4, 0x7f00
	s_brev_b32 s5, 16
	s_waitcnt vmcnt(0)
	v_lshlrev_b16_e32 v8, 8, v3
	v_lshlrev_b32_e32 v3, 25, v3
	v_lshrrev_b32_e32 v12, 4, v3
	v_and_or_b32 v13, v8, s4, 0.5
	v_or_b32_e32 v12, 0x70000000, v12
	v_add_f32_e32 v13, -0.5, v13
	v_mul_f32_e32 v12, 0x7800000, v12
	v_cmp_gt_u32_e32 vcc, s5, v3
	v_bfe_i32 v8, v8, 0, 16
	v_cndmask_b32_e32 v3, v12, v13, vcc
	s_brev_b32 s4, 1
	v_and_or_b32 v3, v8, s4, v3
.LBB144_1523:
	s_mov_b64 s[4:5], 0
	s_mov_b64 s[6:7], -1
.LBB144_1524:
	s_andn2_b64 vcc, exec, s[4:5]
	s_mov_b64 s[4:5], 0
	s_cbranch_vccnz .LBB144_1535
; %bb.1525:
	s_cmp_gt_i32 s18, 14
	s_cbranch_scc0 .LBB144_1528
; %bb.1526:
	s_cmp_eq_u32 s18, 15
	s_cbranch_scc0 .LBB144_1531
; %bb.1527:
	global_load_ushort v3, v[10:11], off
	s_mov_b64 s[2:3], 0
	s_mov_b64 s[6:7], -1
	s_waitcnt vmcnt(0)
	v_lshlrev_b32_e32 v3, 16, v3
	s_branch .LBB144_1532
.LBB144_1528:
	s_mov_b64 s[8:9], -1
                                        ; implicit-def: $vgpr3
	s_branch .LBB144_1533
.LBB144_1529:
	s_or_saveexec_b64 s[6:7], s[6:7]
	v_mov_b32_e32 v3, 0x7f800001
	s_xor_b64 exec, exec, s[6:7]
	s_cbranch_execz .LBB144_1510
.LBB144_1530:
	v_cmp_ne_u16_e32 vcc, 0, v8
	s_andn2_b64 s[4:5], s[4:5], exec
	s_and_b64 s[8:9], vcc, exec
	v_mov_b32_e32 v3, 0
	s_or_b64 s[4:5], s[4:5], s[8:9]
	s_or_b64 exec, exec, s[6:7]
	s_and_saveexec_b64 s[6:7], s[4:5]
	s_cbranch_execnz .LBB144_1511
	s_branch .LBB144_1512
.LBB144_1531:
	s_mov_b64 s[2:3], -1
                                        ; implicit-def: $vgpr3
.LBB144_1532:
	s_mov_b64 s[8:9], 0
.LBB144_1533:
	s_and_b64 vcc, exec, s[8:9]
	s_cbranch_vccz .LBB144_1535
; %bb.1534:
	s_cmp_lg_u32 s18, 11
	s_mov_b64 s[4:5], -1
	s_cselect_b64 s[2:3], -1, 0
.LBB144_1535:
	s_and_b64 vcc, exec, s[2:3]
	s_cbranch_vccnz .LBB144_1636
; %bb.1536:
	s_andn2_b64 vcc, exec, s[4:5]
	s_cbranch_vccnz .LBB144_1538
.LBB144_1537:
	global_load_ubyte v3, v[10:11], off
	s_mov_b64 s[6:7], -1
	s_waitcnt vmcnt(0)
	v_cmp_ne_u16_e32 vcc, 0, v3
	v_cndmask_b32_e64 v3, 0, 1.0, vcc
.LBB144_1538:
	s_branch .LBB144_1465
.LBB144_1539:
	s_and_b32 s4, 0xffff, s21
	s_cmp_lt_i32 s4, 5
	s_cbranch_scc1 .LBB144_1544
; %bb.1540:
	s_cmp_lt_i32 s4, 8
	s_cbranch_scc1 .LBB144_1545
; %bb.1541:
	;; [unrolled: 3-line block ×3, first 2 shown]
	s_cmp_gt_i32 s4, 9
	s_cbranch_scc0 .LBB144_1547
; %bb.1543:
	global_load_dwordx2 v[12:13], v[10:11], off
	s_mov_b64 s[2:3], 0
	s_waitcnt vmcnt(0)
	v_cvt_f32_f64_e32 v3, v[12:13]
	s_branch .LBB144_1548
.LBB144_1544:
                                        ; implicit-def: $vgpr3
	s_branch .LBB144_1566
.LBB144_1545:
	s_mov_b64 s[2:3], -1
                                        ; implicit-def: $vgpr3
	s_branch .LBB144_1554
.LBB144_1546:
	s_mov_b64 s[2:3], -1
                                        ; implicit-def: $vgpr3
	s_branch .LBB144_1551
.LBB144_1547:
	s_mov_b64 s[2:3], -1
                                        ; implicit-def: $vgpr3
.LBB144_1548:
	s_andn2_b64 vcc, exec, s[2:3]
	s_cbranch_vccnz .LBB144_1550
; %bb.1549:
	global_load_dword v3, v[10:11], off
.LBB144_1550:
	s_mov_b64 s[2:3], 0
.LBB144_1551:
	s_andn2_b64 vcc, exec, s[2:3]
	s_cbranch_vccnz .LBB144_1553
; %bb.1552:
	global_load_dword v3, v[10:11], off
	s_waitcnt vmcnt(0)
	v_cvt_f32_f16_e32 v3, v3
.LBB144_1553:
	s_mov_b64 s[2:3], 0
.LBB144_1554:
	s_andn2_b64 vcc, exec, s[2:3]
	s_cbranch_vccnz .LBB144_1565
; %bb.1555:
	s_cmp_lt_i32 s4, 6
	s_cbranch_scc1 .LBB144_1558
; %bb.1556:
	s_cmp_gt_i32 s4, 6
	s_cbranch_scc0 .LBB144_1559
; %bb.1557:
	global_load_dwordx2 v[12:13], v[10:11], off
	s_mov_b64 s[2:3], 0
	s_waitcnt vmcnt(0)
	v_cvt_f32_f64_e32 v3, v[12:13]
	s_branch .LBB144_1560
.LBB144_1558:
	s_mov_b64 s[2:3], -1
                                        ; implicit-def: $vgpr3
	s_branch .LBB144_1563
.LBB144_1559:
	s_mov_b64 s[2:3], -1
                                        ; implicit-def: $vgpr3
.LBB144_1560:
	s_andn2_b64 vcc, exec, s[2:3]
	s_cbranch_vccnz .LBB144_1562
; %bb.1561:
	global_load_dword v3, v[10:11], off
.LBB144_1562:
	s_mov_b64 s[2:3], 0
.LBB144_1563:
	s_andn2_b64 vcc, exec, s[2:3]
	s_cbranch_vccnz .LBB144_1565
; %bb.1564:
	global_load_ushort v3, v[10:11], off
	s_waitcnt vmcnt(0)
	v_cvt_f32_f16_e32 v3, v3
.LBB144_1565:
	s_cbranch_execnz .LBB144_1585
.LBB144_1566:
	s_cmp_lt_i32 s4, 2
	s_cbranch_scc1 .LBB144_1570
; %bb.1567:
	s_cmp_lt_i32 s4, 3
	s_cbranch_scc1 .LBB144_1571
; %bb.1568:
	s_cmp_gt_i32 s4, 3
	s_cbranch_scc0 .LBB144_1572
; %bb.1569:
	global_load_dwordx2 v[12:13], v[10:11], off
	s_mov_b64 s[2:3], 0
	s_waitcnt vmcnt(0)
	v_xor_b32_e32 v8, v12, v13
	v_ffbh_i32_e32 v3, v13
	v_ashrrev_i32_e32 v8, 31, v8
	v_add_u32_e32 v3, -1, v3
	v_add_u32_e32 v8, 32, v8
	v_min_u32_e32 v3, v3, v8
	v_lshlrev_b64 v[12:13], v3, v[12:13]
	v_sub_u32_e32 v3, 32, v3
	v_min_u32_e32 v8, 1, v12
	v_or_b32_e32 v8, v13, v8
	v_cvt_f32_i32_e32 v8, v8
	v_ldexp_f32 v3, v8, v3
	s_branch .LBB144_1573
.LBB144_1570:
	s_mov_b64 s[2:3], -1
                                        ; implicit-def: $vgpr3
	s_branch .LBB144_1579
.LBB144_1571:
	s_mov_b64 s[2:3], -1
                                        ; implicit-def: $vgpr3
	s_branch .LBB144_1576
.LBB144_1572:
	s_mov_b64 s[2:3], -1
                                        ; implicit-def: $vgpr3
.LBB144_1573:
	s_andn2_b64 vcc, exec, s[2:3]
	s_cbranch_vccnz .LBB144_1575
; %bb.1574:
	global_load_dword v3, v[10:11], off
	s_waitcnt vmcnt(0)
	v_cvt_f32_i32_e32 v3, v3
.LBB144_1575:
	s_mov_b64 s[2:3], 0
.LBB144_1576:
	s_andn2_b64 vcc, exec, s[2:3]
	s_cbranch_vccnz .LBB144_1578
; %bb.1577:
	global_load_sshort v3, v[10:11], off
	s_waitcnt vmcnt(0)
	v_cvt_f32_i32_e32 v3, v3
.LBB144_1578:
	s_mov_b64 s[2:3], 0
.LBB144_1579:
	s_andn2_b64 vcc, exec, s[2:3]
	s_cbranch_vccnz .LBB144_1585
; %bb.1580:
	s_cmp_gt_i32 s4, 0
	s_cbranch_scc0 .LBB144_1582
; %bb.1581:
	global_load_sbyte v3, v[10:11], off
	s_mov_b64 s[2:3], 0
	s_waitcnt vmcnt(0)
	v_cvt_f32_i32_e32 v3, v3
	s_branch .LBB144_1583
.LBB144_1582:
	s_mov_b64 s[2:3], -1
                                        ; implicit-def: $vgpr3
.LBB144_1583:
	s_andn2_b64 vcc, exec, s[2:3]
	s_cbranch_vccnz .LBB144_1585
; %bb.1584:
	global_load_ubyte v3, v[10:11], off
	s_waitcnt vmcnt(0)
	v_cvt_f32_ubyte0_e32 v3, v3
.LBB144_1585:
.LBB144_1586:
	s_mov_b32 s2, 0x3c800000
	s_waitcnt vmcnt(0)
	v_and_b32_e32 v8, 0x7fffffff, v3
	v_cmp_nlt_f32_e64 s[2:3], |v3|, s2
                                        ; implicit-def: $vgpr11
	s_and_saveexec_b64 s[4:5], s[2:3]
	s_xor_b64 s[4:5], exec, s[4:5]
	s_cbranch_execz .LBB144_1616
; %bb.1587:
	v_cmp_nlt_f32_e64 s[2:3], |v3|, 2.0
                                        ; implicit-def: $vgpr11
	s_and_saveexec_b64 s[6:7], s[2:3]
	s_xor_b64 s[6:7], exec, s[6:7]
	s_cbranch_execz .LBB144_1597
; %bb.1588:
	s_mov_b32 s2, 0x41000000
	v_cmp_nlt_f32_e64 s[2:3], |v3|, s2
                                        ; implicit-def: $vgpr11
	s_and_saveexec_b64 s[8:9], s[2:3]
	s_xor_b64 s[8:9], exec, s[8:9]
	s_cbranch_execz .LBB144_1594
; %bb.1589:
	s_mov_b32 s2, 0x5c800000
	v_cmp_nlt_f32_e64 s[2:3], |v3|, s2
                                        ; implicit-def: $vgpr11
	s_and_saveexec_b64 s[16:17], s[2:3]
	s_xor_b64 s[16:17], exec, s[16:17]
	s_cbranch_execz .LBB144_1591
; %bb.1590:
	s_mov_b32 s2, 0x800000
	v_cmp_lt_f32_e64 vcc, |v3|, s2
	v_cndmask_b32_e64 v10, 0, 32, vcc
	v_ldexp_f32 v10, |v3|, v10
	v_log_f32_e32 v10, v10
	s_mov_b32 s2, 0x3f317217
	s_mov_b32 s3, 0x7f800000
	v_mul_f32_e32 v11, 0x3f317217, v10
	v_fma_f32 v12, v10, s2, -v11
	v_fmac_f32_e32 v12, 0x3377d1cf, v10
	v_add_f32_e32 v11, v11, v12
	v_cmp_lt_f32_e64 s[2:3], |v10|, s3
	v_cndmask_b32_e64 v10, v10, v11, s[2:3]
	v_mov_b32_e32 v11, 0x41b17218
	v_cndmask_b32_e32 v11, 0, v11, vcc
	v_sub_f32_e32 v10, v10, v11
	v_fma_f32 v11, |v3|, v10, -|v3|
.LBB144_1591:
	s_andn2_saveexec_b64 s[16:17], s[16:17]
	s_cbranch_execz .LBB144_1593
; %bb.1592:
	v_rcp_f32_e64 v10, |v3|
	v_mov_b32_e32 v11, 0x3a5b3dd2
	v_mov_b32_e32 v12, 0xba1c065c
	v_mov_b32_e32 v13, 0x3a500cfd
	v_mul_f32_e32 v14, v10, v10
	v_fmac_f32_e32 v11, 0xbad5c4e8, v14
	v_fmac_f32_e32 v12, v14, v11
	s_mov_b32 s2, 0x800000
	v_fmac_f32_e32 v13, v14, v12
	v_mov_b32_e32 v11, 0xbb360b61
	v_cmp_lt_f32_e64 vcc, |v3|, s2
	v_fmac_f32_e32 v11, v14, v13
	v_cndmask_b32_e64 v13, 0, 32, vcc
	v_ldexp_f32 v13, |v3|, v13
	v_log_f32_e32 v13, v13
	v_mov_b32_e32 v12, 0x3daaaaab
	v_fmac_f32_e32 v12, v14, v11
	v_mov_b32_e32 v11, 0x3ed67f1d
	v_fmac_f32_e32 v11, v10, v12
	s_mov_b32 s2, 0x3f317217
	v_mul_f32_e32 v12, 0x3f317217, v13
	v_fma_f32 v14, v13, s2, -v12
	v_fmac_f32_e32 v14, 0x3377d1cf, v13
	s_mov_b32 s2, 0x7f800000
	v_add_f32_e32 v12, v12, v14
	v_cmp_lt_f32_e64 s[2:3], |v13|, s2
	v_cndmask_b32_e64 v12, v13, v12, s[2:3]
	v_mov_b32_e32 v13, 0x41b17218
	v_cndmask_b32_e32 v13, 0, v13, vcc
	v_sub_f32_e32 v12, v12, v13
	v_add_f32_e64 v10, |v3|, -0.5
	v_add_f32_e32 v12, -1.0, v12
	v_fmac_f32_e32 v11, v10, v12
.LBB144_1593:
	s_or_b64 exec, exec, s[16:17]
.LBB144_1594:
	s_andn2_saveexec_b64 s[8:9], s[8:9]
	s_cbranch_execz .LBB144_1596
; %bb.1595:
	v_cvt_i32_f32_e32 v10, v8
	v_mov_b32_e32 v11, 0x3af135b4
	v_mov_b32_e32 v12, 0x3cda40e4
	;; [unrolled: 1-line block ×3, first 2 shown]
	v_cvt_f32_i32_e32 v14, v10
	v_mov_b32_e32 v15, 0x3ea6cc7a
	v_mov_b32_e32 v16, 0x3e5c245a
	v_cmp_lt_i32_e32 vcc, 2, v10
	v_sub_f32_e64 v14, |v3|, v14
	v_fmac_f32_e32 v11, 0x3805ff67, v14
	v_fmac_f32_e32 v12, v14, v11
	;; [unrolled: 1-line block ×3, first 2 shown]
	v_mov_b32_e32 v12, 0x3a4beed6
	v_fmac_f32_e32 v15, v14, v13
	v_fmac_f32_e32 v12, 0x36f5d7bd, v14
	v_mov_b32_e32 v13, 0x3c98bf54
	v_fmac_f32_e32 v13, v14, v12
	v_mov_b32_e32 v12, 0x3e300f6e
	;; [unrolled: 2-line block ×4, first 2 shown]
	v_fmac_f32_e32 v12, v14, v13
	v_add_f32_e32 v13, 2.0, v14
	v_mov_b32_e32 v17, 0xbd9e233f
	v_fmac_f32_e32 v16, v14, v15
	v_add_f32_e32 v15, 0x40400000, v14
	v_cndmask_b32_e32 v13, 1.0, v13, vcc
	v_cmp_lt_i32_e32 vcc, 3, v10
	v_fmac_f32_e32 v17, v14, v16
	v_add_f32_e32 v16, 4.0, v14
	v_cndmask_b32_e32 v15, 1.0, v15, vcc
	v_cmp_lt_i32_e32 vcc, 4, v10
	v_mul_f32_e32 v11, v14, v17
	v_add_f32_e32 v17, 0x40a00000, v14
	v_mul_f32_e32 v13, v13, v15
	v_cndmask_b32_e32 v15, 1.0, v16, vcc
	v_cmp_lt_i32_e32 vcc, 5, v10
	v_add_f32_e32 v18, 0x40c00000, v14
	v_mul_f32_e32 v13, v15, v13
	v_cndmask_b32_e32 v15, 1.0, v17, vcc
	v_cmp_lt_i32_e32 vcc, 6, v10
	v_mul_f32_e32 v13, v15, v13
	v_cndmask_b32_e32 v10, 1.0, v18, vcc
	v_mul_f32_e32 v10, v10, v13
	s_mov_b32 s2, 0x800000
	v_cmp_gt_f32_e32 vcc, s2, v10
	v_cndmask_b32_e64 v13, 0, 32, vcc
	v_fma_f32 v12, v14, v12, 1.0
	v_ldexp_f32 v10, v10, v13
	v_rcp_f32_e32 v12, v12
	v_log_f32_e32 v10, v10
	s_mov_b32 s2, 0x3f317217
	v_mul_f32_e32 v11, v11, v12
	v_mul_f32_e32 v12, 0x3f317217, v10
	v_fma_f32 v13, v10, s2, -v12
	v_fmac_f32_e32 v13, 0x3377d1cf, v10
	s_mov_b32 s2, 0x7f800000
	v_add_f32_e32 v12, v12, v13
	v_cmp_lt_f32_e64 s[2:3], |v10|, s2
	v_cndmask_b32_e64 v10, v10, v12, s[2:3]
	v_mov_b32_e32 v12, 0x41b17218
	v_cndmask_b32_e32 v12, 0, v12, vcc
	v_fmac_f32_e32 v11, 0.5, v14
	v_sub_f32_e32 v10, v10, v12
	v_add_f32_e32 v11, v10, v11
.LBB144_1596:
	s_or_b64 exec, exec, s[8:9]
.LBB144_1597:
	s_andn2_saveexec_b64 s[6:7], s[6:7]
	s_cbranch_execz .LBB144_1615
; %bb.1598:
	s_mov_b32 s2, 0x3f666666
	v_cmp_le_f32_e64 s[2:3], |v3|, s2
                                        ; implicit-def: $vgpr11
                                        ; implicit-def: $vgpr12
                                        ; implicit-def: $vgpr10
	s_and_saveexec_b64 s[8:9], s[2:3]
	s_xor_b64 s[8:9], exec, s[8:9]
	s_cbranch_execz .LBB144_1600
; %bb.1599:
	s_mov_b32 s2, 0x800000
	v_cmp_lt_f32_e64 vcc, |v3|, s2
	v_cndmask_b32_e64 v10, 0, 32, vcc
	v_ldexp_f32 v10, |v3|, v10
	v_log_f32_e32 v10, v10
	s_mov_b32 s2, 0x3f317217
	s_mov_b32 s3, 0x7f800000
	v_mul_f32_e32 v11, 0x3f317217, v10
	v_fma_f32 v12, v10, s2, -v11
	v_fmac_f32_e32 v12, 0x3377d1cf, v10
	v_add_f32_e32 v11, v11, v12
	v_cmp_lt_f32_e64 s[2:3], |v10|, s3
	v_cndmask_b32_e64 v10, v10, v11, s[2:3]
	v_mov_b32_e32 v11, 0x41b17218
	v_cndmask_b32_e32 v11, 0, v11, vcc
	v_sub_f32_e32 v10, v10, v11
	s_mov_b32 s2, 0x3f3b4a23
	s_mov_b32 s3, 0xbeec5b0c
	v_xor_b32_e32 v11, 0x80000000, v10
	v_sub_f32_e64 v10, 1.0, |v3|
	v_add_f32_e64 v12, |v3|, s3
	v_cmp_lt_f32_e64 vcc, |v3|, s2
	s_mov_b32 s2, 0x3e6d3309
	v_cndmask_b32_e32 v10, v10, v12, vcc
	v_cndmask_b32_e64 v12, 0, 1, vcc
	v_cmp_lt_f32_e64 s[2:3], |v3|, s2
	v_cndmask_b32_e64 v10, v10, |v3|, s[2:3]
	v_cndmask_b32_e64 v12, v12, 2, s[2:3]
.LBB144_1600:
	s_andn2_saveexec_b64 s[2:3], s[8:9]
	s_cbranch_execz .LBB144_1602
; %bb.1601:
	s_mov_b32 s8, 0x3fdda512
	s_mov_b32 s9, 0xbfbb16c3
	v_sub_f32_e64 v10, 2.0, |v3|
	v_add_f32_e64 v11, |v3|, s9
	v_cmp_lt_f32_e64 vcc, |v3|, s8
	v_cndmask_b32_e32 v11, v10, v11, vcc
	v_cndmask_b32_e64 v10, v10, 1.0, vcc
	v_cvt_i32_f32_e32 v12, v10
	s_mov_b32 s8, 0x3f9d70a4
	v_add_f32_e64 v10, |v3|, -1.0
	v_cmp_lt_f32_e64 vcc, |v3|, s8
	v_cndmask_b32_e32 v10, v11, v10, vcc
	v_cndmask_b32_e64 v12, v12, 2, vcc
	v_mov_b32_e32 v11, 0
.LBB144_1602:
	s_or_b64 exec, exec, s[2:3]
	v_cmp_lt_i32_e32 vcc, 0, v12
	s_and_saveexec_b64 s[2:3], vcc
	s_xor_b64 s[2:3], exec, s[2:3]
	s_cbranch_execz .LBB144_1610
; %bb.1603:
	v_cmp_lt_i32_e32 vcc, 1, v12
	s_and_saveexec_b64 s[8:9], vcc
	s_xor_b64 s[8:9], exec, s[8:9]
	s_cbranch_execz .LBB144_1607
; %bb.1604:
	v_cmp_eq_u32_e32 vcc, 2, v12
	s_and_saveexec_b64 s[16:17], vcc
	s_cbranch_execz .LBB144_1606
; %bb.1605:
	v_mov_b32_e32 v12, 0x3e6a7578
	v_fmac_f32_e32 v12, 0x3c5b3c5e, v10
	v_mov_b32_e32 v13, 0x3f7a4bb2
	v_fmac_f32_e32 v13, v10, v12
	;; [unrolled: 2-line block ×8, first 2 shown]
	v_fma_f32 v12, v10, v14, 1.0
	v_rcp_f32_e32 v12, v12
	v_mov_b32_e32 v14, 0xbd9e233f
	v_fmac_f32_e32 v14, v10, v13
	v_mul_f32_e32 v13, v10, v14
	v_mul_f32_e32 v12, v13, v12
	v_fmac_f32_e32 v12, -0.5, v10
	v_add_f32_e32 v11, v11, v12
.LBB144_1606:
	s_or_b64 exec, exec, s[16:17]
                                        ; implicit-def: $vgpr10
.LBB144_1607:
	s_andn2_saveexec_b64 s[8:9], s[8:9]
	s_cbranch_execz .LBB144_1609
; %bb.1608:
	v_mul_f32_e32 v12, v10, v10
	v_mul_f32_e32 v13, v10, v12
	v_mov_b32_e32 v14, 0xbab7f476
	v_fmac_f32_e32 v14, 0x39a57b6b, v13
	v_mov_b32_e32 v15, 0x3bc7e707
	v_fmac_f32_e32 v15, v13, v14
	;; [unrolled: 2-line block ×12, first 2 shown]
	v_fmac_f32_e32 v16, v10, v17
	s_mov_b32 s16, 0xa2863e55
	v_fma_f32 v10, v13, -v16, s16
	v_fma_f32 v10, v12, v15, -v10
	v_add_f32_e32 v10, 0xbdf8cdce, v10
	v_add_f32_e32 v11, v11, v10
.LBB144_1609:
	s_or_b64 exec, exec, s[8:9]
                                        ; implicit-def: $vgpr12
                                        ; implicit-def: $vgpr10
.LBB144_1610:
	s_andn2_saveexec_b64 s[2:3], s[2:3]
	s_cbranch_execz .LBB144_1614
; %bb.1611:
	v_cmp_eq_u32_e32 vcc, 0, v12
	s_and_saveexec_b64 s[8:9], vcc
	s_cbranch_execz .LBB144_1613
; %bb.1612:
	v_mul_f32_e32 v12, v10, v10
	v_mov_b32_e32 v13, 0x39679767
	v_fmac_f32_e32 v13, 0x37d383a2, v12
	v_mov_b32_e32 v14, 0x3a9c54a1
	v_fmac_f32_e32 v14, v12, v13
	;; [unrolled: 2-line block ×10, first 2 shown]
	v_mul_f32_e32 v12, v12, v14
	v_fmac_f32_e32 v12, v10, v13
	v_fmac_f32_e32 v12, -0.5, v10
	v_add_f32_e32 v11, v11, v12
.LBB144_1613:
	s_or_b64 exec, exec, s[8:9]
.LBB144_1614:
	s_or_b64 exec, exec, s[2:3]
.LBB144_1615:
	s_or_b64 exec, exec, s[6:7]
.LBB144_1616:
	s_andn2_saveexec_b64 s[4:5], s[4:5]
	s_cbranch_execz .LBB144_1618
; %bb.1617:
	s_mov_b32 s2, 0x3e8a8991
	v_mov_b32_e32 v10, 0xbecd26ab
	v_fma_f32 v10, |v3|, s2, v10
	s_mov_b32 s2, 0x3f528d33
	v_fma_f32 v10, |v3|, v10, s2
	s_mov_b32 s2, 0x800000
	v_cmp_lt_f32_e64 vcc, |v3|, s2
	v_cndmask_b32_e64 v11, 0, 32, vcc
	v_ldexp_f32 v11, |v3|, v11
	v_log_f32_e32 v11, v11
	s_mov_b32 s2, 0xbf13c468
	v_fma_f32 v10, |v3|, v10, s2
	s_mov_b32 s2, 0x3f317217
	v_mul_f32_e32 v12, 0x3f317217, v11
	v_fma_f32 v13, v11, s2, -v12
	v_fmac_f32_e32 v13, 0x3377d1cf, v11
	s_mov_b32 s2, 0x7f800000
	v_add_f32_e32 v12, v12, v13
	v_cmp_lt_f32_e64 s[2:3], |v11|, s2
	v_cndmask_b32_e64 v11, v11, v12, s[2:3]
	v_mov_b32_e32 v12, 0x41b17218
	v_cndmask_b32_e32 v12, 0, v12, vcc
	v_sub_f32_e32 v11, v11, v12
	v_fma_f32 v11, |v3|, v10, -v11
.LBB144_1618:
	s_or_b64 exec, exec, s[4:5]
	v_cmp_le_f32_e64 s[2:3], 0, v3
	v_cmp_nle_f32_e32 vcc, 0, v3
	s_and_saveexec_b64 s[4:5], vcc
	s_xor_b64 s[6:7], exec, s[4:5]
	s_cbranch_execz .LBB144_1622
; %bb.1619:
	s_mov_b32 s4, 0x4b000000
	s_mov_b32 s8, 0x35000000
	v_cmp_lt_f32_e64 s[4:5], |v3|, s4
	v_cmp_gt_f32_e64 s[8:9], |v3|, s8
	s_and_b64 s[4:5], s[4:5], s[8:9]
	s_and_saveexec_b64 s[8:9], s[4:5]
	s_cbranch_execz .LBB144_1621
; %bb.1620:
	v_mul_f32_e64 v10, |v3|, 0.5
	v_floor_f32_e32 v12, v10
	v_sub_f32_e32 v12, v10, v12
	v_min_f32_e32 v12, 0x3f7fffff, v12
	s_mov_b32 s16, 0x7f800000
	v_add_f32_e32 v12, v12, v12
	v_cmp_neq_f32_e32 vcc, s16, v10
	v_cndmask_b32_e32 v10, 0, v12, vcc
	v_cmp_gt_f32_e64 s[4:5], |v3|, 1.0
	v_cndmask_b32_e64 v10, |v3|, v10, s[4:5]
	v_add_f32_e32 v12, v10, v10
	v_rndne_f32_e32 v12, v12
	v_fmac_f32_e32 v10, -0.5, v12
	v_mul_f32_e32 v13, v10, v10
	v_mov_b32_e32 v14, 0xbf1f24be
	v_fmac_f32_e32 v14, 0x3e75aa41, v13
	v_mov_b32_e32 v15, 0x40234736
	v_fmac_f32_e32 v15, v13, v14
	;; [unrolled: 2-line block ×3, first 2 shown]
	v_mul_f32_e32 v15, v10, v13
	v_mul_f32_e32 v14, v15, v14
	v_fmac_f32_e32 v14, 0x40490fdb, v10
	v_mov_b32_e32 v10, 0x3e642e9d
	v_cvt_i32_f32_e32 v12, v12
	v_fmac_f32_e32 v10, 0x3d4be544, v13
	v_mov_b32_e32 v15, 0xbfaad1da
	v_fmac_f32_e32 v15, v13, v10
	v_mov_b32_e32 v10, 0x4081e0d3
	;; [unrolled: 2-line block ×3, first 2 shown]
	v_fmac_f32_e32 v15, v13, v10
	v_fma_f32 v10, v13, v15, 1.0
	v_and_b32_e32 v13, 1, v12
	v_lshlrev_b32_e32 v12, 30, v12
	v_cmp_eq_u32_e32 vcc, 0, v13
	v_and_b32_e32 v12, 0x80000000, v12
	v_xor_b32_e32 v8, v8, v3
	v_cndmask_b32_e32 v10, v10, v14, vcc
	v_xor_b32_e32 v8, v8, v12
	v_xor_b32_e32 v8, v8, v10
	v_mul_f32_e32 v8, v3, v8
	v_frexp_mant_f32_e64 v10, |v8|
	v_rcp_f32_e32 v10, v10
	v_frexp_exp_i32_f32_e32 v8, v8
	v_sub_u32_e32 v8, 2, v8
	s_mov_b32 s4, 0x800000
	v_mul_f32_e32 v10, 0x3f490fdb, v10
	v_ldexp_f32 v8, v10, v8
	v_cmp_gt_f32_e32 vcc, s4, v8
	v_cndmask_b32_e64 v10, 0, 32, vcc
	v_ldexp_f32 v8, v8, v10
	v_log_f32_e32 v8, v8
	s_mov_b32 s4, 0x3f317217
	v_mul_f32_e32 v10, 0x3f317217, v8
	v_fma_f32 v12, v8, s4, -v10
	v_fmac_f32_e32 v12, 0x3377d1cf, v8
	v_add_f32_e32 v10, v10, v12
	v_cmp_lt_f32_e64 s[4:5], |v8|, s16
	v_cndmask_b32_e64 v8, v8, v10, s[4:5]
	v_mov_b32_e32 v10, 0x41b17218
	v_cndmask_b32_e32 v10, 0, v10, vcc
	v_sub_f32_e32 v8, v8, v10
	v_floor_f32_e32 v10, v3
	v_sub_f32_e32 v10, v3, v10
	v_min_f32_e32 v10, 0x3f7fffff, v10
	v_sub_f32_e32 v8, v8, v11
	v_mov_b32_e32 v11, 0x7f800000
	v_cmp_neq_f32_e32 vcc, 0, v10
	v_cndmask_b32_e32 v11, v11, v8, vcc
.LBB144_1621:
	s_or_b64 exec, exec, s[8:9]
.LBB144_1622:
	s_andn2_saveexec_b64 s[6:7], s[6:7]
; %bb.1623:
	v_cmp_eq_f32_e32 vcc, 1.0, v3
	v_cmp_eq_f32_e64 s[4:5], 2.0, v3
	s_or_b64 s[4:5], vcc, s[4:5]
	v_cndmask_b32_e64 v11, v11, 0, s[4:5]
; %bb.1624:
	s_or_b64 exec, exec, s[6:7]
	v_mov_b32_e32 v10, s15
	v_add_co_u32_e32 v8, vcc, s14, v9
	s_cmp_lt_i32 s21, 11
	v_addc_co_u32_e32 v9, vcc, 0, v10, vcc
	s_cbranch_scc1 .LBB144_1631
; %bb.1625:
	s_and_b32 s22, 0xffff, s21
	s_cmp_gt_i32 s22, 25
	s_mov_b64 s[6:7], 0
	s_cbranch_scc0 .LBB144_1633
; %bb.1626:
	s_cmp_gt_i32 s22, 28
	s_cbranch_scc0 .LBB144_1634
; %bb.1627:
	s_cmp_gt_i32 s22, 43
	;; [unrolled: 3-line block ×3, first 2 shown]
	s_cbranch_scc0 .LBB144_1637
; %bb.1629:
	s_cmp_eq_u32 s22, 46
	s_mov_b64 s[16:17], 0
	s_cbranch_scc0 .LBB144_1638
; %bb.1630:
	global_load_dword v10, v[8:9], off
	s_mov_b64 s[4:5], 0
	s_mov_b64 s[8:9], -1
	s_waitcnt vmcnt(0)
	v_lshlrev_b32_e32 v10, 16, v10
	s_branch .LBB144_1639
.LBB144_1631:
	s_mov_b64 s[8:9], 0
                                        ; implicit-def: $vgpr10
	s_cbranch_execnz .LBB144_1705
.LBB144_1632:
	s_andn2_b64 vcc, exec, s[8:9]
	s_cbranch_vccnz .LBB144_2392
	s_branch .LBB144_1753
.LBB144_1633:
	s_mov_b64 s[16:17], -1
	s_mov_b64 s[8:9], 0
	s_mov_b64 s[4:5], 0
                                        ; implicit-def: $vgpr10
	s_branch .LBB144_1668
.LBB144_1634:
	s_mov_b64 s[16:17], -1
	s_mov_b64 s[8:9], 0
	s_mov_b64 s[4:5], 0
                                        ; implicit-def: $vgpr10
	s_branch .LBB144_1649
.LBB144_1635:
	s_mov_b64 s[16:17], -1
	s_mov_b64 s[8:9], 0
	s_mov_b64 s[4:5], 0
                                        ; implicit-def: $vgpr10
	s_branch .LBB144_1644
.LBB144_1636:
	s_trap 2
	s_or_b64 s[10:11], s[10:11], exec
	s_cbranch_execz .LBB144_1537
	s_branch .LBB144_1538
.LBB144_1637:
	s_mov_b64 s[16:17], -1
	s_mov_b64 s[8:9], 0
	s_mov_b64 s[4:5], 0
                                        ; implicit-def: $vgpr10
	s_branch .LBB144_1639
.LBB144_1638:
	s_mov_b64 s[4:5], -1
                                        ; implicit-def: $vgpr10
	s_mov_b64 s[8:9], 0
.LBB144_1639:
	s_and_b64 vcc, exec, s[16:17]
	s_cbranch_vccz .LBB144_1643
; %bb.1640:
	s_cmp_eq_u32 s22, 44
	s_cbranch_scc0 .LBB144_1642
; %bb.1641:
	global_load_ubyte v10, v[8:9], off
	s_movk_i32 s8, 0xff
	v_mov_b32_e32 v12, 0x7f800001
	v_mov_b32_e32 v13, 0x400000
	s_mov_b64 s[4:5], 0
	s_waitcnt vmcnt(0)
	v_lshlrev_b32_e32 v14, 23, v10
	v_cmp_ne_u32_e32 vcc, s8, v10
	v_cndmask_b32_e32 v12, v12, v14, vcc
	v_cmp_ne_u32_e32 vcc, 0, v10
	v_cndmask_b32_e32 v10, v13, v12, vcc
	s_mov_b64 s[8:9], -1
	s_branch .LBB144_1643
.LBB144_1642:
	s_mov_b64 s[4:5], -1
                                        ; implicit-def: $vgpr10
.LBB144_1643:
	s_mov_b64 s[16:17], 0
.LBB144_1644:
	s_and_b64 vcc, exec, s[16:17]
	s_cbranch_vccz .LBB144_1648
; %bb.1645:
	s_cmp_eq_u32 s22, 29
	s_cbranch_scc0 .LBB144_1647
; %bb.1646:
	global_load_dwordx2 v[12:13], v[8:9], off
	s_mov_b64 s[4:5], 0
	s_mov_b64 s[8:9], -1
	s_mov_b64 s[16:17], 0
	s_waitcnt vmcnt(0)
	v_ffbh_u32_e32 v10, v13
	v_min_u32_e32 v10, 32, v10
	v_lshlrev_b64 v[12:13], v10, v[12:13]
	v_sub_u32_e32 v10, 32, v10
	v_min_u32_e32 v12, 1, v12
	v_or_b32_e32 v12, v13, v12
	v_cvt_f32_u32_e32 v12, v12
	v_ldexp_f32 v10, v12, v10
	s_branch .LBB144_1649
.LBB144_1647:
	s_mov_b64 s[4:5], -1
                                        ; implicit-def: $vgpr10
.LBB144_1648:
	s_mov_b64 s[16:17], 0
.LBB144_1649:
	s_and_b64 vcc, exec, s[16:17]
	s_cbranch_vccz .LBB144_1667
; %bb.1650:
	s_cmp_lt_i32 s22, 27
	s_cbranch_scc1 .LBB144_1653
; %bb.1651:
	s_cmp_gt_i32 s22, 27
	s_cbranch_scc0 .LBB144_1654
; %bb.1652:
	global_load_dword v10, v[8:9], off
	s_mov_b64 s[8:9], 0
	s_waitcnt vmcnt(0)
	v_cvt_f32_u32_e32 v10, v10
	s_branch .LBB144_1655
.LBB144_1653:
	s_mov_b64 s[8:9], -1
                                        ; implicit-def: $vgpr10
	s_branch .LBB144_1658
.LBB144_1654:
	s_mov_b64 s[8:9], -1
                                        ; implicit-def: $vgpr10
.LBB144_1655:
	s_andn2_b64 vcc, exec, s[8:9]
	s_cbranch_vccnz .LBB144_1657
; %bb.1656:
	global_load_ushort v10, v[8:9], off
	s_waitcnt vmcnt(0)
	v_cvt_f32_u32_e32 v10, v10
.LBB144_1657:
	s_mov_b64 s[8:9], 0
.LBB144_1658:
	s_andn2_b64 vcc, exec, s[8:9]
	s_cbranch_vccnz .LBB144_1666
; %bb.1659:
	global_load_ubyte v12, v[8:9], off
	s_movk_i32 s8, 0x7f
	s_waitcnt vmcnt(0)
	v_cmp_lt_i16_e32 vcc, s8, v12
	s_mov_b64 s[8:9], 0
	s_and_saveexec_b64 s[16:17], vcc
	s_xor_b64 s[16:17], exec, s[16:17]
	s_cbranch_execz .LBB144_1680
; %bb.1660:
	s_movk_i32 s8, 0x80
	v_cmp_eq_u16_e32 vcc, s8, v12
	s_mov_b64 s[8:9], -1
	s_and_saveexec_b64 s[18:19], vcc
; %bb.1661:
	s_xor_b64 s[8:9], exec, -1
; %bb.1662:
	s_or_b64 exec, exec, s[18:19]
	s_and_b64 s[8:9], s[8:9], exec
	s_or_saveexec_b64 s[16:17], s[16:17]
	v_mov_b32_e32 v10, 0x7f800001
	s_xor_b64 exec, exec, s[16:17]
	s_cbranch_execnz .LBB144_1681
.LBB144_1663:
	s_or_b64 exec, exec, s[16:17]
	s_and_saveexec_b64 s[16:17], s[8:9]
	s_cbranch_execz .LBB144_1665
.LBB144_1664:
	v_lshlrev_b32_e32 v10, 24, v12
	v_and_b32_e32 v12, 0xffff, v12
	v_and_b32_e32 v13, 7, v12
	v_ffbh_u32_e32 v15, v13
	v_min_u32_e32 v15, 32, v15
	v_subrev_u32_e32 v16, 28, v15
	v_bfe_u32 v14, v12, 3, 4
	v_lshlrev_b32_e32 v12, v16, v12
	v_sub_u32_e32 v15, 29, v15
	v_and_b32_e32 v12, 7, v12
	v_cmp_eq_u32_e32 vcc, 0, v14
	v_cndmask_b32_e32 v14, v14, v15, vcc
	v_cndmask_b32_e32 v12, v13, v12, vcc
	v_mov_b32_e32 v13, 0x3b800000
	v_lshlrev_b32_e32 v12, 20, v12
	v_and_b32_e32 v10, 0x80000000, v10
	v_lshl_add_u32 v13, v14, 23, v13
	v_or3_b32 v10, v10, v13, v12
.LBB144_1665:
	s_or_b64 exec, exec, s[16:17]
.LBB144_1666:
	s_mov_b64 s[8:9], -1
.LBB144_1667:
	s_mov_b64 s[16:17], 0
.LBB144_1668:
	s_and_b64 vcc, exec, s[16:17]
	s_cbranch_vccz .LBB144_1701
; %bb.1669:
	s_cmp_gt_i32 s22, 22
	s_cbranch_scc0 .LBB144_1679
; %bb.1670:
	s_cmp_lt_i32 s22, 24
	s_cbranch_scc1 .LBB144_1682
; %bb.1671:
	s_cmp_gt_i32 s22, 24
	s_cbranch_scc0 .LBB144_1683
; %bb.1672:
	global_load_ubyte v12, v[8:9], off
	s_movk_i32 s6, 0x7f
	s_waitcnt vmcnt(0)
	v_cmp_lt_i16_e32 vcc, s6, v12
	s_mov_b64 s[6:7], 0
	s_and_saveexec_b64 s[8:9], vcc
	s_xor_b64 s[8:9], exec, s[8:9]
	s_cbranch_execz .LBB144_1695
; %bb.1673:
	s_movk_i32 s6, 0x80
	v_cmp_eq_u16_e32 vcc, s6, v12
	s_mov_b64 s[6:7], -1
	s_and_saveexec_b64 s[16:17], vcc
; %bb.1674:
	s_xor_b64 s[6:7], exec, -1
; %bb.1675:
	s_or_b64 exec, exec, s[16:17]
	s_and_b64 s[6:7], s[6:7], exec
	s_or_saveexec_b64 s[8:9], s[8:9]
	v_mov_b32_e32 v10, 0x7f800001
	s_xor_b64 exec, exec, s[8:9]
	s_cbranch_execnz .LBB144_1696
.LBB144_1676:
	s_or_b64 exec, exec, s[8:9]
	s_and_saveexec_b64 s[8:9], s[6:7]
	s_cbranch_execz .LBB144_1678
.LBB144_1677:
	v_lshlrev_b32_e32 v10, 24, v12
	v_and_b32_e32 v12, 0xffff, v12
	v_and_b32_e32 v13, 3, v12
	v_ffbh_u32_e32 v15, v13
	v_min_u32_e32 v15, 32, v15
	v_subrev_u32_e32 v16, 29, v15
	v_bfe_u32 v14, v12, 2, 5
	v_lshlrev_b32_e32 v12, v16, v12
	v_sub_u32_e32 v15, 30, v15
	v_and_b32_e32 v12, 3, v12
	v_cmp_eq_u32_e32 vcc, 0, v14
	v_cndmask_b32_e32 v14, v14, v15, vcc
	v_cndmask_b32_e32 v12, v13, v12, vcc
	v_mov_b32_e32 v13, 0x37800000
	v_lshlrev_b32_e32 v12, 21, v12
	v_and_b32_e32 v10, 0x80000000, v10
	v_lshl_add_u32 v13, v14, 23, v13
	v_or3_b32 v10, v10, v13, v12
.LBB144_1678:
	s_or_b64 exec, exec, s[8:9]
	s_mov_b64 s[6:7], 0
	s_branch .LBB144_1684
.LBB144_1679:
	s_mov_b64 s[6:7], -1
                                        ; implicit-def: $vgpr10
	s_branch .LBB144_1690
.LBB144_1680:
	s_or_saveexec_b64 s[16:17], s[16:17]
	v_mov_b32_e32 v10, 0x7f800001
	s_xor_b64 exec, exec, s[16:17]
	s_cbranch_execz .LBB144_1663
.LBB144_1681:
	v_cmp_ne_u16_e32 vcc, 0, v12
	s_andn2_b64 s[8:9], s[8:9], exec
	s_and_b64 s[18:19], vcc, exec
	v_mov_b32_e32 v10, 0
	s_or_b64 s[8:9], s[8:9], s[18:19]
	s_or_b64 exec, exec, s[16:17]
	s_and_saveexec_b64 s[16:17], s[8:9]
	s_cbranch_execnz .LBB144_1664
	s_branch .LBB144_1665
.LBB144_1682:
	s_mov_b64 s[6:7], -1
                                        ; implicit-def: $vgpr10
	s_branch .LBB144_1687
.LBB144_1683:
	s_mov_b64 s[6:7], -1
                                        ; implicit-def: $vgpr10
.LBB144_1684:
	s_and_b64 vcc, exec, s[6:7]
	s_cbranch_vccz .LBB144_1686
; %bb.1685:
	global_load_ubyte v10, v[8:9], off
	s_mov_b32 s6, 0x7f800000
	s_waitcnt vmcnt(0)
	v_lshlrev_b32_e32 v10, 24, v10
	v_and_b32_e32 v12, 0x7f000000, v10
	v_ffbh_u32_e32 v13, v12
	v_min_u32_e32 v13, 32, v13
	v_sub_u32_e64 v13, v13, 4 clamp
	v_lshlrev_b32_e32 v15, v13, v12
	v_lshlrev_b32_e32 v13, 23, v13
	v_lshrrev_b32_e32 v15, 4, v15
	v_add_u32_e32 v14, 0x1000000, v12
	v_sub_u32_e32 v13, v15, v13
	v_ashrrev_i32_e32 v14, 8, v14
	v_add_u32_e32 v13, 0x3c000000, v13
	v_and_or_b32 v13, v14, s6, v13
	v_cmp_ne_u32_e32 vcc, 0, v12
	v_cndmask_b32_e32 v12, 0, v13, vcc
	s_brev_b32 s6, 1
	v_and_or_b32 v10, v10, s6, v12
.LBB144_1686:
	s_mov_b64 s[6:7], 0
.LBB144_1687:
	s_andn2_b64 vcc, exec, s[6:7]
	s_cbranch_vccnz .LBB144_1689
; %bb.1688:
	global_load_ubyte v10, v[8:9], off
	s_movk_i32 s6, 0x7f00
	s_brev_b32 s7, 16
	s_waitcnt vmcnt(0)
	v_lshlrev_b16_e32 v12, 8, v10
	v_lshlrev_b32_e32 v10, 25, v10
	v_lshrrev_b32_e32 v13, 4, v10
	v_and_or_b32 v14, v12, s6, 0.5
	v_or_b32_e32 v13, 0x70000000, v13
	v_add_f32_e32 v14, -0.5, v14
	v_mul_f32_e32 v13, 0x7800000, v13
	v_cmp_gt_u32_e32 vcc, s7, v10
	v_bfe_i32 v12, v12, 0, 16
	v_cndmask_b32_e32 v10, v13, v14, vcc
	s_brev_b32 s6, 1
	v_and_or_b32 v10, v12, s6, v10
.LBB144_1689:
	s_mov_b64 s[6:7], 0
	s_mov_b64 s[8:9], -1
.LBB144_1690:
	s_andn2_b64 vcc, exec, s[6:7]
	s_mov_b64 s[6:7], 0
	s_cbranch_vccnz .LBB144_1701
; %bb.1691:
	s_cmp_gt_i32 s22, 14
	s_cbranch_scc0 .LBB144_1694
; %bb.1692:
	s_cmp_eq_u32 s22, 15
	s_cbranch_scc0 .LBB144_1697
; %bb.1693:
	global_load_ushort v10, v[8:9], off
	s_mov_b64 s[4:5], 0
	s_mov_b64 s[8:9], -1
	s_waitcnt vmcnt(0)
	v_lshlrev_b32_e32 v10, 16, v10
	s_branch .LBB144_1698
.LBB144_1694:
	s_mov_b64 s[16:17], -1
                                        ; implicit-def: $vgpr10
	s_branch .LBB144_1699
.LBB144_1695:
	s_or_saveexec_b64 s[8:9], s[8:9]
	v_mov_b32_e32 v10, 0x7f800001
	s_xor_b64 exec, exec, s[8:9]
	s_cbranch_execz .LBB144_1676
.LBB144_1696:
	v_cmp_ne_u16_e32 vcc, 0, v12
	s_andn2_b64 s[6:7], s[6:7], exec
	s_and_b64 s[16:17], vcc, exec
	v_mov_b32_e32 v10, 0
	s_or_b64 s[6:7], s[6:7], s[16:17]
	s_or_b64 exec, exec, s[8:9]
	s_and_saveexec_b64 s[8:9], s[6:7]
	s_cbranch_execnz .LBB144_1677
	s_branch .LBB144_1678
.LBB144_1697:
	s_mov_b64 s[4:5], -1
                                        ; implicit-def: $vgpr10
.LBB144_1698:
	s_mov_b64 s[16:17], 0
.LBB144_1699:
	s_and_b64 vcc, exec, s[16:17]
	s_cbranch_vccz .LBB144_1701
; %bb.1700:
	s_cmp_lg_u32 s22, 11
	s_mov_b64 s[6:7], -1
	s_cselect_b64 s[4:5], -1, 0
.LBB144_1701:
	s_and_b64 vcc, exec, s[4:5]
	s_cbranch_vccnz .LBB144_1802
; %bb.1702:
	s_andn2_b64 vcc, exec, s[6:7]
	s_cbranch_vccnz .LBB144_1704
.LBB144_1703:
	global_load_ubyte v10, v[8:9], off
	s_mov_b64 s[8:9], -1
	s_waitcnt vmcnt(0)
	v_cmp_ne_u16_e32 vcc, 0, v10
	v_cndmask_b32_e64 v10, 0, 1.0, vcc
.LBB144_1704:
	s_branch .LBB144_1632
.LBB144_1705:
	s_and_b32 s6, 0xffff, s21
	s_cmp_lt_i32 s6, 5
	s_cbranch_scc1 .LBB144_1710
; %bb.1706:
	s_cmp_lt_i32 s6, 8
	s_cbranch_scc1 .LBB144_1711
; %bb.1707:
	;; [unrolled: 3-line block ×3, first 2 shown]
	s_cmp_gt_i32 s6, 9
	s_cbranch_scc0 .LBB144_1713
; %bb.1709:
	global_load_dwordx2 v[12:13], v[8:9], off
	s_mov_b64 s[4:5], 0
	s_waitcnt vmcnt(0)
	v_cvt_f32_f64_e32 v10, v[12:13]
	s_branch .LBB144_1714
.LBB144_1710:
	s_mov_b64 s[4:5], -1
                                        ; implicit-def: $vgpr10
	s_branch .LBB144_1732
.LBB144_1711:
	s_mov_b64 s[4:5], -1
                                        ; implicit-def: $vgpr10
	s_branch .LBB144_1720
.LBB144_1712:
	s_mov_b64 s[4:5], -1
                                        ; implicit-def: $vgpr10
	s_branch .LBB144_1717
.LBB144_1713:
	s_mov_b64 s[4:5], -1
                                        ; implicit-def: $vgpr10
.LBB144_1714:
	s_andn2_b64 vcc, exec, s[4:5]
	s_cbranch_vccnz .LBB144_1716
; %bb.1715:
	global_load_dword v10, v[8:9], off
.LBB144_1716:
	s_mov_b64 s[4:5], 0
.LBB144_1717:
	s_andn2_b64 vcc, exec, s[4:5]
	s_cbranch_vccnz .LBB144_1719
; %bb.1718:
	global_load_dword v10, v[8:9], off
	s_waitcnt vmcnt(0)
	v_cvt_f32_f16_e32 v10, v10
.LBB144_1719:
	s_mov_b64 s[4:5], 0
.LBB144_1720:
	s_andn2_b64 vcc, exec, s[4:5]
	s_cbranch_vccnz .LBB144_1731
; %bb.1721:
	s_cmp_lt_i32 s6, 6
	s_cbranch_scc1 .LBB144_1724
; %bb.1722:
	s_cmp_gt_i32 s6, 6
	s_cbranch_scc0 .LBB144_1725
; %bb.1723:
	global_load_dwordx2 v[12:13], v[8:9], off
	s_mov_b64 s[4:5], 0
	s_waitcnt vmcnt(0)
	v_cvt_f32_f64_e32 v10, v[12:13]
	s_branch .LBB144_1726
.LBB144_1724:
	s_mov_b64 s[4:5], -1
                                        ; implicit-def: $vgpr10
	s_branch .LBB144_1729
.LBB144_1725:
	s_mov_b64 s[4:5], -1
                                        ; implicit-def: $vgpr10
.LBB144_1726:
	s_andn2_b64 vcc, exec, s[4:5]
	s_cbranch_vccnz .LBB144_1728
; %bb.1727:
	global_load_dword v10, v[8:9], off
.LBB144_1728:
	s_mov_b64 s[4:5], 0
.LBB144_1729:
	s_andn2_b64 vcc, exec, s[4:5]
	s_cbranch_vccnz .LBB144_1731
; %bb.1730:
	global_load_ushort v10, v[8:9], off
	s_waitcnt vmcnt(0)
	v_cvt_f32_f16_e32 v10, v10
.LBB144_1731:
	s_mov_b64 s[4:5], 0
.LBB144_1732:
	s_andn2_b64 vcc, exec, s[4:5]
	s_cbranch_vccnz .LBB144_1752
; %bb.1733:
	s_cmp_lt_i32 s6, 2
	s_cbranch_scc1 .LBB144_1737
; %bb.1734:
	s_cmp_lt_i32 s6, 3
	s_cbranch_scc1 .LBB144_1738
; %bb.1735:
	s_cmp_gt_i32 s6, 3
	s_cbranch_scc0 .LBB144_1739
; %bb.1736:
	global_load_dwordx2 v[12:13], v[8:9], off
	s_mov_b64 s[4:5], 0
	s_waitcnt vmcnt(0)
	v_xor_b32_e32 v14, v12, v13
	v_ffbh_i32_e32 v10, v13
	v_ashrrev_i32_e32 v14, 31, v14
	v_add_u32_e32 v10, -1, v10
	v_add_u32_e32 v14, 32, v14
	v_min_u32_e32 v10, v10, v14
	v_lshlrev_b64 v[12:13], v10, v[12:13]
	v_sub_u32_e32 v10, 32, v10
	v_min_u32_e32 v12, 1, v12
	v_or_b32_e32 v12, v13, v12
	v_cvt_f32_i32_e32 v12, v12
	v_ldexp_f32 v10, v12, v10
	s_branch .LBB144_1740
.LBB144_1737:
	s_mov_b64 s[4:5], -1
                                        ; implicit-def: $vgpr10
	s_branch .LBB144_1746
.LBB144_1738:
	s_mov_b64 s[4:5], -1
                                        ; implicit-def: $vgpr10
	s_branch .LBB144_1743
.LBB144_1739:
	s_mov_b64 s[4:5], -1
                                        ; implicit-def: $vgpr10
.LBB144_1740:
	s_andn2_b64 vcc, exec, s[4:5]
	s_cbranch_vccnz .LBB144_1742
; %bb.1741:
	global_load_dword v10, v[8:9], off
	s_waitcnt vmcnt(0)
	v_cvt_f32_i32_e32 v10, v10
.LBB144_1742:
	s_mov_b64 s[4:5], 0
.LBB144_1743:
	s_andn2_b64 vcc, exec, s[4:5]
	s_cbranch_vccnz .LBB144_1745
; %bb.1744:
	global_load_sshort v10, v[8:9], off
	s_waitcnt vmcnt(0)
	v_cvt_f32_i32_e32 v10, v10
.LBB144_1745:
	s_mov_b64 s[4:5], 0
.LBB144_1746:
	s_andn2_b64 vcc, exec, s[4:5]
	s_cbranch_vccnz .LBB144_1752
; %bb.1747:
	s_cmp_gt_i32 s6, 0
	s_cbranch_scc0 .LBB144_1749
; %bb.1748:
	global_load_sbyte v10, v[8:9], off
	s_mov_b64 s[4:5], 0
	s_waitcnt vmcnt(0)
	v_cvt_f32_i32_e32 v10, v10
	s_branch .LBB144_1750
.LBB144_1749:
	s_mov_b64 s[4:5], -1
                                        ; implicit-def: $vgpr10
.LBB144_1750:
	s_andn2_b64 vcc, exec, s[4:5]
	s_cbranch_vccnz .LBB144_1752
; %bb.1751:
	global_load_ubyte v8, v[8:9], off
	s_waitcnt vmcnt(0)
	v_cvt_f32_ubyte0_e32 v10, v8
.LBB144_1752:
.LBB144_1753:
	s_mov_b32 s4, 0x3c800000
	s_waitcnt vmcnt(0)
	v_and_b32_e32 v8, 0x7fffffff, v10
	v_cmp_nlt_f32_e64 s[4:5], |v10|, s4
                                        ; implicit-def: $vgpr12
	s_and_saveexec_b64 s[6:7], s[4:5]
	s_xor_b64 s[6:7], exec, s[6:7]
	s_cbranch_execz .LBB144_1783
; %bb.1754:
	v_cmp_nlt_f32_e64 s[4:5], |v10|, 2.0
                                        ; implicit-def: $vgpr12
	s_and_saveexec_b64 s[8:9], s[4:5]
	s_xor_b64 s[8:9], exec, s[8:9]
	s_cbranch_execz .LBB144_1764
; %bb.1755:
	s_mov_b32 s4, 0x41000000
	v_cmp_nlt_f32_e64 s[4:5], |v10|, s4
                                        ; implicit-def: $vgpr12
	s_and_saveexec_b64 s[16:17], s[4:5]
	s_xor_b64 s[16:17], exec, s[16:17]
	s_cbranch_execz .LBB144_1761
; %bb.1756:
	s_mov_b32 s4, 0x5c800000
	v_cmp_nlt_f32_e64 s[4:5], |v10|, s4
                                        ; implicit-def: $vgpr12
	s_and_saveexec_b64 s[18:19], s[4:5]
	s_xor_b64 s[18:19], exec, s[18:19]
	s_cbranch_execz .LBB144_1758
; %bb.1757:
	s_mov_b32 s4, 0x800000
	v_cmp_lt_f32_e64 vcc, |v10|, s4
	v_cndmask_b32_e64 v9, 0, 32, vcc
	v_ldexp_f32 v9, |v10|, v9
	v_log_f32_e32 v9, v9
	s_mov_b32 s4, 0x3f317217
	s_mov_b32 s5, 0x7f800000
	v_mul_f32_e32 v12, 0x3f317217, v9
	v_fma_f32 v13, v9, s4, -v12
	v_fmac_f32_e32 v13, 0x3377d1cf, v9
	v_add_f32_e32 v12, v12, v13
	v_cmp_lt_f32_e64 s[4:5], |v9|, s5
	v_cndmask_b32_e64 v9, v9, v12, s[4:5]
	v_mov_b32_e32 v12, 0x41b17218
	v_cndmask_b32_e32 v12, 0, v12, vcc
	v_sub_f32_e32 v9, v9, v12
	v_fma_f32 v12, |v10|, v9, -|v10|
.LBB144_1758:
	s_andn2_saveexec_b64 s[18:19], s[18:19]
	s_cbranch_execz .LBB144_1760
; %bb.1759:
	v_rcp_f32_e64 v9, |v10|
	v_mov_b32_e32 v12, 0x3a5b3dd2
	v_mov_b32_e32 v13, 0xba1c065c
	;; [unrolled: 1-line block ×3, first 2 shown]
	v_mul_f32_e32 v15, v9, v9
	v_fmac_f32_e32 v12, 0xbad5c4e8, v15
	v_fmac_f32_e32 v13, v15, v12
	s_mov_b32 s4, 0x800000
	v_fmac_f32_e32 v14, v15, v13
	v_mov_b32_e32 v12, 0xbb360b61
	v_cmp_lt_f32_e64 vcc, |v10|, s4
	v_fmac_f32_e32 v12, v15, v14
	v_cndmask_b32_e64 v14, 0, 32, vcc
	v_ldexp_f32 v14, |v10|, v14
	v_log_f32_e32 v14, v14
	v_mov_b32_e32 v13, 0x3daaaaab
	v_fmac_f32_e32 v13, v15, v12
	v_mov_b32_e32 v12, 0x3ed67f1d
	v_fmac_f32_e32 v12, v9, v13
	s_mov_b32 s4, 0x3f317217
	v_mul_f32_e32 v13, 0x3f317217, v14
	v_fma_f32 v15, v14, s4, -v13
	v_fmac_f32_e32 v15, 0x3377d1cf, v14
	s_mov_b32 s4, 0x7f800000
	v_add_f32_e32 v13, v13, v15
	v_cmp_lt_f32_e64 s[4:5], |v14|, s4
	v_cndmask_b32_e64 v13, v14, v13, s[4:5]
	v_mov_b32_e32 v14, 0x41b17218
	v_cndmask_b32_e32 v14, 0, v14, vcc
	v_sub_f32_e32 v13, v13, v14
	v_add_f32_e64 v9, |v10|, -0.5
	v_add_f32_e32 v13, -1.0, v13
	v_fmac_f32_e32 v12, v9, v13
.LBB144_1760:
	s_or_b64 exec, exec, s[18:19]
.LBB144_1761:
	s_andn2_saveexec_b64 s[16:17], s[16:17]
	s_cbranch_execz .LBB144_1763
; %bb.1762:
	v_cvt_i32_f32_e32 v9, v8
	v_mov_b32_e32 v12, 0x3af135b4
	v_mov_b32_e32 v13, 0x3cda40e4
	;; [unrolled: 1-line block ×3, first 2 shown]
	v_cvt_f32_i32_e32 v15, v9
	v_mov_b32_e32 v16, 0x3ea6cc7a
	v_mov_b32_e32 v17, 0x3e5c245a
	v_cmp_lt_i32_e32 vcc, 2, v9
	v_sub_f32_e64 v15, |v10|, v15
	v_fmac_f32_e32 v12, 0x3805ff67, v15
	v_fmac_f32_e32 v13, v15, v12
	;; [unrolled: 1-line block ×3, first 2 shown]
	v_mov_b32_e32 v13, 0x3a4beed6
	v_fmac_f32_e32 v16, v15, v14
	v_fmac_f32_e32 v13, 0x36f5d7bd, v15
	v_mov_b32_e32 v14, 0x3c98bf54
	v_fmac_f32_e32 v14, v15, v13
	v_mov_b32_e32 v13, 0x3e300f6e
	;; [unrolled: 2-line block ×4, first 2 shown]
	v_fmac_f32_e32 v13, v15, v14
	v_add_f32_e32 v14, 2.0, v15
	v_mov_b32_e32 v18, 0xbd9e233f
	v_fmac_f32_e32 v17, v15, v16
	v_add_f32_e32 v16, 0x40400000, v15
	v_cndmask_b32_e32 v14, 1.0, v14, vcc
	v_cmp_lt_i32_e32 vcc, 3, v9
	v_fmac_f32_e32 v18, v15, v17
	v_add_f32_e32 v17, 4.0, v15
	v_cndmask_b32_e32 v16, 1.0, v16, vcc
	v_cmp_lt_i32_e32 vcc, 4, v9
	v_mul_f32_e32 v12, v15, v18
	v_add_f32_e32 v18, 0x40a00000, v15
	v_mul_f32_e32 v14, v14, v16
	v_cndmask_b32_e32 v16, 1.0, v17, vcc
	v_cmp_lt_i32_e32 vcc, 5, v9
	v_add_f32_e32 v19, 0x40c00000, v15
	v_mul_f32_e32 v14, v16, v14
	v_cndmask_b32_e32 v16, 1.0, v18, vcc
	v_cmp_lt_i32_e32 vcc, 6, v9
	v_mul_f32_e32 v14, v16, v14
	v_cndmask_b32_e32 v9, 1.0, v19, vcc
	v_mul_f32_e32 v9, v9, v14
	s_mov_b32 s4, 0x800000
	v_cmp_gt_f32_e32 vcc, s4, v9
	v_cndmask_b32_e64 v14, 0, 32, vcc
	v_fma_f32 v13, v15, v13, 1.0
	v_ldexp_f32 v9, v9, v14
	v_rcp_f32_e32 v13, v13
	v_log_f32_e32 v9, v9
	s_mov_b32 s4, 0x3f317217
	v_mul_f32_e32 v12, v12, v13
	v_mul_f32_e32 v13, 0x3f317217, v9
	v_fma_f32 v14, v9, s4, -v13
	v_fmac_f32_e32 v14, 0x3377d1cf, v9
	s_mov_b32 s4, 0x7f800000
	v_add_f32_e32 v13, v13, v14
	v_cmp_lt_f32_e64 s[4:5], |v9|, s4
	v_cndmask_b32_e64 v9, v9, v13, s[4:5]
	v_mov_b32_e32 v13, 0x41b17218
	v_cndmask_b32_e32 v13, 0, v13, vcc
	v_fmac_f32_e32 v12, 0.5, v15
	v_sub_f32_e32 v9, v9, v13
	v_add_f32_e32 v12, v9, v12
.LBB144_1763:
	s_or_b64 exec, exec, s[16:17]
.LBB144_1764:
	s_andn2_saveexec_b64 s[8:9], s[8:9]
	s_cbranch_execz .LBB144_1782
; %bb.1765:
	s_mov_b32 s4, 0x3f666666
	v_cmp_le_f32_e64 s[4:5], |v10|, s4
                                        ; implicit-def: $vgpr12
                                        ; implicit-def: $vgpr13
                                        ; implicit-def: $vgpr9
	s_and_saveexec_b64 s[16:17], s[4:5]
	s_xor_b64 s[16:17], exec, s[16:17]
	s_cbranch_execz .LBB144_1767
; %bb.1766:
	s_mov_b32 s4, 0x800000
	v_cmp_lt_f32_e64 vcc, |v10|, s4
	v_cndmask_b32_e64 v9, 0, 32, vcc
	v_ldexp_f32 v9, |v10|, v9
	v_log_f32_e32 v9, v9
	s_mov_b32 s4, 0x3f317217
	s_mov_b32 s5, 0x7f800000
	v_mul_f32_e32 v12, 0x3f317217, v9
	v_fma_f32 v13, v9, s4, -v12
	v_fmac_f32_e32 v13, 0x3377d1cf, v9
	v_add_f32_e32 v12, v12, v13
	v_cmp_lt_f32_e64 s[4:5], |v9|, s5
	v_cndmask_b32_e64 v9, v9, v12, s[4:5]
	v_mov_b32_e32 v12, 0x41b17218
	v_cndmask_b32_e32 v12, 0, v12, vcc
	v_sub_f32_e32 v9, v9, v12
	s_mov_b32 s4, 0x3f3b4a23
	s_mov_b32 s5, 0xbeec5b0c
	v_xor_b32_e32 v12, 0x80000000, v9
	v_sub_f32_e64 v9, 1.0, |v10|
	v_add_f32_e64 v13, |v10|, s5
	v_cmp_lt_f32_e64 vcc, |v10|, s4
	s_mov_b32 s4, 0x3e6d3309
	v_cndmask_b32_e32 v9, v9, v13, vcc
	v_cndmask_b32_e64 v13, 0, 1, vcc
	v_cmp_lt_f32_e64 s[4:5], |v10|, s4
	v_cndmask_b32_e64 v9, v9, |v10|, s[4:5]
	v_cndmask_b32_e64 v13, v13, 2, s[4:5]
.LBB144_1767:
	s_andn2_saveexec_b64 s[4:5], s[16:17]
	s_cbranch_execz .LBB144_1769
; %bb.1768:
	s_mov_b32 s16, 0x3fdda512
	s_mov_b32 s17, 0xbfbb16c3
	v_sub_f32_e64 v9, 2.0, |v10|
	v_add_f32_e64 v12, |v10|, s17
	v_cmp_lt_f32_e64 vcc, |v10|, s16
	v_cndmask_b32_e32 v12, v9, v12, vcc
	v_cndmask_b32_e64 v9, v9, 1.0, vcc
	v_cvt_i32_f32_e32 v13, v9
	s_mov_b32 s16, 0x3f9d70a4
	v_add_f32_e64 v9, |v10|, -1.0
	v_cmp_lt_f32_e64 vcc, |v10|, s16
	v_cndmask_b32_e32 v9, v12, v9, vcc
	v_cndmask_b32_e64 v13, v13, 2, vcc
	v_mov_b32_e32 v12, 0
.LBB144_1769:
	s_or_b64 exec, exec, s[4:5]
	v_cmp_lt_i32_e32 vcc, 0, v13
	s_and_saveexec_b64 s[4:5], vcc
	s_xor_b64 s[4:5], exec, s[4:5]
	s_cbranch_execz .LBB144_1777
; %bb.1770:
	v_cmp_lt_i32_e32 vcc, 1, v13
	s_and_saveexec_b64 s[16:17], vcc
	s_xor_b64 s[16:17], exec, s[16:17]
	s_cbranch_execz .LBB144_1774
; %bb.1771:
	v_cmp_eq_u32_e32 vcc, 2, v13
	s_and_saveexec_b64 s[18:19], vcc
	s_cbranch_execz .LBB144_1773
; %bb.1772:
	v_mov_b32_e32 v13, 0x3e6a7578
	v_fmac_f32_e32 v13, 0x3c5b3c5e, v9
	v_mov_b32_e32 v14, 0x3f7a4bb2
	v_fmac_f32_e32 v14, v9, v13
	v_mov_b32_e32 v13, 0x3fba3ae7
	v_fmac_f32_e32 v13, v9, v14
	v_mov_b32_e32 v14, 0x3f2200f4
	v_fmac_f32_e32 v14, v9, v13
	v_mov_b32_e32 v13, 0x3dd572af
	v_fmac_f32_e32 v13, 0x3b52d5db, v9
	v_mov_b32_e32 v15, 0x3f44efdf
	v_fmac_f32_e32 v15, v9, v13
	v_mov_b32_e32 v13, 0x4008392d
	v_fmac_f32_e32 v13, v9, v15
	v_mov_b32_e32 v15, 0x401d2ebe
	v_fmac_f32_e32 v15, v9, v13
	v_fma_f32 v13, v9, v15, 1.0
	v_rcp_f32_e32 v13, v13
	v_mov_b32_e32 v15, 0xbd9e233f
	v_fmac_f32_e32 v15, v9, v14
	v_mul_f32_e32 v14, v9, v15
	v_mul_f32_e32 v13, v14, v13
	v_fmac_f32_e32 v13, -0.5, v9
	v_add_f32_e32 v12, v12, v13
.LBB144_1773:
	s_or_b64 exec, exec, s[18:19]
                                        ; implicit-def: $vgpr9
.LBB144_1774:
	s_andn2_saveexec_b64 s[16:17], s[16:17]
	s_cbranch_execz .LBB144_1776
; %bb.1775:
	v_mul_f32_e32 v13, v9, v9
	v_mul_f32_e32 v14, v9, v13
	v_mov_b32_e32 v15, 0xbab7f476
	v_fmac_f32_e32 v15, 0x39a57b6b, v14
	v_mov_b32_e32 v16, 0x3bc7e707
	v_fmac_f32_e32 v16, v14, v15
	;; [unrolled: 2-line block ×12, first 2 shown]
	v_fmac_f32_e32 v17, v9, v18
	s_mov_b32 s18, 0xa2863e55
	v_fma_f32 v9, v14, -v17, s18
	v_fma_f32 v9, v13, v16, -v9
	v_add_f32_e32 v9, 0xbdf8cdce, v9
	v_add_f32_e32 v12, v12, v9
.LBB144_1776:
	s_or_b64 exec, exec, s[16:17]
                                        ; implicit-def: $vgpr13
                                        ; implicit-def: $vgpr9
.LBB144_1777:
	s_andn2_saveexec_b64 s[4:5], s[4:5]
	s_cbranch_execz .LBB144_1781
; %bb.1778:
	v_cmp_eq_u32_e32 vcc, 0, v13
	s_and_saveexec_b64 s[16:17], vcc
	s_cbranch_execz .LBB144_1780
; %bb.1779:
	v_mul_f32_e32 v13, v9, v9
	v_mov_b32_e32 v14, 0x39679767
	v_fmac_f32_e32 v14, 0x37d383a2, v13
	v_mov_b32_e32 v15, 0x3a9c54a1
	v_fmac_f32_e32 v15, v13, v14
	;; [unrolled: 2-line block ×10, first 2 shown]
	v_mul_f32_e32 v13, v13, v15
	v_fmac_f32_e32 v13, v9, v14
	v_fmac_f32_e32 v13, -0.5, v9
	v_add_f32_e32 v12, v12, v13
.LBB144_1780:
	s_or_b64 exec, exec, s[16:17]
.LBB144_1781:
	s_or_b64 exec, exec, s[4:5]
.LBB144_1782:
	s_or_b64 exec, exec, s[8:9]
.LBB144_1783:
	s_andn2_saveexec_b64 s[6:7], s[6:7]
	s_cbranch_execz .LBB144_1785
; %bb.1784:
	s_mov_b32 s4, 0x3e8a8991
	v_mov_b32_e32 v9, 0xbecd26ab
	v_fma_f32 v9, |v10|, s4, v9
	s_mov_b32 s4, 0x3f528d33
	v_fma_f32 v9, |v10|, v9, s4
	s_mov_b32 s4, 0x800000
	v_cmp_lt_f32_e64 vcc, |v10|, s4
	v_cndmask_b32_e64 v12, 0, 32, vcc
	v_ldexp_f32 v12, |v10|, v12
	v_log_f32_e32 v12, v12
	s_mov_b32 s4, 0xbf13c468
	v_fma_f32 v9, |v10|, v9, s4
	s_mov_b32 s4, 0x3f317217
	v_mul_f32_e32 v13, 0x3f317217, v12
	v_fma_f32 v14, v12, s4, -v13
	v_fmac_f32_e32 v14, 0x3377d1cf, v12
	s_mov_b32 s4, 0x7f800000
	v_add_f32_e32 v13, v13, v14
	v_cmp_lt_f32_e64 s[4:5], |v12|, s4
	v_cndmask_b32_e64 v12, v12, v13, s[4:5]
	v_mov_b32_e32 v13, 0x41b17218
	v_cndmask_b32_e32 v13, 0, v13, vcc
	v_sub_f32_e32 v12, v12, v13
	v_fma_f32 v12, |v10|, v9, -v12
.LBB144_1785:
	s_or_b64 exec, exec, s[6:7]
	v_cmp_le_f32_e64 s[4:5], 0, v10
	v_cmp_nle_f32_e32 vcc, 0, v10
	s_and_saveexec_b64 s[6:7], vcc
	s_xor_b64 s[8:9], exec, s[6:7]
	s_cbranch_execz .LBB144_1789
; %bb.1786:
	s_mov_b32 s6, 0x4b000000
	s_mov_b32 s16, 0x35000000
	v_cmp_lt_f32_e64 s[6:7], |v10|, s6
	v_cmp_gt_f32_e64 s[16:17], |v10|, s16
	s_and_b64 s[6:7], s[6:7], s[16:17]
	s_and_saveexec_b64 s[16:17], s[6:7]
	s_cbranch_execz .LBB144_1788
; %bb.1787:
	v_mul_f32_e64 v9, |v10|, 0.5
	v_floor_f32_e32 v13, v9
	v_sub_f32_e32 v13, v9, v13
	v_min_f32_e32 v13, 0x3f7fffff, v13
	s_mov_b32 s18, 0x7f800000
	v_add_f32_e32 v13, v13, v13
	v_cmp_neq_f32_e32 vcc, s18, v9
	v_cndmask_b32_e32 v9, 0, v13, vcc
	v_cmp_gt_f32_e64 s[6:7], |v10|, 1.0
	v_cndmask_b32_e64 v9, |v10|, v9, s[6:7]
	v_add_f32_e32 v13, v9, v9
	v_rndne_f32_e32 v13, v13
	v_fmac_f32_e32 v9, -0.5, v13
	v_mul_f32_e32 v14, v9, v9
	v_mov_b32_e32 v15, 0xbf1f24be
	v_fmac_f32_e32 v15, 0x3e75aa41, v14
	v_mov_b32_e32 v16, 0x40234736
	v_fmac_f32_e32 v16, v14, v15
	;; [unrolled: 2-line block ×3, first 2 shown]
	v_mul_f32_e32 v16, v9, v14
	v_mul_f32_e32 v15, v16, v15
	v_fmac_f32_e32 v15, 0x40490fdb, v9
	v_mov_b32_e32 v9, 0x3e642e9d
	v_cvt_i32_f32_e32 v13, v13
	v_fmac_f32_e32 v9, 0x3d4be544, v14
	v_mov_b32_e32 v16, 0xbfaad1da
	v_fmac_f32_e32 v16, v14, v9
	v_mov_b32_e32 v9, 0x4081e0d3
	;; [unrolled: 2-line block ×3, first 2 shown]
	v_fmac_f32_e32 v16, v14, v9
	v_fma_f32 v9, v14, v16, 1.0
	v_and_b32_e32 v14, 1, v13
	v_lshlrev_b32_e32 v13, 30, v13
	v_cmp_eq_u32_e32 vcc, 0, v14
	v_and_b32_e32 v13, 0x80000000, v13
	v_xor_b32_e32 v8, v8, v10
	v_cndmask_b32_e32 v9, v9, v15, vcc
	v_xor_b32_e32 v8, v8, v13
	v_xor_b32_e32 v8, v8, v9
	v_mul_f32_e32 v8, v10, v8
	v_frexp_mant_f32_e64 v9, |v8|
	v_rcp_f32_e32 v9, v9
	v_frexp_exp_i32_f32_e32 v8, v8
	v_sub_u32_e32 v8, 2, v8
	s_mov_b32 s6, 0x800000
	v_mul_f32_e32 v9, 0x3f490fdb, v9
	v_ldexp_f32 v8, v9, v8
	v_cmp_gt_f32_e32 vcc, s6, v8
	v_cndmask_b32_e64 v9, 0, 32, vcc
	v_ldexp_f32 v8, v8, v9
	v_log_f32_e32 v8, v8
	s_mov_b32 s6, 0x3f317217
	v_mul_f32_e32 v9, 0x3f317217, v8
	v_fma_f32 v13, v8, s6, -v9
	v_fmac_f32_e32 v13, 0x3377d1cf, v8
	v_add_f32_e32 v9, v9, v13
	v_cmp_lt_f32_e64 s[6:7], |v8|, s18
	v_cndmask_b32_e64 v8, v8, v9, s[6:7]
	v_mov_b32_e32 v9, 0x41b17218
	v_cndmask_b32_e32 v9, 0, v9, vcc
	v_sub_f32_e32 v8, v8, v9
	v_floor_f32_e32 v9, v10
	v_sub_f32_e32 v9, v10, v9
	v_min_f32_e32 v9, 0x3f7fffff, v9
	v_sub_f32_e32 v8, v8, v12
	v_mov_b32_e32 v12, 0x7f800000
	v_cmp_neq_f32_e32 vcc, 0, v9
	v_cndmask_b32_e32 v12, v12, v8, vcc
.LBB144_1788:
	s_or_b64 exec, exec, s[16:17]
.LBB144_1789:
	s_andn2_saveexec_b64 s[8:9], s[8:9]
; %bb.1790:
	v_cmp_eq_f32_e32 vcc, 1.0, v10
	v_cmp_eq_f32_e64 s[6:7], 2.0, v10
	s_or_b64 s[6:7], vcc, s[6:7]
	v_cndmask_b32_e64 v12, v12, 0, s[6:7]
; %bb.1791:
	s_or_b64 exec, exec, s[8:9]
	v_mov_b32_e32 v8, s15
	v_add_co_u32_e32 v7, vcc, s14, v7
	s_cmp_lt_i32 s21, 11
	v_addc_co_u32_e32 v8, vcc, 0, v8, vcc
	s_cbranch_scc1 .LBB144_1798
; %bb.1792:
	s_and_b32 s22, 0xffff, s21
	s_cmp_gt_i32 s22, 25
	s_mov_b64 s[8:9], 0
	s_cbranch_scc0 .LBB144_1799
; %bb.1793:
	s_cmp_gt_i32 s22, 28
	s_cbranch_scc0 .LBB144_1800
; %bb.1794:
	s_cmp_gt_i32 s22, 43
	;; [unrolled: 3-line block ×3, first 2 shown]
	s_cbranch_scc0 .LBB144_1803
; %bb.1796:
	s_cmp_eq_u32 s22, 46
	s_mov_b64 s[16:17], 0
	s_cbranch_scc0 .LBB144_1804
; %bb.1797:
	global_load_dword v9, v[7:8], off
	s_mov_b64 s[6:7], 0
	s_mov_b64 s[14:15], -1
	s_waitcnt vmcnt(0)
	v_lshlrev_b32_e32 v9, 16, v9
	s_branch .LBB144_1805
.LBB144_1798:
	s_mov_b64 s[6:7], -1
	s_mov_b64 s[14:15], 0
                                        ; implicit-def: $vgpr9
	s_branch .LBB144_1871
.LBB144_1799:
	s_mov_b64 s[16:17], -1
	s_mov_b64 s[14:15], 0
	s_mov_b64 s[6:7], 0
                                        ; implicit-def: $vgpr9
	s_branch .LBB144_1834
.LBB144_1800:
	s_mov_b64 s[16:17], -1
	s_mov_b64 s[14:15], 0
	s_mov_b64 s[6:7], 0
                                        ; implicit-def: $vgpr9
	s_branch .LBB144_1815
.LBB144_1801:
	s_mov_b64 s[16:17], -1
	s_mov_b64 s[14:15], 0
	s_mov_b64 s[6:7], 0
                                        ; implicit-def: $vgpr9
	s_branch .LBB144_1810
.LBB144_1802:
	s_trap 2
	s_or_b64 s[10:11], s[10:11], exec
	s_cbranch_execz .LBB144_1703
	s_branch .LBB144_1704
.LBB144_1803:
	s_mov_b64 s[16:17], -1
	s_mov_b64 s[14:15], 0
	s_mov_b64 s[6:7], 0
                                        ; implicit-def: $vgpr9
	s_branch .LBB144_1805
.LBB144_1804:
	s_mov_b64 s[6:7], -1
                                        ; implicit-def: $vgpr9
	s_mov_b64 s[14:15], 0
.LBB144_1805:
	s_and_b64 vcc, exec, s[16:17]
	s_cbranch_vccz .LBB144_1809
; %bb.1806:
	s_cmp_eq_u32 s22, 44
	s_cbranch_scc0 .LBB144_1808
; %bb.1807:
	global_load_ubyte v9, v[7:8], off
	s_movk_i32 s14, 0xff
	v_mov_b32_e32 v13, 0x7f800001
	v_mov_b32_e32 v14, 0x400000
	s_mov_b64 s[6:7], 0
	s_waitcnt vmcnt(0)
	v_lshlrev_b32_e32 v15, 23, v9
	v_cmp_ne_u32_e32 vcc, s14, v9
	v_cndmask_b32_e32 v13, v13, v15, vcc
	v_cmp_ne_u32_e32 vcc, 0, v9
	v_cndmask_b32_e32 v9, v14, v13, vcc
	s_mov_b64 s[14:15], -1
	s_branch .LBB144_1809
.LBB144_1808:
	s_mov_b64 s[6:7], -1
                                        ; implicit-def: $vgpr9
.LBB144_1809:
	s_mov_b64 s[16:17], 0
.LBB144_1810:
	s_and_b64 vcc, exec, s[16:17]
	s_cbranch_vccz .LBB144_1814
; %bb.1811:
	s_cmp_eq_u32 s22, 29
	s_cbranch_scc0 .LBB144_1813
; %bb.1812:
	global_load_dwordx2 v[13:14], v[7:8], off
	s_mov_b64 s[6:7], 0
	s_mov_b64 s[14:15], -1
	s_mov_b64 s[16:17], 0
	s_waitcnt vmcnt(0)
	v_ffbh_u32_e32 v9, v14
	v_min_u32_e32 v9, 32, v9
	v_lshlrev_b64 v[13:14], v9, v[13:14]
	v_sub_u32_e32 v9, 32, v9
	v_min_u32_e32 v13, 1, v13
	v_or_b32_e32 v13, v14, v13
	v_cvt_f32_u32_e32 v13, v13
	v_ldexp_f32 v9, v13, v9
	s_branch .LBB144_1815
.LBB144_1813:
	s_mov_b64 s[6:7], -1
                                        ; implicit-def: $vgpr9
.LBB144_1814:
	s_mov_b64 s[16:17], 0
.LBB144_1815:
	s_and_b64 vcc, exec, s[16:17]
	s_cbranch_vccz .LBB144_1833
; %bb.1816:
	s_cmp_lt_i32 s22, 27
	s_cbranch_scc1 .LBB144_1819
; %bb.1817:
	s_cmp_gt_i32 s22, 27
	s_cbranch_scc0 .LBB144_1820
; %bb.1818:
	global_load_dword v9, v[7:8], off
	s_mov_b64 s[14:15], 0
	s_waitcnt vmcnt(0)
	v_cvt_f32_u32_e32 v9, v9
	s_branch .LBB144_1821
.LBB144_1819:
	s_mov_b64 s[14:15], -1
                                        ; implicit-def: $vgpr9
	s_branch .LBB144_1824
.LBB144_1820:
	s_mov_b64 s[14:15], -1
                                        ; implicit-def: $vgpr9
.LBB144_1821:
	s_andn2_b64 vcc, exec, s[14:15]
	s_cbranch_vccnz .LBB144_1823
; %bb.1822:
	global_load_ushort v9, v[7:8], off
	s_waitcnt vmcnt(0)
	v_cvt_f32_u32_e32 v9, v9
.LBB144_1823:
	s_mov_b64 s[14:15], 0
.LBB144_1824:
	s_andn2_b64 vcc, exec, s[14:15]
	s_cbranch_vccnz .LBB144_1832
; %bb.1825:
	global_load_ubyte v13, v[7:8], off
	s_movk_i32 s14, 0x7f
	s_waitcnt vmcnt(0)
	v_cmp_lt_i16_e32 vcc, s14, v13
	s_mov_b64 s[14:15], 0
	s_and_saveexec_b64 s[16:17], vcc
	s_xor_b64 s[16:17], exec, s[16:17]
	s_cbranch_execz .LBB144_1846
; %bb.1826:
	s_movk_i32 s14, 0x80
	v_cmp_eq_u16_e32 vcc, s14, v13
	s_mov_b64 s[14:15], -1
	s_and_saveexec_b64 s[18:19], vcc
; %bb.1827:
	s_xor_b64 s[14:15], exec, -1
; %bb.1828:
	s_or_b64 exec, exec, s[18:19]
	s_and_b64 s[14:15], s[14:15], exec
	s_or_saveexec_b64 s[16:17], s[16:17]
	v_mov_b32_e32 v9, 0x7f800001
	s_xor_b64 exec, exec, s[16:17]
	s_cbranch_execnz .LBB144_1847
.LBB144_1829:
	s_or_b64 exec, exec, s[16:17]
	s_and_saveexec_b64 s[16:17], s[14:15]
	s_cbranch_execz .LBB144_1831
.LBB144_1830:
	v_lshlrev_b32_e32 v9, 24, v13
	v_and_b32_e32 v13, 0xffff, v13
	v_and_b32_e32 v14, 7, v13
	v_ffbh_u32_e32 v16, v14
	v_min_u32_e32 v16, 32, v16
	v_subrev_u32_e32 v17, 28, v16
	v_bfe_u32 v15, v13, 3, 4
	v_lshlrev_b32_e32 v13, v17, v13
	v_sub_u32_e32 v16, 29, v16
	v_and_b32_e32 v13, 7, v13
	v_cmp_eq_u32_e32 vcc, 0, v15
	v_cndmask_b32_e32 v15, v15, v16, vcc
	v_cndmask_b32_e32 v13, v14, v13, vcc
	v_mov_b32_e32 v14, 0x3b800000
	v_lshlrev_b32_e32 v13, 20, v13
	v_and_b32_e32 v9, 0x80000000, v9
	v_lshl_add_u32 v14, v15, 23, v14
	v_or3_b32 v9, v9, v14, v13
.LBB144_1831:
	s_or_b64 exec, exec, s[16:17]
.LBB144_1832:
	s_mov_b64 s[14:15], -1
.LBB144_1833:
	s_mov_b64 s[16:17], 0
.LBB144_1834:
	s_and_b64 vcc, exec, s[16:17]
	s_cbranch_vccz .LBB144_1867
; %bb.1835:
	s_cmp_gt_i32 s22, 22
	s_cbranch_scc0 .LBB144_1845
; %bb.1836:
	s_cmp_lt_i32 s22, 24
	s_cbranch_scc1 .LBB144_1848
; %bb.1837:
	s_cmp_gt_i32 s22, 24
	s_cbranch_scc0 .LBB144_1849
; %bb.1838:
	global_load_ubyte v13, v[7:8], off
	s_movk_i32 s8, 0x7f
	s_waitcnt vmcnt(0)
	v_cmp_lt_i16_e32 vcc, s8, v13
	s_mov_b64 s[8:9], 0
	s_and_saveexec_b64 s[14:15], vcc
	s_xor_b64 s[14:15], exec, s[14:15]
	s_cbranch_execz .LBB144_1861
; %bb.1839:
	s_movk_i32 s8, 0x80
	v_cmp_eq_u16_e32 vcc, s8, v13
	s_mov_b64 s[8:9], -1
	s_and_saveexec_b64 s[16:17], vcc
; %bb.1840:
	s_xor_b64 s[8:9], exec, -1
; %bb.1841:
	s_or_b64 exec, exec, s[16:17]
	s_and_b64 s[8:9], s[8:9], exec
	s_or_saveexec_b64 s[14:15], s[14:15]
	v_mov_b32_e32 v9, 0x7f800001
	s_xor_b64 exec, exec, s[14:15]
	s_cbranch_execnz .LBB144_1862
.LBB144_1842:
	s_or_b64 exec, exec, s[14:15]
	s_and_saveexec_b64 s[14:15], s[8:9]
	s_cbranch_execz .LBB144_1844
.LBB144_1843:
	v_lshlrev_b32_e32 v9, 24, v13
	v_and_b32_e32 v13, 0xffff, v13
	v_and_b32_e32 v14, 3, v13
	v_ffbh_u32_e32 v16, v14
	v_min_u32_e32 v16, 32, v16
	v_subrev_u32_e32 v17, 29, v16
	v_bfe_u32 v15, v13, 2, 5
	v_lshlrev_b32_e32 v13, v17, v13
	v_sub_u32_e32 v16, 30, v16
	v_and_b32_e32 v13, 3, v13
	v_cmp_eq_u32_e32 vcc, 0, v15
	v_cndmask_b32_e32 v15, v15, v16, vcc
	v_cndmask_b32_e32 v13, v14, v13, vcc
	v_mov_b32_e32 v14, 0x37800000
	v_lshlrev_b32_e32 v13, 21, v13
	v_and_b32_e32 v9, 0x80000000, v9
	v_lshl_add_u32 v14, v15, 23, v14
	v_or3_b32 v9, v9, v14, v13
.LBB144_1844:
	s_or_b64 exec, exec, s[14:15]
	s_mov_b64 s[8:9], 0
	s_branch .LBB144_1850
.LBB144_1845:
	s_mov_b64 s[8:9], -1
                                        ; implicit-def: $vgpr9
	s_branch .LBB144_1856
.LBB144_1846:
	s_or_saveexec_b64 s[16:17], s[16:17]
	v_mov_b32_e32 v9, 0x7f800001
	s_xor_b64 exec, exec, s[16:17]
	s_cbranch_execz .LBB144_1829
.LBB144_1847:
	v_cmp_ne_u16_e32 vcc, 0, v13
	s_andn2_b64 s[14:15], s[14:15], exec
	s_and_b64 s[18:19], vcc, exec
	v_mov_b32_e32 v9, 0
	s_or_b64 s[14:15], s[14:15], s[18:19]
	s_or_b64 exec, exec, s[16:17]
	s_and_saveexec_b64 s[16:17], s[14:15]
	s_cbranch_execnz .LBB144_1830
	s_branch .LBB144_1831
.LBB144_1848:
	s_mov_b64 s[8:9], -1
                                        ; implicit-def: $vgpr9
	s_branch .LBB144_1853
.LBB144_1849:
	s_mov_b64 s[8:9], -1
                                        ; implicit-def: $vgpr9
.LBB144_1850:
	s_and_b64 vcc, exec, s[8:9]
	s_cbranch_vccz .LBB144_1852
; %bb.1851:
	global_load_ubyte v9, v[7:8], off
	s_mov_b32 s8, 0x7f800000
	s_waitcnt vmcnt(0)
	v_lshlrev_b32_e32 v9, 24, v9
	v_and_b32_e32 v13, 0x7f000000, v9
	v_ffbh_u32_e32 v14, v13
	v_min_u32_e32 v14, 32, v14
	v_sub_u32_e64 v14, v14, 4 clamp
	v_lshlrev_b32_e32 v16, v14, v13
	v_lshlrev_b32_e32 v14, 23, v14
	v_lshrrev_b32_e32 v16, 4, v16
	v_add_u32_e32 v15, 0x1000000, v13
	v_sub_u32_e32 v14, v16, v14
	v_ashrrev_i32_e32 v15, 8, v15
	v_add_u32_e32 v14, 0x3c000000, v14
	v_and_or_b32 v14, v15, s8, v14
	v_cmp_ne_u32_e32 vcc, 0, v13
	v_cndmask_b32_e32 v13, 0, v14, vcc
	s_brev_b32 s8, 1
	v_and_or_b32 v9, v9, s8, v13
.LBB144_1852:
	s_mov_b64 s[8:9], 0
.LBB144_1853:
	s_andn2_b64 vcc, exec, s[8:9]
	s_cbranch_vccnz .LBB144_1855
; %bb.1854:
	global_load_ubyte v9, v[7:8], off
	s_movk_i32 s8, 0x7f00
	s_brev_b32 s9, 16
	s_waitcnt vmcnt(0)
	v_lshlrev_b16_e32 v13, 8, v9
	v_lshlrev_b32_e32 v9, 25, v9
	v_lshrrev_b32_e32 v14, 4, v9
	v_and_or_b32 v15, v13, s8, 0.5
	v_or_b32_e32 v14, 0x70000000, v14
	v_add_f32_e32 v15, -0.5, v15
	v_mul_f32_e32 v14, 0x7800000, v14
	v_cmp_gt_u32_e32 vcc, s9, v9
	v_bfe_i32 v13, v13, 0, 16
	v_cndmask_b32_e32 v9, v14, v15, vcc
	s_brev_b32 s8, 1
	v_and_or_b32 v9, v13, s8, v9
.LBB144_1855:
	s_mov_b64 s[8:9], 0
	s_mov_b64 s[14:15], -1
.LBB144_1856:
	s_andn2_b64 vcc, exec, s[8:9]
	s_mov_b64 s[8:9], 0
	s_cbranch_vccnz .LBB144_1867
; %bb.1857:
	s_cmp_gt_i32 s22, 14
	s_cbranch_scc0 .LBB144_1860
; %bb.1858:
	s_cmp_eq_u32 s22, 15
	s_cbranch_scc0 .LBB144_1863
; %bb.1859:
	global_load_ushort v9, v[7:8], off
	s_mov_b64 s[6:7], 0
	s_mov_b64 s[14:15], -1
	s_waitcnt vmcnt(0)
	v_lshlrev_b32_e32 v9, 16, v9
	s_branch .LBB144_1864
.LBB144_1860:
	s_mov_b64 s[16:17], -1
                                        ; implicit-def: $vgpr9
	s_branch .LBB144_1865
.LBB144_1861:
	s_or_saveexec_b64 s[14:15], s[14:15]
	v_mov_b32_e32 v9, 0x7f800001
	s_xor_b64 exec, exec, s[14:15]
	s_cbranch_execz .LBB144_1842
.LBB144_1862:
	v_cmp_ne_u16_e32 vcc, 0, v13
	s_andn2_b64 s[8:9], s[8:9], exec
	s_and_b64 s[16:17], vcc, exec
	v_mov_b32_e32 v9, 0
	s_or_b64 s[8:9], s[8:9], s[16:17]
	s_or_b64 exec, exec, s[14:15]
	s_and_saveexec_b64 s[14:15], s[8:9]
	s_cbranch_execnz .LBB144_1843
	s_branch .LBB144_1844
.LBB144_1863:
	s_mov_b64 s[6:7], -1
                                        ; implicit-def: $vgpr9
.LBB144_1864:
	s_mov_b64 s[16:17], 0
.LBB144_1865:
	s_and_b64 vcc, exec, s[16:17]
	s_cbranch_vccz .LBB144_1867
; %bb.1866:
	s_cmp_lg_u32 s22, 11
	s_mov_b64 s[8:9], -1
	s_cselect_b64 s[6:7], -1, 0
.LBB144_1867:
	s_and_b64 vcc, exec, s[6:7]
	s_cbranch_vccnz .LBB144_2438
; %bb.1868:
	s_andn2_b64 vcc, exec, s[8:9]
	s_cbranch_vccnz .LBB144_1870
.LBB144_1869:
	global_load_ubyte v9, v[7:8], off
	s_mov_b64 s[14:15], -1
	s_waitcnt vmcnt(0)
	v_cmp_ne_u16_e32 vcc, 0, v9
	v_cndmask_b32_e64 v9, 0, 1.0, vcc
.LBB144_1870:
	s_mov_b64 s[6:7], 0
.LBB144_1871:
	s_and_b64 vcc, exec, s[6:7]
	s_cbranch_vccz .LBB144_1920
; %bb.1872:
	s_and_b32 s8, 0xffff, s21
	s_cmp_lt_i32 s8, 5
	s_cbranch_scc1 .LBB144_1877
; %bb.1873:
	s_cmp_lt_i32 s8, 8
	s_cbranch_scc1 .LBB144_1878
; %bb.1874:
	;; [unrolled: 3-line block ×3, first 2 shown]
	s_cmp_gt_i32 s8, 9
	s_cbranch_scc0 .LBB144_1880
; %bb.1876:
	global_load_dwordx2 v[13:14], v[7:8], off
	s_mov_b64 s[6:7], 0
	s_waitcnt vmcnt(0)
	v_cvt_f32_f64_e32 v9, v[13:14]
	s_branch .LBB144_1881
.LBB144_1877:
	s_mov_b64 s[6:7], -1
                                        ; implicit-def: $vgpr9
	s_branch .LBB144_1899
.LBB144_1878:
	s_mov_b64 s[6:7], -1
                                        ; implicit-def: $vgpr9
	s_branch .LBB144_1887
.LBB144_1879:
	s_mov_b64 s[6:7], -1
                                        ; implicit-def: $vgpr9
	s_branch .LBB144_1884
.LBB144_1880:
	s_mov_b64 s[6:7], -1
                                        ; implicit-def: $vgpr9
.LBB144_1881:
	s_andn2_b64 vcc, exec, s[6:7]
	s_cbranch_vccnz .LBB144_1883
; %bb.1882:
	global_load_dword v9, v[7:8], off
.LBB144_1883:
	s_mov_b64 s[6:7], 0
.LBB144_1884:
	s_andn2_b64 vcc, exec, s[6:7]
	s_cbranch_vccnz .LBB144_1886
; %bb.1885:
	global_load_dword v9, v[7:8], off
	s_waitcnt vmcnt(0)
	v_cvt_f32_f16_e32 v9, v9
.LBB144_1886:
	s_mov_b64 s[6:7], 0
.LBB144_1887:
	s_andn2_b64 vcc, exec, s[6:7]
	s_cbranch_vccnz .LBB144_1898
; %bb.1888:
	s_cmp_lt_i32 s8, 6
	s_cbranch_scc1 .LBB144_1891
; %bb.1889:
	s_cmp_gt_i32 s8, 6
	s_cbranch_scc0 .LBB144_1892
; %bb.1890:
	global_load_dwordx2 v[13:14], v[7:8], off
	s_mov_b64 s[6:7], 0
	s_waitcnt vmcnt(0)
	v_cvt_f32_f64_e32 v9, v[13:14]
	s_branch .LBB144_1893
.LBB144_1891:
	s_mov_b64 s[6:7], -1
                                        ; implicit-def: $vgpr9
	s_branch .LBB144_1896
.LBB144_1892:
	s_mov_b64 s[6:7], -1
                                        ; implicit-def: $vgpr9
.LBB144_1893:
	s_andn2_b64 vcc, exec, s[6:7]
	s_cbranch_vccnz .LBB144_1895
; %bb.1894:
	global_load_dword v9, v[7:8], off
.LBB144_1895:
	s_mov_b64 s[6:7], 0
.LBB144_1896:
	s_andn2_b64 vcc, exec, s[6:7]
	s_cbranch_vccnz .LBB144_1898
; %bb.1897:
	global_load_ushort v9, v[7:8], off
	s_waitcnt vmcnt(0)
	v_cvt_f32_f16_e32 v9, v9
.LBB144_1898:
	s_mov_b64 s[6:7], 0
.LBB144_1899:
	s_andn2_b64 vcc, exec, s[6:7]
	s_cbranch_vccnz .LBB144_1919
; %bb.1900:
	s_cmp_lt_i32 s8, 2
	s_cbranch_scc1 .LBB144_1904
; %bb.1901:
	s_cmp_lt_i32 s8, 3
	s_cbranch_scc1 .LBB144_1905
; %bb.1902:
	s_cmp_gt_i32 s8, 3
	s_cbranch_scc0 .LBB144_1906
; %bb.1903:
	global_load_dwordx2 v[13:14], v[7:8], off
	s_mov_b64 s[6:7], 0
	s_waitcnt vmcnt(0)
	v_xor_b32_e32 v15, v13, v14
	v_ffbh_i32_e32 v9, v14
	v_ashrrev_i32_e32 v15, 31, v15
	v_add_u32_e32 v9, -1, v9
	v_add_u32_e32 v15, 32, v15
	v_min_u32_e32 v9, v9, v15
	v_lshlrev_b64 v[13:14], v9, v[13:14]
	v_sub_u32_e32 v9, 32, v9
	v_min_u32_e32 v13, 1, v13
	v_or_b32_e32 v13, v14, v13
	v_cvt_f32_i32_e32 v13, v13
	v_ldexp_f32 v9, v13, v9
	s_branch .LBB144_1907
.LBB144_1904:
	s_mov_b64 s[6:7], -1
                                        ; implicit-def: $vgpr9
	s_branch .LBB144_1913
.LBB144_1905:
	s_mov_b64 s[6:7], -1
                                        ; implicit-def: $vgpr9
	s_branch .LBB144_1910
.LBB144_1906:
	s_mov_b64 s[6:7], -1
                                        ; implicit-def: $vgpr9
.LBB144_1907:
	s_andn2_b64 vcc, exec, s[6:7]
	s_cbranch_vccnz .LBB144_1909
; %bb.1908:
	global_load_dword v9, v[7:8], off
	s_waitcnt vmcnt(0)
	v_cvt_f32_i32_e32 v9, v9
.LBB144_1909:
	s_mov_b64 s[6:7], 0
.LBB144_1910:
	s_andn2_b64 vcc, exec, s[6:7]
	s_cbranch_vccnz .LBB144_1912
; %bb.1911:
	global_load_sshort v9, v[7:8], off
	s_waitcnt vmcnt(0)
	v_cvt_f32_i32_e32 v9, v9
.LBB144_1912:
	s_mov_b64 s[6:7], 0
.LBB144_1913:
	s_andn2_b64 vcc, exec, s[6:7]
	s_cbranch_vccnz .LBB144_1919
; %bb.1914:
	s_cmp_gt_i32 s8, 0
	s_cbranch_scc0 .LBB144_1916
; %bb.1915:
	global_load_sbyte v9, v[7:8], off
	s_mov_b64 s[6:7], 0
	s_waitcnt vmcnt(0)
	v_cvt_f32_i32_e32 v9, v9
	s_branch .LBB144_1917
.LBB144_1916:
	s_mov_b64 s[6:7], -1
                                        ; implicit-def: $vgpr9
.LBB144_1917:
	s_andn2_b64 vcc, exec, s[6:7]
	s_cbranch_vccnz .LBB144_1919
; %bb.1918:
	global_load_ubyte v7, v[7:8], off
	s_waitcnt vmcnt(0)
	v_cvt_f32_ubyte0_e32 v9, v7
.LBB144_1919:
	s_mov_b64 s[14:15], -1
.LBB144_1920:
	s_andn2_b64 vcc, exec, s[14:15]
	s_cbranch_vccnz .LBB144_2392
; %bb.1921:
	s_mov_b32 s6, 0x3c800000
	s_waitcnt vmcnt(0)
	v_and_b32_e32 v7, 0x7fffffff, v9
	v_cmp_nlt_f32_e64 s[6:7], |v9|, s6
                                        ; implicit-def: $vgpr13
	s_and_saveexec_b64 s[8:9], s[6:7]
	s_xor_b64 s[8:9], exec, s[8:9]
	s_cbranch_execz .LBB144_1951
; %bb.1922:
	v_cmp_nlt_f32_e64 s[6:7], |v9|, 2.0
                                        ; implicit-def: $vgpr13
	s_and_saveexec_b64 s[14:15], s[6:7]
	s_xor_b64 s[14:15], exec, s[14:15]
	s_cbranch_execz .LBB144_1932
; %bb.1923:
	s_mov_b32 s6, 0x41000000
	v_cmp_nlt_f32_e64 s[6:7], |v9|, s6
                                        ; implicit-def: $vgpr13
	s_and_saveexec_b64 s[16:17], s[6:7]
	s_xor_b64 s[16:17], exec, s[16:17]
	s_cbranch_execz .LBB144_1929
; %bb.1924:
	s_mov_b32 s6, 0x5c800000
	v_cmp_nlt_f32_e64 s[6:7], |v9|, s6
                                        ; implicit-def: $vgpr13
	s_and_saveexec_b64 s[18:19], s[6:7]
	s_xor_b64 s[18:19], exec, s[18:19]
	s_cbranch_execz .LBB144_1926
; %bb.1925:
	s_mov_b32 s6, 0x800000
	v_cmp_lt_f32_e64 vcc, |v9|, s6
	v_cndmask_b32_e64 v8, 0, 32, vcc
	v_ldexp_f32 v8, |v9|, v8
	v_log_f32_e32 v8, v8
	s_mov_b32 s6, 0x3f317217
	s_mov_b32 s7, 0x7f800000
	v_mul_f32_e32 v13, 0x3f317217, v8
	v_fma_f32 v14, v8, s6, -v13
	v_fmac_f32_e32 v14, 0x3377d1cf, v8
	v_add_f32_e32 v13, v13, v14
	v_cmp_lt_f32_e64 s[6:7], |v8|, s7
	v_cndmask_b32_e64 v8, v8, v13, s[6:7]
	v_mov_b32_e32 v13, 0x41b17218
	v_cndmask_b32_e32 v13, 0, v13, vcc
	v_sub_f32_e32 v8, v8, v13
	v_fma_f32 v13, |v9|, v8, -|v9|
.LBB144_1926:
	s_andn2_saveexec_b64 s[18:19], s[18:19]
	s_cbranch_execz .LBB144_1928
; %bb.1927:
	v_rcp_f32_e64 v8, |v9|
	v_mov_b32_e32 v13, 0x3a5b3dd2
	v_mov_b32_e32 v14, 0xba1c065c
	;; [unrolled: 1-line block ×3, first 2 shown]
	v_mul_f32_e32 v16, v8, v8
	v_fmac_f32_e32 v13, 0xbad5c4e8, v16
	v_fmac_f32_e32 v14, v16, v13
	s_mov_b32 s6, 0x800000
	v_fmac_f32_e32 v15, v16, v14
	v_mov_b32_e32 v13, 0xbb360b61
	v_cmp_lt_f32_e64 vcc, |v9|, s6
	v_fmac_f32_e32 v13, v16, v15
	v_cndmask_b32_e64 v15, 0, 32, vcc
	v_ldexp_f32 v15, |v9|, v15
	v_log_f32_e32 v15, v15
	v_mov_b32_e32 v14, 0x3daaaaab
	v_fmac_f32_e32 v14, v16, v13
	v_mov_b32_e32 v13, 0x3ed67f1d
	v_fmac_f32_e32 v13, v8, v14
	s_mov_b32 s6, 0x3f317217
	v_mul_f32_e32 v14, 0x3f317217, v15
	v_fma_f32 v16, v15, s6, -v14
	v_fmac_f32_e32 v16, 0x3377d1cf, v15
	s_mov_b32 s6, 0x7f800000
	v_add_f32_e32 v14, v14, v16
	v_cmp_lt_f32_e64 s[6:7], |v15|, s6
	v_cndmask_b32_e64 v14, v15, v14, s[6:7]
	v_mov_b32_e32 v15, 0x41b17218
	v_cndmask_b32_e32 v15, 0, v15, vcc
	v_sub_f32_e32 v14, v14, v15
	v_add_f32_e64 v8, |v9|, -0.5
	v_add_f32_e32 v14, -1.0, v14
	v_fmac_f32_e32 v13, v8, v14
.LBB144_1928:
	s_or_b64 exec, exec, s[18:19]
.LBB144_1929:
	s_andn2_saveexec_b64 s[16:17], s[16:17]
	s_cbranch_execz .LBB144_1931
; %bb.1930:
	v_cvt_i32_f32_e32 v8, v7
	v_mov_b32_e32 v13, 0x3af135b4
	v_mov_b32_e32 v14, 0x3cda40e4
	v_mov_b32_e32 v15, 0x3e15dce6
	v_cvt_f32_i32_e32 v16, v8
	v_mov_b32_e32 v17, 0x3ea6cc7a
	v_mov_b32_e32 v18, 0x3e5c245a
	v_cmp_lt_i32_e32 vcc, 2, v8
	v_sub_f32_e64 v16, |v9|, v16
	v_fmac_f32_e32 v13, 0x3805ff67, v16
	v_fmac_f32_e32 v14, v16, v13
	;; [unrolled: 1-line block ×3, first 2 shown]
	v_mov_b32_e32 v14, 0x3a4beed6
	v_fmac_f32_e32 v17, v16, v15
	v_fmac_f32_e32 v14, 0x36f5d7bd, v16
	v_mov_b32_e32 v15, 0x3c98bf54
	v_fmac_f32_e32 v15, v16, v14
	v_mov_b32_e32 v14, 0x3e300f6e
	;; [unrolled: 2-line block ×4, first 2 shown]
	v_fmac_f32_e32 v14, v16, v15
	v_add_f32_e32 v15, 2.0, v16
	v_mov_b32_e32 v19, 0xbd9e233f
	v_fmac_f32_e32 v18, v16, v17
	v_add_f32_e32 v17, 0x40400000, v16
	v_cndmask_b32_e32 v15, 1.0, v15, vcc
	v_cmp_lt_i32_e32 vcc, 3, v8
	v_fmac_f32_e32 v19, v16, v18
	v_add_f32_e32 v18, 4.0, v16
	v_cndmask_b32_e32 v17, 1.0, v17, vcc
	v_cmp_lt_i32_e32 vcc, 4, v8
	v_mul_f32_e32 v13, v16, v19
	v_add_f32_e32 v19, 0x40a00000, v16
	v_mul_f32_e32 v15, v15, v17
	v_cndmask_b32_e32 v17, 1.0, v18, vcc
	v_cmp_lt_i32_e32 vcc, 5, v8
	v_add_f32_e32 v20, 0x40c00000, v16
	v_mul_f32_e32 v15, v17, v15
	v_cndmask_b32_e32 v17, 1.0, v19, vcc
	v_cmp_lt_i32_e32 vcc, 6, v8
	v_mul_f32_e32 v15, v17, v15
	v_cndmask_b32_e32 v8, 1.0, v20, vcc
	v_mul_f32_e32 v8, v8, v15
	s_mov_b32 s6, 0x800000
	v_cmp_gt_f32_e32 vcc, s6, v8
	v_cndmask_b32_e64 v15, 0, 32, vcc
	v_fma_f32 v14, v16, v14, 1.0
	v_ldexp_f32 v8, v8, v15
	v_rcp_f32_e32 v14, v14
	v_log_f32_e32 v8, v8
	s_mov_b32 s6, 0x3f317217
	v_mul_f32_e32 v13, v13, v14
	v_mul_f32_e32 v14, 0x3f317217, v8
	v_fma_f32 v15, v8, s6, -v14
	v_fmac_f32_e32 v15, 0x3377d1cf, v8
	s_mov_b32 s6, 0x7f800000
	v_add_f32_e32 v14, v14, v15
	v_cmp_lt_f32_e64 s[6:7], |v8|, s6
	v_cndmask_b32_e64 v8, v8, v14, s[6:7]
	v_mov_b32_e32 v14, 0x41b17218
	v_cndmask_b32_e32 v14, 0, v14, vcc
	v_fmac_f32_e32 v13, 0.5, v16
	v_sub_f32_e32 v8, v8, v14
	v_add_f32_e32 v13, v8, v13
.LBB144_1931:
	s_or_b64 exec, exec, s[16:17]
.LBB144_1932:
	s_andn2_saveexec_b64 s[14:15], s[14:15]
	s_cbranch_execz .LBB144_1950
; %bb.1933:
	s_mov_b32 s6, 0x3f666666
	v_cmp_le_f32_e64 s[6:7], |v9|, s6
                                        ; implicit-def: $vgpr13
                                        ; implicit-def: $vgpr14
                                        ; implicit-def: $vgpr8
	s_and_saveexec_b64 s[16:17], s[6:7]
	s_xor_b64 s[16:17], exec, s[16:17]
	s_cbranch_execz .LBB144_1935
; %bb.1934:
	s_mov_b32 s6, 0x800000
	v_cmp_lt_f32_e64 vcc, |v9|, s6
	v_cndmask_b32_e64 v8, 0, 32, vcc
	v_ldexp_f32 v8, |v9|, v8
	v_log_f32_e32 v8, v8
	s_mov_b32 s6, 0x3f317217
	s_mov_b32 s7, 0x7f800000
	v_mul_f32_e32 v13, 0x3f317217, v8
	v_fma_f32 v14, v8, s6, -v13
	v_fmac_f32_e32 v14, 0x3377d1cf, v8
	v_add_f32_e32 v13, v13, v14
	v_cmp_lt_f32_e64 s[6:7], |v8|, s7
	v_cndmask_b32_e64 v8, v8, v13, s[6:7]
	v_mov_b32_e32 v13, 0x41b17218
	v_cndmask_b32_e32 v13, 0, v13, vcc
	v_sub_f32_e32 v8, v8, v13
	s_mov_b32 s6, 0x3f3b4a23
	s_mov_b32 s7, 0xbeec5b0c
	v_xor_b32_e32 v13, 0x80000000, v8
	v_sub_f32_e64 v8, 1.0, |v9|
	v_add_f32_e64 v14, |v9|, s7
	v_cmp_lt_f32_e64 vcc, |v9|, s6
	s_mov_b32 s6, 0x3e6d3309
	v_cndmask_b32_e32 v8, v8, v14, vcc
	v_cndmask_b32_e64 v14, 0, 1, vcc
	v_cmp_lt_f32_e64 s[6:7], |v9|, s6
	v_cndmask_b32_e64 v8, v8, |v9|, s[6:7]
	v_cndmask_b32_e64 v14, v14, 2, s[6:7]
.LBB144_1935:
	s_andn2_saveexec_b64 s[6:7], s[16:17]
	s_cbranch_execz .LBB144_1937
; %bb.1936:
	s_mov_b32 s16, 0x3fdda512
	s_mov_b32 s17, 0xbfbb16c3
	v_sub_f32_e64 v8, 2.0, |v9|
	v_add_f32_e64 v13, |v9|, s17
	v_cmp_lt_f32_e64 vcc, |v9|, s16
	v_cndmask_b32_e32 v13, v8, v13, vcc
	v_cndmask_b32_e64 v8, v8, 1.0, vcc
	v_cvt_i32_f32_e32 v14, v8
	s_mov_b32 s16, 0x3f9d70a4
	v_add_f32_e64 v8, |v9|, -1.0
	v_cmp_lt_f32_e64 vcc, |v9|, s16
	v_cndmask_b32_e32 v8, v13, v8, vcc
	v_cndmask_b32_e64 v14, v14, 2, vcc
	v_mov_b32_e32 v13, 0
.LBB144_1937:
	s_or_b64 exec, exec, s[6:7]
	v_cmp_lt_i32_e32 vcc, 0, v14
	s_and_saveexec_b64 s[6:7], vcc
	s_xor_b64 s[6:7], exec, s[6:7]
	s_cbranch_execz .LBB144_1945
; %bb.1938:
	v_cmp_lt_i32_e32 vcc, 1, v14
	s_and_saveexec_b64 s[16:17], vcc
	s_xor_b64 s[16:17], exec, s[16:17]
	s_cbranch_execz .LBB144_1942
; %bb.1939:
	v_cmp_eq_u32_e32 vcc, 2, v14
	s_and_saveexec_b64 s[18:19], vcc
	s_cbranch_execz .LBB144_1941
; %bb.1940:
	v_mov_b32_e32 v14, 0x3e6a7578
	v_fmac_f32_e32 v14, 0x3c5b3c5e, v8
	v_mov_b32_e32 v15, 0x3f7a4bb2
	v_fmac_f32_e32 v15, v8, v14
	;; [unrolled: 2-line block ×8, first 2 shown]
	v_fma_f32 v14, v8, v16, 1.0
	v_rcp_f32_e32 v14, v14
	v_mov_b32_e32 v16, 0xbd9e233f
	v_fmac_f32_e32 v16, v8, v15
	v_mul_f32_e32 v15, v8, v16
	v_mul_f32_e32 v14, v15, v14
	v_fmac_f32_e32 v14, -0.5, v8
	v_add_f32_e32 v13, v13, v14
.LBB144_1941:
	s_or_b64 exec, exec, s[18:19]
                                        ; implicit-def: $vgpr8
.LBB144_1942:
	s_andn2_saveexec_b64 s[16:17], s[16:17]
	s_cbranch_execz .LBB144_1944
; %bb.1943:
	v_mul_f32_e32 v14, v8, v8
	v_mul_f32_e32 v15, v8, v14
	v_mov_b32_e32 v16, 0xbab7f476
	v_fmac_f32_e32 v16, 0x39a57b6b, v15
	v_mov_b32_e32 v17, 0x3bc7e707
	v_fmac_f32_e32 v17, v15, v16
	;; [unrolled: 2-line block ×12, first 2 shown]
	v_fmac_f32_e32 v18, v8, v19
	s_mov_b32 s18, 0xa2863e55
	v_fma_f32 v8, v15, -v18, s18
	v_fma_f32 v8, v14, v17, -v8
	v_add_f32_e32 v8, 0xbdf8cdce, v8
	v_add_f32_e32 v13, v13, v8
.LBB144_1944:
	s_or_b64 exec, exec, s[16:17]
                                        ; implicit-def: $vgpr14
                                        ; implicit-def: $vgpr8
.LBB144_1945:
	s_andn2_saveexec_b64 s[6:7], s[6:7]
	s_cbranch_execz .LBB144_1949
; %bb.1946:
	v_cmp_eq_u32_e32 vcc, 0, v14
	s_and_saveexec_b64 s[16:17], vcc
	s_cbranch_execz .LBB144_1948
; %bb.1947:
	v_mul_f32_e32 v14, v8, v8
	v_mov_b32_e32 v15, 0x39679767
	v_fmac_f32_e32 v15, 0x37d383a2, v14
	v_mov_b32_e32 v16, 0x3a9c54a1
	v_fmac_f32_e32 v16, v14, v15
	;; [unrolled: 2-line block ×10, first 2 shown]
	v_mul_f32_e32 v14, v14, v16
	v_fmac_f32_e32 v14, v8, v15
	v_fmac_f32_e32 v14, -0.5, v8
	v_add_f32_e32 v13, v13, v14
.LBB144_1948:
	s_or_b64 exec, exec, s[16:17]
.LBB144_1949:
	s_or_b64 exec, exec, s[6:7]
.LBB144_1950:
	s_or_b64 exec, exec, s[14:15]
.LBB144_1951:
	s_andn2_saveexec_b64 s[8:9], s[8:9]
	s_cbranch_execz .LBB144_1953
; %bb.1952:
	s_mov_b32 s6, 0x3e8a8991
	v_mov_b32_e32 v8, 0xbecd26ab
	v_fma_f32 v8, |v9|, s6, v8
	s_mov_b32 s6, 0x3f528d33
	v_fma_f32 v8, |v9|, v8, s6
	s_mov_b32 s6, 0x800000
	v_cmp_lt_f32_e64 vcc, |v9|, s6
	v_cndmask_b32_e64 v13, 0, 32, vcc
	v_ldexp_f32 v13, |v9|, v13
	v_log_f32_e32 v13, v13
	s_mov_b32 s6, 0xbf13c468
	v_fma_f32 v8, |v9|, v8, s6
	s_mov_b32 s6, 0x3f317217
	v_mul_f32_e32 v14, 0x3f317217, v13
	v_fma_f32 v15, v13, s6, -v14
	v_fmac_f32_e32 v15, 0x3377d1cf, v13
	s_mov_b32 s6, 0x7f800000
	v_add_f32_e32 v14, v14, v15
	v_cmp_lt_f32_e64 s[6:7], |v13|, s6
	v_cndmask_b32_e64 v13, v13, v14, s[6:7]
	v_mov_b32_e32 v14, 0x41b17218
	v_cndmask_b32_e32 v14, 0, v14, vcc
	v_sub_f32_e32 v13, v13, v14
	v_fma_f32 v13, |v9|, v8, -v13
.LBB144_1953:
	s_or_b64 exec, exec, s[8:9]
	v_cmp_le_f32_e64 s[6:7], 0, v9
	v_cmp_nle_f32_e32 vcc, 0, v9
	s_and_saveexec_b64 s[8:9], vcc
	s_xor_b64 s[14:15], exec, s[8:9]
	s_cbranch_execz .LBB144_1957
; %bb.1954:
	s_mov_b32 s8, 0x4b000000
	s_mov_b32 s16, 0x35000000
	v_cmp_lt_f32_e64 s[8:9], |v9|, s8
	v_cmp_gt_f32_e64 s[16:17], |v9|, s16
	s_and_b64 s[8:9], s[8:9], s[16:17]
	s_and_saveexec_b64 s[16:17], s[8:9]
	s_cbranch_execz .LBB144_1956
; %bb.1955:
	v_mul_f32_e64 v8, |v9|, 0.5
	v_floor_f32_e32 v14, v8
	v_sub_f32_e32 v14, v8, v14
	v_min_f32_e32 v14, 0x3f7fffff, v14
	s_mov_b32 s18, 0x7f800000
	v_add_f32_e32 v14, v14, v14
	v_cmp_neq_f32_e32 vcc, s18, v8
	v_cndmask_b32_e32 v8, 0, v14, vcc
	v_cmp_gt_f32_e64 s[8:9], |v9|, 1.0
	v_cndmask_b32_e64 v8, |v9|, v8, s[8:9]
	v_add_f32_e32 v14, v8, v8
	v_rndne_f32_e32 v14, v14
	v_fmac_f32_e32 v8, -0.5, v14
	v_mul_f32_e32 v15, v8, v8
	v_mov_b32_e32 v16, 0xbf1f24be
	v_fmac_f32_e32 v16, 0x3e75aa41, v15
	v_mov_b32_e32 v17, 0x40234736
	v_fmac_f32_e32 v17, v15, v16
	;; [unrolled: 2-line block ×3, first 2 shown]
	v_mul_f32_e32 v17, v8, v15
	v_mul_f32_e32 v16, v17, v16
	v_fmac_f32_e32 v16, 0x40490fdb, v8
	v_mov_b32_e32 v8, 0x3e642e9d
	v_cvt_i32_f32_e32 v14, v14
	v_fmac_f32_e32 v8, 0x3d4be544, v15
	v_mov_b32_e32 v17, 0xbfaad1da
	v_fmac_f32_e32 v17, v15, v8
	v_mov_b32_e32 v8, 0x4081e0d3
	;; [unrolled: 2-line block ×3, first 2 shown]
	v_fmac_f32_e32 v17, v15, v8
	v_fma_f32 v8, v15, v17, 1.0
	v_and_b32_e32 v15, 1, v14
	v_lshlrev_b32_e32 v14, 30, v14
	v_cmp_eq_u32_e32 vcc, 0, v15
	v_and_b32_e32 v14, 0x80000000, v14
	v_xor_b32_e32 v7, v7, v9
	v_cndmask_b32_e32 v8, v8, v16, vcc
	v_xor_b32_e32 v7, v7, v14
	v_xor_b32_e32 v7, v7, v8
	v_mul_f32_e32 v7, v9, v7
	v_frexp_mant_f32_e64 v8, |v7|
	v_rcp_f32_e32 v8, v8
	v_frexp_exp_i32_f32_e32 v7, v7
	v_sub_u32_e32 v7, 2, v7
	s_mov_b32 s8, 0x800000
	v_mul_f32_e32 v8, 0x3f490fdb, v8
	v_ldexp_f32 v7, v8, v7
	v_cmp_gt_f32_e32 vcc, s8, v7
	v_cndmask_b32_e64 v8, 0, 32, vcc
	v_ldexp_f32 v7, v7, v8
	v_log_f32_e32 v7, v7
	s_mov_b32 s8, 0x3f317217
	v_mul_f32_e32 v8, 0x3f317217, v7
	v_fma_f32 v14, v7, s8, -v8
	v_fmac_f32_e32 v14, 0x3377d1cf, v7
	v_add_f32_e32 v8, v8, v14
	v_cmp_lt_f32_e64 s[8:9], |v7|, s18
	v_cndmask_b32_e64 v7, v7, v8, s[8:9]
	v_mov_b32_e32 v8, 0x41b17218
	v_cndmask_b32_e32 v8, 0, v8, vcc
	v_sub_f32_e32 v7, v7, v8
	v_floor_f32_e32 v8, v9
	v_sub_f32_e32 v8, v9, v8
	v_min_f32_e32 v8, 0x3f7fffff, v8
	v_sub_f32_e32 v7, v7, v13
	v_mov_b32_e32 v13, 0x7f800000
	v_cmp_neq_f32_e32 vcc, 0, v8
	v_cndmask_b32_e32 v13, v13, v7, vcc
.LBB144_1956:
	s_or_b64 exec, exec, s[16:17]
.LBB144_1957:
	s_andn2_saveexec_b64 s[14:15], s[14:15]
; %bb.1958:
	v_cmp_eq_f32_e32 vcc, 1.0, v9
	v_cmp_eq_f32_e64 s[8:9], 2.0, v9
	s_or_b64 s[8:9], vcc, s[8:9]
	v_cndmask_b32_e64 v13, v13, 0, s[8:9]
; %bb.1959:
	s_or_b64 exec, exec, s[14:15]
	s_mov_b32 s8, 0x4b000000
	v_cmp_lt_f32_e64 s[8:9], |v1|, s8
	v_mov_b32_e32 v7, 0x264
	v_mov_b32_e32 v8, 0x7f800000
	s_or_b64 vcc, s[0:1], s[8:9]
	v_cndmask_b32_e32 v5, v8, v5, vcc
	v_cmp_class_f32_e32 vcc, v1, v7
	v_cndmask_b32_e32 v5, v5, v8, vcc
	v_cmp_u_f32_e32 vcc, v1, v1
	s_bfe_u32 s21, s20, 0x80008
	v_cndmask_b32_e32 v7, v5, v1, vcc
	v_mov_b32_e32 v1, s13
	v_add_co_u32_e32 v5, vcc, s12, v6
	s_cmp_lt_i32 s21, 11
	v_addc_co_u32_e32 v6, vcc, 0, v1, vcc
	s_cbranch_scc1 .LBB144_2037
; %bb.1960:
	s_and_b32 s22, 0xffff, s21
	s_mov_b64 s[16:17], -1
	s_mov_b64 s[8:9], 0
	s_cmp_gt_i32 s22, 25
	s_mov_b64 s[14:15], 0
	s_mov_b64 s[0:1], 0
	s_cbranch_scc0 .LBB144_1993
; %bb.1961:
	s_cmp_gt_i32 s22, 28
	s_cbranch_scc0 .LBB144_1976
; %bb.1962:
	s_cmp_gt_i32 s22, 43
	;; [unrolled: 3-line block ×3, first 2 shown]
	s_cbranch_scc0 .LBB144_1966
; %bb.1964:
	s_mov_b64 s[0:1], -1
	s_mov_b64 s[16:17], 0
	s_cmp_eq_u32 s22, 46
	s_cbranch_scc0 .LBB144_1966
; %bb.1965:
	v_bfe_u32 v1, v7, 16, 1
	s_movk_i32 s0, 0x7fff
	v_add3_u32 v1, v7, v1, s0
	v_cmp_o_f32_e32 vcc, v7, v7
	v_mov_b32_e32 v8, 0x7fc0
	v_cndmask_b32_sdwa v1, v8, v1, vcc dst_sel:DWORD dst_unused:UNUSED_PAD src0_sel:DWORD src1_sel:WORD_1
	global_store_dword v[5:6], v1, off
	s_mov_b64 s[0:1], 0
	s_mov_b64 s[14:15], -1
.LBB144_1966:
	s_and_b64 vcc, exec, s[16:17]
	s_cbranch_vccz .LBB144_1971
; %bb.1967:
	s_cmp_eq_u32 s22, 44
	s_mov_b64 s[0:1], -1
	s_cbranch_scc0 .LBB144_1971
; %bb.1968:
	v_bfe_u32 v1, v7, 23, 8
	s_movk_i32 s0, 0xff
	v_cmp_ne_u32_e32 vcc, s0, v1
	v_mov_b32_e32 v8, 0xff
	s_and_saveexec_b64 s[14:15], vcc
; %bb.1969:
	s_mov_b32 s0, 0x3fffff
	v_and_b32_e32 v14, 0x400000, v7
	v_and_or_b32 v1, v7, s0, v1
	v_cmp_ne_u32_e32 vcc, 0, v14
	v_cmp_ne_u32_e64 s[0:1], 0, v1
	s_and_b64 s[0:1], vcc, s[0:1]
	v_lshrrev_b32_e32 v8, 23, v7
	v_cndmask_b32_e64 v1, 0, 1, s[0:1]
	v_add_u32_e32 v8, v8, v1
; %bb.1970:
	s_or_b64 exec, exec, s[14:15]
	s_mov_b64 s[0:1], 0
	s_mov_b64 s[14:15], -1
	global_store_byte v[5:6], v8, off
.LBB144_1971:
	s_mov_b64 s[16:17], 0
.LBB144_1972:
	s_and_b64 vcc, exec, s[16:17]
	s_cbranch_vccz .LBB144_1975
; %bb.1973:
	s_cmp_eq_u32 s22, 29
	s_mov_b64 s[0:1], -1
	s_cbranch_scc0 .LBB144_1975
; %bb.1974:
	v_trunc_f32_e32 v1, v7
	v_mul_f32_e32 v8, 0x2f800000, v1
	v_floor_f32_e32 v8, v8
	v_fmac_f32_e32 v1, 0xcf800000, v8
	v_cvt_u32_f32_e32 v15, v8
	v_cvt_u32_f32_e32 v14, v1
	s_mov_b64 s[0:1], 0
	s_mov_b64 s[14:15], -1
	global_store_dwordx2 v[5:6], v[14:15], off
.LBB144_1975:
	s_mov_b64 s[16:17], 0
.LBB144_1976:
	s_and_b64 vcc, exec, s[16:17]
	s_cbranch_vccz .LBB144_1992
; %bb.1977:
	s_cmp_lt_i32 s22, 27
	s_mov_b64 s[14:15], -1
	s_cbranch_scc1 .LBB144_1983
; %bb.1978:
	v_cvt_u32_f32_e32 v1, v7
	s_cmp_gt_i32 s22, 27
	s_cbranch_scc0 .LBB144_1980
; %bb.1979:
	s_mov_b64 s[14:15], 0
	global_store_dword v[5:6], v1, off
.LBB144_1980:
	s_andn2_b64 vcc, exec, s[14:15]
	s_cbranch_vccnz .LBB144_1982
; %bb.1981:
	global_store_short v[5:6], v1, off
.LBB144_1982:
	s_mov_b64 s[14:15], 0
.LBB144_1983:
	s_andn2_b64 vcc, exec, s[14:15]
	s_cbranch_vccnz .LBB144_1991
; %bb.1984:
	v_and_b32_e32 v1, 0x7fffffff, v7
	s_mov_b32 s14, 0x43800000
	v_cmp_gt_u32_e32 vcc, s14, v1
	v_mov_b32_e32 v8, 0x80
	s_and_saveexec_b64 s[14:15], vcc
	s_cbranch_execz .LBB144_1990
; %bb.1985:
	s_mov_b32 s16, 0x3bffffff
	v_cmp_lt_u32_e32 vcc, s16, v1
	s_mov_b64 s[16:17], 0
                                        ; implicit-def: $vgpr1
	s_and_saveexec_b64 s[18:19], vcc
	s_xor_b64 s[18:19], exec, s[18:19]
	s_cbranch_execz .LBB144_2439
; %bb.1986:
	v_bfe_u32 v1, v7, 20, 1
	s_mov_b32 s23, 0x487ffff
	v_add3_u32 v1, v7, v1, s23
	s_mov_b64 s[16:17], exec
	v_lshrrev_b32_e32 v1, 20, v1
	s_andn2_saveexec_b64 s[18:19], s[18:19]
	s_cbranch_execnz .LBB144_2440
.LBB144_1987:
	s_or_b64 exec, exec, s[18:19]
	v_mov_b32_e32 v8, 0
	s_and_saveexec_b64 s[18:19], s[16:17]
.LBB144_1988:
	v_lshrrev_b32_e32 v8, 24, v7
	s_movk_i32 s16, 0x80
	v_and_or_b32 v8, v8, s16, v1
.LBB144_1989:
	s_or_b64 exec, exec, s[18:19]
.LBB144_1990:
	s_or_b64 exec, exec, s[14:15]
	global_store_byte v[5:6], v8, off
.LBB144_1991:
	s_mov_b64 s[14:15], -1
.LBB144_1992:
	s_mov_b64 s[16:17], 0
.LBB144_1993:
	s_and_b64 vcc, exec, s[16:17]
	s_cbranch_vccz .LBB144_2033
; %bb.1994:
	s_cmp_gt_i32 s22, 22
	s_mov_b64 s[8:9], -1
	s_cbranch_scc0 .LBB144_2026
; %bb.1995:
	s_cmp_lt_i32 s22, 24
	s_cbranch_scc1 .LBB144_2015
; %bb.1996:
	s_cmp_gt_i32 s22, 24
	s_cbranch_scc0 .LBB144_2004
; %bb.1997:
	v_and_b32_e32 v1, 0x7fffffff, v7
	s_mov_b32 s8, 0x47800000
	v_cmp_gt_u32_e32 vcc, s8, v1
	v_mov_b32_e32 v8, 0x80
	s_and_saveexec_b64 s[8:9], vcc
	s_cbranch_execz .LBB144_2003
; %bb.1998:
	s_mov_b32 s14, 0x37ffffff
	v_cmp_lt_u32_e32 vcc, s14, v1
	s_mov_b64 s[14:15], 0
                                        ; implicit-def: $vgpr1
	s_and_saveexec_b64 s[16:17], vcc
	s_xor_b64 s[16:17], exec, s[16:17]
	s_cbranch_execz .LBB144_2442
; %bb.1999:
	v_bfe_u32 v1, v7, 21, 1
	s_mov_b32 s18, 0x88fffff
	v_add3_u32 v1, v7, v1, s18
	s_mov_b64 s[14:15], exec
	v_lshrrev_b32_e32 v1, 21, v1
	s_andn2_saveexec_b64 s[16:17], s[16:17]
	s_cbranch_execnz .LBB144_2443
.LBB144_2000:
	s_or_b64 exec, exec, s[16:17]
	v_mov_b32_e32 v8, 0
	s_and_saveexec_b64 s[16:17], s[14:15]
.LBB144_2001:
	v_lshrrev_b32_e32 v8, 24, v7
	s_movk_i32 s14, 0x80
	v_and_or_b32 v8, v8, s14, v1
.LBB144_2002:
	s_or_b64 exec, exec, s[16:17]
.LBB144_2003:
	s_or_b64 exec, exec, s[8:9]
	s_mov_b64 s[8:9], 0
	global_store_byte v[5:6], v8, off
.LBB144_2004:
	s_and_b64 vcc, exec, s[8:9]
	s_cbranch_vccz .LBB144_2014
; %bb.2005:
	v_and_b32_e32 v8, 0x7fffffff, v7
	s_mov_b32 s8, 0x43f00000
	v_cmp_gt_u32_e32 vcc, s8, v8
                                        ; implicit-def: $vgpr1
	s_and_saveexec_b64 s[8:9], vcc
	s_xor_b64 s[8:9], exec, s[8:9]
	s_cbranch_execz .LBB144_2011
; %bb.2006:
	s_mov_b32 s14, 0x3c7fffff
	v_cmp_lt_u32_e32 vcc, s14, v8
                                        ; implicit-def: $vgpr1
	s_and_saveexec_b64 s[14:15], vcc
	s_xor_b64 s[14:15], exec, s[14:15]
; %bb.2007:
	v_bfe_u32 v1, v7, 20, 1
	s_mov_b32 s16, 0x407ffff
	v_add3_u32 v1, v7, v1, s16
	v_lshrrev_b32_e32 v8, 20, v1
	v_and_b32_e32 v1, 0xff00000, v1
	s_mov_b32 s16, 0x7f00000
	v_mov_b32_e32 v14, 0x7e
	v_cmp_ne_u32_e32 vcc, s16, v1
	v_cndmask_b32_e32 v1, v14, v8, vcc
; %bb.2008:
	s_andn2_saveexec_b64 s[14:15], s[14:15]
; %bb.2009:
	s_mov_b32 s16, 0x46800000
	v_add_f32_e64 v1, |v7|, s16
; %bb.2010:
	s_or_b64 exec, exec, s[14:15]
                                        ; implicit-def: $vgpr8
.LBB144_2011:
	s_andn2_saveexec_b64 s[8:9], s[8:9]
; %bb.2012:
	s_mov_b32 s14, 0x7f800000
	v_mov_b32_e32 v1, 0x7e
	v_mov_b32_e32 v14, 0x7f
	v_cmp_lt_u32_e32 vcc, s14, v8
	v_cndmask_b32_e32 v1, v1, v14, vcc
; %bb.2013:
	s_or_b64 exec, exec, s[8:9]
	v_lshrrev_b32_e32 v8, 24, v7
	s_movk_i32 s8, 0x80
	v_and_or_b32 v1, v8, s8, v1
	global_store_byte v[5:6], v1, off
.LBB144_2014:
	s_mov_b64 s[8:9], 0
.LBB144_2015:
	s_andn2_b64 vcc, exec, s[8:9]
	s_cbranch_vccnz .LBB144_2025
; %bb.2016:
	v_and_b32_e32 v8, 0x7fffffff, v7
	s_mov_b32 s8, 0x47800000
	v_cmp_gt_u32_e32 vcc, s8, v8
                                        ; implicit-def: $vgpr1
	s_and_saveexec_b64 s[8:9], vcc
	s_xor_b64 s[8:9], exec, s[8:9]
	s_cbranch_execz .LBB144_2022
; %bb.2017:
	s_mov_b32 s14, 0x387fffff
	v_cmp_lt_u32_e32 vcc, s14, v8
                                        ; implicit-def: $vgpr1
	s_and_saveexec_b64 s[14:15], vcc
	s_xor_b64 s[14:15], exec, s[14:15]
; %bb.2018:
	v_bfe_u32 v1, v7, 21, 1
	s_mov_b32 s16, 0x80fffff
	v_add3_u32 v1, v7, v1, s16
	v_lshrrev_b32_e32 v1, 21, v1
; %bb.2019:
	s_andn2_saveexec_b64 s[14:15], s[14:15]
; %bb.2020:
	s_mov_b32 s16, 0x43000000
	v_add_f32_e64 v1, |v7|, s16
; %bb.2021:
	s_or_b64 exec, exec, s[14:15]
                                        ; implicit-def: $vgpr8
.LBB144_2022:
	s_andn2_saveexec_b64 s[8:9], s[8:9]
; %bb.2023:
	s_mov_b32 s14, 0x7f800000
	v_mov_b32_e32 v1, 0x7c
	v_mov_b32_e32 v14, 0x7f
	v_cmp_lt_u32_e32 vcc, s14, v8
	v_cndmask_b32_e32 v1, v1, v14, vcc
; %bb.2024:
	s_or_b64 exec, exec, s[8:9]
	v_lshrrev_b32_e32 v8, 24, v7
	s_movk_i32 s8, 0x80
	v_and_or_b32 v1, v8, s8, v1
	global_store_byte v[5:6], v1, off
.LBB144_2025:
	s_mov_b64 s[8:9], 0
	s_mov_b64 s[14:15], -1
.LBB144_2026:
	s_andn2_b64 vcc, exec, s[8:9]
	s_mov_b64 s[8:9], 0
	s_cbranch_vccnz .LBB144_2033
; %bb.2027:
	s_cmp_gt_i32 s22, 14
	s_mov_b64 s[16:17], -1
	s_cbranch_scc0 .LBB144_2031
; %bb.2028:
	s_cmp_eq_u32 s22, 15
	s_mov_b64 s[0:1], -1
	s_cbranch_scc0 .LBB144_2030
; %bb.2029:
	v_bfe_u32 v1, v7, 16, 1
	s_movk_i32 s0, 0x7fff
	v_add3_u32 v1, v7, v1, s0
	v_cmp_o_f32_e32 vcc, v7, v7
	v_mov_b32_e32 v8, 0x7fc0
	v_cndmask_b32_sdwa v1, v8, v1, vcc dst_sel:DWORD dst_unused:UNUSED_PAD src0_sel:DWORD src1_sel:WORD_1
	global_store_short v[5:6], v1, off
	s_mov_b64 s[0:1], 0
	s_mov_b64 s[14:15], -1
.LBB144_2030:
	s_mov_b64 s[16:17], 0
.LBB144_2031:
	s_and_b64 vcc, exec, s[16:17]
	s_cbranch_vccz .LBB144_2033
; %bb.2032:
	s_cmp_lg_u32 s22, 11
	s_mov_b64 s[8:9], -1
	s_cselect_b64 s[0:1], -1, 0
.LBB144_2033:
	s_and_b64 vcc, exec, s[0:1]
	s_cbranch_vccnz .LBB144_2441
; %bb.2034:
	s_andn2_b64 vcc, exec, s[8:9]
	s_cbranch_vccnz .LBB144_2036
.LBB144_2035:
	v_cmp_neq_f32_e32 vcc, 0, v7
	v_cndmask_b32_e64 v1, 0, 1, vcc
	s_mov_b64 s[14:15], -1
	global_store_byte v[5:6], v1, off
.LBB144_2036:
	s_mov_b64 s[0:1], 0
	s_branch .LBB144_2038
.LBB144_2037:
	s_mov_b64 s[0:1], -1
	s_mov_b64 s[14:15], 0
.LBB144_2038:
	s_and_b64 vcc, exec, s[0:1]
	s_cbranch_vccz .LBB144_2077
; %bb.2039:
	s_and_b32 s8, 0xffff, s21
	s_cmp_lt_i32 s8, 5
	s_mov_b64 s[0:1], -1
	s_cbranch_scc1 .LBB144_2060
; %bb.2040:
	s_cmp_lt_i32 s8, 8
	s_cbranch_scc1 .LBB144_2050
; %bb.2041:
	s_cmp_lt_i32 s8, 9
	s_cbranch_scc1 .LBB144_2047
; %bb.2042:
	s_cmp_gt_i32 s8, 9
	s_cbranch_scc0 .LBB144_2044
; %bb.2043:
	v_cvt_f64_f32_e32 v[14:15], v7
	v_mov_b32_e32 v16, 0
	v_mov_b32_e32 v17, v16
	s_mov_b64 s[0:1], 0
	global_store_dwordx4 v[5:6], v[14:17], off
.LBB144_2044:
	s_andn2_b64 vcc, exec, s[0:1]
	s_cbranch_vccnz .LBB144_2046
; %bb.2045:
	v_mov_b32_e32 v8, 0
	global_store_dwordx2 v[5:6], v[7:8], off
.LBB144_2046:
	s_mov_b64 s[0:1], 0
.LBB144_2047:
	s_andn2_b64 vcc, exec, s[0:1]
	s_cbranch_vccnz .LBB144_2049
; %bb.2048:
	v_cvt_f16_f32_e32 v1, v7
	global_store_dword v[5:6], v1, off
.LBB144_2049:
	s_mov_b64 s[0:1], 0
.LBB144_2050:
	s_andn2_b64 vcc, exec, s[0:1]
	s_cbranch_vccnz .LBB144_2059
; %bb.2051:
	s_cmp_lt_i32 s8, 6
	s_mov_b64 s[0:1], -1
	s_cbranch_scc1 .LBB144_2057
; %bb.2052:
	s_cmp_gt_i32 s8, 6
	s_cbranch_scc0 .LBB144_2054
; %bb.2053:
	v_cvt_f64_f32_e32 v[14:15], v7
	s_mov_b64 s[0:1], 0
	global_store_dwordx2 v[5:6], v[14:15], off
.LBB144_2054:
	s_andn2_b64 vcc, exec, s[0:1]
	s_cbranch_vccnz .LBB144_2056
; %bb.2055:
	global_store_dword v[5:6], v7, off
.LBB144_2056:
	s_mov_b64 s[0:1], 0
.LBB144_2057:
	s_andn2_b64 vcc, exec, s[0:1]
	s_cbranch_vccnz .LBB144_2059
; %bb.2058:
	v_cvt_f16_f32_e32 v1, v7
	global_store_short v[5:6], v1, off
.LBB144_2059:
	s_mov_b64 s[0:1], 0
.LBB144_2060:
	s_andn2_b64 vcc, exec, s[0:1]
	s_cbranch_vccnz .LBB144_2076
; %bb.2061:
	s_cmp_lt_i32 s8, 2
	s_mov_b64 s[0:1], -1
	s_cbranch_scc1 .LBB144_2071
; %bb.2062:
	s_cmp_lt_i32 s8, 3
	s_cbranch_scc1 .LBB144_2068
; %bb.2063:
	s_cmp_gt_i32 s8, 3
	s_cbranch_scc0 .LBB144_2065
; %bb.2064:
	v_trunc_f32_e32 v1, v7
	s_mov_b32 s0, 0x2f800000
	v_mul_f32_e64 v8, |v1|, s0
	v_floor_f32_e32 v8, v8
	s_mov_b32 s0, 0xcf800000
	v_cvt_u32_f32_e32 v14, v8
	v_fma_f32 v8, v8, s0, |v1|
	v_cvt_u32_f32_e32 v8, v8
	v_ashrrev_i32_e32 v1, 31, v1
	v_xor_b32_e32 v15, v14, v1
	s_mov_b64 s[0:1], 0
	v_xor_b32_e32 v8, v8, v1
	v_sub_co_u32_e32 v14, vcc, v8, v1
	v_subb_co_u32_e32 v15, vcc, v15, v1, vcc
	global_store_dwordx2 v[5:6], v[14:15], off
.LBB144_2065:
	s_andn2_b64 vcc, exec, s[0:1]
	s_cbranch_vccnz .LBB144_2067
; %bb.2066:
	v_cvt_i32_f32_e32 v1, v7
	global_store_dword v[5:6], v1, off
.LBB144_2067:
	s_mov_b64 s[0:1], 0
.LBB144_2068:
	s_andn2_b64 vcc, exec, s[0:1]
	s_cbranch_vccnz .LBB144_2070
; %bb.2069:
	v_cvt_i32_f32_e32 v1, v7
	global_store_short v[5:6], v1, off
.LBB144_2070:
	s_mov_b64 s[0:1], 0
.LBB144_2071:
	s_andn2_b64 vcc, exec, s[0:1]
	s_cbranch_vccnz .LBB144_2076
; %bb.2072:
	s_cmp_gt_i32 s8, 0
	s_mov_b64 s[0:1], -1
	s_cbranch_scc0 .LBB144_2074
; %bb.2073:
	v_cvt_i32_f32_e32 v1, v7
	s_mov_b64 s[0:1], 0
	global_store_byte v[5:6], v1, off
.LBB144_2074:
	s_andn2_b64 vcc, exec, s[0:1]
	s_cbranch_vccnz .LBB144_2076
; %bb.2075:
	v_trunc_f32_e32 v1, v7
	s_mov_b32 s0, 0x2f800000
	v_mul_f32_e64 v7, |v1|, s0
	v_floor_f32_e32 v7, v7
	s_mov_b32 s0, 0xcf800000
	v_fma_f32 v7, v7, s0, |v1|
	v_cvt_u32_f32_e32 v7, v7
	v_ashrrev_i32_e32 v1, 31, v1
	v_xor_b32_e32 v7, v7, v1
	v_sub_u32_e32 v1, v7, v1
	global_store_byte v[5:6], v1, off
.LBB144_2076:
	s_mov_b64 s[14:15], -1
.LBB144_2077:
	s_andn2_b64 vcc, exec, s[14:15]
	s_cbranch_vccnz .LBB144_2392
; %bb.2078:
	s_lshr_b32 s0, s20, 8
	s_and_b32 s18, s0, 0xff
	s_mov_b32 s0, 0x4b000000
	v_cmp_lt_f32_e64 s[0:1], |v3|, s0
	v_mov_b32_e32 v1, 0x264
	v_mov_b32_e32 v5, 0x7f800000
	s_or_b64 vcc, s[2:3], s[0:1]
	v_cndmask_b32_e32 v6, v5, v11, vcc
	v_cmp_class_f32_e32 vcc, v3, v1
	v_cndmask_b32_e32 v1, v6, v5, vcc
	v_cmp_u_f32_e32 vcc, v3, v3
	v_cndmask_b32_e32 v5, v1, v3, vcc
	v_mov_b32_e32 v1, s13
	v_add_co_u32_e32 v3, vcc, s12, v4
	s_cmp_lt_i32 s18, 11
	v_addc_co_u32_e32 v4, vcc, 0, v1, vcc
	s_cbranch_scc1 .LBB144_2156
; %bb.2079:
	s_and_b32 s19, 0xffff, s18
	s_mov_b64 s[14:15], -1
	s_mov_b64 s[2:3], 0
	s_cmp_gt_i32 s19, 25
	s_mov_b64 s[8:9], 0
	s_mov_b64 s[0:1], 0
	s_cbranch_scc0 .LBB144_2112
; %bb.2080:
	s_cmp_gt_i32 s19, 28
	s_cbranch_scc0 .LBB144_2095
; %bb.2081:
	s_cmp_gt_i32 s19, 43
	;; [unrolled: 3-line block ×3, first 2 shown]
	s_cbranch_scc0 .LBB144_2085
; %bb.2083:
	s_mov_b64 s[0:1], -1
	s_mov_b64 s[14:15], 0
	s_cmp_eq_u32 s19, 46
	s_cbranch_scc0 .LBB144_2085
; %bb.2084:
	v_bfe_u32 v1, v5, 16, 1
	s_movk_i32 s0, 0x7fff
	v_add3_u32 v1, v5, v1, s0
	v_cmp_o_f32_e32 vcc, v5, v5
	v_mov_b32_e32 v6, 0x7fc0
	v_cndmask_b32_sdwa v1, v6, v1, vcc dst_sel:DWORD dst_unused:UNUSED_PAD src0_sel:DWORD src1_sel:WORD_1
	global_store_dword v[3:4], v1, off
	s_mov_b64 s[0:1], 0
	s_mov_b64 s[8:9], -1
.LBB144_2085:
	s_and_b64 vcc, exec, s[14:15]
	s_cbranch_vccz .LBB144_2090
; %bb.2086:
	s_cmp_eq_u32 s19, 44
	s_mov_b64 s[0:1], -1
	s_cbranch_scc0 .LBB144_2090
; %bb.2087:
	v_bfe_u32 v1, v5, 23, 8
	s_movk_i32 s0, 0xff
	v_cmp_ne_u32_e32 vcc, s0, v1
	v_mov_b32_e32 v6, 0xff
	s_and_saveexec_b64 s[8:9], vcc
; %bb.2088:
	s_mov_b32 s0, 0x3fffff
	v_and_b32_e32 v7, 0x400000, v5
	v_and_or_b32 v1, v5, s0, v1
	v_cmp_ne_u32_e32 vcc, 0, v7
	v_cmp_ne_u32_e64 s[0:1], 0, v1
	s_and_b64 s[0:1], vcc, s[0:1]
	v_lshrrev_b32_e32 v6, 23, v5
	v_cndmask_b32_e64 v1, 0, 1, s[0:1]
	v_add_u32_e32 v6, v6, v1
; %bb.2089:
	s_or_b64 exec, exec, s[8:9]
	s_mov_b64 s[0:1], 0
	s_mov_b64 s[8:9], -1
	global_store_byte v[3:4], v6, off
.LBB144_2090:
	s_mov_b64 s[14:15], 0
.LBB144_2091:
	s_and_b64 vcc, exec, s[14:15]
	s_cbranch_vccz .LBB144_2094
; %bb.2092:
	s_cmp_eq_u32 s19, 29
	s_mov_b64 s[0:1], -1
	s_cbranch_scc0 .LBB144_2094
; %bb.2093:
	v_trunc_f32_e32 v1, v5
	v_mul_f32_e32 v6, 0x2f800000, v1
	v_floor_f32_e32 v6, v6
	v_fmac_f32_e32 v1, 0xcf800000, v6
	v_cvt_u32_f32_e32 v7, v6
	v_cvt_u32_f32_e32 v6, v1
	s_mov_b64 s[0:1], 0
	s_mov_b64 s[8:9], -1
	global_store_dwordx2 v[3:4], v[6:7], off
.LBB144_2094:
	s_mov_b64 s[14:15], 0
.LBB144_2095:
	s_and_b64 vcc, exec, s[14:15]
	s_cbranch_vccz .LBB144_2111
; %bb.2096:
	s_cmp_lt_i32 s19, 27
	s_mov_b64 s[8:9], -1
	s_cbranch_scc1 .LBB144_2102
; %bb.2097:
	s_cmp_gt_i32 s19, 27
	s_cbranch_scc0 .LBB144_2099
; %bb.2098:
	v_cvt_u32_f32_e32 v1, v5
	s_mov_b64 s[8:9], 0
	global_store_dword v[3:4], v1, off
.LBB144_2099:
	s_andn2_b64 vcc, exec, s[8:9]
	s_cbranch_vccnz .LBB144_2101
; %bb.2100:
	v_cvt_u32_f32_e32 v1, v5
	global_store_short v[3:4], v1, off
.LBB144_2101:
	s_mov_b64 s[8:9], 0
.LBB144_2102:
	s_andn2_b64 vcc, exec, s[8:9]
	s_cbranch_vccnz .LBB144_2110
; %bb.2103:
	v_and_b32_e32 v1, 0x7fffffff, v5
	s_mov_b32 s8, 0x43800000
	v_cmp_gt_u32_e32 vcc, s8, v1
	v_mov_b32_e32 v6, 0x80
	s_and_saveexec_b64 s[8:9], vcc
	s_cbranch_execz .LBB144_2109
; %bb.2104:
	s_mov_b32 s14, 0x3bffffff
	v_cmp_lt_u32_e32 vcc, s14, v1
	s_mov_b64 s[14:15], 0
                                        ; implicit-def: $vgpr1
	s_and_saveexec_b64 s[16:17], vcc
	s_xor_b64 s[16:17], exec, s[16:17]
	s_cbranch_execz .LBB144_2444
; %bb.2105:
	v_bfe_u32 v1, v5, 20, 1
	s_mov_b32 s20, 0x487ffff
	v_add3_u32 v1, v5, v1, s20
	s_mov_b64 s[14:15], exec
	v_lshrrev_b32_e32 v1, 20, v1
	s_andn2_saveexec_b64 s[16:17], s[16:17]
	s_cbranch_execnz .LBB144_2445
.LBB144_2106:
	s_or_b64 exec, exec, s[16:17]
	v_mov_b32_e32 v6, 0
	s_and_saveexec_b64 s[16:17], s[14:15]
.LBB144_2107:
	v_lshrrev_b32_e32 v6, 24, v5
	s_movk_i32 s14, 0x80
	v_and_or_b32 v6, v6, s14, v1
.LBB144_2108:
	s_or_b64 exec, exec, s[16:17]
.LBB144_2109:
	s_or_b64 exec, exec, s[8:9]
	global_store_byte v[3:4], v6, off
.LBB144_2110:
	s_mov_b64 s[8:9], -1
.LBB144_2111:
	s_mov_b64 s[14:15], 0
.LBB144_2112:
	s_and_b64 vcc, exec, s[14:15]
	s_cbranch_vccz .LBB144_2152
; %bb.2113:
	s_cmp_gt_i32 s19, 22
	s_mov_b64 s[2:3], -1
	s_cbranch_scc0 .LBB144_2145
; %bb.2114:
	s_cmp_lt_i32 s19, 24
	s_cbranch_scc1 .LBB144_2134
; %bb.2115:
	s_cmp_gt_i32 s19, 24
	s_cbranch_scc0 .LBB144_2123
; %bb.2116:
	v_and_b32_e32 v1, 0x7fffffff, v5
	s_mov_b32 s2, 0x47800000
	v_cmp_gt_u32_e32 vcc, s2, v1
	v_mov_b32_e32 v6, 0x80
	s_and_saveexec_b64 s[2:3], vcc
	s_cbranch_execz .LBB144_2122
; %bb.2117:
	s_mov_b32 s8, 0x37ffffff
	v_cmp_lt_u32_e32 vcc, s8, v1
	s_mov_b64 s[8:9], 0
                                        ; implicit-def: $vgpr1
	s_and_saveexec_b64 s[14:15], vcc
	s_xor_b64 s[14:15], exec, s[14:15]
	s_cbranch_execz .LBB144_2447
; %bb.2118:
	v_bfe_u32 v1, v5, 21, 1
	s_mov_b32 s16, 0x88fffff
	v_add3_u32 v1, v5, v1, s16
	s_mov_b64 s[8:9], exec
	v_lshrrev_b32_e32 v1, 21, v1
	s_andn2_saveexec_b64 s[14:15], s[14:15]
	s_cbranch_execnz .LBB144_2448
.LBB144_2119:
	s_or_b64 exec, exec, s[14:15]
	v_mov_b32_e32 v6, 0
	s_and_saveexec_b64 s[14:15], s[8:9]
.LBB144_2120:
	v_lshrrev_b32_e32 v6, 24, v5
	s_movk_i32 s8, 0x80
	v_and_or_b32 v6, v6, s8, v1
.LBB144_2121:
	s_or_b64 exec, exec, s[14:15]
.LBB144_2122:
	s_or_b64 exec, exec, s[2:3]
	s_mov_b64 s[2:3], 0
	global_store_byte v[3:4], v6, off
.LBB144_2123:
	s_and_b64 vcc, exec, s[2:3]
	s_cbranch_vccz .LBB144_2133
; %bb.2124:
	v_and_b32_e32 v6, 0x7fffffff, v5
	s_mov_b32 s2, 0x43f00000
	v_cmp_gt_u32_e32 vcc, s2, v6
                                        ; implicit-def: $vgpr1
	s_and_saveexec_b64 s[2:3], vcc
	s_xor_b64 s[2:3], exec, s[2:3]
	s_cbranch_execz .LBB144_2130
; %bb.2125:
	s_mov_b32 s8, 0x3c7fffff
	v_cmp_lt_u32_e32 vcc, s8, v6
                                        ; implicit-def: $vgpr1
	s_and_saveexec_b64 s[8:9], vcc
	s_xor_b64 s[8:9], exec, s[8:9]
; %bb.2126:
	v_bfe_u32 v1, v5, 20, 1
	s_mov_b32 s14, 0x407ffff
	v_add3_u32 v1, v5, v1, s14
	v_lshrrev_b32_e32 v6, 20, v1
	v_and_b32_e32 v1, 0xff00000, v1
	s_mov_b32 s14, 0x7f00000
	v_mov_b32_e32 v7, 0x7e
	v_cmp_ne_u32_e32 vcc, s14, v1
	v_cndmask_b32_e32 v1, v7, v6, vcc
; %bb.2127:
	s_andn2_saveexec_b64 s[8:9], s[8:9]
; %bb.2128:
	s_mov_b32 s14, 0x46800000
	v_add_f32_e64 v1, |v5|, s14
; %bb.2129:
	s_or_b64 exec, exec, s[8:9]
                                        ; implicit-def: $vgpr6
.LBB144_2130:
	s_andn2_saveexec_b64 s[2:3], s[2:3]
; %bb.2131:
	s_mov_b32 s8, 0x7f800000
	v_mov_b32_e32 v1, 0x7e
	v_mov_b32_e32 v7, 0x7f
	v_cmp_lt_u32_e32 vcc, s8, v6
	v_cndmask_b32_e32 v1, v1, v7, vcc
; %bb.2132:
	s_or_b64 exec, exec, s[2:3]
	v_lshrrev_b32_e32 v6, 24, v5
	s_movk_i32 s2, 0x80
	v_and_or_b32 v1, v6, s2, v1
	global_store_byte v[3:4], v1, off
.LBB144_2133:
	s_mov_b64 s[2:3], 0
.LBB144_2134:
	s_andn2_b64 vcc, exec, s[2:3]
	s_cbranch_vccnz .LBB144_2144
; %bb.2135:
	v_and_b32_e32 v6, 0x7fffffff, v5
	s_mov_b32 s2, 0x47800000
	v_cmp_gt_u32_e32 vcc, s2, v6
                                        ; implicit-def: $vgpr1
	s_and_saveexec_b64 s[2:3], vcc
	s_xor_b64 s[2:3], exec, s[2:3]
	s_cbranch_execz .LBB144_2141
; %bb.2136:
	s_mov_b32 s8, 0x387fffff
	v_cmp_lt_u32_e32 vcc, s8, v6
                                        ; implicit-def: $vgpr1
	s_and_saveexec_b64 s[8:9], vcc
	s_xor_b64 s[8:9], exec, s[8:9]
; %bb.2137:
	v_bfe_u32 v1, v5, 21, 1
	s_mov_b32 s14, 0x80fffff
	v_add3_u32 v1, v5, v1, s14
	v_lshrrev_b32_e32 v1, 21, v1
; %bb.2138:
	s_andn2_saveexec_b64 s[8:9], s[8:9]
; %bb.2139:
	s_mov_b32 s14, 0x43000000
	v_add_f32_e64 v1, |v5|, s14
; %bb.2140:
	s_or_b64 exec, exec, s[8:9]
                                        ; implicit-def: $vgpr6
.LBB144_2141:
	s_andn2_saveexec_b64 s[2:3], s[2:3]
; %bb.2142:
	s_mov_b32 s8, 0x7f800000
	v_mov_b32_e32 v1, 0x7c
	v_mov_b32_e32 v7, 0x7f
	v_cmp_lt_u32_e32 vcc, s8, v6
	v_cndmask_b32_e32 v1, v1, v7, vcc
; %bb.2143:
	s_or_b64 exec, exec, s[2:3]
	v_lshrrev_b32_e32 v6, 24, v5
	s_movk_i32 s2, 0x80
	v_and_or_b32 v1, v6, s2, v1
	global_store_byte v[3:4], v1, off
.LBB144_2144:
	s_mov_b64 s[2:3], 0
	s_mov_b64 s[8:9], -1
.LBB144_2145:
	s_andn2_b64 vcc, exec, s[2:3]
	s_mov_b64 s[2:3], 0
	s_cbranch_vccnz .LBB144_2152
; %bb.2146:
	s_cmp_gt_i32 s19, 14
	s_mov_b64 s[14:15], -1
	s_cbranch_scc0 .LBB144_2150
; %bb.2147:
	s_cmp_eq_u32 s19, 15
	s_mov_b64 s[0:1], -1
	s_cbranch_scc0 .LBB144_2149
; %bb.2148:
	v_bfe_u32 v1, v5, 16, 1
	s_movk_i32 s0, 0x7fff
	v_add3_u32 v1, v5, v1, s0
	v_cmp_o_f32_e32 vcc, v5, v5
	v_mov_b32_e32 v6, 0x7fc0
	v_cndmask_b32_sdwa v1, v6, v1, vcc dst_sel:DWORD dst_unused:UNUSED_PAD src0_sel:DWORD src1_sel:WORD_1
	global_store_short v[3:4], v1, off
	s_mov_b64 s[0:1], 0
	s_mov_b64 s[8:9], -1
.LBB144_2149:
	s_mov_b64 s[14:15], 0
.LBB144_2150:
	s_and_b64 vcc, exec, s[14:15]
	s_cbranch_vccz .LBB144_2152
; %bb.2151:
	s_cmp_lg_u32 s19, 11
	s_mov_b64 s[2:3], -1
	s_cselect_b64 s[0:1], -1, 0
.LBB144_2152:
	s_and_b64 vcc, exec, s[0:1]
	s_cbranch_vccnz .LBB144_2446
; %bb.2153:
	s_andn2_b64 vcc, exec, s[2:3]
	s_cbranch_vccnz .LBB144_2155
.LBB144_2154:
	v_cmp_neq_f32_e32 vcc, 0, v5
	v_cndmask_b32_e64 v1, 0, 1, vcc
	s_mov_b64 s[8:9], -1
	global_store_byte v[3:4], v1, off
.LBB144_2155:
	s_mov_b64 s[0:1], 0
	s_branch .LBB144_2157
.LBB144_2156:
	s_mov_b64 s[0:1], -1
	s_mov_b64 s[8:9], 0
.LBB144_2157:
	s_and_b64 vcc, exec, s[0:1]
	s_cbranch_vccz .LBB144_2196
; %bb.2158:
	s_and_b32 s2, 0xffff, s18
	s_cmp_lt_i32 s2, 5
	s_mov_b64 s[0:1], -1
	s_cbranch_scc1 .LBB144_2179
; %bb.2159:
	s_cmp_lt_i32 s2, 8
	s_cbranch_scc1 .LBB144_2169
; %bb.2160:
	s_cmp_lt_i32 s2, 9
	s_cbranch_scc1 .LBB144_2166
; %bb.2161:
	s_cmp_gt_i32 s2, 9
	s_cbranch_scc0 .LBB144_2163
; %bb.2162:
	v_cvt_f64_f32_e32 v[14:15], v5
	v_mov_b32_e32 v16, 0
	v_mov_b32_e32 v17, v16
	s_mov_b64 s[0:1], 0
	global_store_dwordx4 v[3:4], v[14:17], off
.LBB144_2163:
	s_andn2_b64 vcc, exec, s[0:1]
	s_cbranch_vccnz .LBB144_2165
; %bb.2164:
	v_mov_b32_e32 v6, 0
	global_store_dwordx2 v[3:4], v[5:6], off
.LBB144_2165:
	s_mov_b64 s[0:1], 0
.LBB144_2166:
	s_andn2_b64 vcc, exec, s[0:1]
	s_cbranch_vccnz .LBB144_2168
; %bb.2167:
	v_cvt_f16_f32_e32 v1, v5
	global_store_dword v[3:4], v1, off
.LBB144_2168:
	s_mov_b64 s[0:1], 0
.LBB144_2169:
	s_andn2_b64 vcc, exec, s[0:1]
	s_cbranch_vccnz .LBB144_2178
; %bb.2170:
	s_cmp_lt_i32 s2, 6
	s_mov_b64 s[0:1], -1
	s_cbranch_scc1 .LBB144_2176
; %bb.2171:
	s_cmp_gt_i32 s2, 6
	s_cbranch_scc0 .LBB144_2173
; %bb.2172:
	v_cvt_f64_f32_e32 v[6:7], v5
	s_mov_b64 s[0:1], 0
	global_store_dwordx2 v[3:4], v[6:7], off
.LBB144_2173:
	s_andn2_b64 vcc, exec, s[0:1]
	s_cbranch_vccnz .LBB144_2175
; %bb.2174:
	global_store_dword v[3:4], v5, off
.LBB144_2175:
	s_mov_b64 s[0:1], 0
.LBB144_2176:
	s_andn2_b64 vcc, exec, s[0:1]
	s_cbranch_vccnz .LBB144_2178
; %bb.2177:
	v_cvt_f16_f32_e32 v1, v5
	global_store_short v[3:4], v1, off
.LBB144_2178:
	s_mov_b64 s[0:1], 0
.LBB144_2179:
	s_andn2_b64 vcc, exec, s[0:1]
	s_cbranch_vccnz .LBB144_2195
; %bb.2180:
	s_cmp_lt_i32 s2, 2
	s_mov_b64 s[0:1], -1
	s_cbranch_scc1 .LBB144_2190
; %bb.2181:
	s_cmp_lt_i32 s2, 3
	s_cbranch_scc1 .LBB144_2187
; %bb.2182:
	s_cmp_gt_i32 s2, 3
	s_cbranch_scc0 .LBB144_2184
; %bb.2183:
	v_trunc_f32_e32 v1, v5
	s_mov_b32 s0, 0x2f800000
	v_mul_f32_e64 v6, |v1|, s0
	v_floor_f32_e32 v6, v6
	s_mov_b32 s0, 0xcf800000
	v_cvt_u32_f32_e32 v7, v6
	v_fma_f32 v6, v6, s0, |v1|
	v_cvt_u32_f32_e32 v6, v6
	v_ashrrev_i32_e32 v1, 31, v1
	v_xor_b32_e32 v7, v7, v1
	s_mov_b64 s[0:1], 0
	v_xor_b32_e32 v6, v6, v1
	v_sub_co_u32_e32 v6, vcc, v6, v1
	v_subb_co_u32_e32 v7, vcc, v7, v1, vcc
	global_store_dwordx2 v[3:4], v[6:7], off
.LBB144_2184:
	s_andn2_b64 vcc, exec, s[0:1]
	s_cbranch_vccnz .LBB144_2186
; %bb.2185:
	v_cvt_i32_f32_e32 v1, v5
	global_store_dword v[3:4], v1, off
.LBB144_2186:
	s_mov_b64 s[0:1], 0
.LBB144_2187:
	s_andn2_b64 vcc, exec, s[0:1]
	s_cbranch_vccnz .LBB144_2189
; %bb.2188:
	v_cvt_i32_f32_e32 v1, v5
	global_store_short v[3:4], v1, off
.LBB144_2189:
	s_mov_b64 s[0:1], 0
.LBB144_2190:
	s_andn2_b64 vcc, exec, s[0:1]
	s_cbranch_vccnz .LBB144_2195
; %bb.2191:
	s_cmp_gt_i32 s2, 0
	s_mov_b64 s[0:1], -1
	s_cbranch_scc0 .LBB144_2193
; %bb.2192:
	v_cvt_i32_f32_e32 v1, v5
	s_mov_b64 s[0:1], 0
	global_store_byte v[3:4], v1, off
.LBB144_2193:
	s_andn2_b64 vcc, exec, s[0:1]
	s_cbranch_vccnz .LBB144_2195
; %bb.2194:
	v_trunc_f32_e32 v1, v5
	s_mov_b32 s0, 0x2f800000
	v_mul_f32_e64 v5, |v1|, s0
	v_floor_f32_e32 v5, v5
	s_mov_b32 s0, 0xcf800000
	v_fma_f32 v5, v5, s0, |v1|
	v_cvt_u32_f32_e32 v5, v5
	v_ashrrev_i32_e32 v1, 31, v1
	v_xor_b32_e32 v5, v5, v1
	v_sub_u32_e32 v1, v5, v1
	global_store_byte v[3:4], v1, off
.LBB144_2195:
	s_mov_b64 s[8:9], -1
.LBB144_2196:
	s_andn2_b64 vcc, exec, s[8:9]
	s_cbranch_vccnz .LBB144_2392
; %bb.2197:
	s_mov_b32 s0, 0x4b000000
	v_cmp_lt_f32_e64 s[0:1], |v10|, s0
	v_mov_b32_e32 v1, 0x264
	v_mov_b32_e32 v3, 0x7f800000
	s_or_b64 vcc, s[4:5], s[0:1]
	v_cndmask_b32_e32 v4, v3, v12, vcc
	v_cmp_class_f32_e32 vcc, v10, v1
	v_cndmask_b32_e32 v1, v4, v3, vcc
	v_cmp_u_f32_e32 vcc, v10, v10
	v_cndmask_b32_e32 v3, v1, v10, vcc
	v_mov_b32_e32 v4, s13
	v_add_co_u32_e32 v1, vcc, s12, v2
	s_cmp_lt_i32 s18, 11
	v_addc_co_u32_e32 v2, vcc, 0, v4, vcc
	s_cbranch_scc1 .LBB144_2275
; %bb.2198:
	s_and_b32 s16, 0xffff, s18
	s_mov_b64 s[8:9], -1
	s_mov_b64 s[2:3], 0
	s_cmp_gt_i32 s16, 25
	s_mov_b64 s[4:5], 0
	s_mov_b64 s[0:1], 0
	s_cbranch_scc0 .LBB144_2231
; %bb.2199:
	s_cmp_gt_i32 s16, 28
	s_cbranch_scc0 .LBB144_2214
; %bb.2200:
	s_cmp_gt_i32 s16, 43
	;; [unrolled: 3-line block ×3, first 2 shown]
	s_cbranch_scc0 .LBB144_2204
; %bb.2202:
	s_mov_b64 s[0:1], -1
	s_mov_b64 s[8:9], 0
	s_cmp_eq_u32 s16, 46
	s_cbranch_scc0 .LBB144_2204
; %bb.2203:
	v_bfe_u32 v4, v3, 16, 1
	s_movk_i32 s0, 0x7fff
	v_add3_u32 v4, v3, v4, s0
	v_cmp_o_f32_e32 vcc, v3, v3
	v_mov_b32_e32 v5, 0x7fc0
	v_cndmask_b32_sdwa v4, v5, v4, vcc dst_sel:DWORD dst_unused:UNUSED_PAD src0_sel:DWORD src1_sel:WORD_1
	global_store_dword v[1:2], v4, off
	s_mov_b64 s[0:1], 0
	s_mov_b64 s[4:5], -1
.LBB144_2204:
	s_and_b64 vcc, exec, s[8:9]
	s_cbranch_vccz .LBB144_2209
; %bb.2205:
	s_cmp_eq_u32 s16, 44
	s_mov_b64 s[0:1], -1
	s_cbranch_scc0 .LBB144_2209
; %bb.2206:
	v_bfe_u32 v4, v3, 23, 8
	s_movk_i32 s0, 0xff
	v_cmp_ne_u32_e32 vcc, s0, v4
	v_mov_b32_e32 v5, 0xff
	s_and_saveexec_b64 s[4:5], vcc
; %bb.2207:
	s_mov_b32 s0, 0x3fffff
	v_and_b32_e32 v6, 0x400000, v3
	v_and_or_b32 v4, v3, s0, v4
	v_cmp_ne_u32_e32 vcc, 0, v6
	v_cmp_ne_u32_e64 s[0:1], 0, v4
	s_and_b64 s[0:1], vcc, s[0:1]
	v_lshrrev_b32_e32 v5, 23, v3
	v_cndmask_b32_e64 v4, 0, 1, s[0:1]
	v_add_u32_e32 v5, v5, v4
; %bb.2208:
	s_or_b64 exec, exec, s[4:5]
	s_mov_b64 s[0:1], 0
	s_mov_b64 s[4:5], -1
	global_store_byte v[1:2], v5, off
.LBB144_2209:
	s_mov_b64 s[8:9], 0
.LBB144_2210:
	s_and_b64 vcc, exec, s[8:9]
	s_cbranch_vccz .LBB144_2213
; %bb.2211:
	s_cmp_eq_u32 s16, 29
	s_mov_b64 s[0:1], -1
	s_cbranch_scc0 .LBB144_2213
; %bb.2212:
	v_trunc_f32_e32 v4, v3
	v_mul_f32_e32 v5, 0x2f800000, v4
	v_floor_f32_e32 v6, v5
	v_fmac_f32_e32 v4, 0xcf800000, v6
	v_cvt_u32_f32_e32 v5, v6
	v_cvt_u32_f32_e32 v4, v4
	s_mov_b64 s[0:1], 0
	s_mov_b64 s[4:5], -1
	global_store_dwordx2 v[1:2], v[4:5], off
.LBB144_2213:
	s_mov_b64 s[8:9], 0
.LBB144_2214:
	s_and_b64 vcc, exec, s[8:9]
	s_cbranch_vccz .LBB144_2230
; %bb.2215:
	s_cmp_lt_i32 s16, 27
	s_mov_b64 s[4:5], -1
	s_cbranch_scc1 .LBB144_2221
; %bb.2216:
	v_cvt_u32_f32_e32 v4, v3
	s_cmp_gt_i32 s16, 27
	s_cbranch_scc0 .LBB144_2218
; %bb.2217:
	s_mov_b64 s[4:5], 0
	global_store_dword v[1:2], v4, off
.LBB144_2218:
	s_andn2_b64 vcc, exec, s[4:5]
	s_cbranch_vccnz .LBB144_2220
; %bb.2219:
	global_store_short v[1:2], v4, off
.LBB144_2220:
	s_mov_b64 s[4:5], 0
.LBB144_2221:
	s_andn2_b64 vcc, exec, s[4:5]
	s_cbranch_vccnz .LBB144_2229
; %bb.2222:
	v_and_b32_e32 v4, 0x7fffffff, v3
	s_mov_b32 s4, 0x43800000
	v_cmp_gt_u32_e32 vcc, s4, v4
	v_mov_b32_e32 v5, 0x80
	s_and_saveexec_b64 s[4:5], vcc
	s_cbranch_execz .LBB144_2228
; %bb.2223:
	s_mov_b32 s8, 0x3bffffff
	v_cmp_lt_u32_e32 vcc, s8, v4
	s_mov_b64 s[8:9], 0
                                        ; implicit-def: $vgpr4
	s_and_saveexec_b64 s[14:15], vcc
	s_xor_b64 s[14:15], exec, s[14:15]
	s_cbranch_execz .LBB144_2449
; %bb.2224:
	v_bfe_u32 v4, v3, 20, 1
	s_mov_b32 s17, 0x487ffff
	v_add3_u32 v4, v3, v4, s17
	s_mov_b64 s[8:9], exec
	v_lshrrev_b32_e32 v4, 20, v4
	s_andn2_saveexec_b64 s[14:15], s[14:15]
	s_cbranch_execnz .LBB144_2450
.LBB144_2225:
	s_or_b64 exec, exec, s[14:15]
	v_mov_b32_e32 v5, 0
	s_and_saveexec_b64 s[14:15], s[8:9]
.LBB144_2226:
	v_lshrrev_b32_e32 v5, 24, v3
	s_movk_i32 s8, 0x80
	v_and_or_b32 v5, v5, s8, v4
.LBB144_2227:
	s_or_b64 exec, exec, s[14:15]
.LBB144_2228:
	s_or_b64 exec, exec, s[4:5]
	global_store_byte v[1:2], v5, off
.LBB144_2229:
	s_mov_b64 s[4:5], -1
.LBB144_2230:
	s_mov_b64 s[8:9], 0
.LBB144_2231:
	s_and_b64 vcc, exec, s[8:9]
	s_cbranch_vccz .LBB144_2271
; %bb.2232:
	s_cmp_gt_i32 s16, 22
	s_mov_b64 s[2:3], -1
	s_cbranch_scc0 .LBB144_2264
; %bb.2233:
	s_cmp_lt_i32 s16, 24
	s_cbranch_scc1 .LBB144_2253
; %bb.2234:
	s_cmp_gt_i32 s16, 24
	s_cbranch_scc0 .LBB144_2242
; %bb.2235:
	v_and_b32_e32 v4, 0x7fffffff, v3
	s_mov_b32 s2, 0x47800000
	v_cmp_gt_u32_e32 vcc, s2, v4
	v_mov_b32_e32 v5, 0x80
	s_and_saveexec_b64 s[2:3], vcc
	s_cbranch_execz .LBB144_2241
; %bb.2236:
	s_mov_b32 s4, 0x37ffffff
	v_cmp_lt_u32_e32 vcc, s4, v4
	s_mov_b64 s[4:5], 0
                                        ; implicit-def: $vgpr4
	s_and_saveexec_b64 s[8:9], vcc
	s_xor_b64 s[8:9], exec, s[8:9]
	s_cbranch_execz .LBB144_2452
; %bb.2237:
	v_bfe_u32 v4, v3, 21, 1
	s_mov_b32 s14, 0x88fffff
	v_add3_u32 v4, v3, v4, s14
	s_mov_b64 s[4:5], exec
	v_lshrrev_b32_e32 v4, 21, v4
	s_andn2_saveexec_b64 s[8:9], s[8:9]
	s_cbranch_execnz .LBB144_2453
.LBB144_2238:
	s_or_b64 exec, exec, s[8:9]
	v_mov_b32_e32 v5, 0
	s_and_saveexec_b64 s[8:9], s[4:5]
.LBB144_2239:
	v_lshrrev_b32_e32 v5, 24, v3
	s_movk_i32 s4, 0x80
	v_and_or_b32 v5, v5, s4, v4
.LBB144_2240:
	s_or_b64 exec, exec, s[8:9]
.LBB144_2241:
	s_or_b64 exec, exec, s[2:3]
	s_mov_b64 s[2:3], 0
	global_store_byte v[1:2], v5, off
.LBB144_2242:
	s_and_b64 vcc, exec, s[2:3]
	s_cbranch_vccz .LBB144_2252
; %bb.2243:
	v_and_b32_e32 v5, 0x7fffffff, v3
	s_mov_b32 s2, 0x43f00000
	v_cmp_gt_u32_e32 vcc, s2, v5
                                        ; implicit-def: $vgpr4
	s_and_saveexec_b64 s[2:3], vcc
	s_xor_b64 s[2:3], exec, s[2:3]
	s_cbranch_execz .LBB144_2249
; %bb.2244:
	s_mov_b32 s4, 0x3c7fffff
	v_cmp_lt_u32_e32 vcc, s4, v5
                                        ; implicit-def: $vgpr4
	s_and_saveexec_b64 s[4:5], vcc
	s_xor_b64 s[4:5], exec, s[4:5]
; %bb.2245:
	v_bfe_u32 v4, v3, 20, 1
	s_mov_b32 s8, 0x407ffff
	v_add3_u32 v4, v3, v4, s8
	v_lshrrev_b32_e32 v5, 20, v4
	v_and_b32_e32 v4, 0xff00000, v4
	s_mov_b32 s8, 0x7f00000
	v_mov_b32_e32 v6, 0x7e
	v_cmp_ne_u32_e32 vcc, s8, v4
	v_cndmask_b32_e32 v4, v6, v5, vcc
; %bb.2246:
	s_andn2_saveexec_b64 s[4:5], s[4:5]
; %bb.2247:
	s_mov_b32 s8, 0x46800000
	v_add_f32_e64 v4, |v3|, s8
; %bb.2248:
	s_or_b64 exec, exec, s[4:5]
                                        ; implicit-def: $vgpr5
.LBB144_2249:
	s_andn2_saveexec_b64 s[2:3], s[2:3]
; %bb.2250:
	s_mov_b32 s4, 0x7f800000
	v_mov_b32_e32 v4, 0x7e
	v_mov_b32_e32 v6, 0x7f
	v_cmp_lt_u32_e32 vcc, s4, v5
	v_cndmask_b32_e32 v4, v4, v6, vcc
; %bb.2251:
	s_or_b64 exec, exec, s[2:3]
	v_lshrrev_b32_e32 v5, 24, v3
	s_movk_i32 s2, 0x80
	v_and_or_b32 v4, v5, s2, v4
	global_store_byte v[1:2], v4, off
.LBB144_2252:
	s_mov_b64 s[2:3], 0
.LBB144_2253:
	s_andn2_b64 vcc, exec, s[2:3]
	s_cbranch_vccnz .LBB144_2263
; %bb.2254:
	v_and_b32_e32 v5, 0x7fffffff, v3
	s_mov_b32 s2, 0x47800000
	v_cmp_gt_u32_e32 vcc, s2, v5
                                        ; implicit-def: $vgpr4
	s_and_saveexec_b64 s[2:3], vcc
	s_xor_b64 s[2:3], exec, s[2:3]
	s_cbranch_execz .LBB144_2260
; %bb.2255:
	s_mov_b32 s4, 0x387fffff
	v_cmp_lt_u32_e32 vcc, s4, v5
                                        ; implicit-def: $vgpr4
	s_and_saveexec_b64 s[4:5], vcc
	s_xor_b64 s[4:5], exec, s[4:5]
; %bb.2256:
	v_bfe_u32 v4, v3, 21, 1
	s_mov_b32 s8, 0x80fffff
	v_add3_u32 v4, v3, v4, s8
	v_lshrrev_b32_e32 v4, 21, v4
; %bb.2257:
	s_andn2_saveexec_b64 s[4:5], s[4:5]
; %bb.2258:
	s_mov_b32 s8, 0x43000000
	v_add_f32_e64 v4, |v3|, s8
; %bb.2259:
	s_or_b64 exec, exec, s[4:5]
                                        ; implicit-def: $vgpr5
.LBB144_2260:
	s_andn2_saveexec_b64 s[2:3], s[2:3]
; %bb.2261:
	s_mov_b32 s4, 0x7f800000
	v_mov_b32_e32 v4, 0x7c
	v_mov_b32_e32 v6, 0x7f
	v_cmp_lt_u32_e32 vcc, s4, v5
	v_cndmask_b32_e32 v4, v4, v6, vcc
; %bb.2262:
	s_or_b64 exec, exec, s[2:3]
	v_lshrrev_b32_e32 v5, 24, v3
	s_movk_i32 s2, 0x80
	v_and_or_b32 v4, v5, s2, v4
	global_store_byte v[1:2], v4, off
.LBB144_2263:
	s_mov_b64 s[2:3], 0
	s_mov_b64 s[4:5], -1
.LBB144_2264:
	s_andn2_b64 vcc, exec, s[2:3]
	s_mov_b64 s[2:3], 0
	s_cbranch_vccnz .LBB144_2271
; %bb.2265:
	s_cmp_gt_i32 s16, 14
	s_mov_b64 s[8:9], -1
	s_cbranch_scc0 .LBB144_2269
; %bb.2266:
	s_cmp_eq_u32 s16, 15
	s_mov_b64 s[0:1], -1
	s_cbranch_scc0 .LBB144_2268
; %bb.2267:
	v_bfe_u32 v4, v3, 16, 1
	s_movk_i32 s0, 0x7fff
	v_add3_u32 v4, v3, v4, s0
	v_cmp_o_f32_e32 vcc, v3, v3
	v_mov_b32_e32 v5, 0x7fc0
	v_cndmask_b32_sdwa v4, v5, v4, vcc dst_sel:DWORD dst_unused:UNUSED_PAD src0_sel:DWORD src1_sel:WORD_1
	global_store_short v[1:2], v4, off
	s_mov_b64 s[0:1], 0
	s_mov_b64 s[4:5], -1
.LBB144_2268:
	s_mov_b64 s[8:9], 0
.LBB144_2269:
	s_and_b64 vcc, exec, s[8:9]
	s_cbranch_vccz .LBB144_2271
; %bb.2270:
	s_cmp_lg_u32 s16, 11
	s_mov_b64 s[2:3], -1
	s_cselect_b64 s[0:1], -1, 0
.LBB144_2271:
	s_and_b64 vcc, exec, s[0:1]
	s_cbranch_vccnz .LBB144_2451
; %bb.2272:
	s_andn2_b64 vcc, exec, s[2:3]
	s_cbranch_vccnz .LBB144_2274
.LBB144_2273:
	v_cmp_neq_f32_e32 vcc, 0, v3
	v_cndmask_b32_e64 v4, 0, 1, vcc
	s_mov_b64 s[4:5], -1
	global_store_byte v[1:2], v4, off
.LBB144_2274:
	s_mov_b64 s[0:1], 0
	s_branch .LBB144_2276
.LBB144_2275:
	s_mov_b64 s[0:1], -1
	s_mov_b64 s[4:5], 0
.LBB144_2276:
	s_and_b64 vcc, exec, s[0:1]
	s_cbranch_vccz .LBB144_2315
; %bb.2277:
	s_and_b32 s2, 0xffff, s18
	s_cmp_lt_i32 s2, 5
	s_mov_b64 s[0:1], -1
	s_cbranch_scc1 .LBB144_2298
; %bb.2278:
	s_cmp_lt_i32 s2, 8
	s_cbranch_scc1 .LBB144_2288
; %bb.2279:
	s_cmp_lt_i32 s2, 9
	s_cbranch_scc1 .LBB144_2285
; %bb.2280:
	s_cmp_gt_i32 s2, 9
	s_cbranch_scc0 .LBB144_2282
; %bb.2281:
	v_cvt_f64_f32_e32 v[4:5], v3
	v_mov_b32_e32 v6, 0
	v_mov_b32_e32 v7, v6
	s_mov_b64 s[0:1], 0
	global_store_dwordx4 v[1:2], v[4:7], off
.LBB144_2282:
	s_andn2_b64 vcc, exec, s[0:1]
	s_cbranch_vccnz .LBB144_2284
; %bb.2283:
	v_mov_b32_e32 v4, 0
	global_store_dwordx2 v[1:2], v[3:4], off
.LBB144_2284:
	s_mov_b64 s[0:1], 0
.LBB144_2285:
	s_andn2_b64 vcc, exec, s[0:1]
	s_cbranch_vccnz .LBB144_2287
; %bb.2286:
	v_cvt_f16_f32_e32 v4, v3
	global_store_dword v[1:2], v4, off
.LBB144_2287:
	s_mov_b64 s[0:1], 0
.LBB144_2288:
	s_andn2_b64 vcc, exec, s[0:1]
	s_cbranch_vccnz .LBB144_2297
; %bb.2289:
	s_cmp_lt_i32 s2, 6
	s_mov_b64 s[0:1], -1
	s_cbranch_scc1 .LBB144_2295
; %bb.2290:
	s_cmp_gt_i32 s2, 6
	s_cbranch_scc0 .LBB144_2292
; %bb.2291:
	v_cvt_f64_f32_e32 v[4:5], v3
	s_mov_b64 s[0:1], 0
	global_store_dwordx2 v[1:2], v[4:5], off
.LBB144_2292:
	s_andn2_b64 vcc, exec, s[0:1]
	s_cbranch_vccnz .LBB144_2294
; %bb.2293:
	global_store_dword v[1:2], v3, off
.LBB144_2294:
	s_mov_b64 s[0:1], 0
.LBB144_2295:
	s_andn2_b64 vcc, exec, s[0:1]
	s_cbranch_vccnz .LBB144_2297
; %bb.2296:
	v_cvt_f16_f32_e32 v4, v3
	global_store_short v[1:2], v4, off
.LBB144_2297:
	s_mov_b64 s[0:1], 0
.LBB144_2298:
	s_andn2_b64 vcc, exec, s[0:1]
	s_cbranch_vccnz .LBB144_2314
; %bb.2299:
	s_cmp_lt_i32 s2, 2
	s_mov_b64 s[0:1], -1
	s_cbranch_scc1 .LBB144_2309
; %bb.2300:
	s_cmp_lt_i32 s2, 3
	s_cbranch_scc1 .LBB144_2306
; %bb.2301:
	s_cmp_gt_i32 s2, 3
	s_cbranch_scc0 .LBB144_2303
; %bb.2302:
	v_trunc_f32_e32 v4, v3
	s_mov_b32 s0, 0x2f800000
	v_mul_f32_e64 v5, |v4|, s0
	v_floor_f32_e32 v5, v5
	s_mov_b32 s0, 0xcf800000
	v_cvt_u32_f32_e32 v6, v5
	v_fma_f32 v5, v5, s0, |v4|
	v_cvt_u32_f32_e32 v5, v5
	v_ashrrev_i32_e32 v7, 31, v4
	v_xor_b32_e32 v6, v6, v7
	s_mov_b64 s[0:1], 0
	v_xor_b32_e32 v4, v5, v7
	v_sub_co_u32_e32 v4, vcc, v4, v7
	v_subb_co_u32_e32 v5, vcc, v6, v7, vcc
	global_store_dwordx2 v[1:2], v[4:5], off
.LBB144_2303:
	s_andn2_b64 vcc, exec, s[0:1]
	s_cbranch_vccnz .LBB144_2305
; %bb.2304:
	v_cvt_i32_f32_e32 v4, v3
	global_store_dword v[1:2], v4, off
.LBB144_2305:
	s_mov_b64 s[0:1], 0
.LBB144_2306:
	s_andn2_b64 vcc, exec, s[0:1]
	s_cbranch_vccnz .LBB144_2308
; %bb.2307:
	v_cvt_i32_f32_e32 v4, v3
	global_store_short v[1:2], v4, off
.LBB144_2308:
	s_mov_b64 s[0:1], 0
.LBB144_2309:
	s_andn2_b64 vcc, exec, s[0:1]
	s_cbranch_vccnz .LBB144_2314
; %bb.2310:
	s_cmp_gt_i32 s2, 0
	s_mov_b64 s[0:1], -1
	s_cbranch_scc0 .LBB144_2312
; %bb.2311:
	v_cvt_i32_f32_e32 v4, v3
	s_mov_b64 s[0:1], 0
	global_store_byte v[1:2], v4, off
.LBB144_2312:
	s_andn2_b64 vcc, exec, s[0:1]
	s_cbranch_vccnz .LBB144_2314
; %bb.2313:
	v_trunc_f32_e32 v3, v3
	s_mov_b32 s0, 0x2f800000
	v_mul_f32_e64 v4, |v3|, s0
	v_floor_f32_e32 v4, v4
	s_mov_b32 s0, 0xcf800000
	v_fma_f32 v4, v4, s0, |v3|
	v_cvt_u32_f32_e32 v4, v4
	v_ashrrev_i32_e32 v3, 31, v3
	v_xor_b32_e32 v4, v4, v3
	v_sub_u32_e32 v3, v4, v3
	global_store_byte v[1:2], v3, off
.LBB144_2314:
	s_mov_b64 s[4:5], -1
.LBB144_2315:
	s_andn2_b64 vcc, exec, s[4:5]
	s_cbranch_vccnz .LBB144_2392
; %bb.2316:
	s_mov_b32 s0, 0x4b000000
	v_cmp_lt_f32_e64 s[0:1], |v9|, s0
	v_mov_b32_e32 v1, 0x264
	v_mov_b32_e32 v2, 0x7f800000
	s_or_b64 vcc, s[6:7], s[0:1]
	v_cndmask_b32_e32 v3, v2, v13, vcc
	v_cmp_class_f32_e32 vcc, v9, v1
	v_cndmask_b32_e32 v1, v3, v2, vcc
	v_cmp_u_f32_e32 vcc, v9, v9
	v_cndmask_b32_e32 v2, v1, v9, vcc
	v_mov_b32_e32 v1, s13
	v_add_co_u32_e32 v0, vcc, s12, v0
	s_cmp_lt_i32 s18, 11
	v_addc_co_u32_e32 v1, vcc, 0, v1, vcc
	s_cbranch_scc1 .LBB144_2437
; %bb.2317:
	s_and_b32 s12, 0xffff, s18
	s_mov_b64 s[4:5], -1
	s_mov_b64 s[2:3], 0
	s_cmp_gt_i32 s12, 25
	s_mov_b64 s[0:1], 0
	s_cbranch_scc0 .LBB144_2350
; %bb.2318:
	s_cmp_gt_i32 s12, 28
	s_cbranch_scc0 .LBB144_2334
; %bb.2319:
	s_cmp_gt_i32 s12, 43
	;; [unrolled: 3-line block ×3, first 2 shown]
	s_cbranch_scc0 .LBB144_2324
; %bb.2321:
	s_cmp_eq_u32 s12, 46
	s_mov_b64 s[0:1], -1
	s_cbranch_scc0 .LBB144_2323
; %bb.2322:
	v_bfe_u32 v3, v2, 16, 1
	s_movk_i32 s0, 0x7fff
	v_add3_u32 v3, v2, v3, s0
	v_cmp_o_f32_e32 vcc, v2, v2
	v_mov_b32_e32 v4, 0x7fc0
	v_cndmask_b32_sdwa v3, v4, v3, vcc dst_sel:DWORD dst_unused:UNUSED_PAD src0_sel:DWORD src1_sel:WORD_1
	global_store_dword v[0:1], v3, off
	s_mov_b64 s[0:1], 0
.LBB144_2323:
	s_mov_b64 s[4:5], 0
.LBB144_2324:
	s_and_b64 vcc, exec, s[4:5]
	s_cbranch_vccz .LBB144_2329
; %bb.2325:
	s_cmp_eq_u32 s12, 44
	s_mov_b64 s[0:1], -1
	s_cbranch_scc0 .LBB144_2329
; %bb.2326:
	v_bfe_u32 v3, v2, 23, 8
	s_movk_i32 s0, 0xff
	v_cmp_ne_u32_e32 vcc, s0, v3
	v_mov_b32_e32 v4, 0xff
	s_and_saveexec_b64 s[4:5], vcc
; %bb.2327:
	s_mov_b32 s0, 0x3fffff
	v_and_b32_e32 v5, 0x400000, v2
	v_and_or_b32 v3, v2, s0, v3
	v_cmp_ne_u32_e32 vcc, 0, v5
	v_cmp_ne_u32_e64 s[0:1], 0, v3
	s_and_b64 s[0:1], vcc, s[0:1]
	v_lshrrev_b32_e32 v4, 23, v2
	v_cndmask_b32_e64 v3, 0, 1, s[0:1]
	v_add_u32_e32 v4, v4, v3
; %bb.2328:
	s_or_b64 exec, exec, s[4:5]
	s_mov_b64 s[0:1], 0
	global_store_byte v[0:1], v4, off
.LBB144_2329:
	s_mov_b64 s[4:5], 0
.LBB144_2330:
	s_and_b64 vcc, exec, s[4:5]
	s_cbranch_vccz .LBB144_2333
; %bb.2331:
	s_cmp_eq_u32 s12, 29
	s_mov_b64 s[0:1], -1
	s_cbranch_scc0 .LBB144_2333
; %bb.2332:
	v_trunc_f32_e32 v3, v2
	v_mul_f32_e32 v4, 0x2f800000, v3
	v_floor_f32_e32 v5, v4
	v_fmac_f32_e32 v3, 0xcf800000, v5
	v_cvt_u32_f32_e32 v4, v5
	v_cvt_u32_f32_e32 v3, v3
	s_mov_b64 s[0:1], 0
	global_store_dwordx2 v[0:1], v[3:4], off
.LBB144_2333:
	s_mov_b64 s[4:5], 0
.LBB144_2334:
	s_and_b64 vcc, exec, s[4:5]
	s_cbranch_vccz .LBB144_2349
; %bb.2335:
	s_cmp_lt_i32 s12, 27
	s_mov_b64 s[4:5], -1
	s_cbranch_scc1 .LBB144_2341
; %bb.2336:
	s_cmp_gt_i32 s12, 27
	s_cbranch_scc0 .LBB144_2338
; %bb.2337:
	v_cvt_u32_f32_e32 v3, v2
	s_mov_b64 s[4:5], 0
	global_store_dword v[0:1], v3, off
.LBB144_2338:
	s_andn2_b64 vcc, exec, s[4:5]
	s_cbranch_vccnz .LBB144_2340
; %bb.2339:
	v_cvt_u32_f32_e32 v3, v2
	global_store_short v[0:1], v3, off
.LBB144_2340:
	s_mov_b64 s[4:5], 0
.LBB144_2341:
	s_andn2_b64 vcc, exec, s[4:5]
	s_cbranch_vccnz .LBB144_2349
; %bb.2342:
	v_and_b32_e32 v3, 0x7fffffff, v2
	s_mov_b32 s4, 0x43800000
	v_cmp_gt_u32_e32 vcc, s4, v3
	v_mov_b32_e32 v4, 0x80
	s_and_saveexec_b64 s[4:5], vcc
	s_cbranch_execz .LBB144_2348
; %bb.2343:
	s_mov_b32 s6, 0x3bffffff
	v_cmp_lt_u32_e32 vcc, s6, v3
	s_mov_b64 s[6:7], 0
                                        ; implicit-def: $vgpr3
	s_and_saveexec_b64 s[8:9], vcc
	s_xor_b64 s[8:9], exec, s[8:9]
	s_cbranch_execz .LBB144_2454
; %bb.2344:
	v_bfe_u32 v3, v2, 20, 1
	s_mov_b32 s13, 0x487ffff
	v_add3_u32 v3, v2, v3, s13
	s_mov_b64 s[6:7], exec
	v_lshrrev_b32_e32 v3, 20, v3
	s_andn2_saveexec_b64 s[8:9], s[8:9]
	s_cbranch_execnz .LBB144_2455
.LBB144_2345:
	s_or_b64 exec, exec, s[8:9]
	v_mov_b32_e32 v4, 0
	s_and_saveexec_b64 s[8:9], s[6:7]
.LBB144_2346:
	v_lshrrev_b32_e32 v4, 24, v2
	s_movk_i32 s6, 0x80
	v_and_or_b32 v4, v4, s6, v3
.LBB144_2347:
	s_or_b64 exec, exec, s[8:9]
.LBB144_2348:
	s_or_b64 exec, exec, s[4:5]
	global_store_byte v[0:1], v4, off
.LBB144_2349:
	s_mov_b64 s[4:5], 0
.LBB144_2350:
	s_and_b64 vcc, exec, s[4:5]
	s_cbranch_vccz .LBB144_2390
; %bb.2351:
	s_cmp_gt_i32 s12, 22
	s_mov_b64 s[2:3], -1
	s_cbranch_scc0 .LBB144_2383
; %bb.2352:
	s_cmp_lt_i32 s12, 24
	s_cbranch_scc1 .LBB144_2372
; %bb.2353:
	s_cmp_gt_i32 s12, 24
	s_cbranch_scc0 .LBB144_2361
; %bb.2354:
	v_and_b32_e32 v3, 0x7fffffff, v2
	s_mov_b32 s2, 0x47800000
	v_cmp_gt_u32_e32 vcc, s2, v3
	v_mov_b32_e32 v4, 0x80
	s_and_saveexec_b64 s[2:3], vcc
	s_cbranch_execz .LBB144_2360
; %bb.2355:
	s_mov_b32 s4, 0x37ffffff
	v_cmp_lt_u32_e32 vcc, s4, v3
	s_mov_b64 s[4:5], 0
                                        ; implicit-def: $vgpr3
	s_and_saveexec_b64 s[6:7], vcc
	s_xor_b64 s[6:7], exec, s[6:7]
	s_cbranch_execz .LBB144_2457
; %bb.2356:
	v_bfe_u32 v3, v2, 21, 1
	s_mov_b32 s8, 0x88fffff
	v_add3_u32 v3, v2, v3, s8
	s_mov_b64 s[4:5], exec
	v_lshrrev_b32_e32 v3, 21, v3
	s_andn2_saveexec_b64 s[6:7], s[6:7]
	s_cbranch_execnz .LBB144_2458
.LBB144_2357:
	s_or_b64 exec, exec, s[6:7]
	v_mov_b32_e32 v4, 0
	s_and_saveexec_b64 s[6:7], s[4:5]
.LBB144_2358:
	v_lshrrev_b32_e32 v4, 24, v2
	s_movk_i32 s4, 0x80
	v_and_or_b32 v4, v4, s4, v3
.LBB144_2359:
	s_or_b64 exec, exec, s[6:7]
.LBB144_2360:
	s_or_b64 exec, exec, s[2:3]
	s_mov_b64 s[2:3], 0
	global_store_byte v[0:1], v4, off
.LBB144_2361:
	s_and_b64 vcc, exec, s[2:3]
	s_cbranch_vccz .LBB144_2371
; %bb.2362:
	v_and_b32_e32 v4, 0x7fffffff, v2
	s_mov_b32 s2, 0x43f00000
	v_cmp_gt_u32_e32 vcc, s2, v4
                                        ; implicit-def: $vgpr3
	s_and_saveexec_b64 s[2:3], vcc
	s_xor_b64 s[2:3], exec, s[2:3]
	s_cbranch_execz .LBB144_2368
; %bb.2363:
	s_mov_b32 s4, 0x3c7fffff
	v_cmp_lt_u32_e32 vcc, s4, v4
                                        ; implicit-def: $vgpr3
	s_and_saveexec_b64 s[4:5], vcc
	s_xor_b64 s[4:5], exec, s[4:5]
; %bb.2364:
	v_bfe_u32 v3, v2, 20, 1
	s_mov_b32 s6, 0x407ffff
	v_add3_u32 v3, v2, v3, s6
	v_lshrrev_b32_e32 v4, 20, v3
	v_and_b32_e32 v3, 0xff00000, v3
	s_mov_b32 s6, 0x7f00000
	v_mov_b32_e32 v5, 0x7e
	v_cmp_ne_u32_e32 vcc, s6, v3
	v_cndmask_b32_e32 v3, v5, v4, vcc
; %bb.2365:
	s_andn2_saveexec_b64 s[4:5], s[4:5]
; %bb.2366:
	s_mov_b32 s6, 0x46800000
	v_add_f32_e64 v3, |v2|, s6
; %bb.2367:
	s_or_b64 exec, exec, s[4:5]
                                        ; implicit-def: $vgpr4
.LBB144_2368:
	s_andn2_saveexec_b64 s[2:3], s[2:3]
; %bb.2369:
	s_mov_b32 s4, 0x7f800000
	v_mov_b32_e32 v3, 0x7e
	v_mov_b32_e32 v5, 0x7f
	v_cmp_lt_u32_e32 vcc, s4, v4
	v_cndmask_b32_e32 v3, v3, v5, vcc
; %bb.2370:
	s_or_b64 exec, exec, s[2:3]
	v_lshrrev_b32_e32 v4, 24, v2
	s_movk_i32 s2, 0x80
	v_and_or_b32 v3, v4, s2, v3
	global_store_byte v[0:1], v3, off
.LBB144_2371:
	s_mov_b64 s[2:3], 0
.LBB144_2372:
	s_andn2_b64 vcc, exec, s[2:3]
	s_cbranch_vccnz .LBB144_2382
; %bb.2373:
	v_and_b32_e32 v4, 0x7fffffff, v2
	s_mov_b32 s2, 0x47800000
	v_cmp_gt_u32_e32 vcc, s2, v4
                                        ; implicit-def: $vgpr3
	s_and_saveexec_b64 s[2:3], vcc
	s_xor_b64 s[2:3], exec, s[2:3]
	s_cbranch_execz .LBB144_2379
; %bb.2374:
	s_mov_b32 s4, 0x387fffff
	v_cmp_lt_u32_e32 vcc, s4, v4
                                        ; implicit-def: $vgpr3
	s_and_saveexec_b64 s[4:5], vcc
	s_xor_b64 s[4:5], exec, s[4:5]
; %bb.2375:
	v_bfe_u32 v3, v2, 21, 1
	s_mov_b32 s6, 0x80fffff
	v_add3_u32 v3, v2, v3, s6
	v_lshrrev_b32_e32 v3, 21, v3
; %bb.2376:
	s_andn2_saveexec_b64 s[4:5], s[4:5]
; %bb.2377:
	s_mov_b32 s6, 0x43000000
	v_add_f32_e64 v3, |v2|, s6
; %bb.2378:
	s_or_b64 exec, exec, s[4:5]
                                        ; implicit-def: $vgpr4
.LBB144_2379:
	s_andn2_saveexec_b64 s[2:3], s[2:3]
; %bb.2380:
	s_mov_b32 s4, 0x7f800000
	v_mov_b32_e32 v3, 0x7c
	v_mov_b32_e32 v5, 0x7f
	v_cmp_lt_u32_e32 vcc, s4, v4
	v_cndmask_b32_e32 v3, v3, v5, vcc
; %bb.2381:
	s_or_b64 exec, exec, s[2:3]
	v_lshrrev_b32_e32 v4, 24, v2
	s_movk_i32 s2, 0x80
	v_and_or_b32 v3, v4, s2, v3
	global_store_byte v[0:1], v3, off
.LBB144_2382:
	s_mov_b64 s[2:3], 0
.LBB144_2383:
	s_andn2_b64 vcc, exec, s[2:3]
	s_mov_b64 s[2:3], 0
	s_cbranch_vccnz .LBB144_2390
; %bb.2384:
	s_cmp_gt_i32 s12, 14
	s_mov_b64 s[4:5], -1
	s_cbranch_scc0 .LBB144_2388
; %bb.2385:
	s_cmp_eq_u32 s12, 15
	s_mov_b64 s[0:1], -1
	s_cbranch_scc0 .LBB144_2387
; %bb.2386:
	v_bfe_u32 v3, v2, 16, 1
	s_movk_i32 s0, 0x7fff
	v_add3_u32 v3, v2, v3, s0
	v_cmp_o_f32_e32 vcc, v2, v2
	v_mov_b32_e32 v4, 0x7fc0
	v_cndmask_b32_sdwa v3, v4, v3, vcc dst_sel:DWORD dst_unused:UNUSED_PAD src0_sel:DWORD src1_sel:WORD_1
	global_store_short v[0:1], v3, off
	s_mov_b64 s[0:1], 0
.LBB144_2387:
	s_mov_b64 s[4:5], 0
.LBB144_2388:
	s_and_b64 vcc, exec, s[4:5]
	s_cbranch_vccz .LBB144_2390
; %bb.2389:
	s_cmp_lg_u32 s12, 11
	s_mov_b64 s[2:3], -1
	s_cselect_b64 s[0:1], -1, 0
.LBB144_2390:
	s_and_b64 vcc, exec, s[0:1]
	s_cbranch_vccnz .LBB144_2456
.LBB144_2391:
	s_mov_b64 s[0:1], 0
	s_branch .LBB144_2393
.LBB144_2392:
	s_mov_b64 s[0:1], 0
	s_mov_b64 s[2:3], 0
                                        ; implicit-def: $vgpr0_vgpr1
                                        ; implicit-def: $sgpr18
                                        ; implicit-def: $vgpr2
.LBB144_2393:
	s_and_b64 s[6:7], s[2:3], exec
	s_andn2_b64 s[2:3], s[28:29], exec
	s_and_b64 s[4:5], s[10:11], exec
	s_and_b64 s[0:1], s[0:1], exec
	s_or_b64 s[28:29], s[2:3], s[4:5]
.LBB144_2394:
	s_or_b64 exec, exec, s[30:31]
	s_and_saveexec_b64 s[2:3], s[28:29]
	s_cbranch_execz .LBB144_2397
; %bb.2395:
	; divergent unreachable
	s_or_b64 exec, exec, s[2:3]
	s_and_saveexec_b64 s[2:3], s[6:7]
	s_xor_b64 s[2:3], exec, s[2:3]
	s_cbranch_execnz .LBB144_2398
.LBB144_2396:
	s_or_b64 exec, exec, s[2:3]
	s_and_saveexec_b64 s[2:3], s[0:1]
	s_cbranch_execnz .LBB144_2399
	s_branch .LBB144_2436
.LBB144_2397:
	s_or_b64 exec, exec, s[2:3]
	s_and_saveexec_b64 s[2:3], s[6:7]
	s_xor_b64 s[2:3], exec, s[2:3]
	s_cbranch_execz .LBB144_2396
.LBB144_2398:
	v_cmp_neq_f32_e32 vcc, 0, v2
	s_waitcnt vmcnt(0)
	v_cndmask_b32_e64 v3, 0, 1, vcc
	global_store_byte v[0:1], v3, off
	s_or_b64 exec, exec, s[2:3]
	s_and_saveexec_b64 s[2:3], s[0:1]
	s_cbranch_execz .LBB144_2436
.LBB144_2399:
	s_sext_i32_i16 s2, s18
	s_cmp_lt_i32 s2, 5
	s_mov_b64 s[0:1], -1
	s_cbranch_scc1 .LBB144_2420
; %bb.2400:
	s_cmp_lt_i32 s2, 8
	s_cbranch_scc1 .LBB144_2410
; %bb.2401:
	s_cmp_lt_i32 s2, 9
	s_cbranch_scc1 .LBB144_2407
; %bb.2402:
	s_cmp_gt_i32 s2, 9
	s_cbranch_scc0 .LBB144_2404
; %bb.2403:
	s_waitcnt vmcnt(0)
	v_cvt_f64_f32_e32 v[3:4], v2
	v_mov_b32_e32 v5, 0
	v_mov_b32_e32 v6, v5
	s_mov_b64 s[0:1], 0
	global_store_dwordx4 v[0:1], v[3:6], off
.LBB144_2404:
	s_andn2_b64 vcc, exec, s[0:1]
	s_cbranch_vccnz .LBB144_2406
; %bb.2405:
	s_waitcnt vmcnt(0)
	v_mov_b32_e32 v3, 0
	global_store_dwordx2 v[0:1], v[2:3], off
.LBB144_2406:
	s_mov_b64 s[0:1], 0
.LBB144_2407:
	s_andn2_b64 vcc, exec, s[0:1]
	s_cbranch_vccnz .LBB144_2409
; %bb.2408:
	s_waitcnt vmcnt(0)
	v_cvt_f16_f32_e32 v3, v2
	global_store_dword v[0:1], v3, off
.LBB144_2409:
	s_mov_b64 s[0:1], 0
.LBB144_2410:
	s_andn2_b64 vcc, exec, s[0:1]
	s_cbranch_vccnz .LBB144_2419
; %bb.2411:
	s_sext_i32_i16 s2, s18
	s_cmp_lt_i32 s2, 6
	s_mov_b64 s[0:1], -1
	s_cbranch_scc1 .LBB144_2417
; %bb.2412:
	s_cmp_gt_i32 s2, 6
	s_cbranch_scc0 .LBB144_2414
; %bb.2413:
	s_waitcnt vmcnt(0)
	v_cvt_f64_f32_e32 v[3:4], v2
	s_mov_b64 s[0:1], 0
	global_store_dwordx2 v[0:1], v[3:4], off
.LBB144_2414:
	s_andn2_b64 vcc, exec, s[0:1]
	s_cbranch_vccnz .LBB144_2416
; %bb.2415:
	s_waitcnt vmcnt(0)
	global_store_dword v[0:1], v2, off
.LBB144_2416:
	s_mov_b64 s[0:1], 0
.LBB144_2417:
	s_andn2_b64 vcc, exec, s[0:1]
	s_cbranch_vccnz .LBB144_2419
; %bb.2418:
	s_waitcnt vmcnt(0)
	v_cvt_f16_f32_e32 v3, v2
	global_store_short v[0:1], v3, off
.LBB144_2419:
	s_mov_b64 s[0:1], 0
.LBB144_2420:
	s_andn2_b64 vcc, exec, s[0:1]
	s_cbranch_vccnz .LBB144_2436
; %bb.2421:
	s_sext_i32_i16 s2, s18
	s_cmp_lt_i32 s2, 2
	s_mov_b64 s[0:1], -1
	s_cbranch_scc1 .LBB144_2431
; %bb.2422:
	s_cmp_lt_i32 s2, 3
	s_cbranch_scc1 .LBB144_2428
; %bb.2423:
	s_cmp_gt_i32 s2, 3
	s_cbranch_scc0 .LBB144_2425
; %bb.2424:
	s_waitcnt vmcnt(0)
	v_trunc_f32_e32 v3, v2
	s_mov_b32 s0, 0x2f800000
	v_mul_f32_e64 v4, |v3|, s0
	v_floor_f32_e32 v4, v4
	s_mov_b32 s0, 0xcf800000
	v_cvt_u32_f32_e32 v5, v4
	v_fma_f32 v4, v4, s0, |v3|
	v_cvt_u32_f32_e32 v4, v4
	v_ashrrev_i32_e32 v6, 31, v3
	v_xor_b32_e32 v5, v5, v6
	s_mov_b64 s[0:1], 0
	v_xor_b32_e32 v3, v4, v6
	v_sub_co_u32_e32 v3, vcc, v3, v6
	v_subb_co_u32_e32 v4, vcc, v5, v6, vcc
	global_store_dwordx2 v[0:1], v[3:4], off
.LBB144_2425:
	s_andn2_b64 vcc, exec, s[0:1]
	s_cbranch_vccnz .LBB144_2427
; %bb.2426:
	s_waitcnt vmcnt(0)
	v_cvt_i32_f32_e32 v3, v2
	global_store_dword v[0:1], v3, off
.LBB144_2427:
	s_mov_b64 s[0:1], 0
.LBB144_2428:
	s_andn2_b64 vcc, exec, s[0:1]
	s_cbranch_vccnz .LBB144_2430
; %bb.2429:
	s_waitcnt vmcnt(0)
	v_cvt_i32_f32_e32 v3, v2
	global_store_short v[0:1], v3, off
.LBB144_2430:
	s_mov_b64 s[0:1], 0
.LBB144_2431:
	s_andn2_b64 vcc, exec, s[0:1]
	s_cbranch_vccnz .LBB144_2436
; %bb.2432:
	s_sext_i32_i16 s0, s18
	s_cmp_gt_i32 s0, 0
	s_mov_b64 s[0:1], -1
	s_cbranch_scc0 .LBB144_2434
; %bb.2433:
	s_waitcnt vmcnt(0)
	v_cvt_i32_f32_e32 v3, v2
	s_mov_b64 s[0:1], 0
	global_store_byte v[0:1], v3, off
.LBB144_2434:
	s_andn2_b64 vcc, exec, s[0:1]
	s_cbranch_vccnz .LBB144_2436
; %bb.2435:
	v_trunc_f32_e32 v2, v2
	s_mov_b32 s0, 0x2f800000
	s_waitcnt vmcnt(0)
	v_mul_f32_e64 v3, |v2|, s0
	v_floor_f32_e32 v3, v3
	s_mov_b32 s0, 0xcf800000
	v_fma_f32 v3, v3, s0, |v2|
	v_cvt_u32_f32_e32 v3, v3
	v_ashrrev_i32_e32 v2, 31, v2
	v_xor_b32_e32 v3, v3, v2
	v_sub_u32_e32 v2, v3, v2
	global_store_byte v[0:1], v2, off
	s_endpgm
.LBB144_2436:
	s_endpgm
.LBB144_2437:
	s_mov_b64 s[2:3], 0
	s_mov_b64 s[0:1], -1
	s_branch .LBB144_2393
.LBB144_2438:
	s_trap 2
	s_or_b64 s[10:11], s[10:11], exec
	s_cbranch_execz .LBB144_1869
	s_branch .LBB144_1870
.LBB144_2439:
	s_andn2_saveexec_b64 s[18:19], s[18:19]
	s_cbranch_execz .LBB144_1987
.LBB144_2440:
	s_mov_b32 s23, 0x46000000
	v_add_f32_e64 v1, |v7|, s23
	v_and_b32_e32 v1, 0xff, v1
	v_cmp_ne_u32_e32 vcc, 0, v1
	s_andn2_b64 s[16:17], s[16:17], exec
	s_and_b64 s[24:25], vcc, exec
	s_or_b64 s[16:17], s[16:17], s[24:25]
	s_or_b64 exec, exec, s[18:19]
	v_mov_b32_e32 v8, 0
	s_and_saveexec_b64 s[18:19], s[16:17]
	s_cbranch_execnz .LBB144_1988
	s_branch .LBB144_1989
.LBB144_2441:
	s_trap 2
	s_or_b64 s[10:11], s[10:11], exec
	s_cbranch_execz .LBB144_2035
	s_branch .LBB144_2036
.LBB144_2442:
	s_andn2_saveexec_b64 s[16:17], s[16:17]
	s_cbranch_execz .LBB144_2000
.LBB144_2443:
	s_mov_b32 s18, 0x42800000
	v_add_f32_e64 v1, |v7|, s18
	v_and_b32_e32 v1, 0xff, v1
	v_cmp_ne_u32_e32 vcc, 0, v1
	s_andn2_b64 s[14:15], s[14:15], exec
	s_and_b64 s[18:19], vcc, exec
	s_or_b64 s[14:15], s[14:15], s[18:19]
	s_or_b64 exec, exec, s[16:17]
	v_mov_b32_e32 v8, 0
	s_and_saveexec_b64 s[16:17], s[14:15]
	s_cbranch_execnz .LBB144_2001
	s_branch .LBB144_2002
.LBB144_2444:
	s_andn2_saveexec_b64 s[16:17], s[16:17]
	s_cbranch_execz .LBB144_2106
.LBB144_2445:
	s_mov_b32 s20, 0x46000000
	v_add_f32_e64 v1, |v5|, s20
	v_and_b32_e32 v1, 0xff, v1
	v_cmp_ne_u32_e32 vcc, 0, v1
	s_andn2_b64 s[14:15], s[14:15], exec
	s_and_b64 s[20:21], vcc, exec
	s_or_b64 s[14:15], s[14:15], s[20:21]
	s_or_b64 exec, exec, s[16:17]
	v_mov_b32_e32 v6, 0
	s_and_saveexec_b64 s[16:17], s[14:15]
	s_cbranch_execnz .LBB144_2107
	s_branch .LBB144_2108
.LBB144_2446:
	s_trap 2
	s_or_b64 s[10:11], s[10:11], exec
	s_cbranch_execz .LBB144_2154
	s_branch .LBB144_2155
.LBB144_2447:
	s_andn2_saveexec_b64 s[14:15], s[14:15]
	s_cbranch_execz .LBB144_2119
.LBB144_2448:
	s_mov_b32 s16, 0x42800000
	v_add_f32_e64 v1, |v5|, s16
	v_and_b32_e32 v1, 0xff, v1
	v_cmp_ne_u32_e32 vcc, 0, v1
	s_andn2_b64 s[8:9], s[8:9], exec
	s_and_b64 s[16:17], vcc, exec
	s_or_b64 s[8:9], s[8:9], s[16:17]
	s_or_b64 exec, exec, s[14:15]
	v_mov_b32_e32 v6, 0
	s_and_saveexec_b64 s[14:15], s[8:9]
	s_cbranch_execnz .LBB144_2120
	s_branch .LBB144_2121
.LBB144_2449:
	s_andn2_saveexec_b64 s[14:15], s[14:15]
	s_cbranch_execz .LBB144_2225
.LBB144_2450:
	s_mov_b32 s17, 0x46000000
	v_add_f32_e64 v4, |v3|, s17
	v_and_b32_e32 v4, 0xff, v4
	v_cmp_ne_u32_e32 vcc, 0, v4
	s_andn2_b64 s[8:9], s[8:9], exec
	s_and_b64 s[20:21], vcc, exec
	s_or_b64 s[8:9], s[8:9], s[20:21]
	s_or_b64 exec, exec, s[14:15]
	v_mov_b32_e32 v5, 0
	s_and_saveexec_b64 s[14:15], s[8:9]
	s_cbranch_execnz .LBB144_2226
	s_branch .LBB144_2227
.LBB144_2451:
	s_trap 2
	s_or_b64 s[10:11], s[10:11], exec
	s_cbranch_execz .LBB144_2273
	s_branch .LBB144_2274
.LBB144_2452:
	s_andn2_saveexec_b64 s[8:9], s[8:9]
	s_cbranch_execz .LBB144_2238
.LBB144_2453:
	s_mov_b32 s14, 0x42800000
	v_add_f32_e64 v4, |v3|, s14
	v_and_b32_e32 v4, 0xff, v4
	v_cmp_ne_u32_e32 vcc, 0, v4
	s_andn2_b64 s[4:5], s[4:5], exec
	s_and_b64 s[14:15], vcc, exec
	s_or_b64 s[4:5], s[4:5], s[14:15]
	s_or_b64 exec, exec, s[8:9]
	v_mov_b32_e32 v5, 0
	s_and_saveexec_b64 s[8:9], s[4:5]
	s_cbranch_execnz .LBB144_2239
	s_branch .LBB144_2240
.LBB144_2454:
	s_andn2_saveexec_b64 s[8:9], s[8:9]
	s_cbranch_execz .LBB144_2345
.LBB144_2455:
	s_mov_b32 s13, 0x46000000
	v_add_f32_e64 v3, |v2|, s13
	v_and_b32_e32 v3, 0xff, v3
	v_cmp_ne_u32_e32 vcc, 0, v3
	s_andn2_b64 s[6:7], s[6:7], exec
	s_and_b64 s[14:15], vcc, exec
	s_or_b64 s[6:7], s[6:7], s[14:15]
	s_or_b64 exec, exec, s[8:9]
	v_mov_b32_e32 v4, 0
	s_and_saveexec_b64 s[8:9], s[6:7]
	s_cbranch_execnz .LBB144_2346
	s_branch .LBB144_2347
.LBB144_2456:
	s_mov_b64 s[2:3], 0
	s_or_b64 s[10:11], s[10:11], exec
	s_trap 2
	s_branch .LBB144_2391
.LBB144_2457:
	s_andn2_saveexec_b64 s[6:7], s[6:7]
	s_cbranch_execz .LBB144_2357
.LBB144_2458:
	s_mov_b32 s8, 0x42800000
	v_add_f32_e64 v3, |v2|, s8
	v_and_b32_e32 v3, 0xff, v3
	v_cmp_ne_u32_e32 vcc, 0, v3
	s_andn2_b64 s[4:5], s[4:5], exec
	s_and_b64 s[8:9], vcc, exec
	s_or_b64 s[4:5], s[4:5], s[8:9]
	s_or_b64 exec, exec, s[6:7]
	v_mov_b32_e32 v4, 0
	s_and_saveexec_b64 s[6:7], s[4:5]
	s_cbranch_execnz .LBB144_2358
	s_branch .LBB144_2359
	.section	.rodata,"a",@progbits
	.p2align	6, 0x0
	.amdhsa_kernel _ZN2at6native32elementwise_kernel_manual_unrollILi128ELi4EZNS0_15gpu_kernel_implIZZZNS0_18lgamma_kernel_cudaERNS_18TensorIteratorBaseEENKUlvE_clEvENKUlvE0_clEvEUlfE_EEvS4_RKT_EUlibE0_EEviT1_
		.amdhsa_group_segment_fixed_size 0
		.amdhsa_private_segment_fixed_size 0
		.amdhsa_kernarg_size 360
		.amdhsa_user_sgpr_count 6
		.amdhsa_user_sgpr_private_segment_buffer 1
		.amdhsa_user_sgpr_dispatch_ptr 0
		.amdhsa_user_sgpr_queue_ptr 0
		.amdhsa_user_sgpr_kernarg_segment_ptr 1
		.amdhsa_user_sgpr_dispatch_id 0
		.amdhsa_user_sgpr_flat_scratch_init 0
		.amdhsa_user_sgpr_private_segment_size 0
		.amdhsa_uses_dynamic_stack 0
		.amdhsa_system_sgpr_private_segment_wavefront_offset 0
		.amdhsa_system_sgpr_workgroup_id_x 1
		.amdhsa_system_sgpr_workgroup_id_y 0
		.amdhsa_system_sgpr_workgroup_id_z 0
		.amdhsa_system_sgpr_workgroup_info 0
		.amdhsa_system_vgpr_workitem_id 0
		.amdhsa_next_free_vgpr 21
		.amdhsa_next_free_sgpr 78
		.amdhsa_reserve_vcc 1
		.amdhsa_reserve_flat_scratch 0
		.amdhsa_float_round_mode_32 0
		.amdhsa_float_round_mode_16_64 0
		.amdhsa_float_denorm_mode_32 3
		.amdhsa_float_denorm_mode_16_64 3
		.amdhsa_dx10_clamp 1
		.amdhsa_ieee_mode 1
		.amdhsa_fp16_overflow 0
		.amdhsa_exception_fp_ieee_invalid_op 0
		.amdhsa_exception_fp_denorm_src 0
		.amdhsa_exception_fp_ieee_div_zero 0
		.amdhsa_exception_fp_ieee_overflow 0
		.amdhsa_exception_fp_ieee_underflow 0
		.amdhsa_exception_fp_ieee_inexact 0
		.amdhsa_exception_int_div_zero 0
	.end_amdhsa_kernel
	.section	.text._ZN2at6native32elementwise_kernel_manual_unrollILi128ELi4EZNS0_15gpu_kernel_implIZZZNS0_18lgamma_kernel_cudaERNS_18TensorIteratorBaseEENKUlvE_clEvENKUlvE0_clEvEUlfE_EEvS4_RKT_EUlibE0_EEviT1_,"axG",@progbits,_ZN2at6native32elementwise_kernel_manual_unrollILi128ELi4EZNS0_15gpu_kernel_implIZZZNS0_18lgamma_kernel_cudaERNS_18TensorIteratorBaseEENKUlvE_clEvENKUlvE0_clEvEUlfE_EEvS4_RKT_EUlibE0_EEviT1_,comdat
.Lfunc_end144:
	.size	_ZN2at6native32elementwise_kernel_manual_unrollILi128ELi4EZNS0_15gpu_kernel_implIZZZNS0_18lgamma_kernel_cudaERNS_18TensorIteratorBaseEENKUlvE_clEvENKUlvE0_clEvEUlfE_EEvS4_RKT_EUlibE0_EEviT1_, .Lfunc_end144-_ZN2at6native32elementwise_kernel_manual_unrollILi128ELi4EZNS0_15gpu_kernel_implIZZZNS0_18lgamma_kernel_cudaERNS_18TensorIteratorBaseEENKUlvE_clEvENKUlvE0_clEvEUlfE_EEvS4_RKT_EUlibE0_EEviT1_
                                        ; -- End function
	.set _ZN2at6native32elementwise_kernel_manual_unrollILi128ELi4EZNS0_15gpu_kernel_implIZZZNS0_18lgamma_kernel_cudaERNS_18TensorIteratorBaseEENKUlvE_clEvENKUlvE0_clEvEUlfE_EEvS4_RKT_EUlibE0_EEviT1_.num_vgpr, 21
	.set _ZN2at6native32elementwise_kernel_manual_unrollILi128ELi4EZNS0_15gpu_kernel_implIZZZNS0_18lgamma_kernel_cudaERNS_18TensorIteratorBaseEENKUlvE_clEvENKUlvE0_clEvEUlfE_EEvS4_RKT_EUlibE0_EEviT1_.num_agpr, 0
	.set _ZN2at6native32elementwise_kernel_manual_unrollILi128ELi4EZNS0_15gpu_kernel_implIZZZNS0_18lgamma_kernel_cudaERNS_18TensorIteratorBaseEENKUlvE_clEvENKUlvE0_clEvEUlfE_EEvS4_RKT_EUlibE0_EEviT1_.numbered_sgpr, 78
	.set _ZN2at6native32elementwise_kernel_manual_unrollILi128ELi4EZNS0_15gpu_kernel_implIZZZNS0_18lgamma_kernel_cudaERNS_18TensorIteratorBaseEENKUlvE_clEvENKUlvE0_clEvEUlfE_EEvS4_RKT_EUlibE0_EEviT1_.num_named_barrier, 0
	.set _ZN2at6native32elementwise_kernel_manual_unrollILi128ELi4EZNS0_15gpu_kernel_implIZZZNS0_18lgamma_kernel_cudaERNS_18TensorIteratorBaseEENKUlvE_clEvENKUlvE0_clEvEUlfE_EEvS4_RKT_EUlibE0_EEviT1_.private_seg_size, 0
	.set _ZN2at6native32elementwise_kernel_manual_unrollILi128ELi4EZNS0_15gpu_kernel_implIZZZNS0_18lgamma_kernel_cudaERNS_18TensorIteratorBaseEENKUlvE_clEvENKUlvE0_clEvEUlfE_EEvS4_RKT_EUlibE0_EEviT1_.uses_vcc, 1
	.set _ZN2at6native32elementwise_kernel_manual_unrollILi128ELi4EZNS0_15gpu_kernel_implIZZZNS0_18lgamma_kernel_cudaERNS_18TensorIteratorBaseEENKUlvE_clEvENKUlvE0_clEvEUlfE_EEvS4_RKT_EUlibE0_EEviT1_.uses_flat_scratch, 0
	.set _ZN2at6native32elementwise_kernel_manual_unrollILi128ELi4EZNS0_15gpu_kernel_implIZZZNS0_18lgamma_kernel_cudaERNS_18TensorIteratorBaseEENKUlvE_clEvENKUlvE0_clEvEUlfE_EEvS4_RKT_EUlibE0_EEviT1_.has_dyn_sized_stack, 0
	.set _ZN2at6native32elementwise_kernel_manual_unrollILi128ELi4EZNS0_15gpu_kernel_implIZZZNS0_18lgamma_kernel_cudaERNS_18TensorIteratorBaseEENKUlvE_clEvENKUlvE0_clEvEUlfE_EEvS4_RKT_EUlibE0_EEviT1_.has_recursion, 0
	.set _ZN2at6native32elementwise_kernel_manual_unrollILi128ELi4EZNS0_15gpu_kernel_implIZZZNS0_18lgamma_kernel_cudaERNS_18TensorIteratorBaseEENKUlvE_clEvENKUlvE0_clEvEUlfE_EEvS4_RKT_EUlibE0_EEviT1_.has_indirect_call, 0
	.section	.AMDGPU.csdata,"",@progbits
; Kernel info:
; codeLenInByte = 58056
; TotalNumSgprs: 82
; NumVgprs: 21
; ScratchSize: 0
; MemoryBound: 1
; FloatMode: 240
; IeeeMode: 1
; LDSByteSize: 0 bytes/workgroup (compile time only)
; SGPRBlocks: 10
; VGPRBlocks: 5
; NumSGPRsForWavesPerEU: 82
; NumVGPRsForWavesPerEU: 21
; Occupancy: 9
; WaveLimiterHint : 1
; COMPUTE_PGM_RSRC2:SCRATCH_EN: 0
; COMPUTE_PGM_RSRC2:USER_SGPR: 6
; COMPUTE_PGM_RSRC2:TRAP_HANDLER: 0
; COMPUTE_PGM_RSRC2:TGID_X_EN: 1
; COMPUTE_PGM_RSRC2:TGID_Y_EN: 0
; COMPUTE_PGM_RSRC2:TGID_Z_EN: 0
; COMPUTE_PGM_RSRC2:TIDIG_COMP_CNT: 0
	.text
	.p2align	2                               ; -- Begin function _ZN2at6native25elementwise_kernel_helperILb0EZZZNS0_18lgamma_kernel_cudaERNS_18TensorIteratorBaseEENKUlvE_clEvENKUlvE1_clEvEUlN3c104HalfEE_NS0_6memory8policies11unroll_baseILi256ESt5arrayIPcLm2EE23TrivialOffsetCalculatorILi1EjESG_NS9_15LoadWithoutCastENS9_16StoreWithoutCastELi8ELi1EEEEEvT0_T1_
	.type	_ZN2at6native25elementwise_kernel_helperILb0EZZZNS0_18lgamma_kernel_cudaERNS_18TensorIteratorBaseEENKUlvE_clEvENKUlvE1_clEvEUlN3c104HalfEE_NS0_6memory8policies11unroll_baseILi256ESt5arrayIPcLm2EE23TrivialOffsetCalculatorILi1EjESG_NS9_15LoadWithoutCastENS9_16StoreWithoutCastELi8ELi1EEEEEvT0_T1_,@function
_ZN2at6native25elementwise_kernel_helperILb0EZZZNS0_18lgamma_kernel_cudaERNS_18TensorIteratorBaseEENKUlvE_clEvENKUlvE1_clEvEUlN3c104HalfEE_NS0_6memory8policies11unroll_baseILi256ESt5arrayIPcLm2EE23TrivialOffsetCalculatorILi1EjESG_NS9_15LoadWithoutCastENS9_16StoreWithoutCastELi8ELi1EEEEEvT0_T1_: ; @_ZN2at6native25elementwise_kernel_helperILb0EZZZNS0_18lgamma_kernel_cudaERNS_18TensorIteratorBaseEENKUlvE_clEvENKUlvE1_clEvEUlN3c104HalfEE_NS0_6memory8policies11unroll_baseILi256ESt5arrayIPcLm2EE23TrivialOffsetCalculatorILi1EjESG_NS9_15LoadWithoutCastENS9_16StoreWithoutCastELi8ELi1EEEEEvT0_T1_
; %bb.0:
	s_waitcnt vmcnt(0) expcnt(0) lgkmcnt(0)
	v_and_b32_e32 v7, 0x3ff, v31
	s_lshl_b32 s18, s12, 11
	v_cmp_lt_i32_e32 vcc, v7, v4
	v_mov_b32_e32 v12, 0
	v_or_b32_e32 v5, s18, v7
	v_mov_b32_e32 v10, 0
	v_mov_b32_e32 v15, v7
	s_and_saveexec_b64 s[6:7], vcc
	s_cbranch_execz .LBB145_2
; %bb.1:
	v_mov_b32_e32 v6, 0
	v_lshlrev_b64 v[8:9], 1, v[5:6]
	v_add_u32_e32 v15, 0x100, v7
	v_add_co_u32_e64 v8, s[4:5], v2, v8
	v_addc_co_u32_e64 v9, s[4:5], v3, v9, s[4:5]
	flat_load_ushort v10, v[8:9]
.LBB145_2:
	s_or_b64 exec, exec, s[6:7]
	v_cmp_lt_i32_e64 s[4:5], v15, v4
	s_and_saveexec_b64 s[6:7], s[4:5]
	s_cbranch_execz .LBB145_4
; %bb.3:
	v_add_u32_e32 v8, s18, v15
	v_mov_b32_e32 v9, 0
	v_lshlrev_b64 v[8:9], 1, v[8:9]
	v_add_u32_e32 v15, 0x100, v15
	v_add_co_u32_e64 v8, s[4:5], v2, v8
	v_addc_co_u32_e64 v9, s[4:5], v3, v9, s[4:5]
	flat_load_ushort v12, v[8:9]
.LBB145_4:
	s_or_b64 exec, exec, s[6:7]
	v_cmp_lt_i32_e64 s[4:5], v15, v4
	v_mov_b32_e32 v13, 0
	v_mov_b32_e32 v14, 0
	s_and_saveexec_b64 s[6:7], s[4:5]
	s_cbranch_execz .LBB145_6
; %bb.5:
	v_add_u32_e32 v8, s18, v15
	v_mov_b32_e32 v9, 0
	v_lshlrev_b64 v[8:9], 1, v[8:9]
	v_add_u32_e32 v15, 0x100, v15
	v_add_co_u32_e64 v8, s[4:5], v2, v8
	v_addc_co_u32_e64 v9, s[4:5], v3, v9, s[4:5]
	flat_load_ushort v14, v[8:9]
.LBB145_6:
	s_or_b64 exec, exec, s[6:7]
	v_cmp_lt_i32_e64 s[4:5], v15, v4
	s_and_saveexec_b64 s[6:7], s[4:5]
	s_cbranch_execz .LBB145_8
; %bb.7:
	v_add_u32_e32 v8, s18, v15
	v_mov_b32_e32 v9, 0
	v_lshlrev_b64 v[8:9], 1, v[8:9]
	v_add_u32_e32 v15, 0x100, v15
	v_add_co_u32_e64 v8, s[4:5], v2, v8
	v_addc_co_u32_e64 v9, s[4:5], v3, v9, s[4:5]
	flat_load_ushort v13, v[8:9]
.LBB145_8:
	s_or_b64 exec, exec, s[6:7]
	v_cmp_lt_i32_e64 s[4:5], v15, v4
	v_mov_b32_e32 v9, 0
	v_mov_b32_e32 v11, 0
	s_and_saveexec_b64 s[6:7], s[4:5]
	s_cbranch_execz .LBB145_10
; %bb.9:
	v_add_u32_e32 v16, s18, v15
	v_mov_b32_e32 v17, 0
	v_lshlrev_b64 v[16:17], 1, v[16:17]
	v_add_u32_e32 v15, 0x100, v15
	v_add_co_u32_e64 v16, s[4:5], v2, v16
	v_addc_co_u32_e64 v17, s[4:5], v3, v17, s[4:5]
	flat_load_ushort v11, v[16:17]
.LBB145_10:
	s_or_b64 exec, exec, s[6:7]
	v_cmp_lt_i32_e64 s[4:5], v15, v4
	s_and_saveexec_b64 s[6:7], s[4:5]
	s_cbranch_execz .LBB145_12
; %bb.11:
	v_add_u32_e32 v8, s18, v15
	v_mov_b32_e32 v9, 0
	v_lshlrev_b64 v[8:9], 1, v[8:9]
	v_add_u32_e32 v15, 0x100, v15
	v_add_co_u32_e64 v8, s[4:5], v2, v8
	v_addc_co_u32_e64 v9, s[4:5], v3, v9, s[4:5]
	flat_load_ushort v9, v[8:9]
.LBB145_12:
	s_or_b64 exec, exec, s[6:7]
	v_cmp_lt_i32_e64 s[4:5], v15, v4
	v_mov_b32_e32 v6, 0
	v_mov_b32_e32 v8, 0
	s_and_saveexec_b64 s[6:7], s[4:5]
	s_cbranch_execnz .LBB145_15
; %bb.13:
	s_or_b64 exec, exec, s[6:7]
	v_cmp_lt_i32_e64 s[4:5], v15, v4
	s_and_saveexec_b64 s[6:7], s[4:5]
	s_cbranch_execnz .LBB145_16
.LBB145_14:
	s_or_b64 exec, exec, s[6:7]
                                        ; implicit-def: $vgpr2
	s_and_saveexec_b64 s[10:11], vcc
	s_cbranch_execnz .LBB145_17
	s_branch .LBB145_56
.LBB145_15:
	v_add_u32_e32 v16, s18, v15
	v_mov_b32_e32 v17, 0
	v_lshlrev_b64 v[16:17], 1, v[16:17]
	v_add_u32_e32 v15, 0x100, v15
	v_add_co_u32_e64 v16, s[4:5], v2, v16
	v_addc_co_u32_e64 v17, s[4:5], v3, v17, s[4:5]
	flat_load_ushort v8, v[16:17]
	s_or_b64 exec, exec, s[6:7]
	v_cmp_lt_i32_e64 s[4:5], v15, v4
	s_and_saveexec_b64 s[6:7], s[4:5]
	s_cbranch_execz .LBB145_14
.LBB145_16:
	v_add_u32_e32 v15, s18, v15
	v_mov_b32_e32 v16, 0
	v_lshlrev_b64 v[15:16], 1, v[15:16]
	v_add_co_u32_e64 v2, s[4:5], v2, v15
	v_addc_co_u32_e64 v3, s[4:5], v3, v16, s[4:5]
	flat_load_ushort v6, v[2:3]
	s_or_b64 exec, exec, s[6:7]
                                        ; implicit-def: $vgpr2
	s_and_saveexec_b64 s[10:11], vcc
	s_cbranch_execz .LBB145_56
.LBB145_17:
	s_waitcnt vmcnt(0) lgkmcnt(0)
	v_cvt_f32_f16_e32 v2, v10
	s_mov_b32 s4, 0x3c800000
                                        ; implicit-def: $vgpr15
	v_and_b32_e32 v3, 0x7fffffff, v2
	v_cmp_nlt_f32_e64 s[4:5], |v2|, s4
	s_and_saveexec_b64 s[6:7], s[4:5]
	s_xor_b64 s[8:9], exec, s[6:7]
	s_cbranch_execz .LBB145_47
; %bb.18:
	v_cmp_nlt_f32_e64 s[4:5], |v2|, 2.0
                                        ; implicit-def: $vgpr15
	s_and_saveexec_b64 s[6:7], s[4:5]
	s_xor_b64 s[12:13], exec, s[6:7]
	s_cbranch_execz .LBB145_28
; %bb.19:
	s_mov_b32 s4, 0x41000000
	v_cmp_nlt_f32_e64 s[4:5], |v2|, s4
                                        ; implicit-def: $vgpr15
	s_and_saveexec_b64 s[6:7], s[4:5]
	s_xor_b64 s[14:15], exec, s[6:7]
	s_cbranch_execz .LBB145_25
; %bb.20:
	s_mov_b32 s4, 0x5c800000
	v_cmp_nlt_f32_e64 s[4:5], |v2|, s4
                                        ; implicit-def: $vgpr15
	s_and_saveexec_b64 s[6:7], s[4:5]
	s_xor_b64 s[16:17], exec, s[6:7]
	s_cbranch_execz .LBB145_22
; %bb.21:
	s_mov_b32 s4, 0x800000
	v_cmp_lt_f32_e64 s[4:5], |v2|, s4
	v_cndmask_b32_e64 v15, 0, 32, s[4:5]
	v_ldexp_f32 v15, |v2|, v15
	v_log_f32_e32 v15, v15
	s_mov_b32 s6, 0x3f317217
	s_mov_b32 s7, 0x7f800000
	v_mul_f32_e32 v16, 0x3f317217, v15
	v_fma_f32 v17, v15, s6, -v16
	v_fmac_f32_e32 v17, 0x3377d1cf, v15
	v_add_f32_e32 v16, v16, v17
	v_cmp_lt_f32_e64 s[6:7], |v15|, s7
	v_cndmask_b32_e64 v15, v15, v16, s[6:7]
	v_mov_b32_e32 v16, 0x41b17218
	v_cndmask_b32_e64 v16, 0, v16, s[4:5]
	v_sub_f32_e32 v15, v15, v16
	v_fma_f32 v15, |v2|, v15, -|v2|
.LBB145_22:
	s_andn2_saveexec_b64 s[16:17], s[16:17]
	s_cbranch_execz .LBB145_24
; %bb.23:
	v_rcp_f32_e64 v16, |v2|
	v_mov_b32_e32 v15, 0x3a5b3dd2
	v_mov_b32_e32 v17, 0xba1c065c
	;; [unrolled: 1-line block ×3, first 2 shown]
	v_mul_f32_e32 v19, v16, v16
	v_fmac_f32_e32 v15, 0xbad5c4e8, v19
	v_fmac_f32_e32 v17, v19, v15
	s_mov_b32 s4, 0x800000
	v_fmac_f32_e32 v18, v19, v17
	v_mov_b32_e32 v15, 0xbb360b61
	v_cmp_lt_f32_e64 s[4:5], |v2|, s4
	v_fmac_f32_e32 v15, v19, v18
	v_cndmask_b32_e64 v18, 0, 32, s[4:5]
	v_ldexp_f32 v18, |v2|, v18
	v_log_f32_e32 v18, v18
	v_mov_b32_e32 v17, 0x3daaaaab
	v_fmac_f32_e32 v17, v19, v15
	v_mov_b32_e32 v15, 0x3ed67f1d
	v_fmac_f32_e32 v15, v16, v17
	s_mov_b32 s6, 0x3f317217
	v_mul_f32_e32 v17, 0x3f317217, v18
	v_fma_f32 v19, v18, s6, -v17
	v_fmac_f32_e32 v19, 0x3377d1cf, v18
	s_mov_b32 s6, 0x7f800000
	v_add_f32_e32 v17, v17, v19
	v_cmp_lt_f32_e64 s[6:7], |v18|, s6
	v_cndmask_b32_e64 v17, v18, v17, s[6:7]
	v_mov_b32_e32 v18, 0x41b17218
	v_cndmask_b32_e64 v18, 0, v18, s[4:5]
	v_sub_f32_e32 v17, v17, v18
	v_add_f32_e64 v16, |v2|, -0.5
	v_add_f32_e32 v17, -1.0, v17
	v_fmac_f32_e32 v15, v16, v17
.LBB145_24:
	s_or_b64 exec, exec, s[16:17]
.LBB145_25:
	s_andn2_saveexec_b64 s[14:15], s[14:15]
	s_cbranch_execz .LBB145_27
; %bb.26:
	v_cvt_i32_f32_e32 v15, v3
	v_mov_b32_e32 v17, 0x3af135b4
	v_mov_b32_e32 v18, 0x3cda40e4
	;; [unrolled: 1-line block ×3, first 2 shown]
	v_cvt_f32_i32_e32 v16, v15
	v_cmp_lt_i32_e64 s[4:5], 2, v15
	s_mov_b32 s6, 0x3f317217
	v_sub_f32_e64 v16, |v2|, v16
	v_fmac_f32_e32 v17, 0x3805ff67, v16
	v_fmac_f32_e32 v18, v16, v17
	v_mov_b32_e32 v17, 0x3e15dce6
	v_fmac_f32_e32 v17, v16, v18
	v_mov_b32_e32 v18, 0x3ea6cc7a
	;; [unrolled: 2-line block ×4, first 2 shown]
	v_fmac_f32_e32 v18, v16, v17
	v_mul_f32_e32 v17, v16, v18
	v_mov_b32_e32 v18, 0x3a4beed6
	v_fmac_f32_e32 v18, 0x36f5d7bd, v16
	v_fmac_f32_e32 v19, v16, v18
	v_mov_b32_e32 v18, 0x3e300f6e
	v_fmac_f32_e32 v18, v16, v19
	v_mov_b32_e32 v19, 0x3f38d0c5
	v_fmac_f32_e32 v19, v16, v18
	v_mov_b32_e32 v18, 0x3fb22d3b
	v_fmac_f32_e32 v18, v16, v19
	v_fma_f32 v18, v16, v18, 1.0
	v_rcp_f32_e32 v18, v18
	v_add_f32_e32 v19, 0x40400000, v16
	v_add_f32_e32 v20, 4.0, v16
	v_add_f32_e32 v21, 0x40a00000, v16
	v_mul_f32_e32 v17, v17, v18
	v_add_f32_e32 v18, 2.0, v16
	v_cndmask_b32_e64 v18, 1.0, v18, s[4:5]
	v_cmp_lt_i32_e64 s[4:5], 3, v15
	v_cndmask_b32_e64 v19, 1.0, v19, s[4:5]
	v_cmp_lt_i32_e64 s[4:5], 4, v15
	v_mul_f32_e32 v18, v18, v19
	v_cndmask_b32_e64 v19, 1.0, v20, s[4:5]
	v_cmp_lt_i32_e64 s[4:5], 5, v15
	v_fmac_f32_e32 v17, 0.5, v16
	v_add_f32_e32 v16, 0x40c00000, v16
	v_mul_f32_e32 v18, v19, v18
	v_cndmask_b32_e64 v19, 1.0, v21, s[4:5]
	v_cmp_lt_i32_e64 s[4:5], 6, v15
	v_mul_f32_e32 v18, v19, v18
	v_cndmask_b32_e64 v15, 1.0, v16, s[4:5]
	v_mul_f32_e32 v15, v15, v18
	s_mov_b32 s4, 0x800000
	v_cmp_gt_f32_e64 s[4:5], s4, v15
	v_cndmask_b32_e64 v16, 0, 32, s[4:5]
	v_ldexp_f32 v15, v15, v16
	v_log_f32_e32 v15, v15
	v_mul_f32_e32 v16, 0x3f317217, v15
	v_fma_f32 v18, v15, s6, -v16
	v_fmac_f32_e32 v18, 0x3377d1cf, v15
	s_mov_b32 s6, 0x7f800000
	v_add_f32_e32 v16, v16, v18
	v_cmp_lt_f32_e64 s[6:7], |v15|, s6
	v_cndmask_b32_e64 v15, v15, v16, s[6:7]
	v_mov_b32_e32 v16, 0x41b17218
	v_cndmask_b32_e64 v16, 0, v16, s[4:5]
	v_sub_f32_e32 v15, v15, v16
	v_add_f32_e32 v15, v15, v17
.LBB145_27:
	s_or_b64 exec, exec, s[14:15]
.LBB145_28:
	s_andn2_saveexec_b64 s[12:13], s[12:13]
	s_cbranch_execz .LBB145_46
; %bb.29:
	s_mov_b32 s4, 0x3f666666
	v_cmp_le_f32_e64 s[4:5], |v2|, s4
                                        ; implicit-def: $vgpr15
                                        ; implicit-def: $vgpr17
                                        ; implicit-def: $vgpr16
	s_and_saveexec_b64 s[6:7], s[4:5]
	s_xor_b64 s[14:15], exec, s[6:7]
	s_cbranch_execz .LBB145_31
; %bb.30:
	s_mov_b32 s4, 0x800000
	v_cmp_lt_f32_e64 s[4:5], |v2|, s4
	v_cndmask_b32_e64 v15, 0, 32, s[4:5]
	v_ldexp_f32 v15, |v2|, v15
	v_log_f32_e32 v15, v15
	s_mov_b32 s6, 0x3f317217
	s_mov_b32 s7, 0x7f800000
	v_mul_f32_e32 v16, 0x3f317217, v15
	v_fma_f32 v17, v15, s6, -v16
	v_fmac_f32_e32 v17, 0x3377d1cf, v15
	v_add_f32_e32 v16, v16, v17
	v_cmp_lt_f32_e64 s[6:7], |v15|, s7
	v_cndmask_b32_e64 v15, v15, v16, s[6:7]
	v_mov_b32_e32 v16, 0x41b17218
	v_cndmask_b32_e64 v16, 0, v16, s[4:5]
	s_mov_b32 s4, 0x3f3b4a23
	s_mov_b32 s5, 0xbeec5b0c
	v_sub_f32_e32 v15, v15, v16
	v_sub_f32_e64 v16, 1.0, |v2|
	v_add_f32_e64 v17, |v2|, s5
	v_cmp_lt_f32_e64 s[4:5], |v2|, s4
	v_cndmask_b32_e64 v16, v16, v17, s[4:5]
	v_cndmask_b32_e64 v17, 0, 1, s[4:5]
	s_mov_b32 s4, 0x3e6d3309
	v_cmp_lt_f32_e64 s[4:5], |v2|, s4
	v_xor_b32_e32 v15, 0x80000000, v15
	v_cndmask_b32_e64 v16, v16, |v2|, s[4:5]
	v_cndmask_b32_e64 v17, v17, 2, s[4:5]
.LBB145_31:
	s_andn2_saveexec_b64 s[6:7], s[14:15]
	s_cbranch_execz .LBB145_33
; %bb.32:
	s_mov_b32 s4, 0x3fdda512
	s_mov_b32 s5, 0xbfbb16c3
	v_sub_f32_e64 v15, 2.0, |v2|
	v_add_f32_e64 v16, |v2|, s5
	v_cmp_lt_f32_e64 s[4:5], |v2|, s4
	v_cndmask_b32_e64 v16, v15, v16, s[4:5]
	v_cndmask_b32_e64 v15, v15, 1.0, s[4:5]
	v_cvt_i32_f32_e32 v15, v15
	s_mov_b32 s4, 0x3f9d70a4
	v_add_f32_e64 v17, |v2|, -1.0
	v_cmp_lt_f32_e64 s[4:5], |v2|, s4
	v_cndmask_b32_e64 v16, v16, v17, s[4:5]
	v_cndmask_b32_e64 v17, v15, 2, s[4:5]
	v_mov_b32_e32 v15, 0
.LBB145_33:
	s_or_b64 exec, exec, s[6:7]
	v_cmp_lt_i32_e64 s[4:5], 0, v17
	s_and_saveexec_b64 s[6:7], s[4:5]
	s_xor_b64 s[6:7], exec, s[6:7]
	s_cbranch_execz .LBB145_41
; %bb.34:
	v_cmp_lt_i32_e64 s[4:5], 1, v17
	s_and_saveexec_b64 s[14:15], s[4:5]
	s_xor_b64 s[14:15], exec, s[14:15]
	s_cbranch_execz .LBB145_38
; %bb.35:
	v_cmp_eq_u32_e64 s[4:5], 2, v17
	s_and_saveexec_b64 s[16:17], s[4:5]
	s_cbranch_execz .LBB145_37
; %bb.36:
	v_mov_b32_e32 v17, 0x3e6a7578
	v_fmac_f32_e32 v17, 0x3c5b3c5e, v16
	v_mov_b32_e32 v18, 0x3f7a4bb2
	v_fmac_f32_e32 v18, v16, v17
	;; [unrolled: 2-line block ×8, first 2 shown]
	v_fma_f32 v17, v16, v19, 1.0
	v_rcp_f32_e32 v17, v17
	v_mov_b32_e32 v19, 0xbd9e233f
	v_fmac_f32_e32 v19, v16, v18
	v_mul_f32_e32 v18, v16, v19
	v_mul_f32_e32 v17, v18, v17
	v_fmac_f32_e32 v17, -0.5, v16
	v_add_f32_e32 v15, v15, v17
.LBB145_37:
	s_or_b64 exec, exec, s[16:17]
                                        ; implicit-def: $vgpr16
.LBB145_38:
	s_andn2_saveexec_b64 s[4:5], s[14:15]
	s_cbranch_execz .LBB145_40
; %bb.39:
	v_mul_f32_e32 v17, v16, v16
	v_mul_f32_e32 v18, v16, v17
	v_mov_b32_e32 v19, 0xbab7f476
	v_fmac_f32_e32 v19, 0x39a57b6b, v18
	v_mov_b32_e32 v20, 0x3bc7e707
	v_fmac_f32_e32 v20, v18, v19
	;; [unrolled: 2-line block ×12, first 2 shown]
	v_fmac_f32_e32 v21, v16, v22
	s_mov_b32 s14, 0xa2863e55
	v_fma_f32 v16, v18, -v21, s14
	v_fma_f32 v16, v17, v20, -v16
	v_add_f32_e32 v16, 0xbdf8cdce, v16
	v_add_f32_e32 v15, v15, v16
.LBB145_40:
	s_or_b64 exec, exec, s[4:5]
                                        ; implicit-def: $vgpr17
                                        ; implicit-def: $vgpr16
.LBB145_41:
	s_andn2_saveexec_b64 s[6:7], s[6:7]
	s_cbranch_execz .LBB145_45
; %bb.42:
	v_cmp_eq_u32_e64 s[4:5], 0, v17
	s_and_saveexec_b64 s[14:15], s[4:5]
	s_cbranch_execz .LBB145_44
; %bb.43:
	v_mul_f32_e32 v17, v16, v16
	v_mov_b32_e32 v18, 0x39679767
	v_fmac_f32_e32 v18, 0x37d383a2, v17
	v_mov_b32_e32 v19, 0x3a9c54a1
	v_fmac_f32_e32 v19, v17, v18
	;; [unrolled: 2-line block ×10, first 2 shown]
	v_mul_f32_e32 v17, v17, v19
	v_fmac_f32_e32 v17, v16, v18
	v_fmac_f32_e32 v17, -0.5, v16
	v_add_f32_e32 v15, v15, v17
.LBB145_44:
	s_or_b64 exec, exec, s[14:15]
.LBB145_45:
	s_or_b64 exec, exec, s[6:7]
.LBB145_46:
	s_or_b64 exec, exec, s[12:13]
.LBB145_47:
	s_andn2_saveexec_b64 s[8:9], s[8:9]
	s_cbranch_execz .LBB145_49
; %bb.48:
	s_mov_b32 s4, 0x3e8a8991
	v_mov_b32_e32 v15, 0xbecd26ab
	v_fma_f32 v15, |v2|, s4, v15
	s_mov_b32 s4, 0x3f528d33
	v_fma_f32 v15, |v2|, v15, s4
	s_mov_b32 s4, 0x800000
	v_cmp_lt_f32_e64 s[4:5], |v2|, s4
	v_cndmask_b32_e64 v16, 0, 32, s[4:5]
	v_ldexp_f32 v16, |v2|, v16
	v_log_f32_e32 v16, v16
	s_mov_b32 s6, 0xbf13c468
	v_fma_f32 v15, |v2|, v15, s6
	s_mov_b32 s6, 0x3f317217
	v_mul_f32_e32 v17, 0x3f317217, v16
	v_fma_f32 v18, v16, s6, -v17
	v_fmac_f32_e32 v18, 0x3377d1cf, v16
	s_mov_b32 s6, 0x7f800000
	v_add_f32_e32 v17, v17, v18
	v_cmp_lt_f32_e64 s[6:7], |v16|, s6
	v_cndmask_b32_e64 v16, v16, v17, s[6:7]
	v_mov_b32_e32 v17, 0x41b17218
	v_cndmask_b32_e64 v17, 0, v17, s[4:5]
	v_sub_f32_e32 v16, v16, v17
	v_fma_f32 v15, |v2|, v15, -v16
.LBB145_49:
	s_or_b64 exec, exec, s[8:9]
	v_cmp_le_f16_e64 s[4:5], 0, v10
	v_cmp_nle_f16_e64 s[6:7], 0, v10
	s_and_saveexec_b64 s[8:9], s[6:7]
	s_xor_b64 s[12:13], exec, s[8:9]
	s_cbranch_execz .LBB145_53
; %bb.50:
	s_mov_b32 s6, 0x4b000000
	s_mov_b32 s8, 0x35000000
	v_cmp_lt_f32_e64 s[6:7], |v2|, s6
	v_cmp_gt_f32_e64 s[8:9], |v2|, s8
	s_and_b64 s[6:7], s[6:7], s[8:9]
	s_and_saveexec_b64 s[14:15], s[6:7]
	s_cbranch_execz .LBB145_52
; %bb.51:
	v_mul_f32_e64 v16, |v2|, 0.5
	v_floor_f32_e32 v17, v16
	v_sub_f32_e32 v17, v16, v17
	v_min_f32_e32 v17, 0x3f7fffff, v17
	s_mov_b32 s8, 0x7f800000
	v_add_f32_e32 v17, v17, v17
	v_cmp_neq_f32_e64 s[6:7], s8, v16
	v_cndmask_b32_e64 v16, 0, v17, s[6:7]
	v_cmp_gt_f32_e64 s[6:7], |v2|, 1.0
	v_cndmask_b32_e64 v16, |v2|, v16, s[6:7]
	v_add_f32_e32 v17, v16, v16
	v_rndne_f32_e32 v17, v17
	v_fmac_f32_e32 v16, -0.5, v17
	v_mul_f32_e32 v18, v16, v16
	v_mov_b32_e32 v19, 0xbf1f24be
	v_fmac_f32_e32 v19, 0x3e75aa41, v18
	v_mov_b32_e32 v20, 0x40234736
	v_fmac_f32_e32 v20, v18, v19
	;; [unrolled: 2-line block ×3, first 2 shown]
	v_mul_f32_e32 v20, v16, v18
	v_mul_f32_e32 v19, v20, v19
	v_fmac_f32_e32 v19, 0x40490fdb, v16
	v_mov_b32_e32 v16, 0x3e642e9d
	v_cvt_i32_f32_e32 v17, v17
	v_fmac_f32_e32 v16, 0x3d4be544, v18
	v_mov_b32_e32 v20, 0xbfaad1da
	v_fmac_f32_e32 v20, v18, v16
	v_mov_b32_e32 v16, 0x4081e0d3
	;; [unrolled: 2-line block ×3, first 2 shown]
	v_fmac_f32_e32 v20, v18, v16
	v_fma_f32 v16, v18, v20, 1.0
	v_and_b32_e32 v18, 1, v17
	v_lshlrev_b32_e32 v17, 30, v17
	v_cmp_eq_u32_e64 s[6:7], 0, v18
	v_and_b32_e32 v17, 0x80000000, v17
	v_xor_b32_e32 v3, v3, v2
	v_cndmask_b32_e64 v16, v16, v19, s[6:7]
	v_xor_b32_e32 v3, v3, v17
	v_xor_b32_e32 v3, v3, v16
	v_mul_f32_e32 v3, v2, v3
	v_frexp_mant_f32_e64 v16, |v3|
	v_rcp_f32_e32 v16, v16
	v_frexp_exp_i32_f32_e32 v3, v3
	v_sub_u32_e32 v3, 2, v3
	s_mov_b32 s6, 0x800000
	v_mul_f32_e32 v16, 0x3f490fdb, v16
	v_ldexp_f32 v3, v16, v3
	v_cmp_gt_f32_e64 s[6:7], s6, v3
	v_cndmask_b32_e64 v16, 0, 32, s[6:7]
	v_ldexp_f32 v3, v3, v16
	v_log_f32_e32 v3, v3
	s_mov_b32 s9, 0x3f317217
	v_mul_f32_e32 v16, 0x3f317217, v3
	v_fma_f32 v17, v3, s9, -v16
	v_fmac_f32_e32 v17, 0x3377d1cf, v3
	v_add_f32_e32 v16, v16, v17
	v_cmp_lt_f32_e64 s[8:9], |v3|, s8
	v_cndmask_b32_e64 v3, v3, v16, s[8:9]
	v_mov_b32_e32 v16, 0x41b17218
	v_cndmask_b32_e64 v16, 0, v16, s[6:7]
	v_sub_f32_e32 v3, v3, v16
	v_sub_f32_e32 v3, v3, v15
	v_floor_f32_e32 v15, v2
	v_sub_f32_e32 v15, v2, v15
	v_min_f32_e32 v15, 0x3f7fffff, v15
	v_mov_b32_e32 v16, 0x7f800000
	v_cmp_neq_f32_e64 s[6:7], 0, v15
	v_cndmask_b32_e64 v15, v16, v3, s[6:7]
.LBB145_52:
	s_or_b64 exec, exec, s[14:15]
.LBB145_53:
	s_andn2_saveexec_b64 s[12:13], s[12:13]
; %bb.54:
	v_cmp_eq_f16_e64 s[6:7], 1.0, v10
	v_cmp_eq_f16_e64 s[8:9], 2.0, v10
	s_or_b64 s[6:7], s[6:7], s[8:9]
	v_cndmask_b32_e64 v15, v15, 0, s[6:7]
; %bb.55:
	s_or_b64 exec, exec, s[12:13]
	v_cvt_f16_f32_e32 v15, v15
	s_mov_b32 s6, 0x4b000000
	v_cmp_lt_f32_e64 s[6:7], |v2|, s6
	v_mov_b32_e32 v3, 0x264
	v_mov_b32_e32 v16, 0x7c00
	s_or_b64 s[4:5], s[4:5], s[6:7]
	v_cndmask_b32_e64 v15, v16, v15, s[4:5]
	v_cmp_class_f32_e64 s[4:5], v2, v3
	v_cndmask_b32_e64 v2, v15, v16, s[4:5]
	v_cmp_u_f16_e64 s[4:5], v10, v10
	v_cndmask_b32_e64 v2, v2, v10, s[4:5]
.LBB145_56:
	s_or_b64 exec, exec, s[10:11]
	v_add_u32_e32 v3, 0x100, v7
	v_cmp_lt_i32_e64 s[4:5], v3, v4
                                        ; implicit-def: $vgpr10
	s_and_saveexec_b64 s[10:11], s[4:5]
	s_cbranch_execz .LBB145_96
; %bb.57:
	s_waitcnt vmcnt(0) lgkmcnt(0)
	v_cvt_f32_f16_e32 v10, v12
	s_mov_b32 s4, 0x3c800000
                                        ; implicit-def: $vgpr16
	v_and_b32_e32 v15, 0x7fffffff, v10
	v_cmp_nlt_f32_e64 s[4:5], |v10|, s4
	s_and_saveexec_b64 s[6:7], s[4:5]
	s_xor_b64 s[8:9], exec, s[6:7]
	s_cbranch_execz .LBB145_87
; %bb.58:
	v_cmp_nlt_f32_e64 s[4:5], |v10|, 2.0
                                        ; implicit-def: $vgpr16
	s_and_saveexec_b64 s[6:7], s[4:5]
	s_xor_b64 s[12:13], exec, s[6:7]
	s_cbranch_execz .LBB145_68
; %bb.59:
	s_mov_b32 s4, 0x41000000
	v_cmp_nlt_f32_e64 s[4:5], |v10|, s4
                                        ; implicit-def: $vgpr16
	s_and_saveexec_b64 s[6:7], s[4:5]
	s_xor_b64 s[14:15], exec, s[6:7]
	s_cbranch_execz .LBB145_65
; %bb.60:
	s_mov_b32 s4, 0x5c800000
	v_cmp_nlt_f32_e64 s[4:5], |v10|, s4
                                        ; implicit-def: $vgpr16
	s_and_saveexec_b64 s[6:7], s[4:5]
	s_xor_b64 s[16:17], exec, s[6:7]
	s_cbranch_execz .LBB145_62
; %bb.61:
	s_mov_b32 s4, 0x800000
	v_cmp_lt_f32_e64 s[4:5], |v10|, s4
	v_cndmask_b32_e64 v16, 0, 32, s[4:5]
	v_ldexp_f32 v16, |v10|, v16
	v_log_f32_e32 v16, v16
	s_mov_b32 s6, 0x3f317217
	s_mov_b32 s7, 0x7f800000
	v_mul_f32_e32 v17, 0x3f317217, v16
	v_fma_f32 v18, v16, s6, -v17
	v_fmac_f32_e32 v18, 0x3377d1cf, v16
	v_add_f32_e32 v17, v17, v18
	v_cmp_lt_f32_e64 s[6:7], |v16|, s7
	v_cndmask_b32_e64 v16, v16, v17, s[6:7]
	v_mov_b32_e32 v17, 0x41b17218
	v_cndmask_b32_e64 v17, 0, v17, s[4:5]
	v_sub_f32_e32 v16, v16, v17
	v_fma_f32 v16, |v10|, v16, -|v10|
.LBB145_62:
	s_andn2_saveexec_b64 s[16:17], s[16:17]
	s_cbranch_execz .LBB145_64
; %bb.63:
	v_rcp_f32_e64 v17, |v10|
	v_mov_b32_e32 v16, 0x3a5b3dd2
	v_mov_b32_e32 v18, 0xba1c065c
	;; [unrolled: 1-line block ×3, first 2 shown]
	v_mul_f32_e32 v20, v17, v17
	v_fmac_f32_e32 v16, 0xbad5c4e8, v20
	v_fmac_f32_e32 v18, v20, v16
	s_mov_b32 s4, 0x800000
	v_fmac_f32_e32 v19, v20, v18
	v_mov_b32_e32 v16, 0xbb360b61
	v_cmp_lt_f32_e64 s[4:5], |v10|, s4
	v_fmac_f32_e32 v16, v20, v19
	v_cndmask_b32_e64 v19, 0, 32, s[4:5]
	v_ldexp_f32 v19, |v10|, v19
	v_log_f32_e32 v19, v19
	v_mov_b32_e32 v18, 0x3daaaaab
	v_fmac_f32_e32 v18, v20, v16
	v_mov_b32_e32 v16, 0x3ed67f1d
	v_fmac_f32_e32 v16, v17, v18
	s_mov_b32 s6, 0x3f317217
	v_mul_f32_e32 v18, 0x3f317217, v19
	v_fma_f32 v20, v19, s6, -v18
	v_fmac_f32_e32 v20, 0x3377d1cf, v19
	s_mov_b32 s6, 0x7f800000
	v_add_f32_e32 v18, v18, v20
	v_cmp_lt_f32_e64 s[6:7], |v19|, s6
	v_cndmask_b32_e64 v18, v19, v18, s[6:7]
	v_mov_b32_e32 v19, 0x41b17218
	v_cndmask_b32_e64 v19, 0, v19, s[4:5]
	v_sub_f32_e32 v18, v18, v19
	v_add_f32_e64 v17, |v10|, -0.5
	v_add_f32_e32 v18, -1.0, v18
	v_fmac_f32_e32 v16, v17, v18
.LBB145_64:
	s_or_b64 exec, exec, s[16:17]
.LBB145_65:
	s_andn2_saveexec_b64 s[14:15], s[14:15]
	s_cbranch_execz .LBB145_67
; %bb.66:
	v_cvt_i32_f32_e32 v16, v15
	v_mov_b32_e32 v18, 0x3af135b4
	v_mov_b32_e32 v19, 0x3cda40e4
	;; [unrolled: 1-line block ×3, first 2 shown]
	v_cvt_f32_i32_e32 v17, v16
	v_cmp_lt_i32_e64 s[4:5], 2, v16
	s_mov_b32 s6, 0x3f317217
	v_sub_f32_e64 v17, |v10|, v17
	v_fmac_f32_e32 v18, 0x3805ff67, v17
	v_fmac_f32_e32 v19, v17, v18
	v_mov_b32_e32 v18, 0x3e15dce6
	v_fmac_f32_e32 v18, v17, v19
	v_mov_b32_e32 v19, 0x3ea6cc7a
	;; [unrolled: 2-line block ×4, first 2 shown]
	v_fmac_f32_e32 v19, v17, v18
	v_mul_f32_e32 v18, v17, v19
	v_mov_b32_e32 v19, 0x3a4beed6
	v_fmac_f32_e32 v19, 0x36f5d7bd, v17
	v_fmac_f32_e32 v20, v17, v19
	v_mov_b32_e32 v19, 0x3e300f6e
	v_fmac_f32_e32 v19, v17, v20
	v_mov_b32_e32 v20, 0x3f38d0c5
	;; [unrolled: 2-line block ×3, first 2 shown]
	v_fmac_f32_e32 v19, v17, v20
	v_fma_f32 v19, v17, v19, 1.0
	v_rcp_f32_e32 v19, v19
	v_add_f32_e32 v20, 0x40400000, v17
	v_add_f32_e32 v21, 4.0, v17
	v_add_f32_e32 v22, 0x40a00000, v17
	v_mul_f32_e32 v18, v18, v19
	v_add_f32_e32 v19, 2.0, v17
	v_cndmask_b32_e64 v19, 1.0, v19, s[4:5]
	v_cmp_lt_i32_e64 s[4:5], 3, v16
	v_cndmask_b32_e64 v20, 1.0, v20, s[4:5]
	v_cmp_lt_i32_e64 s[4:5], 4, v16
	v_mul_f32_e32 v19, v19, v20
	v_cndmask_b32_e64 v20, 1.0, v21, s[4:5]
	v_cmp_lt_i32_e64 s[4:5], 5, v16
	v_fmac_f32_e32 v18, 0.5, v17
	v_add_f32_e32 v17, 0x40c00000, v17
	v_mul_f32_e32 v19, v20, v19
	v_cndmask_b32_e64 v20, 1.0, v22, s[4:5]
	v_cmp_lt_i32_e64 s[4:5], 6, v16
	v_mul_f32_e32 v19, v20, v19
	v_cndmask_b32_e64 v16, 1.0, v17, s[4:5]
	v_mul_f32_e32 v16, v16, v19
	s_mov_b32 s4, 0x800000
	v_cmp_gt_f32_e64 s[4:5], s4, v16
	v_cndmask_b32_e64 v17, 0, 32, s[4:5]
	v_ldexp_f32 v16, v16, v17
	v_log_f32_e32 v16, v16
	v_mul_f32_e32 v17, 0x3f317217, v16
	v_fma_f32 v19, v16, s6, -v17
	v_fmac_f32_e32 v19, 0x3377d1cf, v16
	s_mov_b32 s6, 0x7f800000
	v_add_f32_e32 v17, v17, v19
	v_cmp_lt_f32_e64 s[6:7], |v16|, s6
	v_cndmask_b32_e64 v16, v16, v17, s[6:7]
	v_mov_b32_e32 v17, 0x41b17218
	v_cndmask_b32_e64 v17, 0, v17, s[4:5]
	v_sub_f32_e32 v16, v16, v17
	v_add_f32_e32 v16, v16, v18
.LBB145_67:
	s_or_b64 exec, exec, s[14:15]
.LBB145_68:
	s_andn2_saveexec_b64 s[12:13], s[12:13]
	s_cbranch_execz .LBB145_86
; %bb.69:
	s_mov_b32 s4, 0x3f666666
	v_cmp_le_f32_e64 s[4:5], |v10|, s4
                                        ; implicit-def: $vgpr16
                                        ; implicit-def: $vgpr18
                                        ; implicit-def: $vgpr17
	s_and_saveexec_b64 s[6:7], s[4:5]
	s_xor_b64 s[14:15], exec, s[6:7]
	s_cbranch_execz .LBB145_71
; %bb.70:
	s_mov_b32 s4, 0x800000
	v_cmp_lt_f32_e64 s[4:5], |v10|, s4
	v_cndmask_b32_e64 v16, 0, 32, s[4:5]
	v_ldexp_f32 v16, |v10|, v16
	v_log_f32_e32 v16, v16
	s_mov_b32 s6, 0x3f317217
	s_mov_b32 s7, 0x7f800000
	v_mul_f32_e32 v17, 0x3f317217, v16
	v_fma_f32 v18, v16, s6, -v17
	v_fmac_f32_e32 v18, 0x3377d1cf, v16
	v_add_f32_e32 v17, v17, v18
	v_cmp_lt_f32_e64 s[6:7], |v16|, s7
	v_cndmask_b32_e64 v16, v16, v17, s[6:7]
	v_mov_b32_e32 v17, 0x41b17218
	v_cndmask_b32_e64 v17, 0, v17, s[4:5]
	s_mov_b32 s4, 0x3f3b4a23
	s_mov_b32 s5, 0xbeec5b0c
	v_sub_f32_e32 v16, v16, v17
	v_sub_f32_e64 v17, 1.0, |v10|
	v_add_f32_e64 v18, |v10|, s5
	v_cmp_lt_f32_e64 s[4:5], |v10|, s4
	v_cndmask_b32_e64 v17, v17, v18, s[4:5]
	v_cndmask_b32_e64 v18, 0, 1, s[4:5]
	s_mov_b32 s4, 0x3e6d3309
	v_cmp_lt_f32_e64 s[4:5], |v10|, s4
	v_xor_b32_e32 v16, 0x80000000, v16
	v_cndmask_b32_e64 v17, v17, |v10|, s[4:5]
	v_cndmask_b32_e64 v18, v18, 2, s[4:5]
.LBB145_71:
	s_andn2_saveexec_b64 s[6:7], s[14:15]
	s_cbranch_execz .LBB145_73
; %bb.72:
	s_mov_b32 s4, 0x3fdda512
	s_mov_b32 s5, 0xbfbb16c3
	v_sub_f32_e64 v16, 2.0, |v10|
	v_add_f32_e64 v17, |v10|, s5
	v_cmp_lt_f32_e64 s[4:5], |v10|, s4
	v_cndmask_b32_e64 v17, v16, v17, s[4:5]
	v_cndmask_b32_e64 v16, v16, 1.0, s[4:5]
	v_cvt_i32_f32_e32 v16, v16
	s_mov_b32 s4, 0x3f9d70a4
	v_add_f32_e64 v18, |v10|, -1.0
	v_cmp_lt_f32_e64 s[4:5], |v10|, s4
	v_cndmask_b32_e64 v17, v17, v18, s[4:5]
	v_cndmask_b32_e64 v18, v16, 2, s[4:5]
	v_mov_b32_e32 v16, 0
.LBB145_73:
	s_or_b64 exec, exec, s[6:7]
	v_cmp_lt_i32_e64 s[4:5], 0, v18
	s_and_saveexec_b64 s[6:7], s[4:5]
	s_xor_b64 s[6:7], exec, s[6:7]
	s_cbranch_execz .LBB145_81
; %bb.74:
	v_cmp_lt_i32_e64 s[4:5], 1, v18
	s_and_saveexec_b64 s[14:15], s[4:5]
	s_xor_b64 s[14:15], exec, s[14:15]
	s_cbranch_execz .LBB145_78
; %bb.75:
	v_cmp_eq_u32_e64 s[4:5], 2, v18
	s_and_saveexec_b64 s[16:17], s[4:5]
	s_cbranch_execz .LBB145_77
; %bb.76:
	v_mov_b32_e32 v18, 0x3e6a7578
	v_fmac_f32_e32 v18, 0x3c5b3c5e, v17
	v_mov_b32_e32 v19, 0x3f7a4bb2
	v_fmac_f32_e32 v19, v17, v18
	;; [unrolled: 2-line block ×8, first 2 shown]
	v_fma_f32 v18, v17, v20, 1.0
	v_rcp_f32_e32 v18, v18
	v_mov_b32_e32 v20, 0xbd9e233f
	v_fmac_f32_e32 v20, v17, v19
	v_mul_f32_e32 v19, v17, v20
	v_mul_f32_e32 v18, v19, v18
	v_fmac_f32_e32 v18, -0.5, v17
	v_add_f32_e32 v16, v16, v18
.LBB145_77:
	s_or_b64 exec, exec, s[16:17]
                                        ; implicit-def: $vgpr17
.LBB145_78:
	s_andn2_saveexec_b64 s[4:5], s[14:15]
	s_cbranch_execz .LBB145_80
; %bb.79:
	v_mul_f32_e32 v18, v17, v17
	v_mul_f32_e32 v19, v17, v18
	v_mov_b32_e32 v20, 0xbab7f476
	v_fmac_f32_e32 v20, 0x39a57b6b, v19
	v_mov_b32_e32 v21, 0x3bc7e707
	v_fmac_f32_e32 v21, v19, v20
	;; [unrolled: 2-line block ×12, first 2 shown]
	v_fmac_f32_e32 v22, v17, v23
	s_mov_b32 s14, 0xa2863e55
	v_fma_f32 v17, v19, -v22, s14
	v_fma_f32 v17, v18, v21, -v17
	v_add_f32_e32 v17, 0xbdf8cdce, v17
	v_add_f32_e32 v16, v16, v17
.LBB145_80:
	s_or_b64 exec, exec, s[4:5]
                                        ; implicit-def: $vgpr18
                                        ; implicit-def: $vgpr17
.LBB145_81:
	s_andn2_saveexec_b64 s[6:7], s[6:7]
	s_cbranch_execz .LBB145_85
; %bb.82:
	v_cmp_eq_u32_e64 s[4:5], 0, v18
	s_and_saveexec_b64 s[14:15], s[4:5]
	s_cbranch_execz .LBB145_84
; %bb.83:
	v_mul_f32_e32 v18, v17, v17
	v_mov_b32_e32 v19, 0x39679767
	v_fmac_f32_e32 v19, 0x37d383a2, v18
	v_mov_b32_e32 v20, 0x3a9c54a1
	v_fmac_f32_e32 v20, v18, v19
	;; [unrolled: 2-line block ×10, first 2 shown]
	v_mul_f32_e32 v18, v18, v20
	v_fmac_f32_e32 v18, v17, v19
	v_fmac_f32_e32 v18, -0.5, v17
	v_add_f32_e32 v16, v16, v18
.LBB145_84:
	s_or_b64 exec, exec, s[14:15]
.LBB145_85:
	s_or_b64 exec, exec, s[6:7]
.LBB145_86:
	s_or_b64 exec, exec, s[12:13]
.LBB145_87:
	s_andn2_saveexec_b64 s[8:9], s[8:9]
	s_cbranch_execz .LBB145_89
; %bb.88:
	s_mov_b32 s4, 0x3e8a8991
	v_mov_b32_e32 v16, 0xbecd26ab
	v_fma_f32 v16, |v10|, s4, v16
	s_mov_b32 s4, 0x3f528d33
	v_fma_f32 v16, |v10|, v16, s4
	s_mov_b32 s4, 0x800000
	v_cmp_lt_f32_e64 s[4:5], |v10|, s4
	v_cndmask_b32_e64 v17, 0, 32, s[4:5]
	v_ldexp_f32 v17, |v10|, v17
	v_log_f32_e32 v17, v17
	s_mov_b32 s6, 0xbf13c468
	v_fma_f32 v16, |v10|, v16, s6
	s_mov_b32 s6, 0x3f317217
	v_mul_f32_e32 v18, 0x3f317217, v17
	v_fma_f32 v19, v17, s6, -v18
	v_fmac_f32_e32 v19, 0x3377d1cf, v17
	s_mov_b32 s6, 0x7f800000
	v_add_f32_e32 v18, v18, v19
	v_cmp_lt_f32_e64 s[6:7], |v17|, s6
	v_cndmask_b32_e64 v17, v17, v18, s[6:7]
	v_mov_b32_e32 v18, 0x41b17218
	v_cndmask_b32_e64 v18, 0, v18, s[4:5]
	v_sub_f32_e32 v17, v17, v18
	v_fma_f32 v16, |v10|, v16, -v17
.LBB145_89:
	s_or_b64 exec, exec, s[8:9]
	v_cmp_le_f16_e64 s[4:5], 0, v12
	v_cmp_nle_f16_e64 s[6:7], 0, v12
	s_and_saveexec_b64 s[8:9], s[6:7]
	s_xor_b64 s[12:13], exec, s[8:9]
	s_cbranch_execz .LBB145_93
; %bb.90:
	s_mov_b32 s6, 0x4b000000
	s_mov_b32 s8, 0x35000000
	v_cmp_lt_f32_e64 s[6:7], |v10|, s6
	v_cmp_gt_f32_e64 s[8:9], |v10|, s8
	s_and_b64 s[6:7], s[6:7], s[8:9]
	s_and_saveexec_b64 s[14:15], s[6:7]
	s_cbranch_execz .LBB145_92
; %bb.91:
	v_mul_f32_e64 v17, |v10|, 0.5
	v_floor_f32_e32 v18, v17
	v_sub_f32_e32 v18, v17, v18
	v_min_f32_e32 v18, 0x3f7fffff, v18
	s_mov_b32 s8, 0x7f800000
	v_add_f32_e32 v18, v18, v18
	v_cmp_neq_f32_e64 s[6:7], s8, v17
	v_cndmask_b32_e64 v17, 0, v18, s[6:7]
	v_cmp_gt_f32_e64 s[6:7], |v10|, 1.0
	v_cndmask_b32_e64 v17, |v10|, v17, s[6:7]
	v_add_f32_e32 v18, v17, v17
	v_rndne_f32_e32 v18, v18
	v_fmac_f32_e32 v17, -0.5, v18
	v_mul_f32_e32 v19, v17, v17
	v_mov_b32_e32 v20, 0xbf1f24be
	v_fmac_f32_e32 v20, 0x3e75aa41, v19
	v_mov_b32_e32 v21, 0x40234736
	v_fmac_f32_e32 v21, v19, v20
	;; [unrolled: 2-line block ×3, first 2 shown]
	v_mul_f32_e32 v21, v17, v19
	v_mul_f32_e32 v20, v21, v20
	v_fmac_f32_e32 v20, 0x40490fdb, v17
	v_mov_b32_e32 v17, 0x3e642e9d
	v_cvt_i32_f32_e32 v18, v18
	v_fmac_f32_e32 v17, 0x3d4be544, v19
	v_mov_b32_e32 v21, 0xbfaad1da
	v_fmac_f32_e32 v21, v19, v17
	v_mov_b32_e32 v17, 0x4081e0d3
	;; [unrolled: 2-line block ×3, first 2 shown]
	v_fmac_f32_e32 v21, v19, v17
	v_fma_f32 v17, v19, v21, 1.0
	v_and_b32_e32 v19, 1, v18
	v_lshlrev_b32_e32 v18, 30, v18
	v_cmp_eq_u32_e64 s[6:7], 0, v19
	v_and_b32_e32 v18, 0x80000000, v18
	v_xor_b32_e32 v15, v15, v10
	v_cndmask_b32_e64 v17, v17, v20, s[6:7]
	v_xor_b32_e32 v15, v15, v18
	v_xor_b32_e32 v15, v15, v17
	v_mul_f32_e32 v15, v10, v15
	v_frexp_mant_f32_e64 v17, |v15|
	v_rcp_f32_e32 v17, v17
	v_frexp_exp_i32_f32_e32 v15, v15
	v_sub_u32_e32 v15, 2, v15
	s_mov_b32 s6, 0x800000
	v_mul_f32_e32 v17, 0x3f490fdb, v17
	v_ldexp_f32 v15, v17, v15
	v_cmp_gt_f32_e64 s[6:7], s6, v15
	v_cndmask_b32_e64 v17, 0, 32, s[6:7]
	v_ldexp_f32 v15, v15, v17
	v_log_f32_e32 v15, v15
	s_mov_b32 s9, 0x3f317217
	v_mul_f32_e32 v17, 0x3f317217, v15
	v_fma_f32 v18, v15, s9, -v17
	v_fmac_f32_e32 v18, 0x3377d1cf, v15
	v_add_f32_e32 v17, v17, v18
	v_cmp_lt_f32_e64 s[8:9], |v15|, s8
	v_cndmask_b32_e64 v15, v15, v17, s[8:9]
	v_mov_b32_e32 v17, 0x41b17218
	v_cndmask_b32_e64 v17, 0, v17, s[6:7]
	v_sub_f32_e32 v15, v15, v17
	v_sub_f32_e32 v15, v15, v16
	v_floor_f32_e32 v16, v10
	v_sub_f32_e32 v16, v10, v16
	v_min_f32_e32 v16, 0x3f7fffff, v16
	v_mov_b32_e32 v17, 0x7f800000
	v_cmp_neq_f32_e64 s[6:7], 0, v16
	v_cndmask_b32_e64 v16, v17, v15, s[6:7]
.LBB145_92:
	s_or_b64 exec, exec, s[14:15]
.LBB145_93:
	s_andn2_saveexec_b64 s[12:13], s[12:13]
; %bb.94:
	v_cmp_eq_f16_e64 s[6:7], 1.0, v12
	v_cmp_eq_f16_e64 s[8:9], 2.0, v12
	s_or_b64 s[6:7], s[6:7], s[8:9]
	v_cndmask_b32_e64 v16, v16, 0, s[6:7]
; %bb.95:
	s_or_b64 exec, exec, s[12:13]
	v_cvt_f16_f32_e32 v16, v16
	s_mov_b32 s6, 0x4b000000
	v_cmp_lt_f32_e64 s[6:7], |v10|, s6
	v_mov_b32_e32 v15, 0x264
	v_mov_b32_e32 v17, 0x7c00
	s_or_b64 s[4:5], s[4:5], s[6:7]
	v_cndmask_b32_e64 v16, v17, v16, s[4:5]
	v_cmp_class_f32_e64 s[4:5], v10, v15
	v_cndmask_b32_e64 v10, v16, v17, s[4:5]
	v_cmp_u_f16_e64 s[4:5], v12, v12
	v_cndmask_b32_e64 v10, v10, v12, s[4:5]
.LBB145_96:
	s_or_b64 exec, exec, s[10:11]
	s_waitcnt vmcnt(0) lgkmcnt(0)
	v_add_u32_e32 v12, 0x200, v7
	v_cmp_lt_i32_e64 s[4:5], v12, v4
                                        ; implicit-def: $vgpr12
	s_and_saveexec_b64 s[10:11], s[4:5]
	s_cbranch_execz .LBB145_136
; %bb.97:
	v_cvt_f32_f16_e32 v12, v14
	s_mov_b32 s4, 0x3c800000
                                        ; implicit-def: $vgpr16
	v_and_b32_e32 v15, 0x7fffffff, v12
	v_cmp_nlt_f32_e64 s[4:5], |v12|, s4
	s_and_saveexec_b64 s[6:7], s[4:5]
	s_xor_b64 s[8:9], exec, s[6:7]
	s_cbranch_execz .LBB145_127
; %bb.98:
	v_cmp_nlt_f32_e64 s[4:5], |v12|, 2.0
                                        ; implicit-def: $vgpr16
	s_and_saveexec_b64 s[6:7], s[4:5]
	s_xor_b64 s[12:13], exec, s[6:7]
	s_cbranch_execz .LBB145_108
; %bb.99:
	s_mov_b32 s4, 0x41000000
	v_cmp_nlt_f32_e64 s[4:5], |v12|, s4
                                        ; implicit-def: $vgpr16
	s_and_saveexec_b64 s[6:7], s[4:5]
	s_xor_b64 s[14:15], exec, s[6:7]
	s_cbranch_execz .LBB145_105
; %bb.100:
	s_mov_b32 s4, 0x5c800000
	v_cmp_nlt_f32_e64 s[4:5], |v12|, s4
                                        ; implicit-def: $vgpr16
	s_and_saveexec_b64 s[6:7], s[4:5]
	s_xor_b64 s[16:17], exec, s[6:7]
	s_cbranch_execz .LBB145_102
; %bb.101:
	s_mov_b32 s4, 0x800000
	v_cmp_lt_f32_e64 s[4:5], |v12|, s4
	v_cndmask_b32_e64 v16, 0, 32, s[4:5]
	v_ldexp_f32 v16, |v12|, v16
	v_log_f32_e32 v16, v16
	s_mov_b32 s6, 0x3f317217
	s_mov_b32 s7, 0x7f800000
	v_mul_f32_e32 v17, 0x3f317217, v16
	v_fma_f32 v18, v16, s6, -v17
	v_fmac_f32_e32 v18, 0x3377d1cf, v16
	v_add_f32_e32 v17, v17, v18
	v_cmp_lt_f32_e64 s[6:7], |v16|, s7
	v_cndmask_b32_e64 v16, v16, v17, s[6:7]
	v_mov_b32_e32 v17, 0x41b17218
	v_cndmask_b32_e64 v17, 0, v17, s[4:5]
	v_sub_f32_e32 v16, v16, v17
	v_fma_f32 v16, |v12|, v16, -|v12|
.LBB145_102:
	s_andn2_saveexec_b64 s[16:17], s[16:17]
	s_cbranch_execz .LBB145_104
; %bb.103:
	v_rcp_f32_e64 v17, |v12|
	v_mov_b32_e32 v16, 0x3a5b3dd2
	v_mov_b32_e32 v18, 0xba1c065c
	;; [unrolled: 1-line block ×3, first 2 shown]
	v_mul_f32_e32 v20, v17, v17
	v_fmac_f32_e32 v16, 0xbad5c4e8, v20
	v_fmac_f32_e32 v18, v20, v16
	s_mov_b32 s4, 0x800000
	v_fmac_f32_e32 v19, v20, v18
	v_mov_b32_e32 v16, 0xbb360b61
	v_cmp_lt_f32_e64 s[4:5], |v12|, s4
	v_fmac_f32_e32 v16, v20, v19
	v_cndmask_b32_e64 v19, 0, 32, s[4:5]
	v_ldexp_f32 v19, |v12|, v19
	v_log_f32_e32 v19, v19
	v_mov_b32_e32 v18, 0x3daaaaab
	v_fmac_f32_e32 v18, v20, v16
	v_mov_b32_e32 v16, 0x3ed67f1d
	v_fmac_f32_e32 v16, v17, v18
	s_mov_b32 s6, 0x3f317217
	v_mul_f32_e32 v18, 0x3f317217, v19
	v_fma_f32 v20, v19, s6, -v18
	v_fmac_f32_e32 v20, 0x3377d1cf, v19
	s_mov_b32 s6, 0x7f800000
	v_add_f32_e32 v18, v18, v20
	v_cmp_lt_f32_e64 s[6:7], |v19|, s6
	v_cndmask_b32_e64 v18, v19, v18, s[6:7]
	v_mov_b32_e32 v19, 0x41b17218
	v_cndmask_b32_e64 v19, 0, v19, s[4:5]
	v_sub_f32_e32 v18, v18, v19
	v_add_f32_e64 v17, |v12|, -0.5
	v_add_f32_e32 v18, -1.0, v18
	v_fmac_f32_e32 v16, v17, v18
.LBB145_104:
	s_or_b64 exec, exec, s[16:17]
.LBB145_105:
	s_andn2_saveexec_b64 s[14:15], s[14:15]
	s_cbranch_execz .LBB145_107
; %bb.106:
	v_cvt_i32_f32_e32 v16, v15
	v_mov_b32_e32 v18, 0x3af135b4
	v_mov_b32_e32 v19, 0x3cda40e4
	;; [unrolled: 1-line block ×3, first 2 shown]
	v_cvt_f32_i32_e32 v17, v16
	v_cmp_lt_i32_e64 s[4:5], 2, v16
	s_mov_b32 s6, 0x3f317217
	v_sub_f32_e64 v17, |v12|, v17
	v_fmac_f32_e32 v18, 0x3805ff67, v17
	v_fmac_f32_e32 v19, v17, v18
	v_mov_b32_e32 v18, 0x3e15dce6
	v_fmac_f32_e32 v18, v17, v19
	v_mov_b32_e32 v19, 0x3ea6cc7a
	;; [unrolled: 2-line block ×4, first 2 shown]
	v_fmac_f32_e32 v19, v17, v18
	v_mul_f32_e32 v18, v17, v19
	v_mov_b32_e32 v19, 0x3a4beed6
	v_fmac_f32_e32 v19, 0x36f5d7bd, v17
	v_fmac_f32_e32 v20, v17, v19
	v_mov_b32_e32 v19, 0x3e300f6e
	v_fmac_f32_e32 v19, v17, v20
	v_mov_b32_e32 v20, 0x3f38d0c5
	;; [unrolled: 2-line block ×3, first 2 shown]
	v_fmac_f32_e32 v19, v17, v20
	v_fma_f32 v19, v17, v19, 1.0
	v_rcp_f32_e32 v19, v19
	v_add_f32_e32 v20, 0x40400000, v17
	v_add_f32_e32 v21, 4.0, v17
	v_add_f32_e32 v22, 0x40a00000, v17
	v_mul_f32_e32 v18, v18, v19
	v_add_f32_e32 v19, 2.0, v17
	v_cndmask_b32_e64 v19, 1.0, v19, s[4:5]
	v_cmp_lt_i32_e64 s[4:5], 3, v16
	v_cndmask_b32_e64 v20, 1.0, v20, s[4:5]
	v_cmp_lt_i32_e64 s[4:5], 4, v16
	v_mul_f32_e32 v19, v19, v20
	v_cndmask_b32_e64 v20, 1.0, v21, s[4:5]
	v_cmp_lt_i32_e64 s[4:5], 5, v16
	v_fmac_f32_e32 v18, 0.5, v17
	v_add_f32_e32 v17, 0x40c00000, v17
	v_mul_f32_e32 v19, v20, v19
	v_cndmask_b32_e64 v20, 1.0, v22, s[4:5]
	v_cmp_lt_i32_e64 s[4:5], 6, v16
	v_mul_f32_e32 v19, v20, v19
	v_cndmask_b32_e64 v16, 1.0, v17, s[4:5]
	v_mul_f32_e32 v16, v16, v19
	s_mov_b32 s4, 0x800000
	v_cmp_gt_f32_e64 s[4:5], s4, v16
	v_cndmask_b32_e64 v17, 0, 32, s[4:5]
	v_ldexp_f32 v16, v16, v17
	v_log_f32_e32 v16, v16
	v_mul_f32_e32 v17, 0x3f317217, v16
	v_fma_f32 v19, v16, s6, -v17
	v_fmac_f32_e32 v19, 0x3377d1cf, v16
	s_mov_b32 s6, 0x7f800000
	v_add_f32_e32 v17, v17, v19
	v_cmp_lt_f32_e64 s[6:7], |v16|, s6
	v_cndmask_b32_e64 v16, v16, v17, s[6:7]
	v_mov_b32_e32 v17, 0x41b17218
	v_cndmask_b32_e64 v17, 0, v17, s[4:5]
	v_sub_f32_e32 v16, v16, v17
	v_add_f32_e32 v16, v16, v18
.LBB145_107:
	s_or_b64 exec, exec, s[14:15]
.LBB145_108:
	s_andn2_saveexec_b64 s[12:13], s[12:13]
	s_cbranch_execz .LBB145_126
; %bb.109:
	s_mov_b32 s4, 0x3f666666
	v_cmp_le_f32_e64 s[4:5], |v12|, s4
                                        ; implicit-def: $vgpr16
                                        ; implicit-def: $vgpr18
                                        ; implicit-def: $vgpr17
	s_and_saveexec_b64 s[6:7], s[4:5]
	s_xor_b64 s[14:15], exec, s[6:7]
	s_cbranch_execz .LBB145_111
; %bb.110:
	s_mov_b32 s4, 0x800000
	v_cmp_lt_f32_e64 s[4:5], |v12|, s4
	v_cndmask_b32_e64 v16, 0, 32, s[4:5]
	v_ldexp_f32 v16, |v12|, v16
	v_log_f32_e32 v16, v16
	s_mov_b32 s6, 0x3f317217
	s_mov_b32 s7, 0x7f800000
	v_mul_f32_e32 v17, 0x3f317217, v16
	v_fma_f32 v18, v16, s6, -v17
	v_fmac_f32_e32 v18, 0x3377d1cf, v16
	v_add_f32_e32 v17, v17, v18
	v_cmp_lt_f32_e64 s[6:7], |v16|, s7
	v_cndmask_b32_e64 v16, v16, v17, s[6:7]
	v_mov_b32_e32 v17, 0x41b17218
	v_cndmask_b32_e64 v17, 0, v17, s[4:5]
	s_mov_b32 s4, 0x3f3b4a23
	s_mov_b32 s5, 0xbeec5b0c
	v_sub_f32_e32 v16, v16, v17
	v_sub_f32_e64 v17, 1.0, |v12|
	v_add_f32_e64 v18, |v12|, s5
	v_cmp_lt_f32_e64 s[4:5], |v12|, s4
	v_cndmask_b32_e64 v17, v17, v18, s[4:5]
	v_cndmask_b32_e64 v18, 0, 1, s[4:5]
	s_mov_b32 s4, 0x3e6d3309
	v_cmp_lt_f32_e64 s[4:5], |v12|, s4
	v_xor_b32_e32 v16, 0x80000000, v16
	v_cndmask_b32_e64 v17, v17, |v12|, s[4:5]
	v_cndmask_b32_e64 v18, v18, 2, s[4:5]
.LBB145_111:
	s_andn2_saveexec_b64 s[6:7], s[14:15]
	s_cbranch_execz .LBB145_113
; %bb.112:
	s_mov_b32 s4, 0x3fdda512
	s_mov_b32 s5, 0xbfbb16c3
	v_sub_f32_e64 v16, 2.0, |v12|
	v_add_f32_e64 v17, |v12|, s5
	v_cmp_lt_f32_e64 s[4:5], |v12|, s4
	v_cndmask_b32_e64 v17, v16, v17, s[4:5]
	v_cndmask_b32_e64 v16, v16, 1.0, s[4:5]
	v_cvt_i32_f32_e32 v16, v16
	s_mov_b32 s4, 0x3f9d70a4
	v_add_f32_e64 v18, |v12|, -1.0
	v_cmp_lt_f32_e64 s[4:5], |v12|, s4
	v_cndmask_b32_e64 v17, v17, v18, s[4:5]
	v_cndmask_b32_e64 v18, v16, 2, s[4:5]
	v_mov_b32_e32 v16, 0
.LBB145_113:
	s_or_b64 exec, exec, s[6:7]
	v_cmp_lt_i32_e64 s[4:5], 0, v18
	s_and_saveexec_b64 s[6:7], s[4:5]
	s_xor_b64 s[6:7], exec, s[6:7]
	s_cbranch_execz .LBB145_121
; %bb.114:
	v_cmp_lt_i32_e64 s[4:5], 1, v18
	s_and_saveexec_b64 s[14:15], s[4:5]
	s_xor_b64 s[14:15], exec, s[14:15]
	s_cbranch_execz .LBB145_118
; %bb.115:
	v_cmp_eq_u32_e64 s[4:5], 2, v18
	s_and_saveexec_b64 s[16:17], s[4:5]
	s_cbranch_execz .LBB145_117
; %bb.116:
	v_mov_b32_e32 v18, 0x3e6a7578
	v_fmac_f32_e32 v18, 0x3c5b3c5e, v17
	v_mov_b32_e32 v19, 0x3f7a4bb2
	v_fmac_f32_e32 v19, v17, v18
	;; [unrolled: 2-line block ×8, first 2 shown]
	v_fma_f32 v18, v17, v20, 1.0
	v_rcp_f32_e32 v18, v18
	v_mov_b32_e32 v20, 0xbd9e233f
	v_fmac_f32_e32 v20, v17, v19
	v_mul_f32_e32 v19, v17, v20
	v_mul_f32_e32 v18, v19, v18
	v_fmac_f32_e32 v18, -0.5, v17
	v_add_f32_e32 v16, v16, v18
.LBB145_117:
	s_or_b64 exec, exec, s[16:17]
                                        ; implicit-def: $vgpr17
.LBB145_118:
	s_andn2_saveexec_b64 s[4:5], s[14:15]
	s_cbranch_execz .LBB145_120
; %bb.119:
	v_mul_f32_e32 v18, v17, v17
	v_mul_f32_e32 v19, v17, v18
	v_mov_b32_e32 v20, 0xbab7f476
	v_fmac_f32_e32 v20, 0x39a57b6b, v19
	v_mov_b32_e32 v21, 0x3bc7e707
	v_fmac_f32_e32 v21, v19, v20
	;; [unrolled: 2-line block ×12, first 2 shown]
	v_fmac_f32_e32 v22, v17, v23
	s_mov_b32 s14, 0xa2863e55
	v_fma_f32 v17, v19, -v22, s14
	v_fma_f32 v17, v18, v21, -v17
	v_add_f32_e32 v17, 0xbdf8cdce, v17
	v_add_f32_e32 v16, v16, v17
.LBB145_120:
	s_or_b64 exec, exec, s[4:5]
                                        ; implicit-def: $vgpr18
                                        ; implicit-def: $vgpr17
.LBB145_121:
	s_andn2_saveexec_b64 s[6:7], s[6:7]
	s_cbranch_execz .LBB145_125
; %bb.122:
	v_cmp_eq_u32_e64 s[4:5], 0, v18
	s_and_saveexec_b64 s[14:15], s[4:5]
	s_cbranch_execz .LBB145_124
; %bb.123:
	v_mul_f32_e32 v18, v17, v17
	v_mov_b32_e32 v19, 0x39679767
	v_fmac_f32_e32 v19, 0x37d383a2, v18
	v_mov_b32_e32 v20, 0x3a9c54a1
	v_fmac_f32_e32 v20, v18, v19
	;; [unrolled: 2-line block ×10, first 2 shown]
	v_mul_f32_e32 v18, v18, v20
	v_fmac_f32_e32 v18, v17, v19
	v_fmac_f32_e32 v18, -0.5, v17
	v_add_f32_e32 v16, v16, v18
.LBB145_124:
	s_or_b64 exec, exec, s[14:15]
.LBB145_125:
	s_or_b64 exec, exec, s[6:7]
.LBB145_126:
	s_or_b64 exec, exec, s[12:13]
.LBB145_127:
	s_andn2_saveexec_b64 s[8:9], s[8:9]
	s_cbranch_execz .LBB145_129
; %bb.128:
	s_mov_b32 s4, 0x3e8a8991
	v_mov_b32_e32 v16, 0xbecd26ab
	v_fma_f32 v16, |v12|, s4, v16
	s_mov_b32 s4, 0x3f528d33
	v_fma_f32 v16, |v12|, v16, s4
	s_mov_b32 s4, 0x800000
	v_cmp_lt_f32_e64 s[4:5], |v12|, s4
	v_cndmask_b32_e64 v17, 0, 32, s[4:5]
	v_ldexp_f32 v17, |v12|, v17
	v_log_f32_e32 v17, v17
	s_mov_b32 s6, 0xbf13c468
	v_fma_f32 v16, |v12|, v16, s6
	s_mov_b32 s6, 0x3f317217
	v_mul_f32_e32 v18, 0x3f317217, v17
	v_fma_f32 v19, v17, s6, -v18
	v_fmac_f32_e32 v19, 0x3377d1cf, v17
	s_mov_b32 s6, 0x7f800000
	v_add_f32_e32 v18, v18, v19
	v_cmp_lt_f32_e64 s[6:7], |v17|, s6
	v_cndmask_b32_e64 v17, v17, v18, s[6:7]
	v_mov_b32_e32 v18, 0x41b17218
	v_cndmask_b32_e64 v18, 0, v18, s[4:5]
	v_sub_f32_e32 v17, v17, v18
	v_fma_f32 v16, |v12|, v16, -v17
.LBB145_129:
	s_or_b64 exec, exec, s[8:9]
	v_cmp_le_f16_e64 s[4:5], 0, v14
	v_cmp_nle_f16_e64 s[6:7], 0, v14
	s_and_saveexec_b64 s[8:9], s[6:7]
	s_xor_b64 s[12:13], exec, s[8:9]
	s_cbranch_execz .LBB145_133
; %bb.130:
	s_mov_b32 s6, 0x4b000000
	s_mov_b32 s8, 0x35000000
	v_cmp_lt_f32_e64 s[6:7], |v12|, s6
	v_cmp_gt_f32_e64 s[8:9], |v12|, s8
	s_and_b64 s[6:7], s[6:7], s[8:9]
	s_and_saveexec_b64 s[14:15], s[6:7]
	s_cbranch_execz .LBB145_132
; %bb.131:
	v_mul_f32_e64 v17, |v12|, 0.5
	v_floor_f32_e32 v18, v17
	v_sub_f32_e32 v18, v17, v18
	v_min_f32_e32 v18, 0x3f7fffff, v18
	s_mov_b32 s8, 0x7f800000
	v_add_f32_e32 v18, v18, v18
	v_cmp_neq_f32_e64 s[6:7], s8, v17
	v_cndmask_b32_e64 v17, 0, v18, s[6:7]
	v_cmp_gt_f32_e64 s[6:7], |v12|, 1.0
	v_cndmask_b32_e64 v17, |v12|, v17, s[6:7]
	v_add_f32_e32 v18, v17, v17
	v_rndne_f32_e32 v18, v18
	v_fmac_f32_e32 v17, -0.5, v18
	v_mul_f32_e32 v19, v17, v17
	v_mov_b32_e32 v20, 0xbf1f24be
	v_fmac_f32_e32 v20, 0x3e75aa41, v19
	v_mov_b32_e32 v21, 0x40234736
	v_fmac_f32_e32 v21, v19, v20
	;; [unrolled: 2-line block ×3, first 2 shown]
	v_mul_f32_e32 v21, v17, v19
	v_mul_f32_e32 v20, v21, v20
	v_fmac_f32_e32 v20, 0x40490fdb, v17
	v_mov_b32_e32 v17, 0x3e642e9d
	v_cvt_i32_f32_e32 v18, v18
	v_fmac_f32_e32 v17, 0x3d4be544, v19
	v_mov_b32_e32 v21, 0xbfaad1da
	v_fmac_f32_e32 v21, v19, v17
	v_mov_b32_e32 v17, 0x4081e0d3
	;; [unrolled: 2-line block ×3, first 2 shown]
	v_fmac_f32_e32 v21, v19, v17
	v_fma_f32 v17, v19, v21, 1.0
	v_and_b32_e32 v19, 1, v18
	v_lshlrev_b32_e32 v18, 30, v18
	v_cmp_eq_u32_e64 s[6:7], 0, v19
	v_and_b32_e32 v18, 0x80000000, v18
	v_xor_b32_e32 v15, v15, v12
	v_cndmask_b32_e64 v17, v17, v20, s[6:7]
	v_xor_b32_e32 v15, v15, v18
	v_xor_b32_e32 v15, v15, v17
	v_mul_f32_e32 v15, v12, v15
	v_frexp_mant_f32_e64 v17, |v15|
	v_rcp_f32_e32 v17, v17
	v_frexp_exp_i32_f32_e32 v15, v15
	v_sub_u32_e32 v15, 2, v15
	s_mov_b32 s6, 0x800000
	v_mul_f32_e32 v17, 0x3f490fdb, v17
	v_ldexp_f32 v15, v17, v15
	v_cmp_gt_f32_e64 s[6:7], s6, v15
	v_cndmask_b32_e64 v17, 0, 32, s[6:7]
	v_ldexp_f32 v15, v15, v17
	v_log_f32_e32 v15, v15
	s_mov_b32 s9, 0x3f317217
	v_mul_f32_e32 v17, 0x3f317217, v15
	v_fma_f32 v18, v15, s9, -v17
	v_fmac_f32_e32 v18, 0x3377d1cf, v15
	v_add_f32_e32 v17, v17, v18
	v_cmp_lt_f32_e64 s[8:9], |v15|, s8
	v_cndmask_b32_e64 v15, v15, v17, s[8:9]
	v_mov_b32_e32 v17, 0x41b17218
	v_cndmask_b32_e64 v17, 0, v17, s[6:7]
	v_sub_f32_e32 v15, v15, v17
	v_sub_f32_e32 v15, v15, v16
	v_floor_f32_e32 v16, v12
	v_sub_f32_e32 v16, v12, v16
	v_min_f32_e32 v16, 0x3f7fffff, v16
	v_mov_b32_e32 v17, 0x7f800000
	v_cmp_neq_f32_e64 s[6:7], 0, v16
	v_cndmask_b32_e64 v16, v17, v15, s[6:7]
.LBB145_132:
	s_or_b64 exec, exec, s[14:15]
.LBB145_133:
	s_andn2_saveexec_b64 s[12:13], s[12:13]
; %bb.134:
	v_cmp_eq_f16_e64 s[6:7], 1.0, v14
	v_cmp_eq_f16_e64 s[8:9], 2.0, v14
	s_or_b64 s[6:7], s[6:7], s[8:9]
	v_cndmask_b32_e64 v16, v16, 0, s[6:7]
; %bb.135:
	s_or_b64 exec, exec, s[12:13]
	v_cvt_f16_f32_e32 v16, v16
	s_mov_b32 s6, 0x4b000000
	v_cmp_lt_f32_e64 s[6:7], |v12|, s6
	v_mov_b32_e32 v15, 0x264
	v_mov_b32_e32 v17, 0x7c00
	s_or_b64 s[4:5], s[4:5], s[6:7]
	v_cndmask_b32_e64 v16, v17, v16, s[4:5]
	v_cmp_class_f32_e64 s[4:5], v12, v15
	v_cndmask_b32_e64 v12, v16, v17, s[4:5]
	v_cmp_u_f16_e64 s[4:5], v14, v14
	v_cndmask_b32_e64 v12, v12, v14, s[4:5]
.LBB145_136:
	s_or_b64 exec, exec, s[10:11]
	v_add_u32_e32 v14, 0x300, v7
	v_cmp_lt_i32_e64 s[4:5], v14, v4
                                        ; implicit-def: $vgpr14
	s_and_saveexec_b64 s[10:11], s[4:5]
	s_cbranch_execz .LBB145_176
; %bb.137:
	v_cvt_f32_f16_e32 v14, v13
	s_mov_b32 s4, 0x3c800000
                                        ; implicit-def: $vgpr16
	v_and_b32_e32 v15, 0x7fffffff, v14
	v_cmp_nlt_f32_e64 s[4:5], |v14|, s4
	s_and_saveexec_b64 s[6:7], s[4:5]
	s_xor_b64 s[8:9], exec, s[6:7]
	s_cbranch_execz .LBB145_167
; %bb.138:
	v_cmp_nlt_f32_e64 s[4:5], |v14|, 2.0
                                        ; implicit-def: $vgpr16
	s_and_saveexec_b64 s[6:7], s[4:5]
	s_xor_b64 s[12:13], exec, s[6:7]
	s_cbranch_execz .LBB145_148
; %bb.139:
	s_mov_b32 s4, 0x41000000
	v_cmp_nlt_f32_e64 s[4:5], |v14|, s4
                                        ; implicit-def: $vgpr16
	s_and_saveexec_b64 s[6:7], s[4:5]
	s_xor_b64 s[14:15], exec, s[6:7]
	s_cbranch_execz .LBB145_145
; %bb.140:
	s_mov_b32 s4, 0x5c800000
	v_cmp_nlt_f32_e64 s[4:5], |v14|, s4
                                        ; implicit-def: $vgpr16
	s_and_saveexec_b64 s[6:7], s[4:5]
	s_xor_b64 s[16:17], exec, s[6:7]
	s_cbranch_execz .LBB145_142
; %bb.141:
	s_mov_b32 s4, 0x800000
	v_cmp_lt_f32_e64 s[4:5], |v14|, s4
	v_cndmask_b32_e64 v16, 0, 32, s[4:5]
	v_ldexp_f32 v16, |v14|, v16
	v_log_f32_e32 v16, v16
	s_mov_b32 s6, 0x3f317217
	s_mov_b32 s7, 0x7f800000
	v_mul_f32_e32 v17, 0x3f317217, v16
	v_fma_f32 v18, v16, s6, -v17
	v_fmac_f32_e32 v18, 0x3377d1cf, v16
	v_add_f32_e32 v17, v17, v18
	v_cmp_lt_f32_e64 s[6:7], |v16|, s7
	v_cndmask_b32_e64 v16, v16, v17, s[6:7]
	v_mov_b32_e32 v17, 0x41b17218
	v_cndmask_b32_e64 v17, 0, v17, s[4:5]
	v_sub_f32_e32 v16, v16, v17
	v_fma_f32 v16, |v14|, v16, -|v14|
.LBB145_142:
	s_andn2_saveexec_b64 s[16:17], s[16:17]
	s_cbranch_execz .LBB145_144
; %bb.143:
	v_rcp_f32_e64 v17, |v14|
	v_mov_b32_e32 v16, 0x3a5b3dd2
	v_mov_b32_e32 v18, 0xba1c065c
	;; [unrolled: 1-line block ×3, first 2 shown]
	v_mul_f32_e32 v20, v17, v17
	v_fmac_f32_e32 v16, 0xbad5c4e8, v20
	v_fmac_f32_e32 v18, v20, v16
	s_mov_b32 s4, 0x800000
	v_fmac_f32_e32 v19, v20, v18
	v_mov_b32_e32 v16, 0xbb360b61
	v_cmp_lt_f32_e64 s[4:5], |v14|, s4
	v_fmac_f32_e32 v16, v20, v19
	v_cndmask_b32_e64 v19, 0, 32, s[4:5]
	v_ldexp_f32 v19, |v14|, v19
	v_log_f32_e32 v19, v19
	v_mov_b32_e32 v18, 0x3daaaaab
	v_fmac_f32_e32 v18, v20, v16
	v_mov_b32_e32 v16, 0x3ed67f1d
	v_fmac_f32_e32 v16, v17, v18
	s_mov_b32 s6, 0x3f317217
	v_mul_f32_e32 v18, 0x3f317217, v19
	v_fma_f32 v20, v19, s6, -v18
	v_fmac_f32_e32 v20, 0x3377d1cf, v19
	s_mov_b32 s6, 0x7f800000
	v_add_f32_e32 v18, v18, v20
	v_cmp_lt_f32_e64 s[6:7], |v19|, s6
	v_cndmask_b32_e64 v18, v19, v18, s[6:7]
	v_mov_b32_e32 v19, 0x41b17218
	v_cndmask_b32_e64 v19, 0, v19, s[4:5]
	v_sub_f32_e32 v18, v18, v19
	v_add_f32_e64 v17, |v14|, -0.5
	v_add_f32_e32 v18, -1.0, v18
	v_fmac_f32_e32 v16, v17, v18
.LBB145_144:
	s_or_b64 exec, exec, s[16:17]
.LBB145_145:
	s_andn2_saveexec_b64 s[14:15], s[14:15]
	s_cbranch_execz .LBB145_147
; %bb.146:
	v_cvt_i32_f32_e32 v16, v15
	v_mov_b32_e32 v18, 0x3af135b4
	v_mov_b32_e32 v19, 0x3cda40e4
	;; [unrolled: 1-line block ×3, first 2 shown]
	v_cvt_f32_i32_e32 v17, v16
	v_cmp_lt_i32_e64 s[4:5], 2, v16
	s_mov_b32 s6, 0x3f317217
	v_sub_f32_e64 v17, |v14|, v17
	v_fmac_f32_e32 v18, 0x3805ff67, v17
	v_fmac_f32_e32 v19, v17, v18
	v_mov_b32_e32 v18, 0x3e15dce6
	v_fmac_f32_e32 v18, v17, v19
	v_mov_b32_e32 v19, 0x3ea6cc7a
	;; [unrolled: 2-line block ×4, first 2 shown]
	v_fmac_f32_e32 v19, v17, v18
	v_mul_f32_e32 v18, v17, v19
	v_mov_b32_e32 v19, 0x3a4beed6
	v_fmac_f32_e32 v19, 0x36f5d7bd, v17
	v_fmac_f32_e32 v20, v17, v19
	v_mov_b32_e32 v19, 0x3e300f6e
	v_fmac_f32_e32 v19, v17, v20
	v_mov_b32_e32 v20, 0x3f38d0c5
	;; [unrolled: 2-line block ×3, first 2 shown]
	v_fmac_f32_e32 v19, v17, v20
	v_fma_f32 v19, v17, v19, 1.0
	v_rcp_f32_e32 v19, v19
	v_add_f32_e32 v20, 0x40400000, v17
	v_add_f32_e32 v21, 4.0, v17
	v_add_f32_e32 v22, 0x40a00000, v17
	v_mul_f32_e32 v18, v18, v19
	v_add_f32_e32 v19, 2.0, v17
	v_cndmask_b32_e64 v19, 1.0, v19, s[4:5]
	v_cmp_lt_i32_e64 s[4:5], 3, v16
	v_cndmask_b32_e64 v20, 1.0, v20, s[4:5]
	v_cmp_lt_i32_e64 s[4:5], 4, v16
	v_mul_f32_e32 v19, v19, v20
	v_cndmask_b32_e64 v20, 1.0, v21, s[4:5]
	v_cmp_lt_i32_e64 s[4:5], 5, v16
	v_fmac_f32_e32 v18, 0.5, v17
	v_add_f32_e32 v17, 0x40c00000, v17
	v_mul_f32_e32 v19, v20, v19
	v_cndmask_b32_e64 v20, 1.0, v22, s[4:5]
	v_cmp_lt_i32_e64 s[4:5], 6, v16
	v_mul_f32_e32 v19, v20, v19
	v_cndmask_b32_e64 v16, 1.0, v17, s[4:5]
	v_mul_f32_e32 v16, v16, v19
	s_mov_b32 s4, 0x800000
	v_cmp_gt_f32_e64 s[4:5], s4, v16
	v_cndmask_b32_e64 v17, 0, 32, s[4:5]
	v_ldexp_f32 v16, v16, v17
	v_log_f32_e32 v16, v16
	v_mul_f32_e32 v17, 0x3f317217, v16
	v_fma_f32 v19, v16, s6, -v17
	v_fmac_f32_e32 v19, 0x3377d1cf, v16
	s_mov_b32 s6, 0x7f800000
	v_add_f32_e32 v17, v17, v19
	v_cmp_lt_f32_e64 s[6:7], |v16|, s6
	v_cndmask_b32_e64 v16, v16, v17, s[6:7]
	v_mov_b32_e32 v17, 0x41b17218
	v_cndmask_b32_e64 v17, 0, v17, s[4:5]
	v_sub_f32_e32 v16, v16, v17
	v_add_f32_e32 v16, v16, v18
.LBB145_147:
	s_or_b64 exec, exec, s[14:15]
.LBB145_148:
	s_andn2_saveexec_b64 s[12:13], s[12:13]
	s_cbranch_execz .LBB145_166
; %bb.149:
	s_mov_b32 s4, 0x3f666666
	v_cmp_le_f32_e64 s[4:5], |v14|, s4
                                        ; implicit-def: $vgpr16
                                        ; implicit-def: $vgpr18
                                        ; implicit-def: $vgpr17
	s_and_saveexec_b64 s[6:7], s[4:5]
	s_xor_b64 s[14:15], exec, s[6:7]
	s_cbranch_execz .LBB145_151
; %bb.150:
	s_mov_b32 s4, 0x800000
	v_cmp_lt_f32_e64 s[4:5], |v14|, s4
	v_cndmask_b32_e64 v16, 0, 32, s[4:5]
	v_ldexp_f32 v16, |v14|, v16
	v_log_f32_e32 v16, v16
	s_mov_b32 s6, 0x3f317217
	s_mov_b32 s7, 0x7f800000
	v_mul_f32_e32 v17, 0x3f317217, v16
	v_fma_f32 v18, v16, s6, -v17
	v_fmac_f32_e32 v18, 0x3377d1cf, v16
	v_add_f32_e32 v17, v17, v18
	v_cmp_lt_f32_e64 s[6:7], |v16|, s7
	v_cndmask_b32_e64 v16, v16, v17, s[6:7]
	v_mov_b32_e32 v17, 0x41b17218
	v_cndmask_b32_e64 v17, 0, v17, s[4:5]
	s_mov_b32 s4, 0x3f3b4a23
	s_mov_b32 s5, 0xbeec5b0c
	v_sub_f32_e32 v16, v16, v17
	v_sub_f32_e64 v17, 1.0, |v14|
	v_add_f32_e64 v18, |v14|, s5
	v_cmp_lt_f32_e64 s[4:5], |v14|, s4
	v_cndmask_b32_e64 v17, v17, v18, s[4:5]
	v_cndmask_b32_e64 v18, 0, 1, s[4:5]
	s_mov_b32 s4, 0x3e6d3309
	v_cmp_lt_f32_e64 s[4:5], |v14|, s4
	v_xor_b32_e32 v16, 0x80000000, v16
	v_cndmask_b32_e64 v17, v17, |v14|, s[4:5]
	v_cndmask_b32_e64 v18, v18, 2, s[4:5]
.LBB145_151:
	s_andn2_saveexec_b64 s[6:7], s[14:15]
	s_cbranch_execz .LBB145_153
; %bb.152:
	s_mov_b32 s4, 0x3fdda512
	s_mov_b32 s5, 0xbfbb16c3
	v_sub_f32_e64 v16, 2.0, |v14|
	v_add_f32_e64 v17, |v14|, s5
	v_cmp_lt_f32_e64 s[4:5], |v14|, s4
	v_cndmask_b32_e64 v17, v16, v17, s[4:5]
	v_cndmask_b32_e64 v16, v16, 1.0, s[4:5]
	v_cvt_i32_f32_e32 v16, v16
	s_mov_b32 s4, 0x3f9d70a4
	v_add_f32_e64 v18, |v14|, -1.0
	v_cmp_lt_f32_e64 s[4:5], |v14|, s4
	v_cndmask_b32_e64 v17, v17, v18, s[4:5]
	v_cndmask_b32_e64 v18, v16, 2, s[4:5]
	v_mov_b32_e32 v16, 0
.LBB145_153:
	s_or_b64 exec, exec, s[6:7]
	v_cmp_lt_i32_e64 s[4:5], 0, v18
	s_and_saveexec_b64 s[6:7], s[4:5]
	s_xor_b64 s[6:7], exec, s[6:7]
	s_cbranch_execz .LBB145_161
; %bb.154:
	v_cmp_lt_i32_e64 s[4:5], 1, v18
	s_and_saveexec_b64 s[14:15], s[4:5]
	s_xor_b64 s[14:15], exec, s[14:15]
	s_cbranch_execz .LBB145_158
; %bb.155:
	v_cmp_eq_u32_e64 s[4:5], 2, v18
	s_and_saveexec_b64 s[16:17], s[4:5]
	s_cbranch_execz .LBB145_157
; %bb.156:
	v_mov_b32_e32 v18, 0x3e6a7578
	v_fmac_f32_e32 v18, 0x3c5b3c5e, v17
	v_mov_b32_e32 v19, 0x3f7a4bb2
	v_fmac_f32_e32 v19, v17, v18
	;; [unrolled: 2-line block ×8, first 2 shown]
	v_fma_f32 v18, v17, v20, 1.0
	v_rcp_f32_e32 v18, v18
	v_mov_b32_e32 v20, 0xbd9e233f
	v_fmac_f32_e32 v20, v17, v19
	v_mul_f32_e32 v19, v17, v20
	v_mul_f32_e32 v18, v19, v18
	v_fmac_f32_e32 v18, -0.5, v17
	v_add_f32_e32 v16, v16, v18
.LBB145_157:
	s_or_b64 exec, exec, s[16:17]
                                        ; implicit-def: $vgpr17
.LBB145_158:
	s_andn2_saveexec_b64 s[4:5], s[14:15]
	s_cbranch_execz .LBB145_160
; %bb.159:
	v_mul_f32_e32 v18, v17, v17
	v_mul_f32_e32 v19, v17, v18
	v_mov_b32_e32 v20, 0xbab7f476
	v_fmac_f32_e32 v20, 0x39a57b6b, v19
	v_mov_b32_e32 v21, 0x3bc7e707
	v_fmac_f32_e32 v21, v19, v20
	;; [unrolled: 2-line block ×12, first 2 shown]
	v_fmac_f32_e32 v22, v17, v23
	s_mov_b32 s14, 0xa2863e55
	v_fma_f32 v17, v19, -v22, s14
	v_fma_f32 v17, v18, v21, -v17
	v_add_f32_e32 v17, 0xbdf8cdce, v17
	v_add_f32_e32 v16, v16, v17
.LBB145_160:
	s_or_b64 exec, exec, s[4:5]
                                        ; implicit-def: $vgpr18
                                        ; implicit-def: $vgpr17
.LBB145_161:
	s_andn2_saveexec_b64 s[6:7], s[6:7]
	s_cbranch_execz .LBB145_165
; %bb.162:
	v_cmp_eq_u32_e64 s[4:5], 0, v18
	s_and_saveexec_b64 s[14:15], s[4:5]
	s_cbranch_execz .LBB145_164
; %bb.163:
	v_mul_f32_e32 v18, v17, v17
	v_mov_b32_e32 v19, 0x39679767
	v_fmac_f32_e32 v19, 0x37d383a2, v18
	v_mov_b32_e32 v20, 0x3a9c54a1
	v_fmac_f32_e32 v20, v18, v19
	;; [unrolled: 2-line block ×10, first 2 shown]
	v_mul_f32_e32 v18, v18, v20
	v_fmac_f32_e32 v18, v17, v19
	v_fmac_f32_e32 v18, -0.5, v17
	v_add_f32_e32 v16, v16, v18
.LBB145_164:
	s_or_b64 exec, exec, s[14:15]
.LBB145_165:
	s_or_b64 exec, exec, s[6:7]
.LBB145_166:
	s_or_b64 exec, exec, s[12:13]
.LBB145_167:
	s_andn2_saveexec_b64 s[8:9], s[8:9]
	s_cbranch_execz .LBB145_169
; %bb.168:
	s_mov_b32 s4, 0x3e8a8991
	v_mov_b32_e32 v16, 0xbecd26ab
	v_fma_f32 v16, |v14|, s4, v16
	s_mov_b32 s4, 0x3f528d33
	v_fma_f32 v16, |v14|, v16, s4
	s_mov_b32 s4, 0x800000
	v_cmp_lt_f32_e64 s[4:5], |v14|, s4
	v_cndmask_b32_e64 v17, 0, 32, s[4:5]
	v_ldexp_f32 v17, |v14|, v17
	v_log_f32_e32 v17, v17
	s_mov_b32 s6, 0xbf13c468
	v_fma_f32 v16, |v14|, v16, s6
	s_mov_b32 s6, 0x3f317217
	v_mul_f32_e32 v18, 0x3f317217, v17
	v_fma_f32 v19, v17, s6, -v18
	v_fmac_f32_e32 v19, 0x3377d1cf, v17
	s_mov_b32 s6, 0x7f800000
	v_add_f32_e32 v18, v18, v19
	v_cmp_lt_f32_e64 s[6:7], |v17|, s6
	v_cndmask_b32_e64 v17, v17, v18, s[6:7]
	v_mov_b32_e32 v18, 0x41b17218
	v_cndmask_b32_e64 v18, 0, v18, s[4:5]
	v_sub_f32_e32 v17, v17, v18
	v_fma_f32 v16, |v14|, v16, -v17
.LBB145_169:
	s_or_b64 exec, exec, s[8:9]
	v_cmp_le_f16_e64 s[4:5], 0, v13
	v_cmp_nle_f16_e64 s[6:7], 0, v13
	s_and_saveexec_b64 s[8:9], s[6:7]
	s_xor_b64 s[12:13], exec, s[8:9]
	s_cbranch_execz .LBB145_173
; %bb.170:
	s_mov_b32 s6, 0x4b000000
	s_mov_b32 s8, 0x35000000
	v_cmp_lt_f32_e64 s[6:7], |v14|, s6
	v_cmp_gt_f32_e64 s[8:9], |v14|, s8
	s_and_b64 s[6:7], s[6:7], s[8:9]
	s_and_saveexec_b64 s[14:15], s[6:7]
	s_cbranch_execz .LBB145_172
; %bb.171:
	v_mul_f32_e64 v17, |v14|, 0.5
	v_floor_f32_e32 v18, v17
	v_sub_f32_e32 v18, v17, v18
	v_min_f32_e32 v18, 0x3f7fffff, v18
	s_mov_b32 s8, 0x7f800000
	v_add_f32_e32 v18, v18, v18
	v_cmp_neq_f32_e64 s[6:7], s8, v17
	v_cndmask_b32_e64 v17, 0, v18, s[6:7]
	v_cmp_gt_f32_e64 s[6:7], |v14|, 1.0
	v_cndmask_b32_e64 v17, |v14|, v17, s[6:7]
	v_add_f32_e32 v18, v17, v17
	v_rndne_f32_e32 v18, v18
	v_fmac_f32_e32 v17, -0.5, v18
	v_mul_f32_e32 v19, v17, v17
	v_mov_b32_e32 v20, 0xbf1f24be
	v_fmac_f32_e32 v20, 0x3e75aa41, v19
	v_mov_b32_e32 v21, 0x40234736
	v_fmac_f32_e32 v21, v19, v20
	v_mov_b32_e32 v20, 0xc0a55e0e
	v_fmac_f32_e32 v20, v19, v21
	v_mul_f32_e32 v21, v17, v19
	v_mul_f32_e32 v20, v21, v20
	v_fmac_f32_e32 v20, 0x40490fdb, v17
	v_mov_b32_e32 v17, 0x3e642e9d
	v_cvt_i32_f32_e32 v18, v18
	v_fmac_f32_e32 v17, 0x3d4be544, v19
	v_mov_b32_e32 v21, 0xbfaad1da
	v_fmac_f32_e32 v21, v19, v17
	v_mov_b32_e32 v17, 0x4081e0d3
	;; [unrolled: 2-line block ×3, first 2 shown]
	v_fmac_f32_e32 v21, v19, v17
	v_fma_f32 v17, v19, v21, 1.0
	v_and_b32_e32 v19, 1, v18
	v_lshlrev_b32_e32 v18, 30, v18
	v_cmp_eq_u32_e64 s[6:7], 0, v19
	v_and_b32_e32 v18, 0x80000000, v18
	v_xor_b32_e32 v15, v15, v14
	v_cndmask_b32_e64 v17, v17, v20, s[6:7]
	v_xor_b32_e32 v15, v15, v18
	v_xor_b32_e32 v15, v15, v17
	v_mul_f32_e32 v15, v14, v15
	v_frexp_mant_f32_e64 v17, |v15|
	v_rcp_f32_e32 v17, v17
	v_frexp_exp_i32_f32_e32 v15, v15
	v_sub_u32_e32 v15, 2, v15
	s_mov_b32 s6, 0x800000
	v_mul_f32_e32 v17, 0x3f490fdb, v17
	v_ldexp_f32 v15, v17, v15
	v_cmp_gt_f32_e64 s[6:7], s6, v15
	v_cndmask_b32_e64 v17, 0, 32, s[6:7]
	v_ldexp_f32 v15, v15, v17
	v_log_f32_e32 v15, v15
	s_mov_b32 s9, 0x3f317217
	v_mul_f32_e32 v17, 0x3f317217, v15
	v_fma_f32 v18, v15, s9, -v17
	v_fmac_f32_e32 v18, 0x3377d1cf, v15
	v_add_f32_e32 v17, v17, v18
	v_cmp_lt_f32_e64 s[8:9], |v15|, s8
	v_cndmask_b32_e64 v15, v15, v17, s[8:9]
	v_mov_b32_e32 v17, 0x41b17218
	v_cndmask_b32_e64 v17, 0, v17, s[6:7]
	v_sub_f32_e32 v15, v15, v17
	v_sub_f32_e32 v15, v15, v16
	v_floor_f32_e32 v16, v14
	v_sub_f32_e32 v16, v14, v16
	v_min_f32_e32 v16, 0x3f7fffff, v16
	v_mov_b32_e32 v17, 0x7f800000
	v_cmp_neq_f32_e64 s[6:7], 0, v16
	v_cndmask_b32_e64 v16, v17, v15, s[6:7]
.LBB145_172:
	s_or_b64 exec, exec, s[14:15]
.LBB145_173:
	s_andn2_saveexec_b64 s[12:13], s[12:13]
; %bb.174:
	v_cmp_eq_f16_e64 s[6:7], 1.0, v13
	v_cmp_eq_f16_e64 s[8:9], 2.0, v13
	s_or_b64 s[6:7], s[6:7], s[8:9]
	v_cndmask_b32_e64 v16, v16, 0, s[6:7]
; %bb.175:
	s_or_b64 exec, exec, s[12:13]
	v_cvt_f16_f32_e32 v16, v16
	s_mov_b32 s6, 0x4b000000
	v_cmp_lt_f32_e64 s[6:7], |v14|, s6
	v_mov_b32_e32 v15, 0x264
	v_mov_b32_e32 v17, 0x7c00
	s_or_b64 s[4:5], s[4:5], s[6:7]
	v_cndmask_b32_e64 v16, v17, v16, s[4:5]
	v_cmp_class_f32_e64 s[4:5], v14, v15
	v_cndmask_b32_e64 v14, v16, v17, s[4:5]
	v_cmp_u_f16_e64 s[4:5], v13, v13
	v_cndmask_b32_e64 v14, v14, v13, s[4:5]
.LBB145_176:
	s_or_b64 exec, exec, s[10:11]
	v_or_b32_e32 v13, 0x400, v7
	v_cmp_lt_i32_e64 s[4:5], v13, v4
                                        ; implicit-def: $vgpr13
	s_and_saveexec_b64 s[10:11], s[4:5]
	s_cbranch_execz .LBB145_216
; %bb.177:
	v_cvt_f32_f16_e32 v13, v11
	s_mov_b32 s4, 0x3c800000
                                        ; implicit-def: $vgpr16
	v_and_b32_e32 v15, 0x7fffffff, v13
	v_cmp_nlt_f32_e64 s[4:5], |v13|, s4
	s_and_saveexec_b64 s[6:7], s[4:5]
	s_xor_b64 s[8:9], exec, s[6:7]
	s_cbranch_execz .LBB145_207
; %bb.178:
	v_cmp_nlt_f32_e64 s[4:5], |v13|, 2.0
                                        ; implicit-def: $vgpr16
	s_and_saveexec_b64 s[6:7], s[4:5]
	s_xor_b64 s[12:13], exec, s[6:7]
	s_cbranch_execz .LBB145_188
; %bb.179:
	s_mov_b32 s4, 0x41000000
	v_cmp_nlt_f32_e64 s[4:5], |v13|, s4
                                        ; implicit-def: $vgpr16
	s_and_saveexec_b64 s[6:7], s[4:5]
	s_xor_b64 s[14:15], exec, s[6:7]
	s_cbranch_execz .LBB145_185
; %bb.180:
	s_mov_b32 s4, 0x5c800000
	v_cmp_nlt_f32_e64 s[4:5], |v13|, s4
                                        ; implicit-def: $vgpr16
	s_and_saveexec_b64 s[6:7], s[4:5]
	s_xor_b64 s[16:17], exec, s[6:7]
	s_cbranch_execz .LBB145_182
; %bb.181:
	s_mov_b32 s4, 0x800000
	v_cmp_lt_f32_e64 s[4:5], |v13|, s4
	v_cndmask_b32_e64 v16, 0, 32, s[4:5]
	v_ldexp_f32 v16, |v13|, v16
	v_log_f32_e32 v16, v16
	s_mov_b32 s6, 0x3f317217
	s_mov_b32 s7, 0x7f800000
	v_mul_f32_e32 v17, 0x3f317217, v16
	v_fma_f32 v18, v16, s6, -v17
	v_fmac_f32_e32 v18, 0x3377d1cf, v16
	v_add_f32_e32 v17, v17, v18
	v_cmp_lt_f32_e64 s[6:7], |v16|, s7
	v_cndmask_b32_e64 v16, v16, v17, s[6:7]
	v_mov_b32_e32 v17, 0x41b17218
	v_cndmask_b32_e64 v17, 0, v17, s[4:5]
	v_sub_f32_e32 v16, v16, v17
	v_fma_f32 v16, |v13|, v16, -|v13|
.LBB145_182:
	s_andn2_saveexec_b64 s[16:17], s[16:17]
	s_cbranch_execz .LBB145_184
; %bb.183:
	v_rcp_f32_e64 v17, |v13|
	v_mov_b32_e32 v16, 0x3a5b3dd2
	v_mov_b32_e32 v18, 0xba1c065c
	;; [unrolled: 1-line block ×3, first 2 shown]
	v_mul_f32_e32 v20, v17, v17
	v_fmac_f32_e32 v16, 0xbad5c4e8, v20
	v_fmac_f32_e32 v18, v20, v16
	s_mov_b32 s4, 0x800000
	v_fmac_f32_e32 v19, v20, v18
	v_mov_b32_e32 v16, 0xbb360b61
	v_cmp_lt_f32_e64 s[4:5], |v13|, s4
	v_fmac_f32_e32 v16, v20, v19
	v_cndmask_b32_e64 v19, 0, 32, s[4:5]
	v_ldexp_f32 v19, |v13|, v19
	v_log_f32_e32 v19, v19
	v_mov_b32_e32 v18, 0x3daaaaab
	v_fmac_f32_e32 v18, v20, v16
	v_mov_b32_e32 v16, 0x3ed67f1d
	v_fmac_f32_e32 v16, v17, v18
	s_mov_b32 s6, 0x3f317217
	v_mul_f32_e32 v18, 0x3f317217, v19
	v_fma_f32 v20, v19, s6, -v18
	v_fmac_f32_e32 v20, 0x3377d1cf, v19
	s_mov_b32 s6, 0x7f800000
	v_add_f32_e32 v18, v18, v20
	v_cmp_lt_f32_e64 s[6:7], |v19|, s6
	v_cndmask_b32_e64 v18, v19, v18, s[6:7]
	v_mov_b32_e32 v19, 0x41b17218
	v_cndmask_b32_e64 v19, 0, v19, s[4:5]
	v_sub_f32_e32 v18, v18, v19
	v_add_f32_e64 v17, |v13|, -0.5
	v_add_f32_e32 v18, -1.0, v18
	v_fmac_f32_e32 v16, v17, v18
.LBB145_184:
	s_or_b64 exec, exec, s[16:17]
.LBB145_185:
	s_andn2_saveexec_b64 s[14:15], s[14:15]
	s_cbranch_execz .LBB145_187
; %bb.186:
	v_cvt_i32_f32_e32 v16, v15
	v_mov_b32_e32 v18, 0x3af135b4
	v_mov_b32_e32 v19, 0x3cda40e4
	;; [unrolled: 1-line block ×3, first 2 shown]
	v_cvt_f32_i32_e32 v17, v16
	v_cmp_lt_i32_e64 s[4:5], 2, v16
	s_mov_b32 s6, 0x3f317217
	v_sub_f32_e64 v17, |v13|, v17
	v_fmac_f32_e32 v18, 0x3805ff67, v17
	v_fmac_f32_e32 v19, v17, v18
	v_mov_b32_e32 v18, 0x3e15dce6
	v_fmac_f32_e32 v18, v17, v19
	v_mov_b32_e32 v19, 0x3ea6cc7a
	;; [unrolled: 2-line block ×4, first 2 shown]
	v_fmac_f32_e32 v19, v17, v18
	v_mul_f32_e32 v18, v17, v19
	v_mov_b32_e32 v19, 0x3a4beed6
	v_fmac_f32_e32 v19, 0x36f5d7bd, v17
	v_fmac_f32_e32 v20, v17, v19
	v_mov_b32_e32 v19, 0x3e300f6e
	v_fmac_f32_e32 v19, v17, v20
	v_mov_b32_e32 v20, 0x3f38d0c5
	;; [unrolled: 2-line block ×3, first 2 shown]
	v_fmac_f32_e32 v19, v17, v20
	v_fma_f32 v19, v17, v19, 1.0
	v_rcp_f32_e32 v19, v19
	v_add_f32_e32 v20, 0x40400000, v17
	v_add_f32_e32 v21, 4.0, v17
	v_add_f32_e32 v22, 0x40a00000, v17
	v_mul_f32_e32 v18, v18, v19
	v_add_f32_e32 v19, 2.0, v17
	v_cndmask_b32_e64 v19, 1.0, v19, s[4:5]
	v_cmp_lt_i32_e64 s[4:5], 3, v16
	v_cndmask_b32_e64 v20, 1.0, v20, s[4:5]
	v_cmp_lt_i32_e64 s[4:5], 4, v16
	v_mul_f32_e32 v19, v19, v20
	v_cndmask_b32_e64 v20, 1.0, v21, s[4:5]
	v_cmp_lt_i32_e64 s[4:5], 5, v16
	v_fmac_f32_e32 v18, 0.5, v17
	v_add_f32_e32 v17, 0x40c00000, v17
	v_mul_f32_e32 v19, v20, v19
	v_cndmask_b32_e64 v20, 1.0, v22, s[4:5]
	v_cmp_lt_i32_e64 s[4:5], 6, v16
	v_mul_f32_e32 v19, v20, v19
	v_cndmask_b32_e64 v16, 1.0, v17, s[4:5]
	v_mul_f32_e32 v16, v16, v19
	s_mov_b32 s4, 0x800000
	v_cmp_gt_f32_e64 s[4:5], s4, v16
	v_cndmask_b32_e64 v17, 0, 32, s[4:5]
	v_ldexp_f32 v16, v16, v17
	v_log_f32_e32 v16, v16
	v_mul_f32_e32 v17, 0x3f317217, v16
	v_fma_f32 v19, v16, s6, -v17
	v_fmac_f32_e32 v19, 0x3377d1cf, v16
	s_mov_b32 s6, 0x7f800000
	v_add_f32_e32 v17, v17, v19
	v_cmp_lt_f32_e64 s[6:7], |v16|, s6
	v_cndmask_b32_e64 v16, v16, v17, s[6:7]
	v_mov_b32_e32 v17, 0x41b17218
	v_cndmask_b32_e64 v17, 0, v17, s[4:5]
	v_sub_f32_e32 v16, v16, v17
	v_add_f32_e32 v16, v16, v18
.LBB145_187:
	s_or_b64 exec, exec, s[14:15]
.LBB145_188:
	s_andn2_saveexec_b64 s[12:13], s[12:13]
	s_cbranch_execz .LBB145_206
; %bb.189:
	s_mov_b32 s4, 0x3f666666
	v_cmp_le_f32_e64 s[4:5], |v13|, s4
                                        ; implicit-def: $vgpr16
                                        ; implicit-def: $vgpr18
                                        ; implicit-def: $vgpr17
	s_and_saveexec_b64 s[6:7], s[4:5]
	s_xor_b64 s[14:15], exec, s[6:7]
	s_cbranch_execz .LBB145_191
; %bb.190:
	s_mov_b32 s4, 0x800000
	v_cmp_lt_f32_e64 s[4:5], |v13|, s4
	v_cndmask_b32_e64 v16, 0, 32, s[4:5]
	v_ldexp_f32 v16, |v13|, v16
	v_log_f32_e32 v16, v16
	s_mov_b32 s6, 0x3f317217
	s_mov_b32 s7, 0x7f800000
	v_mul_f32_e32 v17, 0x3f317217, v16
	v_fma_f32 v18, v16, s6, -v17
	v_fmac_f32_e32 v18, 0x3377d1cf, v16
	v_add_f32_e32 v17, v17, v18
	v_cmp_lt_f32_e64 s[6:7], |v16|, s7
	v_cndmask_b32_e64 v16, v16, v17, s[6:7]
	v_mov_b32_e32 v17, 0x41b17218
	v_cndmask_b32_e64 v17, 0, v17, s[4:5]
	s_mov_b32 s4, 0x3f3b4a23
	s_mov_b32 s5, 0xbeec5b0c
	v_sub_f32_e32 v16, v16, v17
	v_sub_f32_e64 v17, 1.0, |v13|
	v_add_f32_e64 v18, |v13|, s5
	v_cmp_lt_f32_e64 s[4:5], |v13|, s4
	v_cndmask_b32_e64 v17, v17, v18, s[4:5]
	v_cndmask_b32_e64 v18, 0, 1, s[4:5]
	s_mov_b32 s4, 0x3e6d3309
	v_cmp_lt_f32_e64 s[4:5], |v13|, s4
	v_xor_b32_e32 v16, 0x80000000, v16
	v_cndmask_b32_e64 v17, v17, |v13|, s[4:5]
	v_cndmask_b32_e64 v18, v18, 2, s[4:5]
.LBB145_191:
	s_andn2_saveexec_b64 s[6:7], s[14:15]
	s_cbranch_execz .LBB145_193
; %bb.192:
	s_mov_b32 s4, 0x3fdda512
	s_mov_b32 s5, 0xbfbb16c3
	v_sub_f32_e64 v16, 2.0, |v13|
	v_add_f32_e64 v17, |v13|, s5
	v_cmp_lt_f32_e64 s[4:5], |v13|, s4
	v_cndmask_b32_e64 v17, v16, v17, s[4:5]
	v_cndmask_b32_e64 v16, v16, 1.0, s[4:5]
	v_cvt_i32_f32_e32 v16, v16
	s_mov_b32 s4, 0x3f9d70a4
	v_add_f32_e64 v18, |v13|, -1.0
	v_cmp_lt_f32_e64 s[4:5], |v13|, s4
	v_cndmask_b32_e64 v17, v17, v18, s[4:5]
	v_cndmask_b32_e64 v18, v16, 2, s[4:5]
	v_mov_b32_e32 v16, 0
.LBB145_193:
	s_or_b64 exec, exec, s[6:7]
	v_cmp_lt_i32_e64 s[4:5], 0, v18
	s_and_saveexec_b64 s[6:7], s[4:5]
	s_xor_b64 s[6:7], exec, s[6:7]
	s_cbranch_execz .LBB145_201
; %bb.194:
	v_cmp_lt_i32_e64 s[4:5], 1, v18
	s_and_saveexec_b64 s[14:15], s[4:5]
	s_xor_b64 s[14:15], exec, s[14:15]
	s_cbranch_execz .LBB145_198
; %bb.195:
	v_cmp_eq_u32_e64 s[4:5], 2, v18
	s_and_saveexec_b64 s[16:17], s[4:5]
	s_cbranch_execz .LBB145_197
; %bb.196:
	v_mov_b32_e32 v18, 0x3e6a7578
	v_fmac_f32_e32 v18, 0x3c5b3c5e, v17
	v_mov_b32_e32 v19, 0x3f7a4bb2
	v_fmac_f32_e32 v19, v17, v18
	;; [unrolled: 2-line block ×8, first 2 shown]
	v_fma_f32 v18, v17, v20, 1.0
	v_rcp_f32_e32 v18, v18
	v_mov_b32_e32 v20, 0xbd9e233f
	v_fmac_f32_e32 v20, v17, v19
	v_mul_f32_e32 v19, v17, v20
	v_mul_f32_e32 v18, v19, v18
	v_fmac_f32_e32 v18, -0.5, v17
	v_add_f32_e32 v16, v16, v18
.LBB145_197:
	s_or_b64 exec, exec, s[16:17]
                                        ; implicit-def: $vgpr17
.LBB145_198:
	s_andn2_saveexec_b64 s[4:5], s[14:15]
	s_cbranch_execz .LBB145_200
; %bb.199:
	v_mul_f32_e32 v18, v17, v17
	v_mul_f32_e32 v19, v17, v18
	v_mov_b32_e32 v20, 0xbab7f476
	v_fmac_f32_e32 v20, 0x39a57b6b, v19
	v_mov_b32_e32 v21, 0x3bc7e707
	v_fmac_f32_e32 v21, v19, v20
	;; [unrolled: 2-line block ×12, first 2 shown]
	v_fmac_f32_e32 v22, v17, v23
	s_mov_b32 s14, 0xa2863e55
	v_fma_f32 v17, v19, -v22, s14
	v_fma_f32 v17, v18, v21, -v17
	v_add_f32_e32 v17, 0xbdf8cdce, v17
	v_add_f32_e32 v16, v16, v17
.LBB145_200:
	s_or_b64 exec, exec, s[4:5]
                                        ; implicit-def: $vgpr18
                                        ; implicit-def: $vgpr17
.LBB145_201:
	s_andn2_saveexec_b64 s[6:7], s[6:7]
	s_cbranch_execz .LBB145_205
; %bb.202:
	v_cmp_eq_u32_e64 s[4:5], 0, v18
	s_and_saveexec_b64 s[14:15], s[4:5]
	s_cbranch_execz .LBB145_204
; %bb.203:
	v_mul_f32_e32 v18, v17, v17
	v_mov_b32_e32 v19, 0x39679767
	v_fmac_f32_e32 v19, 0x37d383a2, v18
	v_mov_b32_e32 v20, 0x3a9c54a1
	v_fmac_f32_e32 v20, v18, v19
	;; [unrolled: 2-line block ×10, first 2 shown]
	v_mul_f32_e32 v18, v18, v20
	v_fmac_f32_e32 v18, v17, v19
	v_fmac_f32_e32 v18, -0.5, v17
	v_add_f32_e32 v16, v16, v18
.LBB145_204:
	s_or_b64 exec, exec, s[14:15]
.LBB145_205:
	s_or_b64 exec, exec, s[6:7]
.LBB145_206:
	s_or_b64 exec, exec, s[12:13]
.LBB145_207:
	s_andn2_saveexec_b64 s[8:9], s[8:9]
	s_cbranch_execz .LBB145_209
; %bb.208:
	s_mov_b32 s4, 0x3e8a8991
	v_mov_b32_e32 v16, 0xbecd26ab
	v_fma_f32 v16, |v13|, s4, v16
	s_mov_b32 s4, 0x3f528d33
	v_fma_f32 v16, |v13|, v16, s4
	s_mov_b32 s4, 0x800000
	v_cmp_lt_f32_e64 s[4:5], |v13|, s4
	v_cndmask_b32_e64 v17, 0, 32, s[4:5]
	v_ldexp_f32 v17, |v13|, v17
	v_log_f32_e32 v17, v17
	s_mov_b32 s6, 0xbf13c468
	v_fma_f32 v16, |v13|, v16, s6
	s_mov_b32 s6, 0x3f317217
	v_mul_f32_e32 v18, 0x3f317217, v17
	v_fma_f32 v19, v17, s6, -v18
	v_fmac_f32_e32 v19, 0x3377d1cf, v17
	s_mov_b32 s6, 0x7f800000
	v_add_f32_e32 v18, v18, v19
	v_cmp_lt_f32_e64 s[6:7], |v17|, s6
	v_cndmask_b32_e64 v17, v17, v18, s[6:7]
	v_mov_b32_e32 v18, 0x41b17218
	v_cndmask_b32_e64 v18, 0, v18, s[4:5]
	v_sub_f32_e32 v17, v17, v18
	v_fma_f32 v16, |v13|, v16, -v17
.LBB145_209:
	s_or_b64 exec, exec, s[8:9]
	v_cmp_le_f16_e64 s[4:5], 0, v11
	v_cmp_nle_f16_e64 s[6:7], 0, v11
	s_and_saveexec_b64 s[8:9], s[6:7]
	s_xor_b64 s[12:13], exec, s[8:9]
	s_cbranch_execz .LBB145_213
; %bb.210:
	s_mov_b32 s6, 0x4b000000
	s_mov_b32 s8, 0x35000000
	v_cmp_lt_f32_e64 s[6:7], |v13|, s6
	v_cmp_gt_f32_e64 s[8:9], |v13|, s8
	s_and_b64 s[6:7], s[6:7], s[8:9]
	s_and_saveexec_b64 s[14:15], s[6:7]
	s_cbranch_execz .LBB145_212
; %bb.211:
	v_mul_f32_e64 v17, |v13|, 0.5
	v_floor_f32_e32 v18, v17
	v_sub_f32_e32 v18, v17, v18
	v_min_f32_e32 v18, 0x3f7fffff, v18
	s_mov_b32 s8, 0x7f800000
	v_add_f32_e32 v18, v18, v18
	v_cmp_neq_f32_e64 s[6:7], s8, v17
	v_cndmask_b32_e64 v17, 0, v18, s[6:7]
	v_cmp_gt_f32_e64 s[6:7], |v13|, 1.0
	v_cndmask_b32_e64 v17, |v13|, v17, s[6:7]
	v_add_f32_e32 v18, v17, v17
	v_rndne_f32_e32 v18, v18
	v_fmac_f32_e32 v17, -0.5, v18
	v_mul_f32_e32 v19, v17, v17
	v_mov_b32_e32 v20, 0xbf1f24be
	v_fmac_f32_e32 v20, 0x3e75aa41, v19
	v_mov_b32_e32 v21, 0x40234736
	v_fmac_f32_e32 v21, v19, v20
	;; [unrolled: 2-line block ×3, first 2 shown]
	v_mul_f32_e32 v21, v17, v19
	v_mul_f32_e32 v20, v21, v20
	v_fmac_f32_e32 v20, 0x40490fdb, v17
	v_mov_b32_e32 v17, 0x3e642e9d
	v_cvt_i32_f32_e32 v18, v18
	v_fmac_f32_e32 v17, 0x3d4be544, v19
	v_mov_b32_e32 v21, 0xbfaad1da
	v_fmac_f32_e32 v21, v19, v17
	v_mov_b32_e32 v17, 0x4081e0d3
	;; [unrolled: 2-line block ×3, first 2 shown]
	v_fmac_f32_e32 v21, v19, v17
	v_fma_f32 v17, v19, v21, 1.0
	v_and_b32_e32 v19, 1, v18
	v_lshlrev_b32_e32 v18, 30, v18
	v_cmp_eq_u32_e64 s[6:7], 0, v19
	v_and_b32_e32 v18, 0x80000000, v18
	v_xor_b32_e32 v15, v15, v13
	v_cndmask_b32_e64 v17, v17, v20, s[6:7]
	v_xor_b32_e32 v15, v15, v18
	v_xor_b32_e32 v15, v15, v17
	v_mul_f32_e32 v15, v13, v15
	v_frexp_mant_f32_e64 v17, |v15|
	v_rcp_f32_e32 v17, v17
	v_frexp_exp_i32_f32_e32 v15, v15
	v_sub_u32_e32 v15, 2, v15
	s_mov_b32 s6, 0x800000
	v_mul_f32_e32 v17, 0x3f490fdb, v17
	v_ldexp_f32 v15, v17, v15
	v_cmp_gt_f32_e64 s[6:7], s6, v15
	v_cndmask_b32_e64 v17, 0, 32, s[6:7]
	v_ldexp_f32 v15, v15, v17
	v_log_f32_e32 v15, v15
	s_mov_b32 s9, 0x3f317217
	v_mul_f32_e32 v17, 0x3f317217, v15
	v_fma_f32 v18, v15, s9, -v17
	v_fmac_f32_e32 v18, 0x3377d1cf, v15
	v_add_f32_e32 v17, v17, v18
	v_cmp_lt_f32_e64 s[8:9], |v15|, s8
	v_cndmask_b32_e64 v15, v15, v17, s[8:9]
	v_mov_b32_e32 v17, 0x41b17218
	v_cndmask_b32_e64 v17, 0, v17, s[6:7]
	v_sub_f32_e32 v15, v15, v17
	v_sub_f32_e32 v15, v15, v16
	v_floor_f32_e32 v16, v13
	v_sub_f32_e32 v16, v13, v16
	v_min_f32_e32 v16, 0x3f7fffff, v16
	v_mov_b32_e32 v17, 0x7f800000
	v_cmp_neq_f32_e64 s[6:7], 0, v16
	v_cndmask_b32_e64 v16, v17, v15, s[6:7]
.LBB145_212:
	s_or_b64 exec, exec, s[14:15]
.LBB145_213:
	s_andn2_saveexec_b64 s[12:13], s[12:13]
; %bb.214:
	v_cmp_eq_f16_e64 s[6:7], 1.0, v11
	v_cmp_eq_f16_e64 s[8:9], 2.0, v11
	s_or_b64 s[6:7], s[6:7], s[8:9]
	v_cndmask_b32_e64 v16, v16, 0, s[6:7]
; %bb.215:
	s_or_b64 exec, exec, s[12:13]
	v_cvt_f16_f32_e32 v16, v16
	s_mov_b32 s6, 0x4b000000
	v_cmp_lt_f32_e64 s[6:7], |v13|, s6
	v_mov_b32_e32 v15, 0x264
	v_mov_b32_e32 v17, 0x7c00
	s_or_b64 s[4:5], s[4:5], s[6:7]
	v_cndmask_b32_e64 v16, v17, v16, s[4:5]
	v_cmp_class_f32_e64 s[4:5], v13, v15
	v_cndmask_b32_e64 v13, v16, v17, s[4:5]
	v_cmp_u_f16_e64 s[4:5], v11, v11
	v_cndmask_b32_e64 v13, v13, v11, s[4:5]
.LBB145_216:
	s_or_b64 exec, exec, s[10:11]
	v_add_u32_e32 v11, 0x500, v7
	v_cmp_lt_i32_e64 s[4:5], v11, v4
                                        ; implicit-def: $vgpr11
	s_and_saveexec_b64 s[10:11], s[4:5]
	s_cbranch_execz .LBB145_256
; %bb.217:
	v_cvt_f32_f16_e32 v11, v9
	s_mov_b32 s4, 0x3c800000
                                        ; implicit-def: $vgpr16
	v_and_b32_e32 v15, 0x7fffffff, v11
	v_cmp_nlt_f32_e64 s[4:5], |v11|, s4
	s_and_saveexec_b64 s[6:7], s[4:5]
	s_xor_b64 s[8:9], exec, s[6:7]
	s_cbranch_execz .LBB145_247
; %bb.218:
	v_cmp_nlt_f32_e64 s[4:5], |v11|, 2.0
                                        ; implicit-def: $vgpr16
	s_and_saveexec_b64 s[6:7], s[4:5]
	s_xor_b64 s[12:13], exec, s[6:7]
	s_cbranch_execz .LBB145_228
; %bb.219:
	s_mov_b32 s4, 0x41000000
	v_cmp_nlt_f32_e64 s[4:5], |v11|, s4
                                        ; implicit-def: $vgpr16
	s_and_saveexec_b64 s[6:7], s[4:5]
	s_xor_b64 s[14:15], exec, s[6:7]
	s_cbranch_execz .LBB145_225
; %bb.220:
	s_mov_b32 s4, 0x5c800000
	v_cmp_nlt_f32_e64 s[4:5], |v11|, s4
                                        ; implicit-def: $vgpr16
	s_and_saveexec_b64 s[6:7], s[4:5]
	s_xor_b64 s[16:17], exec, s[6:7]
	s_cbranch_execz .LBB145_222
; %bb.221:
	s_mov_b32 s4, 0x800000
	v_cmp_lt_f32_e64 s[4:5], |v11|, s4
	v_cndmask_b32_e64 v16, 0, 32, s[4:5]
	v_ldexp_f32 v16, |v11|, v16
	v_log_f32_e32 v16, v16
	s_mov_b32 s6, 0x3f317217
	s_mov_b32 s7, 0x7f800000
	v_mul_f32_e32 v17, 0x3f317217, v16
	v_fma_f32 v18, v16, s6, -v17
	v_fmac_f32_e32 v18, 0x3377d1cf, v16
	v_add_f32_e32 v17, v17, v18
	v_cmp_lt_f32_e64 s[6:7], |v16|, s7
	v_cndmask_b32_e64 v16, v16, v17, s[6:7]
	v_mov_b32_e32 v17, 0x41b17218
	v_cndmask_b32_e64 v17, 0, v17, s[4:5]
	v_sub_f32_e32 v16, v16, v17
	v_fma_f32 v16, |v11|, v16, -|v11|
.LBB145_222:
	s_andn2_saveexec_b64 s[16:17], s[16:17]
	s_cbranch_execz .LBB145_224
; %bb.223:
	v_rcp_f32_e64 v17, |v11|
	v_mov_b32_e32 v16, 0x3a5b3dd2
	v_mov_b32_e32 v18, 0xba1c065c
	;; [unrolled: 1-line block ×3, first 2 shown]
	v_mul_f32_e32 v20, v17, v17
	v_fmac_f32_e32 v16, 0xbad5c4e8, v20
	v_fmac_f32_e32 v18, v20, v16
	s_mov_b32 s4, 0x800000
	v_fmac_f32_e32 v19, v20, v18
	v_mov_b32_e32 v16, 0xbb360b61
	v_cmp_lt_f32_e64 s[4:5], |v11|, s4
	v_fmac_f32_e32 v16, v20, v19
	v_cndmask_b32_e64 v19, 0, 32, s[4:5]
	v_ldexp_f32 v19, |v11|, v19
	v_log_f32_e32 v19, v19
	v_mov_b32_e32 v18, 0x3daaaaab
	v_fmac_f32_e32 v18, v20, v16
	v_mov_b32_e32 v16, 0x3ed67f1d
	v_fmac_f32_e32 v16, v17, v18
	s_mov_b32 s6, 0x3f317217
	v_mul_f32_e32 v18, 0x3f317217, v19
	v_fma_f32 v20, v19, s6, -v18
	v_fmac_f32_e32 v20, 0x3377d1cf, v19
	s_mov_b32 s6, 0x7f800000
	v_add_f32_e32 v18, v18, v20
	v_cmp_lt_f32_e64 s[6:7], |v19|, s6
	v_cndmask_b32_e64 v18, v19, v18, s[6:7]
	v_mov_b32_e32 v19, 0x41b17218
	v_cndmask_b32_e64 v19, 0, v19, s[4:5]
	v_sub_f32_e32 v18, v18, v19
	v_add_f32_e64 v17, |v11|, -0.5
	v_add_f32_e32 v18, -1.0, v18
	v_fmac_f32_e32 v16, v17, v18
.LBB145_224:
	s_or_b64 exec, exec, s[16:17]
.LBB145_225:
	s_andn2_saveexec_b64 s[14:15], s[14:15]
	s_cbranch_execz .LBB145_227
; %bb.226:
	v_cvt_i32_f32_e32 v16, v15
	v_mov_b32_e32 v18, 0x3af135b4
	v_mov_b32_e32 v19, 0x3cda40e4
	;; [unrolled: 1-line block ×3, first 2 shown]
	v_cvt_f32_i32_e32 v17, v16
	v_cmp_lt_i32_e64 s[4:5], 2, v16
	s_mov_b32 s6, 0x3f317217
	v_sub_f32_e64 v17, |v11|, v17
	v_fmac_f32_e32 v18, 0x3805ff67, v17
	v_fmac_f32_e32 v19, v17, v18
	v_mov_b32_e32 v18, 0x3e15dce6
	v_fmac_f32_e32 v18, v17, v19
	v_mov_b32_e32 v19, 0x3ea6cc7a
	;; [unrolled: 2-line block ×4, first 2 shown]
	v_fmac_f32_e32 v19, v17, v18
	v_mul_f32_e32 v18, v17, v19
	v_mov_b32_e32 v19, 0x3a4beed6
	v_fmac_f32_e32 v19, 0x36f5d7bd, v17
	v_fmac_f32_e32 v20, v17, v19
	v_mov_b32_e32 v19, 0x3e300f6e
	v_fmac_f32_e32 v19, v17, v20
	v_mov_b32_e32 v20, 0x3f38d0c5
	;; [unrolled: 2-line block ×3, first 2 shown]
	v_fmac_f32_e32 v19, v17, v20
	v_fma_f32 v19, v17, v19, 1.0
	v_rcp_f32_e32 v19, v19
	v_add_f32_e32 v20, 0x40400000, v17
	v_add_f32_e32 v21, 4.0, v17
	v_add_f32_e32 v22, 0x40a00000, v17
	v_mul_f32_e32 v18, v18, v19
	v_add_f32_e32 v19, 2.0, v17
	v_cndmask_b32_e64 v19, 1.0, v19, s[4:5]
	v_cmp_lt_i32_e64 s[4:5], 3, v16
	v_cndmask_b32_e64 v20, 1.0, v20, s[4:5]
	v_cmp_lt_i32_e64 s[4:5], 4, v16
	v_mul_f32_e32 v19, v19, v20
	v_cndmask_b32_e64 v20, 1.0, v21, s[4:5]
	v_cmp_lt_i32_e64 s[4:5], 5, v16
	v_fmac_f32_e32 v18, 0.5, v17
	v_add_f32_e32 v17, 0x40c00000, v17
	v_mul_f32_e32 v19, v20, v19
	v_cndmask_b32_e64 v20, 1.0, v22, s[4:5]
	v_cmp_lt_i32_e64 s[4:5], 6, v16
	v_mul_f32_e32 v19, v20, v19
	v_cndmask_b32_e64 v16, 1.0, v17, s[4:5]
	v_mul_f32_e32 v16, v16, v19
	s_mov_b32 s4, 0x800000
	v_cmp_gt_f32_e64 s[4:5], s4, v16
	v_cndmask_b32_e64 v17, 0, 32, s[4:5]
	v_ldexp_f32 v16, v16, v17
	v_log_f32_e32 v16, v16
	v_mul_f32_e32 v17, 0x3f317217, v16
	v_fma_f32 v19, v16, s6, -v17
	v_fmac_f32_e32 v19, 0x3377d1cf, v16
	s_mov_b32 s6, 0x7f800000
	v_add_f32_e32 v17, v17, v19
	v_cmp_lt_f32_e64 s[6:7], |v16|, s6
	v_cndmask_b32_e64 v16, v16, v17, s[6:7]
	v_mov_b32_e32 v17, 0x41b17218
	v_cndmask_b32_e64 v17, 0, v17, s[4:5]
	v_sub_f32_e32 v16, v16, v17
	v_add_f32_e32 v16, v16, v18
.LBB145_227:
	s_or_b64 exec, exec, s[14:15]
.LBB145_228:
	s_andn2_saveexec_b64 s[12:13], s[12:13]
	s_cbranch_execz .LBB145_246
; %bb.229:
	s_mov_b32 s4, 0x3f666666
	v_cmp_le_f32_e64 s[4:5], |v11|, s4
                                        ; implicit-def: $vgpr16
                                        ; implicit-def: $vgpr18
                                        ; implicit-def: $vgpr17
	s_and_saveexec_b64 s[6:7], s[4:5]
	s_xor_b64 s[14:15], exec, s[6:7]
	s_cbranch_execz .LBB145_231
; %bb.230:
	s_mov_b32 s4, 0x800000
	v_cmp_lt_f32_e64 s[4:5], |v11|, s4
	v_cndmask_b32_e64 v16, 0, 32, s[4:5]
	v_ldexp_f32 v16, |v11|, v16
	v_log_f32_e32 v16, v16
	s_mov_b32 s6, 0x3f317217
	s_mov_b32 s7, 0x7f800000
	v_mul_f32_e32 v17, 0x3f317217, v16
	v_fma_f32 v18, v16, s6, -v17
	v_fmac_f32_e32 v18, 0x3377d1cf, v16
	v_add_f32_e32 v17, v17, v18
	v_cmp_lt_f32_e64 s[6:7], |v16|, s7
	v_cndmask_b32_e64 v16, v16, v17, s[6:7]
	v_mov_b32_e32 v17, 0x41b17218
	v_cndmask_b32_e64 v17, 0, v17, s[4:5]
	s_mov_b32 s4, 0x3f3b4a23
	s_mov_b32 s5, 0xbeec5b0c
	v_sub_f32_e32 v16, v16, v17
	v_sub_f32_e64 v17, 1.0, |v11|
	v_add_f32_e64 v18, |v11|, s5
	v_cmp_lt_f32_e64 s[4:5], |v11|, s4
	v_cndmask_b32_e64 v17, v17, v18, s[4:5]
	v_cndmask_b32_e64 v18, 0, 1, s[4:5]
	s_mov_b32 s4, 0x3e6d3309
	v_cmp_lt_f32_e64 s[4:5], |v11|, s4
	v_xor_b32_e32 v16, 0x80000000, v16
	v_cndmask_b32_e64 v17, v17, |v11|, s[4:5]
	v_cndmask_b32_e64 v18, v18, 2, s[4:5]
.LBB145_231:
	s_andn2_saveexec_b64 s[6:7], s[14:15]
	s_cbranch_execz .LBB145_233
; %bb.232:
	s_mov_b32 s4, 0x3fdda512
	s_mov_b32 s5, 0xbfbb16c3
	v_sub_f32_e64 v16, 2.0, |v11|
	v_add_f32_e64 v17, |v11|, s5
	v_cmp_lt_f32_e64 s[4:5], |v11|, s4
	v_cndmask_b32_e64 v17, v16, v17, s[4:5]
	v_cndmask_b32_e64 v16, v16, 1.0, s[4:5]
	v_cvt_i32_f32_e32 v16, v16
	s_mov_b32 s4, 0x3f9d70a4
	v_add_f32_e64 v18, |v11|, -1.0
	v_cmp_lt_f32_e64 s[4:5], |v11|, s4
	v_cndmask_b32_e64 v17, v17, v18, s[4:5]
	v_cndmask_b32_e64 v18, v16, 2, s[4:5]
	v_mov_b32_e32 v16, 0
.LBB145_233:
	s_or_b64 exec, exec, s[6:7]
	v_cmp_lt_i32_e64 s[4:5], 0, v18
	s_and_saveexec_b64 s[6:7], s[4:5]
	s_xor_b64 s[6:7], exec, s[6:7]
	s_cbranch_execz .LBB145_241
; %bb.234:
	v_cmp_lt_i32_e64 s[4:5], 1, v18
	s_and_saveexec_b64 s[14:15], s[4:5]
	s_xor_b64 s[14:15], exec, s[14:15]
	s_cbranch_execz .LBB145_238
; %bb.235:
	v_cmp_eq_u32_e64 s[4:5], 2, v18
	s_and_saveexec_b64 s[16:17], s[4:5]
	s_cbranch_execz .LBB145_237
; %bb.236:
	v_mov_b32_e32 v18, 0x3e6a7578
	v_fmac_f32_e32 v18, 0x3c5b3c5e, v17
	v_mov_b32_e32 v19, 0x3f7a4bb2
	v_fmac_f32_e32 v19, v17, v18
	;; [unrolled: 2-line block ×8, first 2 shown]
	v_fma_f32 v18, v17, v20, 1.0
	v_rcp_f32_e32 v18, v18
	v_mov_b32_e32 v20, 0xbd9e233f
	v_fmac_f32_e32 v20, v17, v19
	v_mul_f32_e32 v19, v17, v20
	v_mul_f32_e32 v18, v19, v18
	v_fmac_f32_e32 v18, -0.5, v17
	v_add_f32_e32 v16, v16, v18
.LBB145_237:
	s_or_b64 exec, exec, s[16:17]
                                        ; implicit-def: $vgpr17
.LBB145_238:
	s_andn2_saveexec_b64 s[4:5], s[14:15]
	s_cbranch_execz .LBB145_240
; %bb.239:
	v_mul_f32_e32 v18, v17, v17
	v_mul_f32_e32 v19, v17, v18
	v_mov_b32_e32 v20, 0xbab7f476
	v_fmac_f32_e32 v20, 0x39a57b6b, v19
	v_mov_b32_e32 v21, 0x3bc7e707
	v_fmac_f32_e32 v21, v19, v20
	;; [unrolled: 2-line block ×12, first 2 shown]
	v_fmac_f32_e32 v22, v17, v23
	s_mov_b32 s14, 0xa2863e55
	v_fma_f32 v17, v19, -v22, s14
	v_fma_f32 v17, v18, v21, -v17
	v_add_f32_e32 v17, 0xbdf8cdce, v17
	v_add_f32_e32 v16, v16, v17
.LBB145_240:
	s_or_b64 exec, exec, s[4:5]
                                        ; implicit-def: $vgpr18
                                        ; implicit-def: $vgpr17
.LBB145_241:
	s_andn2_saveexec_b64 s[6:7], s[6:7]
	s_cbranch_execz .LBB145_245
; %bb.242:
	v_cmp_eq_u32_e64 s[4:5], 0, v18
	s_and_saveexec_b64 s[14:15], s[4:5]
	s_cbranch_execz .LBB145_244
; %bb.243:
	v_mul_f32_e32 v18, v17, v17
	v_mov_b32_e32 v19, 0x39679767
	v_fmac_f32_e32 v19, 0x37d383a2, v18
	v_mov_b32_e32 v20, 0x3a9c54a1
	v_fmac_f32_e32 v20, v18, v19
	;; [unrolled: 2-line block ×10, first 2 shown]
	v_mul_f32_e32 v18, v18, v20
	v_fmac_f32_e32 v18, v17, v19
	v_fmac_f32_e32 v18, -0.5, v17
	v_add_f32_e32 v16, v16, v18
.LBB145_244:
	s_or_b64 exec, exec, s[14:15]
.LBB145_245:
	s_or_b64 exec, exec, s[6:7]
.LBB145_246:
	s_or_b64 exec, exec, s[12:13]
.LBB145_247:
	s_andn2_saveexec_b64 s[8:9], s[8:9]
	s_cbranch_execz .LBB145_249
; %bb.248:
	s_mov_b32 s4, 0x3e8a8991
	v_mov_b32_e32 v16, 0xbecd26ab
	v_fma_f32 v16, |v11|, s4, v16
	s_mov_b32 s4, 0x3f528d33
	v_fma_f32 v16, |v11|, v16, s4
	s_mov_b32 s4, 0x800000
	v_cmp_lt_f32_e64 s[4:5], |v11|, s4
	v_cndmask_b32_e64 v17, 0, 32, s[4:5]
	v_ldexp_f32 v17, |v11|, v17
	v_log_f32_e32 v17, v17
	s_mov_b32 s6, 0xbf13c468
	v_fma_f32 v16, |v11|, v16, s6
	s_mov_b32 s6, 0x3f317217
	v_mul_f32_e32 v18, 0x3f317217, v17
	v_fma_f32 v19, v17, s6, -v18
	v_fmac_f32_e32 v19, 0x3377d1cf, v17
	s_mov_b32 s6, 0x7f800000
	v_add_f32_e32 v18, v18, v19
	v_cmp_lt_f32_e64 s[6:7], |v17|, s6
	v_cndmask_b32_e64 v17, v17, v18, s[6:7]
	v_mov_b32_e32 v18, 0x41b17218
	v_cndmask_b32_e64 v18, 0, v18, s[4:5]
	v_sub_f32_e32 v17, v17, v18
	v_fma_f32 v16, |v11|, v16, -v17
.LBB145_249:
	s_or_b64 exec, exec, s[8:9]
	v_cmp_le_f16_e64 s[4:5], 0, v9
	v_cmp_nle_f16_e64 s[6:7], 0, v9
	s_and_saveexec_b64 s[8:9], s[6:7]
	s_xor_b64 s[12:13], exec, s[8:9]
	s_cbranch_execz .LBB145_253
; %bb.250:
	s_mov_b32 s6, 0x4b000000
	s_mov_b32 s8, 0x35000000
	v_cmp_lt_f32_e64 s[6:7], |v11|, s6
	v_cmp_gt_f32_e64 s[8:9], |v11|, s8
	s_and_b64 s[6:7], s[6:7], s[8:9]
	s_and_saveexec_b64 s[14:15], s[6:7]
	s_cbranch_execz .LBB145_252
; %bb.251:
	v_mul_f32_e64 v17, |v11|, 0.5
	v_floor_f32_e32 v18, v17
	v_sub_f32_e32 v18, v17, v18
	v_min_f32_e32 v18, 0x3f7fffff, v18
	s_mov_b32 s8, 0x7f800000
	v_add_f32_e32 v18, v18, v18
	v_cmp_neq_f32_e64 s[6:7], s8, v17
	v_cndmask_b32_e64 v17, 0, v18, s[6:7]
	v_cmp_gt_f32_e64 s[6:7], |v11|, 1.0
	v_cndmask_b32_e64 v17, |v11|, v17, s[6:7]
	v_add_f32_e32 v18, v17, v17
	v_rndne_f32_e32 v18, v18
	v_fmac_f32_e32 v17, -0.5, v18
	v_mul_f32_e32 v19, v17, v17
	v_mov_b32_e32 v20, 0xbf1f24be
	v_fmac_f32_e32 v20, 0x3e75aa41, v19
	v_mov_b32_e32 v21, 0x40234736
	v_fmac_f32_e32 v21, v19, v20
	;; [unrolled: 2-line block ×3, first 2 shown]
	v_mul_f32_e32 v21, v17, v19
	v_mul_f32_e32 v20, v21, v20
	v_fmac_f32_e32 v20, 0x40490fdb, v17
	v_mov_b32_e32 v17, 0x3e642e9d
	v_cvt_i32_f32_e32 v18, v18
	v_fmac_f32_e32 v17, 0x3d4be544, v19
	v_mov_b32_e32 v21, 0xbfaad1da
	v_fmac_f32_e32 v21, v19, v17
	v_mov_b32_e32 v17, 0x4081e0d3
	;; [unrolled: 2-line block ×3, first 2 shown]
	v_fmac_f32_e32 v21, v19, v17
	v_fma_f32 v17, v19, v21, 1.0
	v_and_b32_e32 v19, 1, v18
	v_lshlrev_b32_e32 v18, 30, v18
	v_cmp_eq_u32_e64 s[6:7], 0, v19
	v_and_b32_e32 v18, 0x80000000, v18
	v_xor_b32_e32 v15, v15, v11
	v_cndmask_b32_e64 v17, v17, v20, s[6:7]
	v_xor_b32_e32 v15, v15, v18
	v_xor_b32_e32 v15, v15, v17
	v_mul_f32_e32 v15, v11, v15
	v_frexp_mant_f32_e64 v17, |v15|
	v_rcp_f32_e32 v17, v17
	v_frexp_exp_i32_f32_e32 v15, v15
	v_sub_u32_e32 v15, 2, v15
	s_mov_b32 s6, 0x800000
	v_mul_f32_e32 v17, 0x3f490fdb, v17
	v_ldexp_f32 v15, v17, v15
	v_cmp_gt_f32_e64 s[6:7], s6, v15
	v_cndmask_b32_e64 v17, 0, 32, s[6:7]
	v_ldexp_f32 v15, v15, v17
	v_log_f32_e32 v15, v15
	s_mov_b32 s9, 0x3f317217
	v_mul_f32_e32 v17, 0x3f317217, v15
	v_fma_f32 v18, v15, s9, -v17
	v_fmac_f32_e32 v18, 0x3377d1cf, v15
	v_add_f32_e32 v17, v17, v18
	v_cmp_lt_f32_e64 s[8:9], |v15|, s8
	v_cndmask_b32_e64 v15, v15, v17, s[8:9]
	v_mov_b32_e32 v17, 0x41b17218
	v_cndmask_b32_e64 v17, 0, v17, s[6:7]
	v_sub_f32_e32 v15, v15, v17
	v_sub_f32_e32 v15, v15, v16
	v_floor_f32_e32 v16, v11
	v_sub_f32_e32 v16, v11, v16
	v_min_f32_e32 v16, 0x3f7fffff, v16
	v_mov_b32_e32 v17, 0x7f800000
	v_cmp_neq_f32_e64 s[6:7], 0, v16
	v_cndmask_b32_e64 v16, v17, v15, s[6:7]
.LBB145_252:
	s_or_b64 exec, exec, s[14:15]
.LBB145_253:
	s_andn2_saveexec_b64 s[12:13], s[12:13]
; %bb.254:
	v_cmp_eq_f16_e64 s[6:7], 1.0, v9
	v_cmp_eq_f16_e64 s[8:9], 2.0, v9
	s_or_b64 s[6:7], s[6:7], s[8:9]
	v_cndmask_b32_e64 v16, v16, 0, s[6:7]
; %bb.255:
	s_or_b64 exec, exec, s[12:13]
	v_cvt_f16_f32_e32 v16, v16
	s_mov_b32 s6, 0x4b000000
	v_cmp_lt_f32_e64 s[6:7], |v11|, s6
	v_mov_b32_e32 v15, 0x264
	v_mov_b32_e32 v17, 0x7c00
	s_or_b64 s[4:5], s[4:5], s[6:7]
	v_cndmask_b32_e64 v16, v17, v16, s[4:5]
	v_cmp_class_f32_e64 s[4:5], v11, v15
	v_cndmask_b32_e64 v11, v16, v17, s[4:5]
	v_cmp_u_f16_e64 s[4:5], v9, v9
	v_cndmask_b32_e64 v11, v11, v9, s[4:5]
.LBB145_256:
	s_or_b64 exec, exec, s[10:11]
	v_add_u32_e32 v9, 0x600, v7
	v_cmp_lt_i32_e64 s[4:5], v9, v4
                                        ; implicit-def: $vgpr9
	s_and_saveexec_b64 s[10:11], s[4:5]
	s_cbranch_execz .LBB145_296
; %bb.257:
	v_cvt_f32_f16_e32 v9, v8
	s_mov_b32 s4, 0x3c800000
                                        ; implicit-def: $vgpr16
	v_and_b32_e32 v15, 0x7fffffff, v9
	v_cmp_nlt_f32_e64 s[4:5], |v9|, s4
	s_and_saveexec_b64 s[6:7], s[4:5]
	s_xor_b64 s[8:9], exec, s[6:7]
	s_cbranch_execz .LBB145_287
; %bb.258:
	v_cmp_nlt_f32_e64 s[4:5], |v9|, 2.0
                                        ; implicit-def: $vgpr16
	s_and_saveexec_b64 s[6:7], s[4:5]
	s_xor_b64 s[12:13], exec, s[6:7]
	s_cbranch_execz .LBB145_268
; %bb.259:
	s_mov_b32 s4, 0x41000000
	v_cmp_nlt_f32_e64 s[4:5], |v9|, s4
                                        ; implicit-def: $vgpr16
	s_and_saveexec_b64 s[6:7], s[4:5]
	s_xor_b64 s[14:15], exec, s[6:7]
	s_cbranch_execz .LBB145_265
; %bb.260:
	s_mov_b32 s4, 0x5c800000
	v_cmp_nlt_f32_e64 s[4:5], |v9|, s4
                                        ; implicit-def: $vgpr16
	s_and_saveexec_b64 s[6:7], s[4:5]
	s_xor_b64 s[16:17], exec, s[6:7]
	s_cbranch_execz .LBB145_262
; %bb.261:
	s_mov_b32 s4, 0x800000
	v_cmp_lt_f32_e64 s[4:5], |v9|, s4
	v_cndmask_b32_e64 v16, 0, 32, s[4:5]
	v_ldexp_f32 v16, |v9|, v16
	v_log_f32_e32 v16, v16
	s_mov_b32 s6, 0x3f317217
	s_mov_b32 s7, 0x7f800000
	v_mul_f32_e32 v17, 0x3f317217, v16
	v_fma_f32 v18, v16, s6, -v17
	v_fmac_f32_e32 v18, 0x3377d1cf, v16
	v_add_f32_e32 v17, v17, v18
	v_cmp_lt_f32_e64 s[6:7], |v16|, s7
	v_cndmask_b32_e64 v16, v16, v17, s[6:7]
	v_mov_b32_e32 v17, 0x41b17218
	v_cndmask_b32_e64 v17, 0, v17, s[4:5]
	v_sub_f32_e32 v16, v16, v17
	v_fma_f32 v16, |v9|, v16, -|v9|
.LBB145_262:
	s_andn2_saveexec_b64 s[16:17], s[16:17]
	s_cbranch_execz .LBB145_264
; %bb.263:
	v_rcp_f32_e64 v17, |v9|
	v_mov_b32_e32 v16, 0x3a5b3dd2
	v_mov_b32_e32 v18, 0xba1c065c
	;; [unrolled: 1-line block ×3, first 2 shown]
	v_mul_f32_e32 v20, v17, v17
	v_fmac_f32_e32 v16, 0xbad5c4e8, v20
	v_fmac_f32_e32 v18, v20, v16
	s_mov_b32 s4, 0x800000
	v_fmac_f32_e32 v19, v20, v18
	v_mov_b32_e32 v16, 0xbb360b61
	v_cmp_lt_f32_e64 s[4:5], |v9|, s4
	v_fmac_f32_e32 v16, v20, v19
	v_cndmask_b32_e64 v19, 0, 32, s[4:5]
	v_ldexp_f32 v19, |v9|, v19
	v_log_f32_e32 v19, v19
	v_mov_b32_e32 v18, 0x3daaaaab
	v_fmac_f32_e32 v18, v20, v16
	v_mov_b32_e32 v16, 0x3ed67f1d
	v_fmac_f32_e32 v16, v17, v18
	s_mov_b32 s6, 0x3f317217
	v_mul_f32_e32 v18, 0x3f317217, v19
	v_fma_f32 v20, v19, s6, -v18
	v_fmac_f32_e32 v20, 0x3377d1cf, v19
	s_mov_b32 s6, 0x7f800000
	v_add_f32_e32 v18, v18, v20
	v_cmp_lt_f32_e64 s[6:7], |v19|, s6
	v_cndmask_b32_e64 v18, v19, v18, s[6:7]
	v_mov_b32_e32 v19, 0x41b17218
	v_cndmask_b32_e64 v19, 0, v19, s[4:5]
	v_sub_f32_e32 v18, v18, v19
	v_add_f32_e64 v17, |v9|, -0.5
	v_add_f32_e32 v18, -1.0, v18
	v_fmac_f32_e32 v16, v17, v18
.LBB145_264:
	s_or_b64 exec, exec, s[16:17]
.LBB145_265:
	s_andn2_saveexec_b64 s[14:15], s[14:15]
	s_cbranch_execz .LBB145_267
; %bb.266:
	v_cvt_i32_f32_e32 v16, v15
	v_mov_b32_e32 v18, 0x3af135b4
	v_mov_b32_e32 v19, 0x3cda40e4
	;; [unrolled: 1-line block ×3, first 2 shown]
	v_cvt_f32_i32_e32 v17, v16
	v_cmp_lt_i32_e64 s[4:5], 2, v16
	s_mov_b32 s6, 0x3f317217
	v_sub_f32_e64 v17, |v9|, v17
	v_fmac_f32_e32 v18, 0x3805ff67, v17
	v_fmac_f32_e32 v19, v17, v18
	v_mov_b32_e32 v18, 0x3e15dce6
	v_fmac_f32_e32 v18, v17, v19
	v_mov_b32_e32 v19, 0x3ea6cc7a
	;; [unrolled: 2-line block ×4, first 2 shown]
	v_fmac_f32_e32 v19, v17, v18
	v_mul_f32_e32 v18, v17, v19
	v_mov_b32_e32 v19, 0x3a4beed6
	v_fmac_f32_e32 v19, 0x36f5d7bd, v17
	v_fmac_f32_e32 v20, v17, v19
	v_mov_b32_e32 v19, 0x3e300f6e
	v_fmac_f32_e32 v19, v17, v20
	v_mov_b32_e32 v20, 0x3f38d0c5
	;; [unrolled: 2-line block ×3, first 2 shown]
	v_fmac_f32_e32 v19, v17, v20
	v_fma_f32 v19, v17, v19, 1.0
	v_rcp_f32_e32 v19, v19
	v_add_f32_e32 v20, 0x40400000, v17
	v_add_f32_e32 v21, 4.0, v17
	v_add_f32_e32 v22, 0x40a00000, v17
	v_mul_f32_e32 v18, v18, v19
	v_add_f32_e32 v19, 2.0, v17
	v_cndmask_b32_e64 v19, 1.0, v19, s[4:5]
	v_cmp_lt_i32_e64 s[4:5], 3, v16
	v_cndmask_b32_e64 v20, 1.0, v20, s[4:5]
	v_cmp_lt_i32_e64 s[4:5], 4, v16
	v_mul_f32_e32 v19, v19, v20
	v_cndmask_b32_e64 v20, 1.0, v21, s[4:5]
	v_cmp_lt_i32_e64 s[4:5], 5, v16
	v_fmac_f32_e32 v18, 0.5, v17
	v_add_f32_e32 v17, 0x40c00000, v17
	v_mul_f32_e32 v19, v20, v19
	v_cndmask_b32_e64 v20, 1.0, v22, s[4:5]
	v_cmp_lt_i32_e64 s[4:5], 6, v16
	v_mul_f32_e32 v19, v20, v19
	v_cndmask_b32_e64 v16, 1.0, v17, s[4:5]
	v_mul_f32_e32 v16, v16, v19
	s_mov_b32 s4, 0x800000
	v_cmp_gt_f32_e64 s[4:5], s4, v16
	v_cndmask_b32_e64 v17, 0, 32, s[4:5]
	v_ldexp_f32 v16, v16, v17
	v_log_f32_e32 v16, v16
	v_mul_f32_e32 v17, 0x3f317217, v16
	v_fma_f32 v19, v16, s6, -v17
	v_fmac_f32_e32 v19, 0x3377d1cf, v16
	s_mov_b32 s6, 0x7f800000
	v_add_f32_e32 v17, v17, v19
	v_cmp_lt_f32_e64 s[6:7], |v16|, s6
	v_cndmask_b32_e64 v16, v16, v17, s[6:7]
	v_mov_b32_e32 v17, 0x41b17218
	v_cndmask_b32_e64 v17, 0, v17, s[4:5]
	v_sub_f32_e32 v16, v16, v17
	v_add_f32_e32 v16, v16, v18
.LBB145_267:
	s_or_b64 exec, exec, s[14:15]
.LBB145_268:
	s_andn2_saveexec_b64 s[12:13], s[12:13]
	s_cbranch_execz .LBB145_286
; %bb.269:
	s_mov_b32 s4, 0x3f666666
	v_cmp_le_f32_e64 s[4:5], |v9|, s4
                                        ; implicit-def: $vgpr16
                                        ; implicit-def: $vgpr18
                                        ; implicit-def: $vgpr17
	s_and_saveexec_b64 s[6:7], s[4:5]
	s_xor_b64 s[14:15], exec, s[6:7]
	s_cbranch_execz .LBB145_271
; %bb.270:
	s_mov_b32 s4, 0x800000
	v_cmp_lt_f32_e64 s[4:5], |v9|, s4
	v_cndmask_b32_e64 v16, 0, 32, s[4:5]
	v_ldexp_f32 v16, |v9|, v16
	v_log_f32_e32 v16, v16
	s_mov_b32 s6, 0x3f317217
	s_mov_b32 s7, 0x7f800000
	v_mul_f32_e32 v17, 0x3f317217, v16
	v_fma_f32 v18, v16, s6, -v17
	v_fmac_f32_e32 v18, 0x3377d1cf, v16
	v_add_f32_e32 v17, v17, v18
	v_cmp_lt_f32_e64 s[6:7], |v16|, s7
	v_cndmask_b32_e64 v16, v16, v17, s[6:7]
	v_mov_b32_e32 v17, 0x41b17218
	v_cndmask_b32_e64 v17, 0, v17, s[4:5]
	s_mov_b32 s4, 0x3f3b4a23
	s_mov_b32 s5, 0xbeec5b0c
	v_sub_f32_e32 v16, v16, v17
	v_sub_f32_e64 v17, 1.0, |v9|
	v_add_f32_e64 v18, |v9|, s5
	v_cmp_lt_f32_e64 s[4:5], |v9|, s4
	v_cndmask_b32_e64 v17, v17, v18, s[4:5]
	v_cndmask_b32_e64 v18, 0, 1, s[4:5]
	s_mov_b32 s4, 0x3e6d3309
	v_cmp_lt_f32_e64 s[4:5], |v9|, s4
	v_xor_b32_e32 v16, 0x80000000, v16
	v_cndmask_b32_e64 v17, v17, |v9|, s[4:5]
	v_cndmask_b32_e64 v18, v18, 2, s[4:5]
.LBB145_271:
	s_andn2_saveexec_b64 s[6:7], s[14:15]
	s_cbranch_execz .LBB145_273
; %bb.272:
	s_mov_b32 s4, 0x3fdda512
	s_mov_b32 s5, 0xbfbb16c3
	v_sub_f32_e64 v16, 2.0, |v9|
	v_add_f32_e64 v17, |v9|, s5
	v_cmp_lt_f32_e64 s[4:5], |v9|, s4
	v_cndmask_b32_e64 v17, v16, v17, s[4:5]
	v_cndmask_b32_e64 v16, v16, 1.0, s[4:5]
	v_cvt_i32_f32_e32 v16, v16
	s_mov_b32 s4, 0x3f9d70a4
	v_add_f32_e64 v18, |v9|, -1.0
	v_cmp_lt_f32_e64 s[4:5], |v9|, s4
	v_cndmask_b32_e64 v17, v17, v18, s[4:5]
	v_cndmask_b32_e64 v18, v16, 2, s[4:5]
	v_mov_b32_e32 v16, 0
.LBB145_273:
	s_or_b64 exec, exec, s[6:7]
	v_cmp_lt_i32_e64 s[4:5], 0, v18
	s_and_saveexec_b64 s[6:7], s[4:5]
	s_xor_b64 s[6:7], exec, s[6:7]
	s_cbranch_execz .LBB145_281
; %bb.274:
	v_cmp_lt_i32_e64 s[4:5], 1, v18
	s_and_saveexec_b64 s[14:15], s[4:5]
	s_xor_b64 s[14:15], exec, s[14:15]
	s_cbranch_execz .LBB145_278
; %bb.275:
	v_cmp_eq_u32_e64 s[4:5], 2, v18
	s_and_saveexec_b64 s[16:17], s[4:5]
	s_cbranch_execz .LBB145_277
; %bb.276:
	v_mov_b32_e32 v18, 0x3e6a7578
	v_fmac_f32_e32 v18, 0x3c5b3c5e, v17
	v_mov_b32_e32 v19, 0x3f7a4bb2
	v_fmac_f32_e32 v19, v17, v18
	;; [unrolled: 2-line block ×8, first 2 shown]
	v_fma_f32 v18, v17, v20, 1.0
	v_rcp_f32_e32 v18, v18
	v_mov_b32_e32 v20, 0xbd9e233f
	v_fmac_f32_e32 v20, v17, v19
	v_mul_f32_e32 v19, v17, v20
	v_mul_f32_e32 v18, v19, v18
	v_fmac_f32_e32 v18, -0.5, v17
	v_add_f32_e32 v16, v16, v18
.LBB145_277:
	s_or_b64 exec, exec, s[16:17]
                                        ; implicit-def: $vgpr17
.LBB145_278:
	s_andn2_saveexec_b64 s[4:5], s[14:15]
	s_cbranch_execz .LBB145_280
; %bb.279:
	v_mul_f32_e32 v18, v17, v17
	v_mul_f32_e32 v19, v17, v18
	v_mov_b32_e32 v20, 0xbab7f476
	v_fmac_f32_e32 v20, 0x39a57b6b, v19
	v_mov_b32_e32 v21, 0x3bc7e707
	v_fmac_f32_e32 v21, v19, v20
	;; [unrolled: 2-line block ×12, first 2 shown]
	v_fmac_f32_e32 v22, v17, v23
	s_mov_b32 s14, 0xa2863e55
	v_fma_f32 v17, v19, -v22, s14
	v_fma_f32 v17, v18, v21, -v17
	v_add_f32_e32 v17, 0xbdf8cdce, v17
	v_add_f32_e32 v16, v16, v17
.LBB145_280:
	s_or_b64 exec, exec, s[4:5]
                                        ; implicit-def: $vgpr18
                                        ; implicit-def: $vgpr17
.LBB145_281:
	s_andn2_saveexec_b64 s[6:7], s[6:7]
	s_cbranch_execz .LBB145_285
; %bb.282:
	v_cmp_eq_u32_e64 s[4:5], 0, v18
	s_and_saveexec_b64 s[14:15], s[4:5]
	s_cbranch_execz .LBB145_284
; %bb.283:
	v_mul_f32_e32 v18, v17, v17
	v_mov_b32_e32 v19, 0x39679767
	v_fmac_f32_e32 v19, 0x37d383a2, v18
	v_mov_b32_e32 v20, 0x3a9c54a1
	v_fmac_f32_e32 v20, v18, v19
	;; [unrolled: 2-line block ×10, first 2 shown]
	v_mul_f32_e32 v18, v18, v20
	v_fmac_f32_e32 v18, v17, v19
	v_fmac_f32_e32 v18, -0.5, v17
	v_add_f32_e32 v16, v16, v18
.LBB145_284:
	s_or_b64 exec, exec, s[14:15]
.LBB145_285:
	s_or_b64 exec, exec, s[6:7]
.LBB145_286:
	s_or_b64 exec, exec, s[12:13]
.LBB145_287:
	s_andn2_saveexec_b64 s[8:9], s[8:9]
	s_cbranch_execz .LBB145_289
; %bb.288:
	s_mov_b32 s4, 0x3e8a8991
	v_mov_b32_e32 v16, 0xbecd26ab
	v_fma_f32 v16, |v9|, s4, v16
	s_mov_b32 s4, 0x3f528d33
	v_fma_f32 v16, |v9|, v16, s4
	s_mov_b32 s4, 0x800000
	v_cmp_lt_f32_e64 s[4:5], |v9|, s4
	v_cndmask_b32_e64 v17, 0, 32, s[4:5]
	v_ldexp_f32 v17, |v9|, v17
	v_log_f32_e32 v17, v17
	s_mov_b32 s6, 0xbf13c468
	v_fma_f32 v16, |v9|, v16, s6
	s_mov_b32 s6, 0x3f317217
	v_mul_f32_e32 v18, 0x3f317217, v17
	v_fma_f32 v19, v17, s6, -v18
	v_fmac_f32_e32 v19, 0x3377d1cf, v17
	s_mov_b32 s6, 0x7f800000
	v_add_f32_e32 v18, v18, v19
	v_cmp_lt_f32_e64 s[6:7], |v17|, s6
	v_cndmask_b32_e64 v17, v17, v18, s[6:7]
	v_mov_b32_e32 v18, 0x41b17218
	v_cndmask_b32_e64 v18, 0, v18, s[4:5]
	v_sub_f32_e32 v17, v17, v18
	v_fma_f32 v16, |v9|, v16, -v17
.LBB145_289:
	s_or_b64 exec, exec, s[8:9]
	v_cmp_le_f16_e64 s[4:5], 0, v8
	v_cmp_nle_f16_e64 s[6:7], 0, v8
	s_and_saveexec_b64 s[8:9], s[6:7]
	s_xor_b64 s[12:13], exec, s[8:9]
	s_cbranch_execz .LBB145_293
; %bb.290:
	s_mov_b32 s6, 0x4b000000
	s_mov_b32 s8, 0x35000000
	v_cmp_lt_f32_e64 s[6:7], |v9|, s6
	v_cmp_gt_f32_e64 s[8:9], |v9|, s8
	s_and_b64 s[6:7], s[6:7], s[8:9]
	s_and_saveexec_b64 s[14:15], s[6:7]
	s_cbranch_execz .LBB145_292
; %bb.291:
	v_mul_f32_e64 v17, |v9|, 0.5
	v_floor_f32_e32 v18, v17
	v_sub_f32_e32 v18, v17, v18
	v_min_f32_e32 v18, 0x3f7fffff, v18
	s_mov_b32 s8, 0x7f800000
	v_add_f32_e32 v18, v18, v18
	v_cmp_neq_f32_e64 s[6:7], s8, v17
	v_cndmask_b32_e64 v17, 0, v18, s[6:7]
	v_cmp_gt_f32_e64 s[6:7], |v9|, 1.0
	v_cndmask_b32_e64 v17, |v9|, v17, s[6:7]
	v_add_f32_e32 v18, v17, v17
	v_rndne_f32_e32 v18, v18
	v_fmac_f32_e32 v17, -0.5, v18
	v_mul_f32_e32 v19, v17, v17
	v_mov_b32_e32 v20, 0xbf1f24be
	v_fmac_f32_e32 v20, 0x3e75aa41, v19
	v_mov_b32_e32 v21, 0x40234736
	v_fmac_f32_e32 v21, v19, v20
	;; [unrolled: 2-line block ×3, first 2 shown]
	v_mul_f32_e32 v21, v17, v19
	v_mul_f32_e32 v20, v21, v20
	v_fmac_f32_e32 v20, 0x40490fdb, v17
	v_mov_b32_e32 v17, 0x3e642e9d
	v_cvt_i32_f32_e32 v18, v18
	v_fmac_f32_e32 v17, 0x3d4be544, v19
	v_mov_b32_e32 v21, 0xbfaad1da
	v_fmac_f32_e32 v21, v19, v17
	v_mov_b32_e32 v17, 0x4081e0d3
	;; [unrolled: 2-line block ×3, first 2 shown]
	v_fmac_f32_e32 v21, v19, v17
	v_fma_f32 v17, v19, v21, 1.0
	v_and_b32_e32 v19, 1, v18
	v_lshlrev_b32_e32 v18, 30, v18
	v_cmp_eq_u32_e64 s[6:7], 0, v19
	v_and_b32_e32 v18, 0x80000000, v18
	v_xor_b32_e32 v15, v15, v9
	v_cndmask_b32_e64 v17, v17, v20, s[6:7]
	v_xor_b32_e32 v15, v15, v18
	v_xor_b32_e32 v15, v15, v17
	v_mul_f32_e32 v15, v9, v15
	v_frexp_mant_f32_e64 v17, |v15|
	v_rcp_f32_e32 v17, v17
	v_frexp_exp_i32_f32_e32 v15, v15
	v_sub_u32_e32 v15, 2, v15
	s_mov_b32 s6, 0x800000
	v_mul_f32_e32 v17, 0x3f490fdb, v17
	v_ldexp_f32 v15, v17, v15
	v_cmp_gt_f32_e64 s[6:7], s6, v15
	v_cndmask_b32_e64 v17, 0, 32, s[6:7]
	v_ldexp_f32 v15, v15, v17
	v_log_f32_e32 v15, v15
	s_mov_b32 s9, 0x3f317217
	v_mul_f32_e32 v17, 0x3f317217, v15
	v_fma_f32 v18, v15, s9, -v17
	v_fmac_f32_e32 v18, 0x3377d1cf, v15
	v_add_f32_e32 v17, v17, v18
	v_cmp_lt_f32_e64 s[8:9], |v15|, s8
	v_cndmask_b32_e64 v15, v15, v17, s[8:9]
	v_mov_b32_e32 v17, 0x41b17218
	v_cndmask_b32_e64 v17, 0, v17, s[6:7]
	v_sub_f32_e32 v15, v15, v17
	v_sub_f32_e32 v15, v15, v16
	v_floor_f32_e32 v16, v9
	v_sub_f32_e32 v16, v9, v16
	v_min_f32_e32 v16, 0x3f7fffff, v16
	v_mov_b32_e32 v17, 0x7f800000
	v_cmp_neq_f32_e64 s[6:7], 0, v16
	v_cndmask_b32_e64 v16, v17, v15, s[6:7]
.LBB145_292:
	s_or_b64 exec, exec, s[14:15]
.LBB145_293:
	s_andn2_saveexec_b64 s[12:13], s[12:13]
; %bb.294:
	v_cmp_eq_f16_e64 s[6:7], 1.0, v8
	v_cmp_eq_f16_e64 s[8:9], 2.0, v8
	s_or_b64 s[6:7], s[6:7], s[8:9]
	v_cndmask_b32_e64 v16, v16, 0, s[6:7]
; %bb.295:
	s_or_b64 exec, exec, s[12:13]
	v_cvt_f16_f32_e32 v16, v16
	s_mov_b32 s6, 0x4b000000
	v_cmp_lt_f32_e64 s[6:7], |v9|, s6
	v_mov_b32_e32 v15, 0x264
	v_mov_b32_e32 v17, 0x7c00
	s_or_b64 s[4:5], s[4:5], s[6:7]
	v_cndmask_b32_e64 v16, v17, v16, s[4:5]
	v_cmp_class_f32_e64 s[4:5], v9, v15
	v_cndmask_b32_e64 v9, v16, v17, s[4:5]
	v_cmp_u_f16_e64 s[4:5], v8, v8
	v_cndmask_b32_e64 v9, v9, v8, s[4:5]
.LBB145_296:
	s_or_b64 exec, exec, s[10:11]
	v_add_u32_e32 v8, 0x700, v7
	v_cmp_lt_i32_e64 s[4:5], v8, v4
                                        ; implicit-def: $vgpr8
	s_and_saveexec_b64 s[10:11], s[4:5]
	s_cbranch_execnz .LBB145_306
; %bb.297:
	s_or_b64 exec, exec, s[10:11]
	s_and_saveexec_b64 s[4:5], vcc
	s_xor_b64 s[4:5], exec, s[4:5]
	s_cbranch_execnz .LBB145_345
.LBB145_298:
	s_or_b64 exec, exec, s[4:5]
	v_cmp_lt_i32_e32 vcc, v7, v4
	s_and_saveexec_b64 s[4:5], vcc
	s_cbranch_execnz .LBB145_346
.LBB145_299:
	s_or_b64 exec, exec, s[4:5]
	v_cmp_lt_i32_e32 vcc, v7, v4
	s_and_saveexec_b64 s[4:5], vcc
	s_cbranch_execnz .LBB145_347
.LBB145_300:
	s_or_b64 exec, exec, s[4:5]
	v_cmp_lt_i32_e32 vcc, v7, v4
	s_and_saveexec_b64 s[4:5], vcc
	s_cbranch_execnz .LBB145_348
.LBB145_301:
	s_or_b64 exec, exec, s[4:5]
	v_cmp_lt_i32_e32 vcc, v7, v4
	s_and_saveexec_b64 s[4:5], vcc
	s_cbranch_execnz .LBB145_349
.LBB145_302:
	s_or_b64 exec, exec, s[4:5]
	v_cmp_lt_i32_e32 vcc, v7, v4
	s_and_saveexec_b64 s[4:5], vcc
	s_cbranch_execnz .LBB145_350
.LBB145_303:
	s_or_b64 exec, exec, s[4:5]
	v_cmp_lt_i32_e32 vcc, v7, v4
	s_and_saveexec_b64 s[4:5], vcc
	s_cbranch_execnz .LBB145_351
.LBB145_304:
	s_or_b64 exec, exec, s[4:5]
	v_cmp_lt_i32_e32 vcc, v7, v4
	s_and_saveexec_b64 s[4:5], vcc
	s_cbranch_execnz .LBB145_352
.LBB145_305:
	s_or_b64 exec, exec, s[4:5]
	s_waitcnt vmcnt(0) lgkmcnt(0)
	s_setpc_b64 s[30:31]
.LBB145_306:
	v_cvt_f32_f16_e32 v8, v6
	s_mov_b32 s4, 0x3c800000
                                        ; implicit-def: $vgpr16
	v_and_b32_e32 v15, 0x7fffffff, v8
	v_cmp_nlt_f32_e64 s[4:5], |v8|, s4
	s_and_saveexec_b64 s[6:7], s[4:5]
	s_xor_b64 s[8:9], exec, s[6:7]
	s_cbranch_execz .LBB145_336
; %bb.307:
	v_cmp_nlt_f32_e64 s[4:5], |v8|, 2.0
                                        ; implicit-def: $vgpr16
	s_and_saveexec_b64 s[6:7], s[4:5]
	s_xor_b64 s[12:13], exec, s[6:7]
	s_cbranch_execz .LBB145_317
; %bb.308:
	s_mov_b32 s4, 0x41000000
	v_cmp_nlt_f32_e64 s[4:5], |v8|, s4
                                        ; implicit-def: $vgpr16
	s_and_saveexec_b64 s[6:7], s[4:5]
	s_xor_b64 s[14:15], exec, s[6:7]
	s_cbranch_execz .LBB145_314
; %bb.309:
	s_mov_b32 s4, 0x5c800000
	v_cmp_nlt_f32_e64 s[4:5], |v8|, s4
                                        ; implicit-def: $vgpr16
	s_and_saveexec_b64 s[6:7], s[4:5]
	s_xor_b64 s[16:17], exec, s[6:7]
	s_cbranch_execz .LBB145_311
; %bb.310:
	s_mov_b32 s4, 0x800000
	v_cmp_lt_f32_e64 s[4:5], |v8|, s4
	v_cndmask_b32_e64 v16, 0, 32, s[4:5]
	v_ldexp_f32 v16, |v8|, v16
	v_log_f32_e32 v16, v16
	s_mov_b32 s6, 0x3f317217
	s_mov_b32 s7, 0x7f800000
	v_mul_f32_e32 v17, 0x3f317217, v16
	v_fma_f32 v18, v16, s6, -v17
	v_fmac_f32_e32 v18, 0x3377d1cf, v16
	v_add_f32_e32 v17, v17, v18
	v_cmp_lt_f32_e64 s[6:7], |v16|, s7
	v_cndmask_b32_e64 v16, v16, v17, s[6:7]
	v_mov_b32_e32 v17, 0x41b17218
	v_cndmask_b32_e64 v17, 0, v17, s[4:5]
	v_sub_f32_e32 v16, v16, v17
	v_fma_f32 v16, |v8|, v16, -|v8|
.LBB145_311:
	s_andn2_saveexec_b64 s[16:17], s[16:17]
	s_cbranch_execz .LBB145_313
; %bb.312:
	v_rcp_f32_e64 v17, |v8|
	v_mov_b32_e32 v16, 0x3a5b3dd2
	v_mov_b32_e32 v18, 0xba1c065c
	v_mov_b32_e32 v19, 0x3a500cfd
	v_mul_f32_e32 v20, v17, v17
	v_fmac_f32_e32 v16, 0xbad5c4e8, v20
	v_fmac_f32_e32 v18, v20, v16
	s_mov_b32 s4, 0x800000
	v_fmac_f32_e32 v19, v20, v18
	v_mov_b32_e32 v16, 0xbb360b61
	v_cmp_lt_f32_e64 s[4:5], |v8|, s4
	v_fmac_f32_e32 v16, v20, v19
	v_cndmask_b32_e64 v19, 0, 32, s[4:5]
	v_ldexp_f32 v19, |v8|, v19
	v_log_f32_e32 v19, v19
	v_mov_b32_e32 v18, 0x3daaaaab
	v_fmac_f32_e32 v18, v20, v16
	v_mov_b32_e32 v16, 0x3ed67f1d
	v_fmac_f32_e32 v16, v17, v18
	s_mov_b32 s6, 0x3f317217
	v_mul_f32_e32 v18, 0x3f317217, v19
	v_fma_f32 v20, v19, s6, -v18
	v_fmac_f32_e32 v20, 0x3377d1cf, v19
	s_mov_b32 s6, 0x7f800000
	v_add_f32_e32 v18, v18, v20
	v_cmp_lt_f32_e64 s[6:7], |v19|, s6
	v_cndmask_b32_e64 v18, v19, v18, s[6:7]
	v_mov_b32_e32 v19, 0x41b17218
	v_cndmask_b32_e64 v19, 0, v19, s[4:5]
	v_sub_f32_e32 v18, v18, v19
	v_add_f32_e64 v17, |v8|, -0.5
	v_add_f32_e32 v18, -1.0, v18
	v_fmac_f32_e32 v16, v17, v18
.LBB145_313:
	s_or_b64 exec, exec, s[16:17]
.LBB145_314:
	s_andn2_saveexec_b64 s[14:15], s[14:15]
	s_cbranch_execz .LBB145_316
; %bb.315:
	v_cvt_i32_f32_e32 v16, v15
	v_mov_b32_e32 v18, 0x3af135b4
	v_mov_b32_e32 v19, 0x3cda40e4
	;; [unrolled: 1-line block ×3, first 2 shown]
	v_cvt_f32_i32_e32 v17, v16
	v_cmp_lt_i32_e64 s[4:5], 2, v16
	s_mov_b32 s6, 0x3f317217
	v_sub_f32_e64 v17, |v8|, v17
	v_fmac_f32_e32 v18, 0x3805ff67, v17
	v_fmac_f32_e32 v19, v17, v18
	v_mov_b32_e32 v18, 0x3e15dce6
	v_fmac_f32_e32 v18, v17, v19
	v_mov_b32_e32 v19, 0x3ea6cc7a
	;; [unrolled: 2-line block ×4, first 2 shown]
	v_fmac_f32_e32 v19, v17, v18
	v_mul_f32_e32 v18, v17, v19
	v_mov_b32_e32 v19, 0x3a4beed6
	v_fmac_f32_e32 v19, 0x36f5d7bd, v17
	v_fmac_f32_e32 v20, v17, v19
	v_mov_b32_e32 v19, 0x3e300f6e
	v_fmac_f32_e32 v19, v17, v20
	v_mov_b32_e32 v20, 0x3f38d0c5
	;; [unrolled: 2-line block ×3, first 2 shown]
	v_fmac_f32_e32 v19, v17, v20
	v_fma_f32 v19, v17, v19, 1.0
	v_rcp_f32_e32 v19, v19
	v_add_f32_e32 v20, 0x40400000, v17
	v_add_f32_e32 v21, 4.0, v17
	v_add_f32_e32 v22, 0x40a00000, v17
	v_mul_f32_e32 v18, v18, v19
	v_add_f32_e32 v19, 2.0, v17
	v_cndmask_b32_e64 v19, 1.0, v19, s[4:5]
	v_cmp_lt_i32_e64 s[4:5], 3, v16
	v_cndmask_b32_e64 v20, 1.0, v20, s[4:5]
	v_cmp_lt_i32_e64 s[4:5], 4, v16
	v_mul_f32_e32 v19, v19, v20
	v_cndmask_b32_e64 v20, 1.0, v21, s[4:5]
	v_cmp_lt_i32_e64 s[4:5], 5, v16
	v_fmac_f32_e32 v18, 0.5, v17
	v_add_f32_e32 v17, 0x40c00000, v17
	v_mul_f32_e32 v19, v20, v19
	v_cndmask_b32_e64 v20, 1.0, v22, s[4:5]
	v_cmp_lt_i32_e64 s[4:5], 6, v16
	v_mul_f32_e32 v19, v20, v19
	v_cndmask_b32_e64 v16, 1.0, v17, s[4:5]
	v_mul_f32_e32 v16, v16, v19
	s_mov_b32 s4, 0x800000
	v_cmp_gt_f32_e64 s[4:5], s4, v16
	v_cndmask_b32_e64 v17, 0, 32, s[4:5]
	v_ldexp_f32 v16, v16, v17
	v_log_f32_e32 v16, v16
	v_mul_f32_e32 v17, 0x3f317217, v16
	v_fma_f32 v19, v16, s6, -v17
	v_fmac_f32_e32 v19, 0x3377d1cf, v16
	s_mov_b32 s6, 0x7f800000
	v_add_f32_e32 v17, v17, v19
	v_cmp_lt_f32_e64 s[6:7], |v16|, s6
	v_cndmask_b32_e64 v16, v16, v17, s[6:7]
	v_mov_b32_e32 v17, 0x41b17218
	v_cndmask_b32_e64 v17, 0, v17, s[4:5]
	v_sub_f32_e32 v16, v16, v17
	v_add_f32_e32 v16, v16, v18
.LBB145_316:
	s_or_b64 exec, exec, s[14:15]
.LBB145_317:
	s_andn2_saveexec_b64 s[12:13], s[12:13]
	s_cbranch_execz .LBB145_335
; %bb.318:
	s_mov_b32 s4, 0x3f666666
	v_cmp_le_f32_e64 s[4:5], |v8|, s4
                                        ; implicit-def: $vgpr16
                                        ; implicit-def: $vgpr18
                                        ; implicit-def: $vgpr17
	s_and_saveexec_b64 s[6:7], s[4:5]
	s_xor_b64 s[14:15], exec, s[6:7]
	s_cbranch_execz .LBB145_320
; %bb.319:
	s_mov_b32 s4, 0x800000
	v_cmp_lt_f32_e64 s[4:5], |v8|, s4
	v_cndmask_b32_e64 v16, 0, 32, s[4:5]
	v_ldexp_f32 v16, |v8|, v16
	v_log_f32_e32 v16, v16
	s_mov_b32 s6, 0x3f317217
	s_mov_b32 s7, 0x7f800000
	v_mul_f32_e32 v17, 0x3f317217, v16
	v_fma_f32 v18, v16, s6, -v17
	v_fmac_f32_e32 v18, 0x3377d1cf, v16
	v_add_f32_e32 v17, v17, v18
	v_cmp_lt_f32_e64 s[6:7], |v16|, s7
	v_cndmask_b32_e64 v16, v16, v17, s[6:7]
	v_mov_b32_e32 v17, 0x41b17218
	v_cndmask_b32_e64 v17, 0, v17, s[4:5]
	s_mov_b32 s4, 0x3f3b4a23
	s_mov_b32 s5, 0xbeec5b0c
	v_sub_f32_e32 v16, v16, v17
	v_sub_f32_e64 v17, 1.0, |v8|
	v_add_f32_e64 v18, |v8|, s5
	v_cmp_lt_f32_e64 s[4:5], |v8|, s4
	v_cndmask_b32_e64 v17, v17, v18, s[4:5]
	v_cndmask_b32_e64 v18, 0, 1, s[4:5]
	s_mov_b32 s4, 0x3e6d3309
	v_cmp_lt_f32_e64 s[4:5], |v8|, s4
	v_xor_b32_e32 v16, 0x80000000, v16
	v_cndmask_b32_e64 v17, v17, |v8|, s[4:5]
	v_cndmask_b32_e64 v18, v18, 2, s[4:5]
.LBB145_320:
	s_andn2_saveexec_b64 s[6:7], s[14:15]
	s_cbranch_execz .LBB145_322
; %bb.321:
	s_mov_b32 s4, 0x3fdda512
	s_mov_b32 s5, 0xbfbb16c3
	v_sub_f32_e64 v16, 2.0, |v8|
	v_add_f32_e64 v17, |v8|, s5
	v_cmp_lt_f32_e64 s[4:5], |v8|, s4
	v_cndmask_b32_e64 v17, v16, v17, s[4:5]
	v_cndmask_b32_e64 v16, v16, 1.0, s[4:5]
	v_cvt_i32_f32_e32 v16, v16
	s_mov_b32 s4, 0x3f9d70a4
	v_add_f32_e64 v18, |v8|, -1.0
	v_cmp_lt_f32_e64 s[4:5], |v8|, s4
	v_cndmask_b32_e64 v17, v17, v18, s[4:5]
	v_cndmask_b32_e64 v18, v16, 2, s[4:5]
	v_mov_b32_e32 v16, 0
.LBB145_322:
	s_or_b64 exec, exec, s[6:7]
	v_cmp_lt_i32_e64 s[4:5], 0, v18
	s_and_saveexec_b64 s[6:7], s[4:5]
	s_xor_b64 s[6:7], exec, s[6:7]
	s_cbranch_execz .LBB145_330
; %bb.323:
	v_cmp_lt_i32_e64 s[4:5], 1, v18
	s_and_saveexec_b64 s[14:15], s[4:5]
	s_xor_b64 s[14:15], exec, s[14:15]
	s_cbranch_execz .LBB145_327
; %bb.324:
	v_cmp_eq_u32_e64 s[4:5], 2, v18
	s_and_saveexec_b64 s[16:17], s[4:5]
	s_cbranch_execz .LBB145_326
; %bb.325:
	v_mov_b32_e32 v18, 0x3e6a7578
	v_fmac_f32_e32 v18, 0x3c5b3c5e, v17
	v_mov_b32_e32 v19, 0x3f7a4bb2
	v_fmac_f32_e32 v19, v17, v18
	;; [unrolled: 2-line block ×8, first 2 shown]
	v_fma_f32 v18, v17, v20, 1.0
	v_rcp_f32_e32 v18, v18
	v_mov_b32_e32 v20, 0xbd9e233f
	v_fmac_f32_e32 v20, v17, v19
	v_mul_f32_e32 v19, v17, v20
	v_mul_f32_e32 v18, v19, v18
	v_fmac_f32_e32 v18, -0.5, v17
	v_add_f32_e32 v16, v16, v18
.LBB145_326:
	s_or_b64 exec, exec, s[16:17]
                                        ; implicit-def: $vgpr17
.LBB145_327:
	s_andn2_saveexec_b64 s[4:5], s[14:15]
	s_cbranch_execz .LBB145_329
; %bb.328:
	v_mul_f32_e32 v18, v17, v17
	v_mul_f32_e32 v19, v17, v18
	v_mov_b32_e32 v20, 0xbab7f476
	v_fmac_f32_e32 v20, 0x39a57b6b, v19
	v_mov_b32_e32 v21, 0x3bc7e707
	v_fmac_f32_e32 v21, v19, v20
	;; [unrolled: 2-line block ×12, first 2 shown]
	v_fmac_f32_e32 v22, v17, v23
	s_mov_b32 s14, 0xa2863e55
	v_fma_f32 v17, v19, -v22, s14
	v_fma_f32 v17, v18, v21, -v17
	v_add_f32_e32 v17, 0xbdf8cdce, v17
	v_add_f32_e32 v16, v16, v17
.LBB145_329:
	s_or_b64 exec, exec, s[4:5]
                                        ; implicit-def: $vgpr18
                                        ; implicit-def: $vgpr17
.LBB145_330:
	s_andn2_saveexec_b64 s[6:7], s[6:7]
	s_cbranch_execz .LBB145_334
; %bb.331:
	v_cmp_eq_u32_e64 s[4:5], 0, v18
	s_and_saveexec_b64 s[14:15], s[4:5]
	s_cbranch_execz .LBB145_333
; %bb.332:
	v_mul_f32_e32 v18, v17, v17
	v_mov_b32_e32 v19, 0x39679767
	v_fmac_f32_e32 v19, 0x37d383a2, v18
	v_mov_b32_e32 v20, 0x3a9c54a1
	v_fmac_f32_e32 v20, v18, v19
	v_mov_b32_e32 v19, 0x3bf2027e
	v_fmac_f32_e32 v19, v18, v20
	v_mov_b32_e32 v20, 0x3d89f001
	v_fmac_f32_e32 v20, v18, v19
	v_mov_b32_e32 v19, 0x3d9e233f
	v_fmac_f32_e32 v19, v18, v20
	v_mov_b32_e32 v20, 0x38e28445
	v_fmac_f32_e32 v20, 0x383c2c75, v18
	v_mov_b32_e32 v21, 0x3a05b634
	v_fmac_f32_e32 v21, v18, v20
	v_mov_b32_e32 v20, 0x3b3d6ec6
	v_fmac_f32_e32 v20, v18, v21
	v_mov_b32_e32 v21, 0x3ca89915
	v_fmac_f32_e32 v21, v18, v20
	v_mov_b32_e32 v20, 0x3ea51a66
	v_fmac_f32_e32 v20, v18, v21
	v_mul_f32_e32 v18, v18, v20
	v_fmac_f32_e32 v18, v17, v19
	v_fmac_f32_e32 v18, -0.5, v17
	v_add_f32_e32 v16, v16, v18
.LBB145_333:
	s_or_b64 exec, exec, s[14:15]
.LBB145_334:
	s_or_b64 exec, exec, s[6:7]
.LBB145_335:
	s_or_b64 exec, exec, s[12:13]
.LBB145_336:
	s_andn2_saveexec_b64 s[8:9], s[8:9]
	s_cbranch_execz .LBB145_338
; %bb.337:
	s_mov_b32 s4, 0x3e8a8991
	v_mov_b32_e32 v16, 0xbecd26ab
	v_fma_f32 v16, |v8|, s4, v16
	s_mov_b32 s4, 0x3f528d33
	v_fma_f32 v16, |v8|, v16, s4
	s_mov_b32 s4, 0x800000
	v_cmp_lt_f32_e64 s[4:5], |v8|, s4
	v_cndmask_b32_e64 v17, 0, 32, s[4:5]
	v_ldexp_f32 v17, |v8|, v17
	v_log_f32_e32 v17, v17
	s_mov_b32 s6, 0xbf13c468
	v_fma_f32 v16, |v8|, v16, s6
	s_mov_b32 s6, 0x3f317217
	v_mul_f32_e32 v18, 0x3f317217, v17
	v_fma_f32 v19, v17, s6, -v18
	v_fmac_f32_e32 v19, 0x3377d1cf, v17
	s_mov_b32 s6, 0x7f800000
	v_add_f32_e32 v18, v18, v19
	v_cmp_lt_f32_e64 s[6:7], |v17|, s6
	v_cndmask_b32_e64 v17, v17, v18, s[6:7]
	v_mov_b32_e32 v18, 0x41b17218
	v_cndmask_b32_e64 v18, 0, v18, s[4:5]
	v_sub_f32_e32 v17, v17, v18
	v_fma_f32 v16, |v8|, v16, -v17
.LBB145_338:
	s_or_b64 exec, exec, s[8:9]
	v_cmp_le_f16_e64 s[4:5], 0, v6
	v_cmp_nle_f16_e64 s[6:7], 0, v6
	s_and_saveexec_b64 s[8:9], s[6:7]
	s_xor_b64 s[12:13], exec, s[8:9]
	s_cbranch_execz .LBB145_342
; %bb.339:
	s_mov_b32 s6, 0x4b000000
	s_mov_b32 s8, 0x35000000
	v_cmp_lt_f32_e64 s[6:7], |v8|, s6
	v_cmp_gt_f32_e64 s[8:9], |v8|, s8
	s_and_b64 s[6:7], s[6:7], s[8:9]
	s_and_saveexec_b64 s[14:15], s[6:7]
	s_cbranch_execz .LBB145_341
; %bb.340:
	v_mul_f32_e64 v17, |v8|, 0.5
	v_floor_f32_e32 v18, v17
	v_sub_f32_e32 v18, v17, v18
	v_min_f32_e32 v18, 0x3f7fffff, v18
	s_mov_b32 s8, 0x7f800000
	v_add_f32_e32 v18, v18, v18
	v_cmp_neq_f32_e64 s[6:7], s8, v17
	v_cndmask_b32_e64 v17, 0, v18, s[6:7]
	v_cmp_gt_f32_e64 s[6:7], |v8|, 1.0
	v_cndmask_b32_e64 v17, |v8|, v17, s[6:7]
	v_add_f32_e32 v18, v17, v17
	v_rndne_f32_e32 v18, v18
	v_fmac_f32_e32 v17, -0.5, v18
	v_mul_f32_e32 v19, v17, v17
	v_mov_b32_e32 v20, 0xbf1f24be
	v_fmac_f32_e32 v20, 0x3e75aa41, v19
	v_mov_b32_e32 v21, 0x40234736
	v_fmac_f32_e32 v21, v19, v20
	;; [unrolled: 2-line block ×3, first 2 shown]
	v_mul_f32_e32 v21, v17, v19
	v_mul_f32_e32 v20, v21, v20
	v_fmac_f32_e32 v20, 0x40490fdb, v17
	v_mov_b32_e32 v17, 0x3e642e9d
	v_cvt_i32_f32_e32 v18, v18
	v_fmac_f32_e32 v17, 0x3d4be544, v19
	v_mov_b32_e32 v21, 0xbfaad1da
	v_fmac_f32_e32 v21, v19, v17
	v_mov_b32_e32 v17, 0x4081e0d3
	;; [unrolled: 2-line block ×3, first 2 shown]
	v_fmac_f32_e32 v21, v19, v17
	v_fma_f32 v17, v19, v21, 1.0
	v_and_b32_e32 v19, 1, v18
	v_lshlrev_b32_e32 v18, 30, v18
	v_cmp_eq_u32_e64 s[6:7], 0, v19
	v_and_b32_e32 v18, 0x80000000, v18
	v_xor_b32_e32 v15, v15, v8
	v_cndmask_b32_e64 v17, v17, v20, s[6:7]
	v_xor_b32_e32 v15, v15, v18
	v_xor_b32_e32 v15, v15, v17
	v_mul_f32_e32 v15, v8, v15
	v_frexp_mant_f32_e64 v17, |v15|
	v_rcp_f32_e32 v17, v17
	v_frexp_exp_i32_f32_e32 v15, v15
	v_sub_u32_e32 v15, 2, v15
	s_mov_b32 s6, 0x800000
	v_mul_f32_e32 v17, 0x3f490fdb, v17
	v_ldexp_f32 v15, v17, v15
	v_cmp_gt_f32_e64 s[6:7], s6, v15
	v_cndmask_b32_e64 v17, 0, 32, s[6:7]
	v_ldexp_f32 v15, v15, v17
	v_log_f32_e32 v15, v15
	s_mov_b32 s9, 0x3f317217
	v_mul_f32_e32 v17, 0x3f317217, v15
	v_fma_f32 v18, v15, s9, -v17
	v_fmac_f32_e32 v18, 0x3377d1cf, v15
	v_add_f32_e32 v17, v17, v18
	v_cmp_lt_f32_e64 s[8:9], |v15|, s8
	v_cndmask_b32_e64 v15, v15, v17, s[8:9]
	v_mov_b32_e32 v17, 0x41b17218
	v_cndmask_b32_e64 v17, 0, v17, s[6:7]
	v_sub_f32_e32 v15, v15, v17
	v_sub_f32_e32 v15, v15, v16
	v_floor_f32_e32 v16, v8
	v_sub_f32_e32 v16, v8, v16
	v_min_f32_e32 v16, 0x3f7fffff, v16
	v_mov_b32_e32 v17, 0x7f800000
	v_cmp_neq_f32_e64 s[6:7], 0, v16
	v_cndmask_b32_e64 v16, v17, v15, s[6:7]
.LBB145_341:
	s_or_b64 exec, exec, s[14:15]
.LBB145_342:
	s_andn2_saveexec_b64 s[12:13], s[12:13]
; %bb.343:
	v_cmp_eq_f16_e64 s[6:7], 1.0, v6
	v_cmp_eq_f16_e64 s[8:9], 2.0, v6
	s_or_b64 s[6:7], s[6:7], s[8:9]
	v_cndmask_b32_e64 v16, v16, 0, s[6:7]
; %bb.344:
	s_or_b64 exec, exec, s[12:13]
	v_cvt_f16_f32_e32 v16, v16
	s_mov_b32 s6, 0x4b000000
	v_cmp_lt_f32_e64 s[6:7], |v8|, s6
	v_mov_b32_e32 v15, 0x264
	v_mov_b32_e32 v17, 0x7c00
	s_or_b64 s[4:5], s[4:5], s[6:7]
	v_cndmask_b32_e64 v16, v17, v16, s[4:5]
	v_cmp_class_f32_e64 s[4:5], v8, v15
	v_cndmask_b32_e64 v8, v16, v17, s[4:5]
	v_cmp_u_f16_e64 s[4:5], v6, v6
	v_cndmask_b32_e64 v8, v8, v6, s[4:5]
	s_or_b64 exec, exec, s[10:11]
	s_and_saveexec_b64 s[4:5], vcc
	s_xor_b64 s[4:5], exec, s[4:5]
	s_cbranch_execz .LBB145_298
.LBB145_345:
	v_mov_b32_e32 v6, 0
	v_lshlrev_b64 v[5:6], 1, v[5:6]
	v_mov_b32_e32 v7, v3
	v_add_co_u32_e32 v5, vcc, v0, v5
	v_addc_co_u32_e32 v6, vcc, v1, v6, vcc
	flat_store_short v[5:6], v2
	s_or_b64 exec, exec, s[4:5]
	v_cmp_lt_i32_e32 vcc, v7, v4
	s_and_saveexec_b64 s[4:5], vcc
	s_cbranch_execz .LBB145_299
.LBB145_346:
	v_add_u32_e32 v2, s18, v7
	v_mov_b32_e32 v3, 0
	v_lshlrev_b64 v[2:3], 1, v[2:3]
	v_add_u32_e32 v7, 0x100, v7
	v_add_co_u32_e32 v2, vcc, v0, v2
	v_addc_co_u32_e32 v3, vcc, v1, v3, vcc
	flat_store_short v[2:3], v10
	s_or_b64 exec, exec, s[4:5]
	v_cmp_lt_i32_e32 vcc, v7, v4
	s_and_saveexec_b64 s[4:5], vcc
	s_cbranch_execz .LBB145_300
.LBB145_347:
	v_add_u32_e32 v2, s18, v7
	v_mov_b32_e32 v3, 0
	v_lshlrev_b64 v[2:3], 1, v[2:3]
	v_add_u32_e32 v7, 0x100, v7
	v_add_co_u32_e32 v2, vcc, v0, v2
	v_addc_co_u32_e32 v3, vcc, v1, v3, vcc
	flat_store_short v[2:3], v12
	s_or_b64 exec, exec, s[4:5]
	v_cmp_lt_i32_e32 vcc, v7, v4
	s_and_saveexec_b64 s[4:5], vcc
	s_cbranch_execz .LBB145_301
.LBB145_348:
	v_add_u32_e32 v2, s18, v7
	v_mov_b32_e32 v3, 0
	v_lshlrev_b64 v[2:3], 1, v[2:3]
	v_add_u32_e32 v7, 0x100, v7
	v_add_co_u32_e32 v2, vcc, v0, v2
	v_addc_co_u32_e32 v3, vcc, v1, v3, vcc
	flat_store_short v[2:3], v14
	s_or_b64 exec, exec, s[4:5]
	v_cmp_lt_i32_e32 vcc, v7, v4
	s_and_saveexec_b64 s[4:5], vcc
	s_cbranch_execz .LBB145_302
.LBB145_349:
	v_add_u32_e32 v2, s18, v7
	v_mov_b32_e32 v3, 0
	v_lshlrev_b64 v[2:3], 1, v[2:3]
	v_add_u32_e32 v7, 0x100, v7
	v_add_co_u32_e32 v2, vcc, v0, v2
	v_addc_co_u32_e32 v3, vcc, v1, v3, vcc
	flat_store_short v[2:3], v13
	s_or_b64 exec, exec, s[4:5]
	v_cmp_lt_i32_e32 vcc, v7, v4
	s_and_saveexec_b64 s[4:5], vcc
	s_cbranch_execz .LBB145_303
.LBB145_350:
	v_add_u32_e32 v2, s18, v7
	v_mov_b32_e32 v3, 0
	v_lshlrev_b64 v[2:3], 1, v[2:3]
	v_add_u32_e32 v7, 0x100, v7
	v_add_co_u32_e32 v2, vcc, v0, v2
	v_addc_co_u32_e32 v3, vcc, v1, v3, vcc
	flat_store_short v[2:3], v11
	s_or_b64 exec, exec, s[4:5]
	v_cmp_lt_i32_e32 vcc, v7, v4
	s_and_saveexec_b64 s[4:5], vcc
	s_cbranch_execz .LBB145_304
.LBB145_351:
	v_add_u32_e32 v2, s18, v7
	v_mov_b32_e32 v3, 0
	v_lshlrev_b64 v[2:3], 1, v[2:3]
	v_add_u32_e32 v7, 0x100, v7
	v_add_co_u32_e32 v2, vcc, v0, v2
	v_addc_co_u32_e32 v3, vcc, v1, v3, vcc
	flat_store_short v[2:3], v9
	s_or_b64 exec, exec, s[4:5]
	v_cmp_lt_i32_e32 vcc, v7, v4
	s_and_saveexec_b64 s[4:5], vcc
	s_cbranch_execz .LBB145_305
.LBB145_352:
	v_add_u32_e32 v2, s18, v7
	v_mov_b32_e32 v3, 0
	v_lshlrev_b64 v[2:3], 1, v[2:3]
	v_add_co_u32_e32 v0, vcc, v0, v2
	v_addc_co_u32_e32 v1, vcc, v1, v3, vcc
	flat_store_short v[0:1], v8
	s_or_b64 exec, exec, s[4:5]
	s_waitcnt vmcnt(0) lgkmcnt(0)
	s_setpc_b64 s[30:31]
.Lfunc_end145:
	.size	_ZN2at6native25elementwise_kernel_helperILb0EZZZNS0_18lgamma_kernel_cudaERNS_18TensorIteratorBaseEENKUlvE_clEvENKUlvE1_clEvEUlN3c104HalfEE_NS0_6memory8policies11unroll_baseILi256ESt5arrayIPcLm2EE23TrivialOffsetCalculatorILi1EjESG_NS9_15LoadWithoutCastENS9_16StoreWithoutCastELi8ELi1EEEEEvT0_T1_, .Lfunc_end145-_ZN2at6native25elementwise_kernel_helperILb0EZZZNS0_18lgamma_kernel_cudaERNS_18TensorIteratorBaseEENKUlvE_clEvENKUlvE1_clEvEUlN3c104HalfEE_NS0_6memory8policies11unroll_baseILi256ESt5arrayIPcLm2EE23TrivialOffsetCalculatorILi1EjESG_NS9_15LoadWithoutCastENS9_16StoreWithoutCastELi8ELi1EEEEEvT0_T1_
                                        ; -- End function
	.set .L_ZN2at6native25elementwise_kernel_helperILb0EZZZNS0_18lgamma_kernel_cudaERNS_18TensorIteratorBaseEENKUlvE_clEvENKUlvE1_clEvEUlN3c104HalfEE_NS0_6memory8policies11unroll_baseILi256ESt5arrayIPcLm2EE23TrivialOffsetCalculatorILi1EjESG_NS9_15LoadWithoutCastENS9_16StoreWithoutCastELi8ELi1EEEEEvT0_T1_.num_vgpr, 32
	.set .L_ZN2at6native25elementwise_kernel_helperILb0EZZZNS0_18lgamma_kernel_cudaERNS_18TensorIteratorBaseEENKUlvE_clEvENKUlvE1_clEvEUlN3c104HalfEE_NS0_6memory8policies11unroll_baseILi256ESt5arrayIPcLm2EE23TrivialOffsetCalculatorILi1EjESG_NS9_15LoadWithoutCastENS9_16StoreWithoutCastELi8ELi1EEEEEvT0_T1_.num_agpr, 0
	.set .L_ZN2at6native25elementwise_kernel_helperILb0EZZZNS0_18lgamma_kernel_cudaERNS_18TensorIteratorBaseEENKUlvE_clEvENKUlvE1_clEvEUlN3c104HalfEE_NS0_6memory8policies11unroll_baseILi256ESt5arrayIPcLm2EE23TrivialOffsetCalculatorILi1EjESG_NS9_15LoadWithoutCastENS9_16StoreWithoutCastELi8ELi1EEEEEvT0_T1_.numbered_sgpr, 32
	.set .L_ZN2at6native25elementwise_kernel_helperILb0EZZZNS0_18lgamma_kernel_cudaERNS_18TensorIteratorBaseEENKUlvE_clEvENKUlvE1_clEvEUlN3c104HalfEE_NS0_6memory8policies11unroll_baseILi256ESt5arrayIPcLm2EE23TrivialOffsetCalculatorILi1EjESG_NS9_15LoadWithoutCastENS9_16StoreWithoutCastELi8ELi1EEEEEvT0_T1_.num_named_barrier, 0
	.set .L_ZN2at6native25elementwise_kernel_helperILb0EZZZNS0_18lgamma_kernel_cudaERNS_18TensorIteratorBaseEENKUlvE_clEvENKUlvE1_clEvEUlN3c104HalfEE_NS0_6memory8policies11unroll_baseILi256ESt5arrayIPcLm2EE23TrivialOffsetCalculatorILi1EjESG_NS9_15LoadWithoutCastENS9_16StoreWithoutCastELi8ELi1EEEEEvT0_T1_.private_seg_size, 0
	.set .L_ZN2at6native25elementwise_kernel_helperILb0EZZZNS0_18lgamma_kernel_cudaERNS_18TensorIteratorBaseEENKUlvE_clEvENKUlvE1_clEvEUlN3c104HalfEE_NS0_6memory8policies11unroll_baseILi256ESt5arrayIPcLm2EE23TrivialOffsetCalculatorILi1EjESG_NS9_15LoadWithoutCastENS9_16StoreWithoutCastELi8ELi1EEEEEvT0_T1_.uses_vcc, 1
	.set .L_ZN2at6native25elementwise_kernel_helperILb0EZZZNS0_18lgamma_kernel_cudaERNS_18TensorIteratorBaseEENKUlvE_clEvENKUlvE1_clEvEUlN3c104HalfEE_NS0_6memory8policies11unroll_baseILi256ESt5arrayIPcLm2EE23TrivialOffsetCalculatorILi1EjESG_NS9_15LoadWithoutCastENS9_16StoreWithoutCastELi8ELi1EEEEEvT0_T1_.uses_flat_scratch, 0
	.set .L_ZN2at6native25elementwise_kernel_helperILb0EZZZNS0_18lgamma_kernel_cudaERNS_18TensorIteratorBaseEENKUlvE_clEvENKUlvE1_clEvEUlN3c104HalfEE_NS0_6memory8policies11unroll_baseILi256ESt5arrayIPcLm2EE23TrivialOffsetCalculatorILi1EjESG_NS9_15LoadWithoutCastENS9_16StoreWithoutCastELi8ELi1EEEEEvT0_T1_.has_dyn_sized_stack, 0
	.set .L_ZN2at6native25elementwise_kernel_helperILb0EZZZNS0_18lgamma_kernel_cudaERNS_18TensorIteratorBaseEENKUlvE_clEvENKUlvE1_clEvEUlN3c104HalfEE_NS0_6memory8policies11unroll_baseILi256ESt5arrayIPcLm2EE23TrivialOffsetCalculatorILi1EjESG_NS9_15LoadWithoutCastENS9_16StoreWithoutCastELi8ELi1EEEEEvT0_T1_.has_recursion, 0
	.set .L_ZN2at6native25elementwise_kernel_helperILb0EZZZNS0_18lgamma_kernel_cudaERNS_18TensorIteratorBaseEENKUlvE_clEvENKUlvE1_clEvEUlN3c104HalfEE_NS0_6memory8policies11unroll_baseILi256ESt5arrayIPcLm2EE23TrivialOffsetCalculatorILi1EjESG_NS9_15LoadWithoutCastENS9_16StoreWithoutCastELi8ELi1EEEEEvT0_T1_.has_indirect_call, 0
	.section	.AMDGPU.csdata,"",@progbits
; Function info:
; codeLenInByte = 23052
; TotalNumSgprs: 36
; NumVgprs: 32
; ScratchSize: 0
; MemoryBound: 0
	.text
	.p2align	2                               ; -- Begin function _ZN2at6native25elementwise_kernel_helperILb0EZZZNS0_18lgamma_kernel_cudaERNS_18TensorIteratorBaseEENKUlvE_clEvENKUlvE1_clEvEUlN3c104HalfEE_NS0_6memory8policies10vectorizedILi8ESt5arrayIPcLm2EELi8EEEEEvT0_T1_
	.type	_ZN2at6native25elementwise_kernel_helperILb0EZZZNS0_18lgamma_kernel_cudaERNS_18TensorIteratorBaseEENKUlvE_clEvENKUlvE1_clEvEUlN3c104HalfEE_NS0_6memory8policies10vectorizedILi8ESt5arrayIPcLm2EELi8EEEEEvT0_T1_,@function
_ZN2at6native25elementwise_kernel_helperILb0EZZZNS0_18lgamma_kernel_cudaERNS_18TensorIteratorBaseEENKUlvE_clEvENKUlvE1_clEvEUlN3c104HalfEE_NS0_6memory8policies10vectorizedILi8ESt5arrayIPcLm2EELi8EEEEEvT0_T1_: ; @_ZN2at6native25elementwise_kernel_helperILb0EZZZNS0_18lgamma_kernel_cudaERNS_18TensorIteratorBaseEENKUlvE_clEvENKUlvE1_clEvEUlN3c104HalfEE_NS0_6memory8policies10vectorizedILi8ESt5arrayIPcLm2EELi8EEEEEvT0_T1_
; %bb.0:
	s_waitcnt vmcnt(0) expcnt(0) lgkmcnt(0)
	s_lshl_b32 s4, s12, 11
	s_ashr_i32 s5, s4, 31
	s_lshl_b64 s[22:23], s[4:5], 1
	v_mov_b32_e32 v4, s23
	v_add_co_u32_e32 v2, vcc, s22, v2
	v_addc_co_u32_e32 v3, vcc, v3, v4, vcc
	v_and_b32_e32 v4, 0x3ff, v31
	v_lshlrev_b32_e32 v6, 4, v4
	v_add_co_u32_e32 v2, vcc, v2, v6
	v_addc_co_u32_e32 v3, vcc, 0, v3, vcc
	flat_load_dwordx4 v[2:5], v[2:3]
	s_mov_b32 s4, 0x3c800000
                                        ; implicit-def: $vgpr8
	s_waitcnt vmcnt(0) lgkmcnt(0)
	v_cvt_f32_f16_e32 v7, v2
	v_and_b32_e32 v9, 0x7fffffff, v7
	v_cmp_nlt_f32_e64 s[4:5], |v7|, s4
	s_and_saveexec_b64 s[6:7], s[4:5]
	s_xor_b64 s[6:7], exec, s[6:7]
	s_cbranch_execz .LBB146_30
; %bb.1:
	v_cmp_nlt_f32_e64 s[4:5], |v7|, 2.0
                                        ; implicit-def: $vgpr8
	s_and_saveexec_b64 s[8:9], s[4:5]
	s_xor_b64 s[8:9], exec, s[8:9]
	s_cbranch_execz .LBB146_11
; %bb.2:
	s_mov_b32 s4, 0x41000000
	v_cmp_nlt_f32_e64 s[4:5], |v7|, s4
                                        ; implicit-def: $vgpr8
	s_and_saveexec_b64 s[10:11], s[4:5]
	s_xor_b64 s[10:11], exec, s[10:11]
	s_cbranch_execz .LBB146_8
; %bb.3:
	s_mov_b32 s4, 0x5c800000
	v_cmp_nlt_f32_e64 s[4:5], |v7|, s4
                                        ; implicit-def: $vgpr8
	s_and_saveexec_b64 s[12:13], s[4:5]
	s_xor_b64 s[12:13], exec, s[12:13]
	s_cbranch_execz .LBB146_5
; %bb.4:
	s_mov_b32 s4, 0x800000
	v_cmp_lt_f32_e64 vcc, |v7|, s4
	v_cndmask_b32_e64 v8, 0, 32, vcc
	v_ldexp_f32 v8, |v7|, v8
	v_log_f32_e32 v8, v8
	s_mov_b32 s4, 0x3f317217
	s_mov_b32 s5, 0x7f800000
	v_mul_f32_e32 v10, 0x3f317217, v8
	v_fma_f32 v11, v8, s4, -v10
	v_fmac_f32_e32 v11, 0x3377d1cf, v8
	v_add_f32_e32 v10, v10, v11
	v_cmp_lt_f32_e64 s[4:5], |v8|, s5
	v_cndmask_b32_e64 v8, v8, v10, s[4:5]
	v_mov_b32_e32 v10, 0x41b17218
	v_cndmask_b32_e32 v10, 0, v10, vcc
	v_sub_f32_e32 v8, v8, v10
	v_fma_f32 v8, |v7|, v8, -|v7|
.LBB146_5:
	s_andn2_saveexec_b64 s[12:13], s[12:13]
	s_cbranch_execz .LBB146_7
; %bb.6:
	v_rcp_f32_e64 v10, |v7|
	v_mov_b32_e32 v8, 0x3a5b3dd2
	v_mov_b32_e32 v11, 0xba1c065c
	;; [unrolled: 1-line block ×3, first 2 shown]
	v_mul_f32_e32 v13, v10, v10
	v_fmac_f32_e32 v8, 0xbad5c4e8, v13
	v_fmac_f32_e32 v11, v13, v8
	s_mov_b32 s4, 0x800000
	v_fmac_f32_e32 v12, v13, v11
	v_mov_b32_e32 v8, 0xbb360b61
	v_cmp_lt_f32_e64 vcc, |v7|, s4
	v_fmac_f32_e32 v8, v13, v12
	v_cndmask_b32_e64 v12, 0, 32, vcc
	v_ldexp_f32 v12, |v7|, v12
	v_log_f32_e32 v12, v12
	v_mov_b32_e32 v11, 0x3daaaaab
	v_fmac_f32_e32 v11, v13, v8
	v_mov_b32_e32 v8, 0x3ed67f1d
	v_fmac_f32_e32 v8, v10, v11
	s_mov_b32 s4, 0x3f317217
	v_mul_f32_e32 v11, 0x3f317217, v12
	v_fma_f32 v13, v12, s4, -v11
	v_fmac_f32_e32 v13, 0x3377d1cf, v12
	s_mov_b32 s4, 0x7f800000
	v_add_f32_e32 v11, v11, v13
	v_cmp_lt_f32_e64 s[4:5], |v12|, s4
	v_cndmask_b32_e64 v11, v12, v11, s[4:5]
	v_mov_b32_e32 v12, 0x41b17218
	v_cndmask_b32_e32 v12, 0, v12, vcc
	v_sub_f32_e32 v11, v11, v12
	v_add_f32_e64 v10, |v7|, -0.5
	v_add_f32_e32 v11, -1.0, v11
	v_fmac_f32_e32 v8, v10, v11
.LBB146_7:
	s_or_b64 exec, exec, s[12:13]
.LBB146_8:
	s_andn2_saveexec_b64 s[10:11], s[10:11]
	s_cbranch_execz .LBB146_10
; %bb.9:
	v_cvt_i32_f32_e32 v8, v9
	v_mov_b32_e32 v10, 0x3af135b4
	v_mov_b32_e32 v11, 0x3cda40e4
	;; [unrolled: 1-line block ×3, first 2 shown]
	v_cvt_f32_i32_e32 v13, v8
	v_mov_b32_e32 v14, 0x3ea6cc7a
	v_mov_b32_e32 v15, 0x3e5c245a
	v_cmp_lt_i32_e32 vcc, 2, v8
	v_sub_f32_e64 v13, |v7|, v13
	v_fmac_f32_e32 v10, 0x3805ff67, v13
	v_fmac_f32_e32 v11, v13, v10
	;; [unrolled: 1-line block ×3, first 2 shown]
	v_mov_b32_e32 v11, 0x3a4beed6
	v_fmac_f32_e32 v14, v13, v12
	v_fmac_f32_e32 v11, 0x36f5d7bd, v13
	v_mov_b32_e32 v12, 0x3c98bf54
	v_fmac_f32_e32 v12, v13, v11
	v_mov_b32_e32 v11, 0x3e300f6e
	;; [unrolled: 2-line block ×4, first 2 shown]
	v_fmac_f32_e32 v11, v13, v12
	v_add_f32_e32 v12, 2.0, v13
	v_mov_b32_e32 v16, 0xbd9e233f
	v_fmac_f32_e32 v15, v13, v14
	v_add_f32_e32 v14, 0x40400000, v13
	v_cndmask_b32_e32 v12, 1.0, v12, vcc
	v_cmp_lt_i32_e32 vcc, 3, v8
	v_fmac_f32_e32 v16, v13, v15
	v_add_f32_e32 v15, 4.0, v13
	v_cndmask_b32_e32 v14, 1.0, v14, vcc
	v_cmp_lt_i32_e32 vcc, 4, v8
	v_mul_f32_e32 v10, v13, v16
	v_add_f32_e32 v16, 0x40a00000, v13
	v_mul_f32_e32 v12, v12, v14
	v_cndmask_b32_e32 v14, 1.0, v15, vcc
	v_cmp_lt_i32_e32 vcc, 5, v8
	v_add_f32_e32 v17, 0x40c00000, v13
	v_mul_f32_e32 v12, v14, v12
	v_cndmask_b32_e32 v14, 1.0, v16, vcc
	v_cmp_lt_i32_e32 vcc, 6, v8
	v_mul_f32_e32 v12, v14, v12
	v_cndmask_b32_e32 v8, 1.0, v17, vcc
	v_mul_f32_e32 v8, v8, v12
	s_mov_b32 s4, 0x800000
	v_cmp_gt_f32_e32 vcc, s4, v8
	v_cndmask_b32_e64 v12, 0, 32, vcc
	v_fma_f32 v11, v13, v11, 1.0
	v_ldexp_f32 v8, v8, v12
	v_rcp_f32_e32 v11, v11
	v_log_f32_e32 v8, v8
	s_mov_b32 s4, 0x3f317217
	v_mul_f32_e32 v10, v10, v11
	v_mul_f32_e32 v11, 0x3f317217, v8
	v_fma_f32 v12, v8, s4, -v11
	v_fmac_f32_e32 v12, 0x3377d1cf, v8
	s_mov_b32 s4, 0x7f800000
	v_add_f32_e32 v11, v11, v12
	v_cmp_lt_f32_e64 s[4:5], |v8|, s4
	v_cndmask_b32_e64 v8, v8, v11, s[4:5]
	v_mov_b32_e32 v11, 0x41b17218
	v_cndmask_b32_e32 v11, 0, v11, vcc
	v_fmac_f32_e32 v10, 0.5, v13
	v_sub_f32_e32 v8, v8, v11
	v_add_f32_e32 v8, v8, v10
.LBB146_10:
	s_or_b64 exec, exec, s[10:11]
.LBB146_11:
	s_andn2_saveexec_b64 s[8:9], s[8:9]
	s_cbranch_execz .LBB146_29
; %bb.12:
	s_mov_b32 s4, 0x3f666666
	v_cmp_le_f32_e64 s[4:5], |v7|, s4
                                        ; implicit-def: $vgpr8
                                        ; implicit-def: $vgpr11
                                        ; implicit-def: $vgpr10
	s_and_saveexec_b64 s[10:11], s[4:5]
	s_xor_b64 s[10:11], exec, s[10:11]
	s_cbranch_execz .LBB146_14
; %bb.13:
	s_mov_b32 s4, 0x800000
	v_cmp_lt_f32_e64 vcc, |v7|, s4
	v_cndmask_b32_e64 v8, 0, 32, vcc
	v_ldexp_f32 v8, |v7|, v8
	v_log_f32_e32 v8, v8
	s_mov_b32 s4, 0x3f317217
	s_mov_b32 s5, 0x7f800000
	v_mul_f32_e32 v10, 0x3f317217, v8
	v_fma_f32 v11, v8, s4, -v10
	v_fmac_f32_e32 v11, 0x3377d1cf, v8
	v_add_f32_e32 v10, v10, v11
	v_cmp_lt_f32_e64 s[4:5], |v8|, s5
	v_cndmask_b32_e64 v8, v8, v10, s[4:5]
	v_mov_b32_e32 v10, 0x41b17218
	v_cndmask_b32_e32 v10, 0, v10, vcc
	s_mov_b32 s4, 0x3f3b4a23
	s_mov_b32 s5, 0xbeec5b0c
	v_sub_f32_e32 v8, v8, v10
	v_sub_f32_e64 v10, 1.0, |v7|
	v_add_f32_e64 v11, |v7|, s5
	v_cmp_lt_f32_e64 vcc, |v7|, s4
	s_mov_b32 s4, 0x3e6d3309
	v_cndmask_b32_e32 v10, v10, v11, vcc
	v_cndmask_b32_e64 v11, 0, 1, vcc
	v_cmp_lt_f32_e64 s[4:5], |v7|, s4
	v_xor_b32_e32 v8, 0x80000000, v8
	v_cndmask_b32_e64 v10, v10, |v7|, s[4:5]
	v_cndmask_b32_e64 v11, v11, 2, s[4:5]
.LBB146_14:
	s_andn2_saveexec_b64 s[4:5], s[10:11]
	s_cbranch_execz .LBB146_16
; %bb.15:
	s_mov_b32 s10, 0x3fdda512
	s_mov_b32 s11, 0xbfbb16c3
	v_sub_f32_e64 v8, 2.0, |v7|
	v_add_f32_e64 v10, |v7|, s11
	v_cmp_lt_f32_e64 vcc, |v7|, s10
	v_cndmask_b32_e32 v10, v8, v10, vcc
	v_cndmask_b32_e64 v8, v8, 1.0, vcc
	v_cvt_i32_f32_e32 v8, v8
	s_mov_b32 s10, 0x3f9d70a4
	v_add_f32_e64 v11, |v7|, -1.0
	v_cmp_lt_f32_e64 vcc, |v7|, s10
	v_cndmask_b32_e32 v10, v10, v11, vcc
	v_cndmask_b32_e64 v11, v8, 2, vcc
	v_mov_b32_e32 v8, 0
.LBB146_16:
	s_or_b64 exec, exec, s[4:5]
	v_cmp_lt_i32_e32 vcc, 0, v11
	s_and_saveexec_b64 s[4:5], vcc
	s_xor_b64 s[4:5], exec, s[4:5]
	s_cbranch_execz .LBB146_24
; %bb.17:
	v_cmp_lt_i32_e32 vcc, 1, v11
	s_and_saveexec_b64 s[10:11], vcc
	s_xor_b64 s[10:11], exec, s[10:11]
	s_cbranch_execz .LBB146_21
; %bb.18:
	v_cmp_eq_u32_e32 vcc, 2, v11
	s_and_saveexec_b64 s[12:13], vcc
	s_cbranch_execz .LBB146_20
; %bb.19:
	v_mov_b32_e32 v11, 0x3e6a7578
	v_fmac_f32_e32 v11, 0x3c5b3c5e, v10
	v_mov_b32_e32 v12, 0x3f7a4bb2
	v_fmac_f32_e32 v12, v10, v11
	;; [unrolled: 2-line block ×8, first 2 shown]
	v_fma_f32 v11, v10, v13, 1.0
	v_rcp_f32_e32 v11, v11
	v_mov_b32_e32 v13, 0xbd9e233f
	v_fmac_f32_e32 v13, v10, v12
	v_mul_f32_e32 v12, v10, v13
	v_mul_f32_e32 v11, v12, v11
	v_fmac_f32_e32 v11, -0.5, v10
	v_add_f32_e32 v8, v8, v11
.LBB146_20:
	s_or_b64 exec, exec, s[12:13]
                                        ; implicit-def: $vgpr10
.LBB146_21:
	s_andn2_saveexec_b64 s[10:11], s[10:11]
	s_cbranch_execz .LBB146_23
; %bb.22:
	v_mul_f32_e32 v11, v10, v10
	v_mul_f32_e32 v12, v10, v11
	v_mov_b32_e32 v13, 0xbab7f476
	v_fmac_f32_e32 v13, 0x39a57b6b, v12
	v_mov_b32_e32 v14, 0x3bc7e707
	v_fmac_f32_e32 v14, v12, v13
	v_mov_b32_e32 v13, 0xbd064d47
	v_fmac_f32_e32 v13, v12, v14
	v_mov_b32_e32 v14, 0x3ef7b95e
	v_fmac_f32_e32 v14, v12, v13
	v_mov_b32_e32 v13, 0x3a66f867
	v_fmac_f32_e32 v13, 0xb9a3f927, v12
	v_mov_b32_e32 v15, 0xbb7177fe
	v_fmac_f32_e32 v15, v12, v13
	v_mov_b32_e32 v13, 0x3c93373d
	v_fmac_f32_e32 v13, v12, v15
	v_mov_b32_e32 v15, 0xbe17213c
	v_fmac_f32_e32 v15, v12, v13
	v_mov_b32_e32 v13, 0xba0d3085
	v_fmac_f32_e32 v13, 0x39afe9f7, v12
	v_mov_b32_e32 v16, 0x3b141699
	v_fmac_f32_e32 v16, v12, v13
	v_mov_b32_e32 v13, 0xbc28fcfe
	v_fmac_f32_e32 v13, v12, v16
	v_mov_b32_e32 v16, 0x3d845a15
	v_fmac_f32_e32 v16, v12, v13
	v_fmac_f32_e32 v15, v10, v16
	s_mov_b32 s12, 0xa2863e55
	v_fma_f32 v10, v12, -v15, s12
	v_fma_f32 v10, v11, v14, -v10
	v_add_f32_e32 v10, 0xbdf8cdce, v10
	v_add_f32_e32 v8, v8, v10
.LBB146_23:
	s_or_b64 exec, exec, s[10:11]
                                        ; implicit-def: $vgpr11
                                        ; implicit-def: $vgpr10
.LBB146_24:
	s_andn2_saveexec_b64 s[4:5], s[4:5]
	s_cbranch_execz .LBB146_28
; %bb.25:
	v_cmp_eq_u32_e32 vcc, 0, v11
	s_and_saveexec_b64 s[10:11], vcc
	s_cbranch_execz .LBB146_27
; %bb.26:
	v_mul_f32_e32 v11, v10, v10
	v_mov_b32_e32 v12, 0x39679767
	v_fmac_f32_e32 v12, 0x37d383a2, v11
	v_mov_b32_e32 v13, 0x3a9c54a1
	v_fmac_f32_e32 v13, v11, v12
	;; [unrolled: 2-line block ×10, first 2 shown]
	v_mul_f32_e32 v11, v11, v13
	v_fmac_f32_e32 v11, v10, v12
	v_fmac_f32_e32 v11, -0.5, v10
	v_add_f32_e32 v8, v8, v11
.LBB146_27:
	s_or_b64 exec, exec, s[10:11]
.LBB146_28:
	s_or_b64 exec, exec, s[4:5]
.LBB146_29:
	s_or_b64 exec, exec, s[8:9]
.LBB146_30:
	s_andn2_saveexec_b64 s[6:7], s[6:7]
	s_cbranch_execz .LBB146_32
; %bb.31:
	s_mov_b32 s4, 0x3e8a8991
	v_mov_b32_e32 v8, 0xbecd26ab
	v_fma_f32 v8, |v7|, s4, v8
	s_mov_b32 s4, 0x3f528d33
	v_fma_f32 v8, |v7|, v8, s4
	s_mov_b32 s4, 0x800000
	v_cmp_lt_f32_e64 vcc, |v7|, s4
	v_cndmask_b32_e64 v10, 0, 32, vcc
	v_ldexp_f32 v10, |v7|, v10
	v_log_f32_e32 v10, v10
	s_mov_b32 s4, 0xbf13c468
	v_fma_f32 v8, |v7|, v8, s4
	s_mov_b32 s4, 0x3f317217
	v_mul_f32_e32 v11, 0x3f317217, v10
	v_fma_f32 v12, v10, s4, -v11
	v_fmac_f32_e32 v12, 0x3377d1cf, v10
	s_mov_b32 s4, 0x7f800000
	v_add_f32_e32 v11, v11, v12
	v_cmp_lt_f32_e64 s[4:5], |v10|, s4
	v_cndmask_b32_e64 v10, v10, v11, s[4:5]
	v_mov_b32_e32 v11, 0x41b17218
	v_cndmask_b32_e32 v11, 0, v11, vcc
	v_sub_f32_e32 v10, v10, v11
	v_fma_f32 v8, |v7|, v8, -v10
.LBB146_32:
	s_or_b64 exec, exec, s[6:7]
	v_cmp_le_f16_e32 vcc, 0, v2
	v_cmp_nle_f16_e64 s[4:5], 0, v2
	s_and_saveexec_b64 s[6:7], s[4:5]
	s_xor_b64 s[8:9], exec, s[6:7]
	s_cbranch_execz .LBB146_36
; %bb.33:
	s_mov_b32 s4, 0x4b000000
	s_mov_b32 s6, 0x35000000
	v_cmp_lt_f32_e64 s[4:5], |v7|, s4
	v_cmp_gt_f32_e64 s[6:7], |v7|, s6
	s_and_b64 s[4:5], s[4:5], s[6:7]
	s_and_saveexec_b64 s[10:11], s[4:5]
	s_cbranch_execz .LBB146_35
; %bb.34:
	v_mul_f32_e64 v10, |v7|, 0.5
	v_floor_f32_e32 v11, v10
	v_sub_f32_e32 v11, v10, v11
	v_min_f32_e32 v11, 0x3f7fffff, v11
	s_mov_b32 s6, 0x7f800000
	v_add_f32_e32 v11, v11, v11
	v_cmp_neq_f32_e64 s[4:5], s6, v10
	v_cndmask_b32_e64 v10, 0, v11, s[4:5]
	v_cmp_gt_f32_e64 s[4:5], |v7|, 1.0
	v_cndmask_b32_e64 v10, |v7|, v10, s[4:5]
	v_add_f32_e32 v11, v10, v10
	v_rndne_f32_e32 v11, v11
	v_fmac_f32_e32 v10, -0.5, v11
	v_mul_f32_e32 v12, v10, v10
	v_mov_b32_e32 v13, 0xbf1f24be
	v_fmac_f32_e32 v13, 0x3e75aa41, v12
	v_mov_b32_e32 v14, 0x40234736
	v_fmac_f32_e32 v14, v12, v13
	v_mov_b32_e32 v13, 0xc0a55e0e
	v_fmac_f32_e32 v13, v12, v14
	v_mul_f32_e32 v14, v10, v12
	v_mul_f32_e32 v13, v14, v13
	v_fmac_f32_e32 v13, 0x40490fdb, v10
	v_mov_b32_e32 v10, 0x3e642e9d
	v_cvt_i32_f32_e32 v11, v11
	v_fmac_f32_e32 v10, 0x3d4be544, v12
	v_mov_b32_e32 v14, 0xbfaad1da
	v_fmac_f32_e32 v14, v12, v10
	v_mov_b32_e32 v10, 0x4081e0d3
	;; [unrolled: 2-line block ×3, first 2 shown]
	v_fmac_f32_e32 v14, v12, v10
	v_fma_f32 v10, v12, v14, 1.0
	v_and_b32_e32 v12, 1, v11
	v_lshlrev_b32_e32 v11, 30, v11
	v_cmp_eq_u32_e64 s[4:5], 0, v12
	v_and_b32_e32 v11, 0x80000000, v11
	v_xor_b32_e32 v9, v9, v7
	v_cndmask_b32_e64 v10, v10, v13, s[4:5]
	v_xor_b32_e32 v9, v9, v11
	v_xor_b32_e32 v9, v9, v10
	v_mul_f32_e32 v9, v7, v9
	v_frexp_mant_f32_e64 v10, |v9|
	v_rcp_f32_e32 v10, v10
	v_frexp_exp_i32_f32_e32 v9, v9
	v_sub_u32_e32 v9, 2, v9
	s_mov_b32 s4, 0x800000
	v_mul_f32_e32 v10, 0x3f490fdb, v10
	v_ldexp_f32 v9, v10, v9
	v_cmp_gt_f32_e64 s[4:5], s4, v9
	v_cndmask_b32_e64 v10, 0, 32, s[4:5]
	v_ldexp_f32 v9, v9, v10
	v_log_f32_e32 v9, v9
	s_mov_b32 s7, 0x3f317217
	v_mul_f32_e32 v10, 0x3f317217, v9
	v_fma_f32 v11, v9, s7, -v10
	v_fmac_f32_e32 v11, 0x3377d1cf, v9
	v_add_f32_e32 v10, v10, v11
	v_cmp_lt_f32_e64 s[6:7], |v9|, s6
	v_cndmask_b32_e64 v9, v9, v10, s[6:7]
	v_mov_b32_e32 v10, 0x41b17218
	v_cndmask_b32_e64 v10, 0, v10, s[4:5]
	v_sub_f32_e32 v9, v9, v10
	v_sub_f32_e32 v8, v9, v8
	v_floor_f32_e32 v9, v7
	v_sub_f32_e32 v9, v7, v9
	v_min_f32_e32 v9, 0x3f7fffff, v9
	v_mov_b32_e32 v10, 0x7f800000
	v_cmp_neq_f32_e64 s[4:5], 0, v9
	v_cndmask_b32_e64 v8, v10, v8, s[4:5]
.LBB146_35:
	s_or_b64 exec, exec, s[10:11]
.LBB146_36:
	s_andn2_saveexec_b64 s[8:9], s[8:9]
; %bb.37:
	v_cmp_eq_f16_e64 s[4:5], 1.0, v2
	v_cmp_eq_f16_e64 s[6:7], 2.0, v2
	s_or_b64 s[4:5], s[4:5], s[6:7]
	v_cndmask_b32_e64 v8, v8, 0, s[4:5]
; %bb.38:
	s_or_b64 exec, exec, s[8:9]
	v_lshrrev_b32_e32 v9, 16, v2
	v_cvt_f32_f16_e32 v10, v9
	s_mov_b32 s4, 0x3c800000
                                        ; implicit-def: $vgpr11
	v_and_b32_e32 v12, 0x7fffffff, v10
	v_cmp_nlt_f32_e64 s[4:5], |v10|, s4
	s_and_saveexec_b64 s[6:7], s[4:5]
	s_xor_b64 s[8:9], exec, s[6:7]
	s_cbranch_execz .LBB146_68
; %bb.39:
	v_cmp_nlt_f32_e64 s[4:5], |v10|, 2.0
                                        ; implicit-def: $vgpr11
	s_and_saveexec_b64 s[6:7], s[4:5]
	s_xor_b64 s[10:11], exec, s[6:7]
	s_cbranch_execz .LBB146_49
; %bb.40:
	s_mov_b32 s4, 0x41000000
	v_cmp_nlt_f32_e64 s[4:5], |v10|, s4
                                        ; implicit-def: $vgpr11
	s_and_saveexec_b64 s[6:7], s[4:5]
	s_xor_b64 s[12:13], exec, s[6:7]
	s_cbranch_execz .LBB146_46
; %bb.41:
	s_mov_b32 s4, 0x5c800000
	v_cmp_nlt_f32_e64 s[4:5], |v10|, s4
                                        ; implicit-def: $vgpr11
	s_and_saveexec_b64 s[6:7], s[4:5]
	s_xor_b64 s[14:15], exec, s[6:7]
	s_cbranch_execz .LBB146_43
; %bb.42:
	s_mov_b32 s4, 0x800000
	v_cmp_lt_f32_e64 s[4:5], |v10|, s4
	v_cndmask_b32_e64 v11, 0, 32, s[4:5]
	v_ldexp_f32 v11, |v10|, v11
	v_log_f32_e32 v11, v11
	s_mov_b32 s6, 0x3f317217
	s_mov_b32 s7, 0x7f800000
	v_mul_f32_e32 v13, 0x3f317217, v11
	v_fma_f32 v14, v11, s6, -v13
	v_fmac_f32_e32 v14, 0x3377d1cf, v11
	v_add_f32_e32 v13, v13, v14
	v_cmp_lt_f32_e64 s[6:7], |v11|, s7
	v_cndmask_b32_e64 v11, v11, v13, s[6:7]
	v_mov_b32_e32 v13, 0x41b17218
	v_cndmask_b32_e64 v13, 0, v13, s[4:5]
	v_sub_f32_e32 v11, v11, v13
	v_fma_f32 v11, |v10|, v11, -|v10|
.LBB146_43:
	s_andn2_saveexec_b64 s[14:15], s[14:15]
	s_cbranch_execz .LBB146_45
; %bb.44:
	v_rcp_f32_e64 v13, |v10|
	v_mov_b32_e32 v11, 0x3a5b3dd2
	v_mov_b32_e32 v14, 0xba1c065c
	;; [unrolled: 1-line block ×3, first 2 shown]
	v_mul_f32_e32 v16, v13, v13
	v_fmac_f32_e32 v11, 0xbad5c4e8, v16
	v_fmac_f32_e32 v14, v16, v11
	s_mov_b32 s4, 0x800000
	v_fmac_f32_e32 v15, v16, v14
	v_mov_b32_e32 v11, 0xbb360b61
	v_cmp_lt_f32_e64 s[4:5], |v10|, s4
	v_fmac_f32_e32 v11, v16, v15
	v_cndmask_b32_e64 v15, 0, 32, s[4:5]
	v_ldexp_f32 v15, |v10|, v15
	v_log_f32_e32 v15, v15
	v_mov_b32_e32 v14, 0x3daaaaab
	v_fmac_f32_e32 v14, v16, v11
	v_mov_b32_e32 v11, 0x3ed67f1d
	v_fmac_f32_e32 v11, v13, v14
	s_mov_b32 s6, 0x3f317217
	v_mul_f32_e32 v14, 0x3f317217, v15
	v_fma_f32 v16, v15, s6, -v14
	v_fmac_f32_e32 v16, 0x3377d1cf, v15
	s_mov_b32 s6, 0x7f800000
	v_add_f32_e32 v14, v14, v16
	v_cmp_lt_f32_e64 s[6:7], |v15|, s6
	v_cndmask_b32_e64 v14, v15, v14, s[6:7]
	v_mov_b32_e32 v15, 0x41b17218
	v_cndmask_b32_e64 v15, 0, v15, s[4:5]
	v_sub_f32_e32 v14, v14, v15
	v_add_f32_e64 v13, |v10|, -0.5
	v_add_f32_e32 v14, -1.0, v14
	v_fmac_f32_e32 v11, v13, v14
.LBB146_45:
	s_or_b64 exec, exec, s[14:15]
.LBB146_46:
	s_andn2_saveexec_b64 s[12:13], s[12:13]
	s_cbranch_execz .LBB146_48
; %bb.47:
	v_cvt_i32_f32_e32 v11, v12
	v_mov_b32_e32 v13, 0x3af135b4
	v_mov_b32_e32 v14, 0x3cda40e4
	;; [unrolled: 1-line block ×3, first 2 shown]
	v_cvt_f32_i32_e32 v16, v11
	v_mov_b32_e32 v17, 0x3ea6cc7a
	v_mov_b32_e32 v18, 0x3e5c245a
	v_cmp_lt_i32_e64 s[4:5], 2, v11
	v_sub_f32_e64 v16, |v10|, v16
	v_fmac_f32_e32 v13, 0x3805ff67, v16
	v_fmac_f32_e32 v14, v16, v13
	;; [unrolled: 1-line block ×3, first 2 shown]
	v_mov_b32_e32 v14, 0x3a4beed6
	v_fmac_f32_e32 v17, v16, v15
	v_fmac_f32_e32 v14, 0x36f5d7bd, v16
	v_mov_b32_e32 v15, 0x3c98bf54
	v_fmac_f32_e32 v15, v16, v14
	v_mov_b32_e32 v14, 0x3e300f6e
	;; [unrolled: 2-line block ×4, first 2 shown]
	v_fmac_f32_e32 v14, v16, v15
	v_add_f32_e32 v15, 2.0, v16
	v_mov_b32_e32 v19, 0xbd9e233f
	v_fmac_f32_e32 v18, v16, v17
	v_add_f32_e32 v17, 0x40400000, v16
	v_cndmask_b32_e64 v15, 1.0, v15, s[4:5]
	v_cmp_lt_i32_e64 s[4:5], 3, v11
	v_fmac_f32_e32 v19, v16, v18
	v_add_f32_e32 v18, 4.0, v16
	v_cndmask_b32_e64 v17, 1.0, v17, s[4:5]
	v_cmp_lt_i32_e64 s[4:5], 4, v11
	v_mul_f32_e32 v13, v16, v19
	v_add_f32_e32 v19, 0x40a00000, v16
	v_mul_f32_e32 v15, v15, v17
	v_cndmask_b32_e64 v17, 1.0, v18, s[4:5]
	v_cmp_lt_i32_e64 s[4:5], 5, v11
	v_add_f32_e32 v20, 0x40c00000, v16
	v_mul_f32_e32 v15, v17, v15
	v_cndmask_b32_e64 v17, 1.0, v19, s[4:5]
	v_cmp_lt_i32_e64 s[4:5], 6, v11
	v_mul_f32_e32 v15, v17, v15
	v_cndmask_b32_e64 v11, 1.0, v20, s[4:5]
	v_mul_f32_e32 v11, v11, v15
	s_mov_b32 s4, 0x800000
	v_cmp_gt_f32_e64 s[4:5], s4, v11
	v_cndmask_b32_e64 v15, 0, 32, s[4:5]
	v_fma_f32 v14, v16, v14, 1.0
	v_ldexp_f32 v11, v11, v15
	v_rcp_f32_e32 v14, v14
	v_log_f32_e32 v11, v11
	s_mov_b32 s6, 0x3f317217
	v_mul_f32_e32 v13, v13, v14
	v_mul_f32_e32 v14, 0x3f317217, v11
	v_fma_f32 v15, v11, s6, -v14
	v_fmac_f32_e32 v15, 0x3377d1cf, v11
	s_mov_b32 s6, 0x7f800000
	v_add_f32_e32 v14, v14, v15
	v_cmp_lt_f32_e64 s[6:7], |v11|, s6
	v_cndmask_b32_e64 v11, v11, v14, s[6:7]
	v_mov_b32_e32 v14, 0x41b17218
	v_cndmask_b32_e64 v14, 0, v14, s[4:5]
	v_fmac_f32_e32 v13, 0.5, v16
	v_sub_f32_e32 v11, v11, v14
	v_add_f32_e32 v11, v11, v13
.LBB146_48:
	s_or_b64 exec, exec, s[12:13]
.LBB146_49:
	s_andn2_saveexec_b64 s[10:11], s[10:11]
	s_cbranch_execz .LBB146_67
; %bb.50:
	s_mov_b32 s4, 0x3f666666
	v_cmp_le_f32_e64 s[4:5], |v10|, s4
                                        ; implicit-def: $vgpr11
                                        ; implicit-def: $vgpr14
                                        ; implicit-def: $vgpr13
	s_and_saveexec_b64 s[6:7], s[4:5]
	s_xor_b64 s[12:13], exec, s[6:7]
	s_cbranch_execz .LBB146_52
; %bb.51:
	s_mov_b32 s4, 0x800000
	v_cmp_lt_f32_e64 s[4:5], |v10|, s4
	v_cndmask_b32_e64 v11, 0, 32, s[4:5]
	v_ldexp_f32 v11, |v10|, v11
	v_log_f32_e32 v11, v11
	s_mov_b32 s6, 0x3f317217
	s_mov_b32 s7, 0x7f800000
	v_mul_f32_e32 v13, 0x3f317217, v11
	v_fma_f32 v14, v11, s6, -v13
	v_fmac_f32_e32 v14, 0x3377d1cf, v11
	v_add_f32_e32 v13, v13, v14
	v_cmp_lt_f32_e64 s[6:7], |v11|, s7
	v_cndmask_b32_e64 v11, v11, v13, s[6:7]
	v_mov_b32_e32 v13, 0x41b17218
	v_cndmask_b32_e64 v13, 0, v13, s[4:5]
	s_mov_b32 s4, 0x3f3b4a23
	s_mov_b32 s5, 0xbeec5b0c
	v_sub_f32_e32 v11, v11, v13
	v_sub_f32_e64 v13, 1.0, |v10|
	v_add_f32_e64 v14, |v10|, s5
	v_cmp_lt_f32_e64 s[4:5], |v10|, s4
	v_cndmask_b32_e64 v13, v13, v14, s[4:5]
	v_cndmask_b32_e64 v14, 0, 1, s[4:5]
	s_mov_b32 s4, 0x3e6d3309
	v_cmp_lt_f32_e64 s[4:5], |v10|, s4
	v_xor_b32_e32 v11, 0x80000000, v11
	v_cndmask_b32_e64 v13, v13, |v10|, s[4:5]
	v_cndmask_b32_e64 v14, v14, 2, s[4:5]
.LBB146_52:
	s_andn2_saveexec_b64 s[6:7], s[12:13]
	s_cbranch_execz .LBB146_54
; %bb.53:
	s_mov_b32 s4, 0x3fdda512
	s_mov_b32 s5, 0xbfbb16c3
	v_sub_f32_e64 v11, 2.0, |v10|
	v_add_f32_e64 v13, |v10|, s5
	v_cmp_lt_f32_e64 s[4:5], |v10|, s4
	v_cndmask_b32_e64 v13, v11, v13, s[4:5]
	v_cndmask_b32_e64 v11, v11, 1.0, s[4:5]
	v_cvt_i32_f32_e32 v11, v11
	s_mov_b32 s4, 0x3f9d70a4
	v_add_f32_e64 v14, |v10|, -1.0
	v_cmp_lt_f32_e64 s[4:5], |v10|, s4
	v_cndmask_b32_e64 v13, v13, v14, s[4:5]
	v_cndmask_b32_e64 v14, v11, 2, s[4:5]
	v_mov_b32_e32 v11, 0
.LBB146_54:
	s_or_b64 exec, exec, s[6:7]
	v_cmp_lt_i32_e64 s[4:5], 0, v14
	s_and_saveexec_b64 s[6:7], s[4:5]
	s_xor_b64 s[6:7], exec, s[6:7]
	s_cbranch_execz .LBB146_62
; %bb.55:
	v_cmp_lt_i32_e64 s[4:5], 1, v14
	s_and_saveexec_b64 s[12:13], s[4:5]
	s_xor_b64 s[12:13], exec, s[12:13]
	s_cbranch_execz .LBB146_59
; %bb.56:
	v_cmp_eq_u32_e64 s[4:5], 2, v14
	s_and_saveexec_b64 s[14:15], s[4:5]
	s_cbranch_execz .LBB146_58
; %bb.57:
	v_mov_b32_e32 v14, 0x3e6a7578
	v_fmac_f32_e32 v14, 0x3c5b3c5e, v13
	v_mov_b32_e32 v15, 0x3f7a4bb2
	v_fmac_f32_e32 v15, v13, v14
	;; [unrolled: 2-line block ×8, first 2 shown]
	v_fma_f32 v14, v13, v16, 1.0
	v_rcp_f32_e32 v14, v14
	v_mov_b32_e32 v16, 0xbd9e233f
	v_fmac_f32_e32 v16, v13, v15
	v_mul_f32_e32 v15, v13, v16
	v_mul_f32_e32 v14, v15, v14
	v_fmac_f32_e32 v14, -0.5, v13
	v_add_f32_e32 v11, v11, v14
.LBB146_58:
	s_or_b64 exec, exec, s[14:15]
                                        ; implicit-def: $vgpr13
.LBB146_59:
	s_andn2_saveexec_b64 s[4:5], s[12:13]
	s_cbranch_execz .LBB146_61
; %bb.60:
	v_mul_f32_e32 v14, v13, v13
	v_mul_f32_e32 v15, v13, v14
	v_mov_b32_e32 v16, 0xbab7f476
	v_fmac_f32_e32 v16, 0x39a57b6b, v15
	v_mov_b32_e32 v17, 0x3bc7e707
	v_fmac_f32_e32 v17, v15, v16
	;; [unrolled: 2-line block ×12, first 2 shown]
	v_fmac_f32_e32 v18, v13, v19
	s_mov_b32 s12, 0xa2863e55
	v_fma_f32 v13, v15, -v18, s12
	v_fma_f32 v13, v14, v17, -v13
	v_add_f32_e32 v13, 0xbdf8cdce, v13
	v_add_f32_e32 v11, v11, v13
.LBB146_61:
	s_or_b64 exec, exec, s[4:5]
                                        ; implicit-def: $vgpr14
                                        ; implicit-def: $vgpr13
.LBB146_62:
	s_andn2_saveexec_b64 s[6:7], s[6:7]
	s_cbranch_execz .LBB146_66
; %bb.63:
	v_cmp_eq_u32_e64 s[4:5], 0, v14
	s_and_saveexec_b64 s[12:13], s[4:5]
	s_cbranch_execz .LBB146_65
; %bb.64:
	v_mul_f32_e32 v14, v13, v13
	v_mov_b32_e32 v15, 0x39679767
	v_fmac_f32_e32 v15, 0x37d383a2, v14
	v_mov_b32_e32 v16, 0x3a9c54a1
	v_fmac_f32_e32 v16, v14, v15
	;; [unrolled: 2-line block ×10, first 2 shown]
	v_mul_f32_e32 v14, v14, v16
	v_fmac_f32_e32 v14, v13, v15
	v_fmac_f32_e32 v14, -0.5, v13
	v_add_f32_e32 v11, v11, v14
.LBB146_65:
	s_or_b64 exec, exec, s[12:13]
.LBB146_66:
	s_or_b64 exec, exec, s[6:7]
.LBB146_67:
	s_or_b64 exec, exec, s[10:11]
.LBB146_68:
	s_andn2_saveexec_b64 s[8:9], s[8:9]
	s_cbranch_execz .LBB146_70
; %bb.69:
	s_mov_b32 s4, 0x3e8a8991
	v_mov_b32_e32 v11, 0xbecd26ab
	v_fma_f32 v11, |v10|, s4, v11
	s_mov_b32 s4, 0x3f528d33
	v_fma_f32 v11, |v10|, v11, s4
	s_mov_b32 s4, 0x800000
	v_cmp_lt_f32_e64 s[4:5], |v10|, s4
	v_cndmask_b32_e64 v13, 0, 32, s[4:5]
	v_ldexp_f32 v13, |v10|, v13
	v_log_f32_e32 v13, v13
	s_mov_b32 s6, 0xbf13c468
	v_fma_f32 v11, |v10|, v11, s6
	s_mov_b32 s6, 0x3f317217
	v_mul_f32_e32 v14, 0x3f317217, v13
	v_fma_f32 v15, v13, s6, -v14
	v_fmac_f32_e32 v15, 0x3377d1cf, v13
	s_mov_b32 s6, 0x7f800000
	v_add_f32_e32 v14, v14, v15
	v_cmp_lt_f32_e64 s[6:7], |v13|, s6
	v_cndmask_b32_e64 v13, v13, v14, s[6:7]
	v_mov_b32_e32 v14, 0x41b17218
	v_cndmask_b32_e64 v14, 0, v14, s[4:5]
	v_sub_f32_e32 v13, v13, v14
	v_fma_f32 v11, |v10|, v11, -v13
.LBB146_70:
	s_or_b64 exec, exec, s[8:9]
	v_cmp_le_f16_e64 s[4:5], 0, v9
	v_cmp_nle_f16_e64 s[6:7], 0, v9
	s_and_saveexec_b64 s[8:9], s[6:7]
	s_xor_b64 s[10:11], exec, s[8:9]
	s_cbranch_execz .LBB146_74
; %bb.71:
	s_mov_b32 s6, 0x4b000000
	s_mov_b32 s8, 0x35000000
	v_cmp_lt_f32_e64 s[6:7], |v10|, s6
	v_cmp_gt_f32_e64 s[8:9], |v10|, s8
	s_and_b64 s[6:7], s[6:7], s[8:9]
	s_and_saveexec_b64 s[12:13], s[6:7]
	s_cbranch_execz .LBB146_73
; %bb.72:
	v_mul_f32_e64 v13, |v10|, 0.5
	v_floor_f32_e32 v14, v13
	v_sub_f32_e32 v14, v13, v14
	v_min_f32_e32 v14, 0x3f7fffff, v14
	s_mov_b32 s8, 0x7f800000
	v_add_f32_e32 v14, v14, v14
	v_cmp_neq_f32_e64 s[6:7], s8, v13
	v_cndmask_b32_e64 v13, 0, v14, s[6:7]
	v_cmp_gt_f32_e64 s[6:7], |v10|, 1.0
	v_cndmask_b32_e64 v13, |v10|, v13, s[6:7]
	v_add_f32_e32 v14, v13, v13
	v_rndne_f32_e32 v14, v14
	v_fmac_f32_e32 v13, -0.5, v14
	v_mul_f32_e32 v15, v13, v13
	v_mov_b32_e32 v16, 0xbf1f24be
	v_fmac_f32_e32 v16, 0x3e75aa41, v15
	v_mov_b32_e32 v17, 0x40234736
	v_fmac_f32_e32 v17, v15, v16
	;; [unrolled: 2-line block ×3, first 2 shown]
	v_mul_f32_e32 v17, v13, v15
	v_mul_f32_e32 v16, v17, v16
	v_fmac_f32_e32 v16, 0x40490fdb, v13
	v_mov_b32_e32 v13, 0x3e642e9d
	v_cvt_i32_f32_e32 v14, v14
	v_fmac_f32_e32 v13, 0x3d4be544, v15
	v_mov_b32_e32 v17, 0xbfaad1da
	v_fmac_f32_e32 v17, v15, v13
	v_mov_b32_e32 v13, 0x4081e0d3
	;; [unrolled: 2-line block ×3, first 2 shown]
	v_fmac_f32_e32 v17, v15, v13
	v_fma_f32 v13, v15, v17, 1.0
	v_and_b32_e32 v15, 1, v14
	v_lshlrev_b32_e32 v14, 30, v14
	v_cmp_eq_u32_e64 s[6:7], 0, v15
	v_and_b32_e32 v14, 0x80000000, v14
	v_xor_b32_e32 v12, v12, v10
	v_cndmask_b32_e64 v13, v13, v16, s[6:7]
	v_xor_b32_e32 v12, v12, v14
	v_xor_b32_e32 v12, v12, v13
	v_mul_f32_e32 v12, v10, v12
	v_frexp_mant_f32_e64 v13, |v12|
	v_rcp_f32_e32 v13, v13
	v_frexp_exp_i32_f32_e32 v12, v12
	v_sub_u32_e32 v12, 2, v12
	s_mov_b32 s6, 0x800000
	v_mul_f32_e32 v13, 0x3f490fdb, v13
	v_ldexp_f32 v12, v13, v12
	v_cmp_gt_f32_e64 s[6:7], s6, v12
	v_cndmask_b32_e64 v13, 0, 32, s[6:7]
	v_ldexp_f32 v12, v12, v13
	v_log_f32_e32 v12, v12
	s_mov_b32 s9, 0x3f317217
	v_mul_f32_e32 v13, 0x3f317217, v12
	v_fma_f32 v14, v12, s9, -v13
	v_fmac_f32_e32 v14, 0x3377d1cf, v12
	v_add_f32_e32 v13, v13, v14
	v_cmp_lt_f32_e64 s[8:9], |v12|, s8
	v_cndmask_b32_e64 v12, v12, v13, s[8:9]
	v_mov_b32_e32 v13, 0x41b17218
	v_cndmask_b32_e64 v13, 0, v13, s[6:7]
	v_sub_f32_e32 v12, v12, v13
	v_sub_f32_e32 v11, v12, v11
	v_floor_f32_e32 v12, v10
	v_sub_f32_e32 v12, v10, v12
	v_min_f32_e32 v12, 0x3f7fffff, v12
	v_mov_b32_e32 v13, 0x7f800000
	v_cmp_neq_f32_e64 s[6:7], 0, v12
	v_cndmask_b32_e64 v11, v13, v11, s[6:7]
.LBB146_73:
	s_or_b64 exec, exec, s[12:13]
.LBB146_74:
	s_andn2_saveexec_b64 s[10:11], s[10:11]
; %bb.75:
	v_cmp_eq_f16_e64 s[6:7], 1.0, v9
	v_cmp_eq_f16_e64 s[8:9], 2.0, v9
	s_or_b64 s[6:7], s[6:7], s[8:9]
	v_cndmask_b32_e64 v11, v11, 0, s[6:7]
; %bb.76:
	s_or_b64 exec, exec, s[10:11]
	v_cvt_f32_f16_e32 v12, v3
	s_mov_b32 s6, 0x3c800000
                                        ; implicit-def: $vgpr13
	v_and_b32_e32 v14, 0x7fffffff, v12
	v_cmp_nlt_f32_e64 s[6:7], |v12|, s6
	s_and_saveexec_b64 s[8:9], s[6:7]
	s_xor_b64 s[10:11], exec, s[8:9]
	s_cbranch_execz .LBB146_106
; %bb.77:
	v_cmp_nlt_f32_e64 s[6:7], |v12|, 2.0
                                        ; implicit-def: $vgpr13
	s_and_saveexec_b64 s[8:9], s[6:7]
	s_xor_b64 s[12:13], exec, s[8:9]
	s_cbranch_execz .LBB146_87
; %bb.78:
	s_mov_b32 s6, 0x41000000
	v_cmp_nlt_f32_e64 s[6:7], |v12|, s6
                                        ; implicit-def: $vgpr13
	s_and_saveexec_b64 s[8:9], s[6:7]
	s_xor_b64 s[14:15], exec, s[8:9]
	s_cbranch_execz .LBB146_84
; %bb.79:
	s_mov_b32 s6, 0x5c800000
	v_cmp_nlt_f32_e64 s[6:7], |v12|, s6
                                        ; implicit-def: $vgpr13
	s_and_saveexec_b64 s[8:9], s[6:7]
	s_xor_b64 s[16:17], exec, s[8:9]
	s_cbranch_execz .LBB146_81
; %bb.80:
	s_mov_b32 s6, 0x800000
	v_cmp_lt_f32_e64 s[6:7], |v12|, s6
	v_cndmask_b32_e64 v13, 0, 32, s[6:7]
	v_ldexp_f32 v13, |v12|, v13
	v_log_f32_e32 v13, v13
	s_mov_b32 s8, 0x3f317217
	s_mov_b32 s9, 0x7f800000
	v_mul_f32_e32 v15, 0x3f317217, v13
	v_fma_f32 v16, v13, s8, -v15
	v_fmac_f32_e32 v16, 0x3377d1cf, v13
	v_add_f32_e32 v15, v15, v16
	v_cmp_lt_f32_e64 s[8:9], |v13|, s9
	v_cndmask_b32_e64 v13, v13, v15, s[8:9]
	v_mov_b32_e32 v15, 0x41b17218
	v_cndmask_b32_e64 v15, 0, v15, s[6:7]
	v_sub_f32_e32 v13, v13, v15
	v_fma_f32 v13, |v12|, v13, -|v12|
.LBB146_81:
	s_andn2_saveexec_b64 s[16:17], s[16:17]
	s_cbranch_execz .LBB146_83
; %bb.82:
	v_rcp_f32_e64 v15, |v12|
	v_mov_b32_e32 v13, 0x3a5b3dd2
	v_mov_b32_e32 v16, 0xba1c065c
	;; [unrolled: 1-line block ×3, first 2 shown]
	v_mul_f32_e32 v18, v15, v15
	v_fmac_f32_e32 v13, 0xbad5c4e8, v18
	v_fmac_f32_e32 v16, v18, v13
	s_mov_b32 s6, 0x800000
	v_fmac_f32_e32 v17, v18, v16
	v_mov_b32_e32 v13, 0xbb360b61
	v_cmp_lt_f32_e64 s[6:7], |v12|, s6
	v_fmac_f32_e32 v13, v18, v17
	v_cndmask_b32_e64 v17, 0, 32, s[6:7]
	v_ldexp_f32 v17, |v12|, v17
	v_log_f32_e32 v17, v17
	v_mov_b32_e32 v16, 0x3daaaaab
	v_fmac_f32_e32 v16, v18, v13
	v_mov_b32_e32 v13, 0x3ed67f1d
	v_fmac_f32_e32 v13, v15, v16
	s_mov_b32 s8, 0x3f317217
	v_mul_f32_e32 v16, 0x3f317217, v17
	v_fma_f32 v18, v17, s8, -v16
	v_fmac_f32_e32 v18, 0x3377d1cf, v17
	s_mov_b32 s8, 0x7f800000
	v_add_f32_e32 v16, v16, v18
	v_cmp_lt_f32_e64 s[8:9], |v17|, s8
	v_cndmask_b32_e64 v16, v17, v16, s[8:9]
	v_mov_b32_e32 v17, 0x41b17218
	v_cndmask_b32_e64 v17, 0, v17, s[6:7]
	v_sub_f32_e32 v16, v16, v17
	v_add_f32_e64 v15, |v12|, -0.5
	v_add_f32_e32 v16, -1.0, v16
	v_fmac_f32_e32 v13, v15, v16
.LBB146_83:
	s_or_b64 exec, exec, s[16:17]
.LBB146_84:
	s_andn2_saveexec_b64 s[14:15], s[14:15]
	s_cbranch_execz .LBB146_86
; %bb.85:
	v_cvt_i32_f32_e32 v13, v14
	v_mov_b32_e32 v15, 0x3af135b4
	v_mov_b32_e32 v16, 0x3cda40e4
	;; [unrolled: 1-line block ×3, first 2 shown]
	v_cvt_f32_i32_e32 v18, v13
	v_mov_b32_e32 v19, 0x3ea6cc7a
	v_mov_b32_e32 v20, 0x3e5c245a
	v_cmp_lt_i32_e64 s[6:7], 2, v13
	v_sub_f32_e64 v18, |v12|, v18
	v_fmac_f32_e32 v15, 0x3805ff67, v18
	v_fmac_f32_e32 v16, v18, v15
	;; [unrolled: 1-line block ×3, first 2 shown]
	v_mov_b32_e32 v16, 0x3a4beed6
	v_fmac_f32_e32 v19, v18, v17
	v_fmac_f32_e32 v16, 0x36f5d7bd, v18
	v_mov_b32_e32 v17, 0x3c98bf54
	v_fmac_f32_e32 v17, v18, v16
	v_mov_b32_e32 v16, 0x3e300f6e
	;; [unrolled: 2-line block ×4, first 2 shown]
	v_fmac_f32_e32 v16, v18, v17
	v_add_f32_e32 v17, 2.0, v18
	v_mov_b32_e32 v21, 0xbd9e233f
	v_fmac_f32_e32 v20, v18, v19
	v_add_f32_e32 v19, 0x40400000, v18
	v_cndmask_b32_e64 v17, 1.0, v17, s[6:7]
	v_cmp_lt_i32_e64 s[6:7], 3, v13
	v_fmac_f32_e32 v21, v18, v20
	v_add_f32_e32 v20, 4.0, v18
	v_cndmask_b32_e64 v19, 1.0, v19, s[6:7]
	v_cmp_lt_i32_e64 s[6:7], 4, v13
	v_mul_f32_e32 v15, v18, v21
	v_add_f32_e32 v21, 0x40a00000, v18
	v_mul_f32_e32 v17, v17, v19
	v_cndmask_b32_e64 v19, 1.0, v20, s[6:7]
	v_cmp_lt_i32_e64 s[6:7], 5, v13
	v_add_f32_e32 v22, 0x40c00000, v18
	v_mul_f32_e32 v17, v19, v17
	v_cndmask_b32_e64 v19, 1.0, v21, s[6:7]
	v_cmp_lt_i32_e64 s[6:7], 6, v13
	v_mul_f32_e32 v17, v19, v17
	v_cndmask_b32_e64 v13, 1.0, v22, s[6:7]
	v_mul_f32_e32 v13, v13, v17
	s_mov_b32 s6, 0x800000
	v_cmp_gt_f32_e64 s[6:7], s6, v13
	v_cndmask_b32_e64 v17, 0, 32, s[6:7]
	v_fma_f32 v16, v18, v16, 1.0
	v_ldexp_f32 v13, v13, v17
	v_rcp_f32_e32 v16, v16
	v_log_f32_e32 v13, v13
	s_mov_b32 s8, 0x3f317217
	v_mul_f32_e32 v15, v15, v16
	v_mul_f32_e32 v16, 0x3f317217, v13
	v_fma_f32 v17, v13, s8, -v16
	v_fmac_f32_e32 v17, 0x3377d1cf, v13
	s_mov_b32 s8, 0x7f800000
	v_add_f32_e32 v16, v16, v17
	v_cmp_lt_f32_e64 s[8:9], |v13|, s8
	v_cndmask_b32_e64 v13, v13, v16, s[8:9]
	v_mov_b32_e32 v16, 0x41b17218
	v_cndmask_b32_e64 v16, 0, v16, s[6:7]
	v_fmac_f32_e32 v15, 0.5, v18
	v_sub_f32_e32 v13, v13, v16
	v_add_f32_e32 v13, v13, v15
.LBB146_86:
	s_or_b64 exec, exec, s[14:15]
.LBB146_87:
	s_andn2_saveexec_b64 s[12:13], s[12:13]
	s_cbranch_execz .LBB146_105
; %bb.88:
	s_mov_b32 s6, 0x3f666666
	v_cmp_le_f32_e64 s[6:7], |v12|, s6
                                        ; implicit-def: $vgpr13
                                        ; implicit-def: $vgpr16
                                        ; implicit-def: $vgpr15
	s_and_saveexec_b64 s[8:9], s[6:7]
	s_xor_b64 s[14:15], exec, s[8:9]
	s_cbranch_execz .LBB146_90
; %bb.89:
	s_mov_b32 s6, 0x800000
	v_cmp_lt_f32_e64 s[6:7], |v12|, s6
	v_cndmask_b32_e64 v13, 0, 32, s[6:7]
	v_ldexp_f32 v13, |v12|, v13
	v_log_f32_e32 v13, v13
	s_mov_b32 s8, 0x3f317217
	s_mov_b32 s9, 0x7f800000
	v_mul_f32_e32 v15, 0x3f317217, v13
	v_fma_f32 v16, v13, s8, -v15
	v_fmac_f32_e32 v16, 0x3377d1cf, v13
	v_add_f32_e32 v15, v15, v16
	v_cmp_lt_f32_e64 s[8:9], |v13|, s9
	v_cndmask_b32_e64 v13, v13, v15, s[8:9]
	v_mov_b32_e32 v15, 0x41b17218
	v_cndmask_b32_e64 v15, 0, v15, s[6:7]
	s_mov_b32 s6, 0x3f3b4a23
	s_mov_b32 s7, 0xbeec5b0c
	v_sub_f32_e32 v13, v13, v15
	v_sub_f32_e64 v15, 1.0, |v12|
	v_add_f32_e64 v16, |v12|, s7
	v_cmp_lt_f32_e64 s[6:7], |v12|, s6
	v_cndmask_b32_e64 v15, v15, v16, s[6:7]
	v_cndmask_b32_e64 v16, 0, 1, s[6:7]
	s_mov_b32 s6, 0x3e6d3309
	v_cmp_lt_f32_e64 s[6:7], |v12|, s6
	v_xor_b32_e32 v13, 0x80000000, v13
	v_cndmask_b32_e64 v15, v15, |v12|, s[6:7]
	v_cndmask_b32_e64 v16, v16, 2, s[6:7]
.LBB146_90:
	s_andn2_saveexec_b64 s[8:9], s[14:15]
	s_cbranch_execz .LBB146_92
; %bb.91:
	s_mov_b32 s6, 0x3fdda512
	s_mov_b32 s7, 0xbfbb16c3
	v_sub_f32_e64 v13, 2.0, |v12|
	v_add_f32_e64 v15, |v12|, s7
	v_cmp_lt_f32_e64 s[6:7], |v12|, s6
	v_cndmask_b32_e64 v15, v13, v15, s[6:7]
	v_cndmask_b32_e64 v13, v13, 1.0, s[6:7]
	v_cvt_i32_f32_e32 v13, v13
	s_mov_b32 s6, 0x3f9d70a4
	v_add_f32_e64 v16, |v12|, -1.0
	v_cmp_lt_f32_e64 s[6:7], |v12|, s6
	v_cndmask_b32_e64 v15, v15, v16, s[6:7]
	v_cndmask_b32_e64 v16, v13, 2, s[6:7]
	v_mov_b32_e32 v13, 0
.LBB146_92:
	s_or_b64 exec, exec, s[8:9]
	v_cmp_lt_i32_e64 s[6:7], 0, v16
	s_and_saveexec_b64 s[8:9], s[6:7]
	s_xor_b64 s[8:9], exec, s[8:9]
	s_cbranch_execz .LBB146_100
; %bb.93:
	v_cmp_lt_i32_e64 s[6:7], 1, v16
	s_and_saveexec_b64 s[14:15], s[6:7]
	s_xor_b64 s[14:15], exec, s[14:15]
	s_cbranch_execz .LBB146_97
; %bb.94:
	v_cmp_eq_u32_e64 s[6:7], 2, v16
	s_and_saveexec_b64 s[16:17], s[6:7]
	s_cbranch_execz .LBB146_96
; %bb.95:
	v_mov_b32_e32 v16, 0x3e6a7578
	v_fmac_f32_e32 v16, 0x3c5b3c5e, v15
	v_mov_b32_e32 v17, 0x3f7a4bb2
	v_fmac_f32_e32 v17, v15, v16
	;; [unrolled: 2-line block ×8, first 2 shown]
	v_fma_f32 v16, v15, v18, 1.0
	v_rcp_f32_e32 v16, v16
	v_mov_b32_e32 v18, 0xbd9e233f
	v_fmac_f32_e32 v18, v15, v17
	v_mul_f32_e32 v17, v15, v18
	v_mul_f32_e32 v16, v17, v16
	v_fmac_f32_e32 v16, -0.5, v15
	v_add_f32_e32 v13, v13, v16
.LBB146_96:
	s_or_b64 exec, exec, s[16:17]
                                        ; implicit-def: $vgpr15
.LBB146_97:
	s_andn2_saveexec_b64 s[6:7], s[14:15]
	s_cbranch_execz .LBB146_99
; %bb.98:
	v_mul_f32_e32 v16, v15, v15
	v_mul_f32_e32 v17, v15, v16
	v_mov_b32_e32 v18, 0xbab7f476
	v_fmac_f32_e32 v18, 0x39a57b6b, v17
	v_mov_b32_e32 v19, 0x3bc7e707
	v_fmac_f32_e32 v19, v17, v18
	v_mov_b32_e32 v18, 0xbd064d47
	v_fmac_f32_e32 v18, v17, v19
	v_mov_b32_e32 v19, 0x3ef7b95e
	v_fmac_f32_e32 v19, v17, v18
	v_mov_b32_e32 v18, 0x3a66f867
	v_fmac_f32_e32 v18, 0xb9a3f927, v17
	v_mov_b32_e32 v20, 0xbb7177fe
	v_fmac_f32_e32 v20, v17, v18
	v_mov_b32_e32 v18, 0x3c93373d
	v_fmac_f32_e32 v18, v17, v20
	v_mov_b32_e32 v20, 0xbe17213c
	v_fmac_f32_e32 v20, v17, v18
	v_mov_b32_e32 v18, 0xba0d3085
	v_fmac_f32_e32 v18, 0x39afe9f7, v17
	v_mov_b32_e32 v21, 0x3b141699
	v_fmac_f32_e32 v21, v17, v18
	v_mov_b32_e32 v18, 0xbc28fcfe
	v_fmac_f32_e32 v18, v17, v21
	v_mov_b32_e32 v21, 0x3d845a15
	v_fmac_f32_e32 v21, v17, v18
	v_fmac_f32_e32 v20, v15, v21
	s_mov_b32 s14, 0xa2863e55
	v_fma_f32 v15, v17, -v20, s14
	v_fma_f32 v15, v16, v19, -v15
	v_add_f32_e32 v15, 0xbdf8cdce, v15
	v_add_f32_e32 v13, v13, v15
.LBB146_99:
	s_or_b64 exec, exec, s[6:7]
                                        ; implicit-def: $vgpr16
                                        ; implicit-def: $vgpr15
.LBB146_100:
	s_andn2_saveexec_b64 s[8:9], s[8:9]
	s_cbranch_execz .LBB146_104
; %bb.101:
	v_cmp_eq_u32_e64 s[6:7], 0, v16
	s_and_saveexec_b64 s[14:15], s[6:7]
	s_cbranch_execz .LBB146_103
; %bb.102:
	v_mul_f32_e32 v16, v15, v15
	v_mov_b32_e32 v17, 0x39679767
	v_fmac_f32_e32 v17, 0x37d383a2, v16
	v_mov_b32_e32 v18, 0x3a9c54a1
	v_fmac_f32_e32 v18, v16, v17
	v_mov_b32_e32 v17, 0x3bf2027e
	v_fmac_f32_e32 v17, v16, v18
	v_mov_b32_e32 v18, 0x3d89f001
	v_fmac_f32_e32 v18, v16, v17
	v_mov_b32_e32 v17, 0x3d9e233f
	v_fmac_f32_e32 v17, v16, v18
	v_mov_b32_e32 v18, 0x38e28445
	v_fmac_f32_e32 v18, 0x383c2c75, v16
	v_mov_b32_e32 v19, 0x3a05b634
	v_fmac_f32_e32 v19, v16, v18
	v_mov_b32_e32 v18, 0x3b3d6ec6
	v_fmac_f32_e32 v18, v16, v19
	v_mov_b32_e32 v19, 0x3ca89915
	v_fmac_f32_e32 v19, v16, v18
	v_mov_b32_e32 v18, 0x3ea51a66
	v_fmac_f32_e32 v18, v16, v19
	v_mul_f32_e32 v16, v16, v18
	v_fmac_f32_e32 v16, v15, v17
	v_fmac_f32_e32 v16, -0.5, v15
	v_add_f32_e32 v13, v13, v16
.LBB146_103:
	s_or_b64 exec, exec, s[14:15]
.LBB146_104:
	s_or_b64 exec, exec, s[8:9]
.LBB146_105:
	s_or_b64 exec, exec, s[12:13]
.LBB146_106:
	s_andn2_saveexec_b64 s[10:11], s[10:11]
	s_cbranch_execz .LBB146_108
; %bb.107:
	s_mov_b32 s6, 0x3e8a8991
	v_mov_b32_e32 v13, 0xbecd26ab
	v_fma_f32 v13, |v12|, s6, v13
	s_mov_b32 s6, 0x3f528d33
	v_fma_f32 v13, |v12|, v13, s6
	s_mov_b32 s6, 0x800000
	v_cmp_lt_f32_e64 s[6:7], |v12|, s6
	v_cndmask_b32_e64 v15, 0, 32, s[6:7]
	v_ldexp_f32 v15, |v12|, v15
	v_log_f32_e32 v15, v15
	s_mov_b32 s8, 0xbf13c468
	v_fma_f32 v13, |v12|, v13, s8
	s_mov_b32 s8, 0x3f317217
	v_mul_f32_e32 v16, 0x3f317217, v15
	v_fma_f32 v17, v15, s8, -v16
	v_fmac_f32_e32 v17, 0x3377d1cf, v15
	s_mov_b32 s8, 0x7f800000
	v_add_f32_e32 v16, v16, v17
	v_cmp_lt_f32_e64 s[8:9], |v15|, s8
	v_cndmask_b32_e64 v15, v15, v16, s[8:9]
	v_mov_b32_e32 v16, 0x41b17218
	v_cndmask_b32_e64 v16, 0, v16, s[6:7]
	v_sub_f32_e32 v15, v15, v16
	v_fma_f32 v13, |v12|, v13, -v15
.LBB146_108:
	s_or_b64 exec, exec, s[10:11]
	v_cmp_le_f16_e64 s[6:7], 0, v3
	v_cmp_nle_f16_e64 s[8:9], 0, v3
	s_and_saveexec_b64 s[10:11], s[8:9]
	s_xor_b64 s[12:13], exec, s[10:11]
	s_cbranch_execz .LBB146_112
; %bb.109:
	s_mov_b32 s8, 0x4b000000
	s_mov_b32 s10, 0x35000000
	v_cmp_lt_f32_e64 s[8:9], |v12|, s8
	v_cmp_gt_f32_e64 s[10:11], |v12|, s10
	s_and_b64 s[8:9], s[8:9], s[10:11]
	s_and_saveexec_b64 s[14:15], s[8:9]
	s_cbranch_execz .LBB146_111
; %bb.110:
	v_mul_f32_e64 v15, |v12|, 0.5
	v_floor_f32_e32 v16, v15
	v_sub_f32_e32 v16, v15, v16
	v_min_f32_e32 v16, 0x3f7fffff, v16
	s_mov_b32 s10, 0x7f800000
	v_add_f32_e32 v16, v16, v16
	v_cmp_neq_f32_e64 s[8:9], s10, v15
	v_cndmask_b32_e64 v15, 0, v16, s[8:9]
	v_cmp_gt_f32_e64 s[8:9], |v12|, 1.0
	v_cndmask_b32_e64 v15, |v12|, v15, s[8:9]
	v_add_f32_e32 v16, v15, v15
	v_rndne_f32_e32 v16, v16
	v_fmac_f32_e32 v15, -0.5, v16
	v_mul_f32_e32 v17, v15, v15
	v_mov_b32_e32 v18, 0xbf1f24be
	v_fmac_f32_e32 v18, 0x3e75aa41, v17
	v_mov_b32_e32 v19, 0x40234736
	v_fmac_f32_e32 v19, v17, v18
	;; [unrolled: 2-line block ×3, first 2 shown]
	v_mul_f32_e32 v19, v15, v17
	v_mul_f32_e32 v18, v19, v18
	v_fmac_f32_e32 v18, 0x40490fdb, v15
	v_mov_b32_e32 v15, 0x3e642e9d
	v_cvt_i32_f32_e32 v16, v16
	v_fmac_f32_e32 v15, 0x3d4be544, v17
	v_mov_b32_e32 v19, 0xbfaad1da
	v_fmac_f32_e32 v19, v17, v15
	v_mov_b32_e32 v15, 0x4081e0d3
	;; [unrolled: 2-line block ×3, first 2 shown]
	v_fmac_f32_e32 v19, v17, v15
	v_fma_f32 v15, v17, v19, 1.0
	v_and_b32_e32 v17, 1, v16
	v_lshlrev_b32_e32 v16, 30, v16
	v_cmp_eq_u32_e64 s[8:9], 0, v17
	v_and_b32_e32 v16, 0x80000000, v16
	v_xor_b32_e32 v14, v14, v12
	v_cndmask_b32_e64 v15, v15, v18, s[8:9]
	v_xor_b32_e32 v14, v14, v16
	v_xor_b32_e32 v14, v14, v15
	v_mul_f32_e32 v14, v12, v14
	v_frexp_mant_f32_e64 v15, |v14|
	v_rcp_f32_e32 v15, v15
	v_frexp_exp_i32_f32_e32 v14, v14
	v_sub_u32_e32 v14, 2, v14
	s_mov_b32 s8, 0x800000
	v_mul_f32_e32 v15, 0x3f490fdb, v15
	v_ldexp_f32 v14, v15, v14
	v_cmp_gt_f32_e64 s[8:9], s8, v14
	v_cndmask_b32_e64 v15, 0, 32, s[8:9]
	v_ldexp_f32 v14, v14, v15
	v_log_f32_e32 v14, v14
	s_mov_b32 s11, 0x3f317217
	v_mul_f32_e32 v15, 0x3f317217, v14
	v_fma_f32 v16, v14, s11, -v15
	v_fmac_f32_e32 v16, 0x3377d1cf, v14
	v_add_f32_e32 v15, v15, v16
	v_cmp_lt_f32_e64 s[10:11], |v14|, s10
	v_cndmask_b32_e64 v14, v14, v15, s[10:11]
	v_mov_b32_e32 v15, 0x41b17218
	v_cndmask_b32_e64 v15, 0, v15, s[8:9]
	v_sub_f32_e32 v14, v14, v15
	v_sub_f32_e32 v13, v14, v13
	v_floor_f32_e32 v14, v12
	v_sub_f32_e32 v14, v12, v14
	v_min_f32_e32 v14, 0x3f7fffff, v14
	v_mov_b32_e32 v15, 0x7f800000
	v_cmp_neq_f32_e64 s[8:9], 0, v14
	v_cndmask_b32_e64 v13, v15, v13, s[8:9]
.LBB146_111:
	s_or_b64 exec, exec, s[14:15]
.LBB146_112:
	s_andn2_saveexec_b64 s[12:13], s[12:13]
; %bb.113:
	v_cmp_eq_f16_e64 s[8:9], 1.0, v3
	v_cmp_eq_f16_e64 s[10:11], 2.0, v3
	s_or_b64 s[8:9], s[8:9], s[10:11]
	v_cndmask_b32_e64 v13, v13, 0, s[8:9]
; %bb.114:
	s_or_b64 exec, exec, s[12:13]
	v_lshrrev_b32_e32 v14, 16, v3
	v_cvt_f32_f16_e32 v15, v14
	s_mov_b32 s8, 0x3c800000
                                        ; implicit-def: $vgpr16
	v_and_b32_e32 v17, 0x7fffffff, v15
	v_cmp_nlt_f32_e64 s[8:9], |v15|, s8
	s_and_saveexec_b64 s[10:11], s[8:9]
	s_xor_b64 s[12:13], exec, s[10:11]
	s_cbranch_execz .LBB146_144
; %bb.115:
	v_cmp_nlt_f32_e64 s[8:9], |v15|, 2.0
                                        ; implicit-def: $vgpr16
	s_and_saveexec_b64 s[10:11], s[8:9]
	s_xor_b64 s[14:15], exec, s[10:11]
	s_cbranch_execz .LBB146_125
; %bb.116:
	s_mov_b32 s8, 0x41000000
	v_cmp_nlt_f32_e64 s[8:9], |v15|, s8
                                        ; implicit-def: $vgpr16
	s_and_saveexec_b64 s[10:11], s[8:9]
	s_xor_b64 s[16:17], exec, s[10:11]
	s_cbranch_execz .LBB146_122
; %bb.117:
	s_mov_b32 s8, 0x5c800000
	v_cmp_nlt_f32_e64 s[8:9], |v15|, s8
                                        ; implicit-def: $vgpr16
	s_and_saveexec_b64 s[10:11], s[8:9]
	s_xor_b64 s[18:19], exec, s[10:11]
	s_cbranch_execz .LBB146_119
; %bb.118:
	s_mov_b32 s8, 0x800000
	v_cmp_lt_f32_e64 s[8:9], |v15|, s8
	v_cndmask_b32_e64 v16, 0, 32, s[8:9]
	v_ldexp_f32 v16, |v15|, v16
	v_log_f32_e32 v16, v16
	s_mov_b32 s10, 0x3f317217
	s_mov_b32 s11, 0x7f800000
	v_mul_f32_e32 v18, 0x3f317217, v16
	v_fma_f32 v19, v16, s10, -v18
	v_fmac_f32_e32 v19, 0x3377d1cf, v16
	v_add_f32_e32 v18, v18, v19
	v_cmp_lt_f32_e64 s[10:11], |v16|, s11
	v_cndmask_b32_e64 v16, v16, v18, s[10:11]
	v_mov_b32_e32 v18, 0x41b17218
	v_cndmask_b32_e64 v18, 0, v18, s[8:9]
	v_sub_f32_e32 v16, v16, v18
	v_fma_f32 v16, |v15|, v16, -|v15|
.LBB146_119:
	s_andn2_saveexec_b64 s[18:19], s[18:19]
	s_cbranch_execz .LBB146_121
; %bb.120:
	v_rcp_f32_e64 v18, |v15|
	v_mov_b32_e32 v16, 0x3a5b3dd2
	v_mov_b32_e32 v19, 0xba1c065c
	;; [unrolled: 1-line block ×3, first 2 shown]
	v_mul_f32_e32 v21, v18, v18
	v_fmac_f32_e32 v16, 0xbad5c4e8, v21
	v_fmac_f32_e32 v19, v21, v16
	s_mov_b32 s8, 0x800000
	v_fmac_f32_e32 v20, v21, v19
	v_mov_b32_e32 v16, 0xbb360b61
	v_cmp_lt_f32_e64 s[8:9], |v15|, s8
	v_fmac_f32_e32 v16, v21, v20
	v_cndmask_b32_e64 v20, 0, 32, s[8:9]
	v_ldexp_f32 v20, |v15|, v20
	v_log_f32_e32 v20, v20
	v_mov_b32_e32 v19, 0x3daaaaab
	v_fmac_f32_e32 v19, v21, v16
	v_mov_b32_e32 v16, 0x3ed67f1d
	v_fmac_f32_e32 v16, v18, v19
	s_mov_b32 s10, 0x3f317217
	v_mul_f32_e32 v19, 0x3f317217, v20
	v_fma_f32 v21, v20, s10, -v19
	v_fmac_f32_e32 v21, 0x3377d1cf, v20
	s_mov_b32 s10, 0x7f800000
	v_add_f32_e32 v19, v19, v21
	v_cmp_lt_f32_e64 s[10:11], |v20|, s10
	v_cndmask_b32_e64 v19, v20, v19, s[10:11]
	v_mov_b32_e32 v20, 0x41b17218
	v_cndmask_b32_e64 v20, 0, v20, s[8:9]
	v_sub_f32_e32 v19, v19, v20
	v_add_f32_e64 v18, |v15|, -0.5
	v_add_f32_e32 v19, -1.0, v19
	v_fmac_f32_e32 v16, v18, v19
.LBB146_121:
	s_or_b64 exec, exec, s[18:19]
.LBB146_122:
	s_andn2_saveexec_b64 s[16:17], s[16:17]
	s_cbranch_execz .LBB146_124
; %bb.123:
	v_cvt_i32_f32_e32 v16, v17
	v_mov_b32_e32 v18, 0x3af135b4
	v_mov_b32_e32 v19, 0x3cda40e4
	;; [unrolled: 1-line block ×3, first 2 shown]
	v_cvt_f32_i32_e32 v21, v16
	v_mov_b32_e32 v22, 0x3ea6cc7a
	v_mov_b32_e32 v23, 0x3e5c245a
	v_cmp_lt_i32_e64 s[8:9], 2, v16
	v_sub_f32_e64 v21, |v15|, v21
	v_fmac_f32_e32 v18, 0x3805ff67, v21
	v_fmac_f32_e32 v19, v21, v18
	;; [unrolled: 1-line block ×3, first 2 shown]
	v_mov_b32_e32 v19, 0x3a4beed6
	v_fmac_f32_e32 v22, v21, v20
	v_fmac_f32_e32 v19, 0x36f5d7bd, v21
	v_mov_b32_e32 v20, 0x3c98bf54
	v_fmac_f32_e32 v20, v21, v19
	v_mov_b32_e32 v19, 0x3e300f6e
	;; [unrolled: 2-line block ×4, first 2 shown]
	v_fmac_f32_e32 v19, v21, v20
	v_add_f32_e32 v20, 2.0, v21
	v_mov_b32_e32 v24, 0xbd9e233f
	v_fmac_f32_e32 v23, v21, v22
	v_add_f32_e32 v22, 0x40400000, v21
	v_cndmask_b32_e64 v20, 1.0, v20, s[8:9]
	v_cmp_lt_i32_e64 s[8:9], 3, v16
	v_fmac_f32_e32 v24, v21, v23
	v_add_f32_e32 v23, 4.0, v21
	v_cndmask_b32_e64 v22, 1.0, v22, s[8:9]
	v_cmp_lt_i32_e64 s[8:9], 4, v16
	v_mul_f32_e32 v18, v21, v24
	v_add_f32_e32 v24, 0x40a00000, v21
	v_mul_f32_e32 v20, v20, v22
	v_cndmask_b32_e64 v22, 1.0, v23, s[8:9]
	v_cmp_lt_i32_e64 s[8:9], 5, v16
	v_add_f32_e32 v25, 0x40c00000, v21
	v_mul_f32_e32 v20, v22, v20
	v_cndmask_b32_e64 v22, 1.0, v24, s[8:9]
	v_cmp_lt_i32_e64 s[8:9], 6, v16
	v_mul_f32_e32 v20, v22, v20
	v_cndmask_b32_e64 v16, 1.0, v25, s[8:9]
	v_mul_f32_e32 v16, v16, v20
	s_mov_b32 s8, 0x800000
	v_cmp_gt_f32_e64 s[8:9], s8, v16
	v_cndmask_b32_e64 v20, 0, 32, s[8:9]
	v_fma_f32 v19, v21, v19, 1.0
	v_ldexp_f32 v16, v16, v20
	v_rcp_f32_e32 v19, v19
	v_log_f32_e32 v16, v16
	s_mov_b32 s10, 0x3f317217
	v_mul_f32_e32 v18, v18, v19
	v_mul_f32_e32 v19, 0x3f317217, v16
	v_fma_f32 v20, v16, s10, -v19
	v_fmac_f32_e32 v20, 0x3377d1cf, v16
	s_mov_b32 s10, 0x7f800000
	v_add_f32_e32 v19, v19, v20
	v_cmp_lt_f32_e64 s[10:11], |v16|, s10
	v_cndmask_b32_e64 v16, v16, v19, s[10:11]
	v_mov_b32_e32 v19, 0x41b17218
	v_cndmask_b32_e64 v19, 0, v19, s[8:9]
	v_fmac_f32_e32 v18, 0.5, v21
	v_sub_f32_e32 v16, v16, v19
	v_add_f32_e32 v16, v16, v18
.LBB146_124:
	s_or_b64 exec, exec, s[16:17]
.LBB146_125:
	s_andn2_saveexec_b64 s[14:15], s[14:15]
	s_cbranch_execz .LBB146_143
; %bb.126:
	s_mov_b32 s8, 0x3f666666
	v_cmp_le_f32_e64 s[8:9], |v15|, s8
                                        ; implicit-def: $vgpr16
                                        ; implicit-def: $vgpr19
                                        ; implicit-def: $vgpr18
	s_and_saveexec_b64 s[10:11], s[8:9]
	s_xor_b64 s[16:17], exec, s[10:11]
	s_cbranch_execz .LBB146_128
; %bb.127:
	s_mov_b32 s8, 0x800000
	v_cmp_lt_f32_e64 s[8:9], |v15|, s8
	v_cndmask_b32_e64 v16, 0, 32, s[8:9]
	v_ldexp_f32 v16, |v15|, v16
	v_log_f32_e32 v16, v16
	s_mov_b32 s10, 0x3f317217
	s_mov_b32 s11, 0x7f800000
	v_mul_f32_e32 v18, 0x3f317217, v16
	v_fma_f32 v19, v16, s10, -v18
	v_fmac_f32_e32 v19, 0x3377d1cf, v16
	v_add_f32_e32 v18, v18, v19
	v_cmp_lt_f32_e64 s[10:11], |v16|, s11
	v_cndmask_b32_e64 v16, v16, v18, s[10:11]
	v_mov_b32_e32 v18, 0x41b17218
	v_cndmask_b32_e64 v18, 0, v18, s[8:9]
	s_mov_b32 s8, 0x3f3b4a23
	s_mov_b32 s9, 0xbeec5b0c
	v_sub_f32_e32 v16, v16, v18
	v_sub_f32_e64 v18, 1.0, |v15|
	v_add_f32_e64 v19, |v15|, s9
	v_cmp_lt_f32_e64 s[8:9], |v15|, s8
	v_cndmask_b32_e64 v18, v18, v19, s[8:9]
	v_cndmask_b32_e64 v19, 0, 1, s[8:9]
	s_mov_b32 s8, 0x3e6d3309
	v_cmp_lt_f32_e64 s[8:9], |v15|, s8
	v_xor_b32_e32 v16, 0x80000000, v16
	v_cndmask_b32_e64 v18, v18, |v15|, s[8:9]
	v_cndmask_b32_e64 v19, v19, 2, s[8:9]
.LBB146_128:
	s_andn2_saveexec_b64 s[10:11], s[16:17]
	s_cbranch_execz .LBB146_130
; %bb.129:
	s_mov_b32 s8, 0x3fdda512
	s_mov_b32 s9, 0xbfbb16c3
	v_sub_f32_e64 v16, 2.0, |v15|
	v_add_f32_e64 v18, |v15|, s9
	v_cmp_lt_f32_e64 s[8:9], |v15|, s8
	v_cndmask_b32_e64 v18, v16, v18, s[8:9]
	v_cndmask_b32_e64 v16, v16, 1.0, s[8:9]
	v_cvt_i32_f32_e32 v16, v16
	s_mov_b32 s8, 0x3f9d70a4
	v_add_f32_e64 v19, |v15|, -1.0
	v_cmp_lt_f32_e64 s[8:9], |v15|, s8
	v_cndmask_b32_e64 v18, v18, v19, s[8:9]
	v_cndmask_b32_e64 v19, v16, 2, s[8:9]
	v_mov_b32_e32 v16, 0
.LBB146_130:
	s_or_b64 exec, exec, s[10:11]
	v_cmp_lt_i32_e64 s[8:9], 0, v19
	s_and_saveexec_b64 s[10:11], s[8:9]
	s_xor_b64 s[10:11], exec, s[10:11]
	s_cbranch_execz .LBB146_138
; %bb.131:
	v_cmp_lt_i32_e64 s[8:9], 1, v19
	s_and_saveexec_b64 s[16:17], s[8:9]
	s_xor_b64 s[16:17], exec, s[16:17]
	s_cbranch_execz .LBB146_135
; %bb.132:
	v_cmp_eq_u32_e64 s[8:9], 2, v19
	s_and_saveexec_b64 s[18:19], s[8:9]
	s_cbranch_execz .LBB146_134
; %bb.133:
	v_mov_b32_e32 v19, 0x3e6a7578
	v_fmac_f32_e32 v19, 0x3c5b3c5e, v18
	v_mov_b32_e32 v20, 0x3f7a4bb2
	v_fmac_f32_e32 v20, v18, v19
	;; [unrolled: 2-line block ×8, first 2 shown]
	v_fma_f32 v19, v18, v21, 1.0
	v_rcp_f32_e32 v19, v19
	v_mov_b32_e32 v21, 0xbd9e233f
	v_fmac_f32_e32 v21, v18, v20
	v_mul_f32_e32 v20, v18, v21
	v_mul_f32_e32 v19, v20, v19
	v_fmac_f32_e32 v19, -0.5, v18
	v_add_f32_e32 v16, v16, v19
.LBB146_134:
	s_or_b64 exec, exec, s[18:19]
                                        ; implicit-def: $vgpr18
.LBB146_135:
	s_andn2_saveexec_b64 s[8:9], s[16:17]
	s_cbranch_execz .LBB146_137
; %bb.136:
	v_mul_f32_e32 v19, v18, v18
	v_mul_f32_e32 v20, v18, v19
	v_mov_b32_e32 v21, 0xbab7f476
	v_fmac_f32_e32 v21, 0x39a57b6b, v20
	v_mov_b32_e32 v22, 0x3bc7e707
	v_fmac_f32_e32 v22, v20, v21
	;; [unrolled: 2-line block ×12, first 2 shown]
	v_fmac_f32_e32 v23, v18, v24
	s_mov_b32 s16, 0xa2863e55
	v_fma_f32 v18, v20, -v23, s16
	v_fma_f32 v18, v19, v22, -v18
	v_add_f32_e32 v18, 0xbdf8cdce, v18
	v_add_f32_e32 v16, v16, v18
.LBB146_137:
	s_or_b64 exec, exec, s[8:9]
                                        ; implicit-def: $vgpr19
                                        ; implicit-def: $vgpr18
.LBB146_138:
	s_andn2_saveexec_b64 s[10:11], s[10:11]
	s_cbranch_execz .LBB146_142
; %bb.139:
	v_cmp_eq_u32_e64 s[8:9], 0, v19
	s_and_saveexec_b64 s[16:17], s[8:9]
	s_cbranch_execz .LBB146_141
; %bb.140:
	v_mul_f32_e32 v19, v18, v18
	v_mov_b32_e32 v20, 0x39679767
	v_fmac_f32_e32 v20, 0x37d383a2, v19
	v_mov_b32_e32 v21, 0x3a9c54a1
	v_fmac_f32_e32 v21, v19, v20
	;; [unrolled: 2-line block ×10, first 2 shown]
	v_mul_f32_e32 v19, v19, v21
	v_fmac_f32_e32 v19, v18, v20
	v_fmac_f32_e32 v19, -0.5, v18
	v_add_f32_e32 v16, v16, v19
.LBB146_141:
	s_or_b64 exec, exec, s[16:17]
.LBB146_142:
	s_or_b64 exec, exec, s[10:11]
.LBB146_143:
	s_or_b64 exec, exec, s[14:15]
.LBB146_144:
	s_andn2_saveexec_b64 s[12:13], s[12:13]
	s_cbranch_execz .LBB146_146
; %bb.145:
	s_mov_b32 s8, 0x3e8a8991
	v_mov_b32_e32 v16, 0xbecd26ab
	v_fma_f32 v16, |v15|, s8, v16
	s_mov_b32 s8, 0x3f528d33
	v_fma_f32 v16, |v15|, v16, s8
	s_mov_b32 s8, 0x800000
	v_cmp_lt_f32_e64 s[8:9], |v15|, s8
	v_cndmask_b32_e64 v18, 0, 32, s[8:9]
	v_ldexp_f32 v18, |v15|, v18
	v_log_f32_e32 v18, v18
	s_mov_b32 s10, 0xbf13c468
	v_fma_f32 v16, |v15|, v16, s10
	s_mov_b32 s10, 0x3f317217
	v_mul_f32_e32 v19, 0x3f317217, v18
	v_fma_f32 v20, v18, s10, -v19
	v_fmac_f32_e32 v20, 0x3377d1cf, v18
	s_mov_b32 s10, 0x7f800000
	v_add_f32_e32 v19, v19, v20
	v_cmp_lt_f32_e64 s[10:11], |v18|, s10
	v_cndmask_b32_e64 v18, v18, v19, s[10:11]
	v_mov_b32_e32 v19, 0x41b17218
	v_cndmask_b32_e64 v19, 0, v19, s[8:9]
	v_sub_f32_e32 v18, v18, v19
	v_fma_f32 v16, |v15|, v16, -v18
.LBB146_146:
	s_or_b64 exec, exec, s[12:13]
	v_cmp_le_f16_e64 s[8:9], 0, v14
	v_cmp_nle_f16_e64 s[10:11], 0, v14
	s_and_saveexec_b64 s[12:13], s[10:11]
	s_xor_b64 s[14:15], exec, s[12:13]
	s_cbranch_execz .LBB146_150
; %bb.147:
	s_mov_b32 s10, 0x4b000000
	s_mov_b32 s12, 0x35000000
	v_cmp_lt_f32_e64 s[10:11], |v15|, s10
	v_cmp_gt_f32_e64 s[12:13], |v15|, s12
	s_and_b64 s[10:11], s[10:11], s[12:13]
	s_and_saveexec_b64 s[16:17], s[10:11]
	s_cbranch_execz .LBB146_149
; %bb.148:
	v_mul_f32_e64 v18, |v15|, 0.5
	v_floor_f32_e32 v19, v18
	v_sub_f32_e32 v19, v18, v19
	v_min_f32_e32 v19, 0x3f7fffff, v19
	s_mov_b32 s12, 0x7f800000
	v_add_f32_e32 v19, v19, v19
	v_cmp_neq_f32_e64 s[10:11], s12, v18
	v_cndmask_b32_e64 v18, 0, v19, s[10:11]
	v_cmp_gt_f32_e64 s[10:11], |v15|, 1.0
	v_cndmask_b32_e64 v18, |v15|, v18, s[10:11]
	v_add_f32_e32 v19, v18, v18
	v_rndne_f32_e32 v19, v19
	v_fmac_f32_e32 v18, -0.5, v19
	v_mul_f32_e32 v20, v18, v18
	v_mov_b32_e32 v21, 0xbf1f24be
	v_fmac_f32_e32 v21, 0x3e75aa41, v20
	v_mov_b32_e32 v22, 0x40234736
	v_fmac_f32_e32 v22, v20, v21
	;; [unrolled: 2-line block ×3, first 2 shown]
	v_mul_f32_e32 v22, v18, v20
	v_mul_f32_e32 v21, v22, v21
	v_fmac_f32_e32 v21, 0x40490fdb, v18
	v_mov_b32_e32 v18, 0x3e642e9d
	v_cvt_i32_f32_e32 v19, v19
	v_fmac_f32_e32 v18, 0x3d4be544, v20
	v_mov_b32_e32 v22, 0xbfaad1da
	v_fmac_f32_e32 v22, v20, v18
	v_mov_b32_e32 v18, 0x4081e0d3
	;; [unrolled: 2-line block ×3, first 2 shown]
	v_fmac_f32_e32 v22, v20, v18
	v_fma_f32 v18, v20, v22, 1.0
	v_and_b32_e32 v20, 1, v19
	v_lshlrev_b32_e32 v19, 30, v19
	v_cmp_eq_u32_e64 s[10:11], 0, v20
	v_and_b32_e32 v19, 0x80000000, v19
	v_xor_b32_e32 v17, v17, v15
	v_cndmask_b32_e64 v18, v18, v21, s[10:11]
	v_xor_b32_e32 v17, v17, v19
	v_xor_b32_e32 v17, v17, v18
	v_mul_f32_e32 v17, v15, v17
	v_frexp_mant_f32_e64 v18, |v17|
	v_rcp_f32_e32 v18, v18
	v_frexp_exp_i32_f32_e32 v17, v17
	v_sub_u32_e32 v17, 2, v17
	s_mov_b32 s10, 0x800000
	v_mul_f32_e32 v18, 0x3f490fdb, v18
	v_ldexp_f32 v17, v18, v17
	v_cmp_gt_f32_e64 s[10:11], s10, v17
	v_cndmask_b32_e64 v18, 0, 32, s[10:11]
	v_ldexp_f32 v17, v17, v18
	v_log_f32_e32 v17, v17
	s_mov_b32 s13, 0x3f317217
	v_mul_f32_e32 v18, 0x3f317217, v17
	v_fma_f32 v19, v17, s13, -v18
	v_fmac_f32_e32 v19, 0x3377d1cf, v17
	v_add_f32_e32 v18, v18, v19
	v_cmp_lt_f32_e64 s[12:13], |v17|, s12
	v_cndmask_b32_e64 v17, v17, v18, s[12:13]
	v_mov_b32_e32 v18, 0x41b17218
	v_cndmask_b32_e64 v18, 0, v18, s[10:11]
	v_sub_f32_e32 v17, v17, v18
	v_sub_f32_e32 v16, v17, v16
	v_floor_f32_e32 v17, v15
	v_sub_f32_e32 v17, v15, v17
	v_min_f32_e32 v17, 0x3f7fffff, v17
	v_mov_b32_e32 v18, 0x7f800000
	v_cmp_neq_f32_e64 s[10:11], 0, v17
	v_cndmask_b32_e64 v16, v18, v16, s[10:11]
.LBB146_149:
	s_or_b64 exec, exec, s[16:17]
.LBB146_150:
	s_andn2_saveexec_b64 s[14:15], s[14:15]
; %bb.151:
	v_cmp_eq_f16_e64 s[10:11], 1.0, v14
	v_cmp_eq_f16_e64 s[12:13], 2.0, v14
	s_or_b64 s[10:11], s[10:11], s[12:13]
	v_cndmask_b32_e64 v16, v16, 0, s[10:11]
; %bb.152:
	s_or_b64 exec, exec, s[14:15]
	v_cvt_f32_f16_e32 v17, v4
	s_mov_b32 s10, 0x3c800000
                                        ; implicit-def: $vgpr18
	v_and_b32_e32 v19, 0x7fffffff, v17
	v_cmp_nlt_f32_e64 s[10:11], |v17|, s10
	s_and_saveexec_b64 s[12:13], s[10:11]
	s_xor_b64 s[14:15], exec, s[12:13]
	s_cbranch_execz .LBB146_182
; %bb.153:
	v_cmp_nlt_f32_e64 s[10:11], |v17|, 2.0
                                        ; implicit-def: $vgpr18
	s_and_saveexec_b64 s[12:13], s[10:11]
	s_xor_b64 s[16:17], exec, s[12:13]
	s_cbranch_execz .LBB146_163
; %bb.154:
	s_mov_b32 s10, 0x41000000
	v_cmp_nlt_f32_e64 s[10:11], |v17|, s10
                                        ; implicit-def: $vgpr18
	s_and_saveexec_b64 s[12:13], s[10:11]
	s_xor_b64 s[18:19], exec, s[12:13]
	s_cbranch_execz .LBB146_160
; %bb.155:
	s_mov_b32 s10, 0x5c800000
	v_cmp_nlt_f32_e64 s[10:11], |v17|, s10
                                        ; implicit-def: $vgpr18
	s_and_saveexec_b64 s[12:13], s[10:11]
	s_xor_b64 s[20:21], exec, s[12:13]
	s_cbranch_execz .LBB146_157
; %bb.156:
	s_mov_b32 s10, 0x800000
	v_cmp_lt_f32_e64 s[10:11], |v17|, s10
	v_cndmask_b32_e64 v18, 0, 32, s[10:11]
	v_ldexp_f32 v18, |v17|, v18
	v_log_f32_e32 v18, v18
	s_mov_b32 s12, 0x3f317217
	s_mov_b32 s13, 0x7f800000
	v_mul_f32_e32 v20, 0x3f317217, v18
	v_fma_f32 v21, v18, s12, -v20
	v_fmac_f32_e32 v21, 0x3377d1cf, v18
	v_add_f32_e32 v20, v20, v21
	v_cmp_lt_f32_e64 s[12:13], |v18|, s13
	v_cndmask_b32_e64 v18, v18, v20, s[12:13]
	v_mov_b32_e32 v20, 0x41b17218
	v_cndmask_b32_e64 v20, 0, v20, s[10:11]
	v_sub_f32_e32 v18, v18, v20
	v_fma_f32 v18, |v17|, v18, -|v17|
.LBB146_157:
	s_andn2_saveexec_b64 s[20:21], s[20:21]
	s_cbranch_execz .LBB146_159
; %bb.158:
	v_rcp_f32_e64 v20, |v17|
	v_mov_b32_e32 v18, 0x3a5b3dd2
	v_mov_b32_e32 v21, 0xba1c065c
	;; [unrolled: 1-line block ×3, first 2 shown]
	v_mul_f32_e32 v23, v20, v20
	v_fmac_f32_e32 v18, 0xbad5c4e8, v23
	v_fmac_f32_e32 v21, v23, v18
	s_mov_b32 s10, 0x800000
	v_fmac_f32_e32 v22, v23, v21
	v_mov_b32_e32 v18, 0xbb360b61
	v_cmp_lt_f32_e64 s[10:11], |v17|, s10
	v_fmac_f32_e32 v18, v23, v22
	v_cndmask_b32_e64 v22, 0, 32, s[10:11]
	v_ldexp_f32 v22, |v17|, v22
	v_log_f32_e32 v22, v22
	v_mov_b32_e32 v21, 0x3daaaaab
	v_fmac_f32_e32 v21, v23, v18
	v_mov_b32_e32 v18, 0x3ed67f1d
	v_fmac_f32_e32 v18, v20, v21
	s_mov_b32 s12, 0x3f317217
	v_mul_f32_e32 v21, 0x3f317217, v22
	v_fma_f32 v23, v22, s12, -v21
	v_fmac_f32_e32 v23, 0x3377d1cf, v22
	s_mov_b32 s12, 0x7f800000
	v_add_f32_e32 v21, v21, v23
	v_cmp_lt_f32_e64 s[12:13], |v22|, s12
	v_cndmask_b32_e64 v21, v22, v21, s[12:13]
	v_mov_b32_e32 v22, 0x41b17218
	v_cndmask_b32_e64 v22, 0, v22, s[10:11]
	v_sub_f32_e32 v21, v21, v22
	v_add_f32_e64 v20, |v17|, -0.5
	v_add_f32_e32 v21, -1.0, v21
	v_fmac_f32_e32 v18, v20, v21
.LBB146_159:
	s_or_b64 exec, exec, s[20:21]
.LBB146_160:
	s_andn2_saveexec_b64 s[18:19], s[18:19]
	s_cbranch_execz .LBB146_162
; %bb.161:
	v_cvt_i32_f32_e32 v18, v19
	v_mov_b32_e32 v21, 0x3af135b4
	v_mov_b32_e32 v22, 0x3cda40e4
	;; [unrolled: 1-line block ×3, first 2 shown]
	v_cvt_f32_i32_e32 v20, v18
	v_cmp_lt_i32_e64 s[10:11], 2, v18
	s_mov_b32 s12, 0x3f317217
	v_sub_f32_e64 v20, |v17|, v20
	v_fmac_f32_e32 v21, 0x3805ff67, v20
	v_fmac_f32_e32 v22, v20, v21
	v_mov_b32_e32 v21, 0x3e15dce6
	v_fmac_f32_e32 v21, v20, v22
	v_mov_b32_e32 v22, 0x3ea6cc7a
	;; [unrolled: 2-line block ×4, first 2 shown]
	v_fmac_f32_e32 v22, v20, v21
	v_mul_f32_e32 v21, v20, v22
	v_mov_b32_e32 v22, 0x3a4beed6
	v_fmac_f32_e32 v22, 0x36f5d7bd, v20
	v_fmac_f32_e32 v23, v20, v22
	v_mov_b32_e32 v22, 0x3e300f6e
	v_fmac_f32_e32 v22, v20, v23
	v_mov_b32_e32 v23, 0x3f38d0c5
	;; [unrolled: 2-line block ×3, first 2 shown]
	v_fmac_f32_e32 v22, v20, v23
	v_fma_f32 v22, v20, v22, 1.0
	v_rcp_f32_e32 v22, v22
	v_add_f32_e32 v23, 0x40400000, v20
	v_add_f32_e32 v24, 4.0, v20
	v_add_f32_e32 v25, 0x40a00000, v20
	v_mul_f32_e32 v21, v21, v22
	v_add_f32_e32 v22, 2.0, v20
	v_cndmask_b32_e64 v22, 1.0, v22, s[10:11]
	v_cmp_lt_i32_e64 s[10:11], 3, v18
	v_cndmask_b32_e64 v23, 1.0, v23, s[10:11]
	v_cmp_lt_i32_e64 s[10:11], 4, v18
	v_mul_f32_e32 v22, v22, v23
	v_cndmask_b32_e64 v23, 1.0, v24, s[10:11]
	v_cmp_lt_i32_e64 s[10:11], 5, v18
	v_fmac_f32_e32 v21, 0.5, v20
	v_add_f32_e32 v20, 0x40c00000, v20
	v_mul_f32_e32 v22, v23, v22
	v_cndmask_b32_e64 v23, 1.0, v25, s[10:11]
	v_cmp_lt_i32_e64 s[10:11], 6, v18
	v_mul_f32_e32 v22, v23, v22
	v_cndmask_b32_e64 v18, 1.0, v20, s[10:11]
	v_mul_f32_e32 v18, v18, v22
	s_mov_b32 s10, 0x800000
	v_cmp_gt_f32_e64 s[10:11], s10, v18
	v_cndmask_b32_e64 v20, 0, 32, s[10:11]
	v_ldexp_f32 v18, v18, v20
	v_log_f32_e32 v18, v18
	v_mul_f32_e32 v20, 0x3f317217, v18
	v_fma_f32 v22, v18, s12, -v20
	v_fmac_f32_e32 v22, 0x3377d1cf, v18
	s_mov_b32 s12, 0x7f800000
	v_add_f32_e32 v20, v20, v22
	v_cmp_lt_f32_e64 s[12:13], |v18|, s12
	v_cndmask_b32_e64 v18, v18, v20, s[12:13]
	v_mov_b32_e32 v20, 0x41b17218
	v_cndmask_b32_e64 v20, 0, v20, s[10:11]
	v_sub_f32_e32 v18, v18, v20
	v_add_f32_e32 v18, v18, v21
.LBB146_162:
	s_or_b64 exec, exec, s[18:19]
.LBB146_163:
	s_andn2_saveexec_b64 s[16:17], s[16:17]
	s_cbranch_execz .LBB146_181
; %bb.164:
	s_mov_b32 s10, 0x3f666666
	v_cmp_le_f32_e64 s[10:11], |v17|, s10
                                        ; implicit-def: $vgpr18
                                        ; implicit-def: $vgpr21
                                        ; implicit-def: $vgpr20
	s_and_saveexec_b64 s[12:13], s[10:11]
	s_xor_b64 s[18:19], exec, s[12:13]
	s_cbranch_execz .LBB146_166
; %bb.165:
	s_mov_b32 s10, 0x800000
	v_cmp_lt_f32_e64 s[10:11], |v17|, s10
	v_cndmask_b32_e64 v18, 0, 32, s[10:11]
	v_ldexp_f32 v18, |v17|, v18
	v_log_f32_e32 v18, v18
	s_mov_b32 s12, 0x3f317217
	s_mov_b32 s13, 0x7f800000
	v_mul_f32_e32 v20, 0x3f317217, v18
	v_fma_f32 v21, v18, s12, -v20
	v_fmac_f32_e32 v21, 0x3377d1cf, v18
	v_add_f32_e32 v20, v20, v21
	v_cmp_lt_f32_e64 s[12:13], |v18|, s13
	v_cndmask_b32_e64 v18, v18, v20, s[12:13]
	v_mov_b32_e32 v20, 0x41b17218
	v_cndmask_b32_e64 v20, 0, v20, s[10:11]
	s_mov_b32 s10, 0x3f3b4a23
	s_mov_b32 s11, 0xbeec5b0c
	v_sub_f32_e32 v18, v18, v20
	v_sub_f32_e64 v20, 1.0, |v17|
	v_add_f32_e64 v21, |v17|, s11
	v_cmp_lt_f32_e64 s[10:11], |v17|, s10
	v_cndmask_b32_e64 v20, v20, v21, s[10:11]
	v_cndmask_b32_e64 v21, 0, 1, s[10:11]
	s_mov_b32 s10, 0x3e6d3309
	v_cmp_lt_f32_e64 s[10:11], |v17|, s10
	v_xor_b32_e32 v18, 0x80000000, v18
	v_cndmask_b32_e64 v20, v20, |v17|, s[10:11]
	v_cndmask_b32_e64 v21, v21, 2, s[10:11]
.LBB146_166:
	s_andn2_saveexec_b64 s[12:13], s[18:19]
	s_cbranch_execz .LBB146_168
; %bb.167:
	s_mov_b32 s10, 0x3fdda512
	s_mov_b32 s11, 0xbfbb16c3
	v_sub_f32_e64 v18, 2.0, |v17|
	v_add_f32_e64 v20, |v17|, s11
	v_cmp_lt_f32_e64 s[10:11], |v17|, s10
	v_cndmask_b32_e64 v20, v18, v20, s[10:11]
	v_cndmask_b32_e64 v18, v18, 1.0, s[10:11]
	v_cvt_i32_f32_e32 v18, v18
	s_mov_b32 s10, 0x3f9d70a4
	v_add_f32_e64 v21, |v17|, -1.0
	v_cmp_lt_f32_e64 s[10:11], |v17|, s10
	v_cndmask_b32_e64 v20, v20, v21, s[10:11]
	v_cndmask_b32_e64 v21, v18, 2, s[10:11]
	v_mov_b32_e32 v18, 0
.LBB146_168:
	s_or_b64 exec, exec, s[12:13]
	v_cmp_lt_i32_e64 s[10:11], 0, v21
	s_and_saveexec_b64 s[12:13], s[10:11]
	s_xor_b64 s[12:13], exec, s[12:13]
	s_cbranch_execz .LBB146_176
; %bb.169:
	v_cmp_lt_i32_e64 s[10:11], 1, v21
	s_and_saveexec_b64 s[18:19], s[10:11]
	s_xor_b64 s[18:19], exec, s[18:19]
	s_cbranch_execz .LBB146_173
; %bb.170:
	v_cmp_eq_u32_e64 s[10:11], 2, v21
	s_and_saveexec_b64 s[20:21], s[10:11]
	s_cbranch_execz .LBB146_172
; %bb.171:
	v_mov_b32_e32 v21, 0x3e6a7578
	v_fmac_f32_e32 v21, 0x3c5b3c5e, v20
	v_mov_b32_e32 v22, 0x3f7a4bb2
	v_fmac_f32_e32 v22, v20, v21
	;; [unrolled: 2-line block ×8, first 2 shown]
	v_fma_f32 v21, v20, v23, 1.0
	v_rcp_f32_e32 v21, v21
	v_mov_b32_e32 v23, 0xbd9e233f
	v_fmac_f32_e32 v23, v20, v22
	v_mul_f32_e32 v22, v20, v23
	v_mul_f32_e32 v21, v22, v21
	v_fmac_f32_e32 v21, -0.5, v20
	v_add_f32_e32 v18, v18, v21
.LBB146_172:
	s_or_b64 exec, exec, s[20:21]
                                        ; implicit-def: $vgpr20
.LBB146_173:
	s_andn2_saveexec_b64 s[10:11], s[18:19]
	s_cbranch_execz .LBB146_175
; %bb.174:
	v_mul_f32_e32 v21, v20, v20
	v_mul_f32_e32 v22, v20, v21
	v_mov_b32_e32 v23, 0xbab7f476
	v_fmac_f32_e32 v23, 0x39a57b6b, v22
	v_mov_b32_e32 v24, 0x3bc7e707
	v_fmac_f32_e32 v24, v22, v23
	;; [unrolled: 2-line block ×12, first 2 shown]
	v_fmac_f32_e32 v25, v20, v26
	s_mov_b32 s18, 0xa2863e55
	v_fma_f32 v20, v22, -v25, s18
	v_fma_f32 v20, v21, v24, -v20
	v_add_f32_e32 v20, 0xbdf8cdce, v20
	v_add_f32_e32 v18, v18, v20
.LBB146_175:
	s_or_b64 exec, exec, s[10:11]
                                        ; implicit-def: $vgpr21
                                        ; implicit-def: $vgpr20
.LBB146_176:
	s_andn2_saveexec_b64 s[12:13], s[12:13]
	s_cbranch_execz .LBB146_180
; %bb.177:
	v_cmp_eq_u32_e64 s[10:11], 0, v21
	s_and_saveexec_b64 s[18:19], s[10:11]
	s_cbranch_execz .LBB146_179
; %bb.178:
	v_mul_f32_e32 v21, v20, v20
	v_mov_b32_e32 v22, 0x39679767
	v_fmac_f32_e32 v22, 0x37d383a2, v21
	v_mov_b32_e32 v23, 0x3a9c54a1
	v_fmac_f32_e32 v23, v21, v22
	;; [unrolled: 2-line block ×10, first 2 shown]
	v_mul_f32_e32 v21, v21, v23
	v_fmac_f32_e32 v21, v20, v22
	v_fmac_f32_e32 v21, -0.5, v20
	v_add_f32_e32 v18, v18, v21
.LBB146_179:
	s_or_b64 exec, exec, s[18:19]
.LBB146_180:
	s_or_b64 exec, exec, s[12:13]
.LBB146_181:
	s_or_b64 exec, exec, s[16:17]
.LBB146_182:
	s_andn2_saveexec_b64 s[14:15], s[14:15]
	s_cbranch_execz .LBB146_184
; %bb.183:
	s_mov_b32 s10, 0x3e8a8991
	v_mov_b32_e32 v18, 0xbecd26ab
	v_fma_f32 v18, |v17|, s10, v18
	s_mov_b32 s10, 0x3f528d33
	v_fma_f32 v18, |v17|, v18, s10
	s_mov_b32 s10, 0x800000
	v_cmp_lt_f32_e64 s[10:11], |v17|, s10
	v_cndmask_b32_e64 v20, 0, 32, s[10:11]
	v_ldexp_f32 v20, |v17|, v20
	v_log_f32_e32 v20, v20
	s_mov_b32 s12, 0xbf13c468
	v_fma_f32 v18, |v17|, v18, s12
	s_mov_b32 s12, 0x3f317217
	v_mul_f32_e32 v21, 0x3f317217, v20
	v_fma_f32 v22, v20, s12, -v21
	v_fmac_f32_e32 v22, 0x3377d1cf, v20
	s_mov_b32 s12, 0x7f800000
	v_add_f32_e32 v21, v21, v22
	v_cmp_lt_f32_e64 s[12:13], |v20|, s12
	v_cndmask_b32_e64 v20, v20, v21, s[12:13]
	v_mov_b32_e32 v21, 0x41b17218
	v_cndmask_b32_e64 v21, 0, v21, s[10:11]
	v_sub_f32_e32 v20, v20, v21
	v_fma_f32 v18, |v17|, v18, -v20
.LBB146_184:
	s_or_b64 exec, exec, s[14:15]
	v_cmp_le_f16_e64 s[10:11], 0, v4
	v_cmp_nle_f16_e64 s[12:13], 0, v4
	s_and_saveexec_b64 s[14:15], s[12:13]
	s_xor_b64 s[16:17], exec, s[14:15]
	s_cbranch_execz .LBB146_188
; %bb.185:
	s_mov_b32 s12, 0x4b000000
	s_mov_b32 s14, 0x35000000
	v_cmp_lt_f32_e64 s[12:13], |v17|, s12
	v_cmp_gt_f32_e64 s[14:15], |v17|, s14
	s_and_b64 s[12:13], s[12:13], s[14:15]
	s_and_saveexec_b64 s[18:19], s[12:13]
	s_cbranch_execz .LBB146_187
; %bb.186:
	v_mul_f32_e64 v20, |v17|, 0.5
	v_floor_f32_e32 v21, v20
	v_sub_f32_e32 v21, v20, v21
	v_min_f32_e32 v21, 0x3f7fffff, v21
	s_mov_b32 s14, 0x7f800000
	v_add_f32_e32 v21, v21, v21
	v_cmp_neq_f32_e64 s[12:13], s14, v20
	v_cndmask_b32_e64 v20, 0, v21, s[12:13]
	v_cmp_gt_f32_e64 s[12:13], |v17|, 1.0
	v_cndmask_b32_e64 v20, |v17|, v20, s[12:13]
	v_add_f32_e32 v21, v20, v20
	v_rndne_f32_e32 v21, v21
	v_fmac_f32_e32 v20, -0.5, v21
	v_mul_f32_e32 v22, v20, v20
	v_mov_b32_e32 v23, 0xbf1f24be
	v_fmac_f32_e32 v23, 0x3e75aa41, v22
	v_mov_b32_e32 v24, 0x40234736
	v_fmac_f32_e32 v24, v22, v23
	v_mov_b32_e32 v23, 0xc0a55e0e
	v_fmac_f32_e32 v23, v22, v24
	v_mul_f32_e32 v24, v20, v22
	v_mul_f32_e32 v23, v24, v23
	v_fmac_f32_e32 v23, 0x40490fdb, v20
	v_mov_b32_e32 v20, 0x3e642e9d
	v_cvt_i32_f32_e32 v21, v21
	v_fmac_f32_e32 v20, 0x3d4be544, v22
	v_mov_b32_e32 v24, 0xbfaad1da
	v_fmac_f32_e32 v24, v22, v20
	v_mov_b32_e32 v20, 0x4081e0d3
	;; [unrolled: 2-line block ×3, first 2 shown]
	v_fmac_f32_e32 v24, v22, v20
	v_fma_f32 v20, v22, v24, 1.0
	v_and_b32_e32 v22, 1, v21
	v_lshlrev_b32_e32 v21, 30, v21
	v_cmp_eq_u32_e64 s[12:13], 0, v22
	v_and_b32_e32 v21, 0x80000000, v21
	v_xor_b32_e32 v19, v19, v17
	v_cndmask_b32_e64 v20, v20, v23, s[12:13]
	v_xor_b32_e32 v19, v19, v21
	v_xor_b32_e32 v19, v19, v20
	v_mul_f32_e32 v19, v17, v19
	v_frexp_mant_f32_e64 v20, |v19|
	v_rcp_f32_e32 v20, v20
	v_frexp_exp_i32_f32_e32 v19, v19
	v_sub_u32_e32 v19, 2, v19
	s_mov_b32 s12, 0x800000
	v_mul_f32_e32 v20, 0x3f490fdb, v20
	v_ldexp_f32 v19, v20, v19
	v_cmp_gt_f32_e64 s[12:13], s12, v19
	v_cndmask_b32_e64 v20, 0, 32, s[12:13]
	v_ldexp_f32 v19, v19, v20
	v_log_f32_e32 v19, v19
	s_mov_b32 s15, 0x3f317217
	v_mul_f32_e32 v20, 0x3f317217, v19
	v_fma_f32 v21, v19, s15, -v20
	v_fmac_f32_e32 v21, 0x3377d1cf, v19
	v_add_f32_e32 v20, v20, v21
	v_cmp_lt_f32_e64 s[14:15], |v19|, s14
	v_cndmask_b32_e64 v19, v19, v20, s[14:15]
	v_mov_b32_e32 v20, 0x41b17218
	v_cndmask_b32_e64 v20, 0, v20, s[12:13]
	v_sub_f32_e32 v19, v19, v20
	v_sub_f32_e32 v18, v19, v18
	v_floor_f32_e32 v19, v17
	v_sub_f32_e32 v19, v17, v19
	v_min_f32_e32 v19, 0x3f7fffff, v19
	v_mov_b32_e32 v20, 0x7f800000
	v_cmp_neq_f32_e64 s[12:13], 0, v19
	v_cndmask_b32_e64 v18, v20, v18, s[12:13]
.LBB146_187:
	s_or_b64 exec, exec, s[18:19]
.LBB146_188:
	s_andn2_saveexec_b64 s[16:17], s[16:17]
; %bb.189:
	v_cmp_eq_f16_e64 s[12:13], 1.0, v4
	v_cmp_eq_f16_e64 s[14:15], 2.0, v4
	s_or_b64 s[12:13], s[12:13], s[14:15]
	v_cndmask_b32_e64 v18, v18, 0, s[12:13]
; %bb.190:
	s_or_b64 exec, exec, s[16:17]
	v_lshrrev_b32_e32 v19, 16, v4
	v_cvt_f32_f16_e32 v20, v19
	s_mov_b32 s12, 0x3c800000
                                        ; implicit-def: $vgpr21
	v_and_b32_e32 v22, 0x7fffffff, v20
	v_cmp_nlt_f32_e64 s[12:13], |v20|, s12
	s_and_saveexec_b64 s[14:15], s[12:13]
	s_xor_b64 s[16:17], exec, s[14:15]
	s_cbranch_execz .LBB146_220
; %bb.191:
	v_cmp_nlt_f32_e64 s[12:13], |v20|, 2.0
                                        ; implicit-def: $vgpr21
	s_and_saveexec_b64 s[14:15], s[12:13]
	s_xor_b64 s[18:19], exec, s[14:15]
	s_cbranch_execz .LBB146_201
; %bb.192:
	s_mov_b32 s12, 0x41000000
	v_cmp_nlt_f32_e64 s[12:13], |v20|, s12
                                        ; implicit-def: $vgpr21
	s_and_saveexec_b64 s[14:15], s[12:13]
	s_xor_b64 s[20:21], exec, s[14:15]
	s_cbranch_execz .LBB146_198
; %bb.193:
	s_mov_b32 s12, 0x5c800000
	v_cmp_nlt_f32_e64 s[12:13], |v20|, s12
                                        ; implicit-def: $vgpr21
	s_and_saveexec_b64 s[14:15], s[12:13]
	s_xor_b64 s[24:25], exec, s[14:15]
	s_cbranch_execz .LBB146_195
; %bb.194:
	s_mov_b32 s12, 0x800000
	v_cmp_lt_f32_e64 s[12:13], |v20|, s12
	v_cndmask_b32_e64 v21, 0, 32, s[12:13]
	v_ldexp_f32 v21, |v20|, v21
	v_log_f32_e32 v21, v21
	s_mov_b32 s14, 0x3f317217
	s_mov_b32 s15, 0x7f800000
	v_mul_f32_e32 v23, 0x3f317217, v21
	v_fma_f32 v24, v21, s14, -v23
	v_fmac_f32_e32 v24, 0x3377d1cf, v21
	v_add_f32_e32 v23, v23, v24
	v_cmp_lt_f32_e64 s[14:15], |v21|, s15
	v_cndmask_b32_e64 v21, v21, v23, s[14:15]
	v_mov_b32_e32 v23, 0x41b17218
	v_cndmask_b32_e64 v23, 0, v23, s[12:13]
	v_sub_f32_e32 v21, v21, v23
	v_fma_f32 v21, |v20|, v21, -|v20|
.LBB146_195:
	s_andn2_saveexec_b64 s[24:25], s[24:25]
	s_cbranch_execz .LBB146_197
; %bb.196:
	v_rcp_f32_e64 v23, |v20|
	v_mov_b32_e32 v21, 0x3a5b3dd2
	v_mov_b32_e32 v24, 0xba1c065c
	;; [unrolled: 1-line block ×3, first 2 shown]
	v_mul_f32_e32 v26, v23, v23
	v_fmac_f32_e32 v21, 0xbad5c4e8, v26
	v_fmac_f32_e32 v24, v26, v21
	s_mov_b32 s12, 0x800000
	v_fmac_f32_e32 v25, v26, v24
	v_mov_b32_e32 v21, 0xbb360b61
	v_cmp_lt_f32_e64 s[12:13], |v20|, s12
	v_fmac_f32_e32 v21, v26, v25
	v_cndmask_b32_e64 v25, 0, 32, s[12:13]
	v_ldexp_f32 v25, |v20|, v25
	v_log_f32_e32 v25, v25
	v_mov_b32_e32 v24, 0x3daaaaab
	v_fmac_f32_e32 v24, v26, v21
	v_mov_b32_e32 v21, 0x3ed67f1d
	v_fmac_f32_e32 v21, v23, v24
	s_mov_b32 s14, 0x3f317217
	v_mul_f32_e32 v24, 0x3f317217, v25
	v_fma_f32 v26, v25, s14, -v24
	v_fmac_f32_e32 v26, 0x3377d1cf, v25
	s_mov_b32 s14, 0x7f800000
	v_add_f32_e32 v24, v24, v26
	v_cmp_lt_f32_e64 s[14:15], |v25|, s14
	v_cndmask_b32_e64 v24, v25, v24, s[14:15]
	v_mov_b32_e32 v25, 0x41b17218
	v_cndmask_b32_e64 v25, 0, v25, s[12:13]
	v_sub_f32_e32 v24, v24, v25
	v_add_f32_e64 v23, |v20|, -0.5
	v_add_f32_e32 v24, -1.0, v24
	v_fmac_f32_e32 v21, v23, v24
.LBB146_197:
	s_or_b64 exec, exec, s[24:25]
.LBB146_198:
	s_andn2_saveexec_b64 s[20:21], s[20:21]
	s_cbranch_execz .LBB146_200
; %bb.199:
	v_cvt_i32_f32_e32 v21, v22
	v_mov_b32_e32 v23, 0x3af135b4
	v_mov_b32_e32 v24, 0x3cda40e4
	;; [unrolled: 1-line block ×3, first 2 shown]
	v_cvt_f32_i32_e32 v26, v21
	v_mov_b32_e32 v27, 0x3ea6cc7a
	v_mov_b32_e32 v28, 0x3e5c245a
	v_cmp_lt_i32_e64 s[12:13], 2, v21
	v_sub_f32_e64 v26, |v20|, v26
	v_fmac_f32_e32 v23, 0x3805ff67, v26
	v_fmac_f32_e32 v24, v26, v23
	;; [unrolled: 1-line block ×3, first 2 shown]
	v_mov_b32_e32 v24, 0x3a4beed6
	v_fmac_f32_e32 v27, v26, v25
	v_fmac_f32_e32 v24, 0x36f5d7bd, v26
	v_mov_b32_e32 v25, 0x3c98bf54
	v_fmac_f32_e32 v25, v26, v24
	v_mov_b32_e32 v24, 0x3e300f6e
	;; [unrolled: 2-line block ×4, first 2 shown]
	v_fmac_f32_e32 v24, v26, v25
	v_add_f32_e32 v25, 2.0, v26
	v_mov_b32_e32 v29, 0xbd9e233f
	v_fmac_f32_e32 v28, v26, v27
	v_add_f32_e32 v27, 0x40400000, v26
	v_cndmask_b32_e64 v25, 1.0, v25, s[12:13]
	v_cmp_lt_i32_e64 s[12:13], 3, v21
	v_fmac_f32_e32 v29, v26, v28
	v_add_f32_e32 v28, 4.0, v26
	v_cndmask_b32_e64 v27, 1.0, v27, s[12:13]
	v_cmp_lt_i32_e64 s[12:13], 4, v21
	v_mul_f32_e32 v23, v26, v29
	v_add_f32_e32 v29, 0x40a00000, v26
	v_mul_f32_e32 v25, v25, v27
	v_cndmask_b32_e64 v27, 1.0, v28, s[12:13]
	v_cmp_lt_i32_e64 s[12:13], 5, v21
	v_add_f32_e32 v30, 0x40c00000, v26
	v_mul_f32_e32 v25, v27, v25
	v_cndmask_b32_e64 v27, 1.0, v29, s[12:13]
	v_cmp_lt_i32_e64 s[12:13], 6, v21
	v_mul_f32_e32 v25, v27, v25
	v_cndmask_b32_e64 v21, 1.0, v30, s[12:13]
	v_mul_f32_e32 v21, v21, v25
	s_mov_b32 s12, 0x800000
	v_cmp_gt_f32_e64 s[12:13], s12, v21
	v_cndmask_b32_e64 v25, 0, 32, s[12:13]
	v_fma_f32 v24, v26, v24, 1.0
	v_ldexp_f32 v21, v21, v25
	v_rcp_f32_e32 v24, v24
	v_log_f32_e32 v21, v21
	s_mov_b32 s14, 0x3f317217
	v_mul_f32_e32 v23, v23, v24
	v_mul_f32_e32 v24, 0x3f317217, v21
	v_fma_f32 v25, v21, s14, -v24
	v_fmac_f32_e32 v25, 0x3377d1cf, v21
	s_mov_b32 s14, 0x7f800000
	v_add_f32_e32 v24, v24, v25
	v_cmp_lt_f32_e64 s[14:15], |v21|, s14
	v_cndmask_b32_e64 v21, v21, v24, s[14:15]
	v_mov_b32_e32 v24, 0x41b17218
	v_cndmask_b32_e64 v24, 0, v24, s[12:13]
	v_fmac_f32_e32 v23, 0.5, v26
	v_sub_f32_e32 v21, v21, v24
	v_add_f32_e32 v21, v21, v23
.LBB146_200:
	s_or_b64 exec, exec, s[20:21]
.LBB146_201:
	s_andn2_saveexec_b64 s[18:19], s[18:19]
	s_cbranch_execz .LBB146_219
; %bb.202:
	s_mov_b32 s12, 0x3f666666
	v_cmp_le_f32_e64 s[12:13], |v20|, s12
                                        ; implicit-def: $vgpr21
                                        ; implicit-def: $vgpr24
                                        ; implicit-def: $vgpr23
	s_and_saveexec_b64 s[14:15], s[12:13]
	s_xor_b64 s[20:21], exec, s[14:15]
	s_cbranch_execz .LBB146_204
; %bb.203:
	s_mov_b32 s12, 0x800000
	v_cmp_lt_f32_e64 s[12:13], |v20|, s12
	v_cndmask_b32_e64 v21, 0, 32, s[12:13]
	v_ldexp_f32 v21, |v20|, v21
	v_log_f32_e32 v21, v21
	s_mov_b32 s14, 0x3f317217
	s_mov_b32 s15, 0x7f800000
	v_mul_f32_e32 v23, 0x3f317217, v21
	v_fma_f32 v24, v21, s14, -v23
	v_fmac_f32_e32 v24, 0x3377d1cf, v21
	v_add_f32_e32 v23, v23, v24
	v_cmp_lt_f32_e64 s[14:15], |v21|, s15
	v_cndmask_b32_e64 v21, v21, v23, s[14:15]
	v_mov_b32_e32 v23, 0x41b17218
	v_cndmask_b32_e64 v23, 0, v23, s[12:13]
	s_mov_b32 s12, 0x3f3b4a23
	s_mov_b32 s13, 0xbeec5b0c
	v_sub_f32_e32 v21, v21, v23
	v_sub_f32_e64 v23, 1.0, |v20|
	v_add_f32_e64 v24, |v20|, s13
	v_cmp_lt_f32_e64 s[12:13], |v20|, s12
	v_cndmask_b32_e64 v23, v23, v24, s[12:13]
	v_cndmask_b32_e64 v24, 0, 1, s[12:13]
	s_mov_b32 s12, 0x3e6d3309
	v_cmp_lt_f32_e64 s[12:13], |v20|, s12
	v_xor_b32_e32 v21, 0x80000000, v21
	v_cndmask_b32_e64 v23, v23, |v20|, s[12:13]
	v_cndmask_b32_e64 v24, v24, 2, s[12:13]
.LBB146_204:
	s_andn2_saveexec_b64 s[14:15], s[20:21]
	s_cbranch_execz .LBB146_206
; %bb.205:
	s_mov_b32 s12, 0x3fdda512
	s_mov_b32 s13, 0xbfbb16c3
	v_sub_f32_e64 v21, 2.0, |v20|
	v_add_f32_e64 v23, |v20|, s13
	v_cmp_lt_f32_e64 s[12:13], |v20|, s12
	v_cndmask_b32_e64 v23, v21, v23, s[12:13]
	v_cndmask_b32_e64 v21, v21, 1.0, s[12:13]
	v_cvt_i32_f32_e32 v21, v21
	s_mov_b32 s12, 0x3f9d70a4
	v_add_f32_e64 v24, |v20|, -1.0
	v_cmp_lt_f32_e64 s[12:13], |v20|, s12
	v_cndmask_b32_e64 v23, v23, v24, s[12:13]
	v_cndmask_b32_e64 v24, v21, 2, s[12:13]
	v_mov_b32_e32 v21, 0
.LBB146_206:
	s_or_b64 exec, exec, s[14:15]
	v_cmp_lt_i32_e64 s[12:13], 0, v24
	s_and_saveexec_b64 s[14:15], s[12:13]
	s_xor_b64 s[14:15], exec, s[14:15]
	s_cbranch_execz .LBB146_214
; %bb.207:
	v_cmp_lt_i32_e64 s[12:13], 1, v24
	s_and_saveexec_b64 s[20:21], s[12:13]
	s_xor_b64 s[20:21], exec, s[20:21]
	s_cbranch_execz .LBB146_211
; %bb.208:
	v_cmp_eq_u32_e64 s[12:13], 2, v24
	s_and_saveexec_b64 s[24:25], s[12:13]
	s_cbranch_execz .LBB146_210
; %bb.209:
	v_mov_b32_e32 v24, 0x3e6a7578
	v_fmac_f32_e32 v24, 0x3c5b3c5e, v23
	v_mov_b32_e32 v25, 0x3f7a4bb2
	v_fmac_f32_e32 v25, v23, v24
	;; [unrolled: 2-line block ×8, first 2 shown]
	v_fma_f32 v24, v23, v26, 1.0
	v_rcp_f32_e32 v24, v24
	v_mov_b32_e32 v26, 0xbd9e233f
	v_fmac_f32_e32 v26, v23, v25
	v_mul_f32_e32 v25, v23, v26
	v_mul_f32_e32 v24, v25, v24
	v_fmac_f32_e32 v24, -0.5, v23
	v_add_f32_e32 v21, v21, v24
.LBB146_210:
	s_or_b64 exec, exec, s[24:25]
                                        ; implicit-def: $vgpr23
.LBB146_211:
	s_andn2_saveexec_b64 s[12:13], s[20:21]
	s_cbranch_execz .LBB146_213
; %bb.212:
	v_mul_f32_e32 v24, v23, v23
	v_mul_f32_e32 v25, v23, v24
	v_mov_b32_e32 v26, 0xbab7f476
	v_fmac_f32_e32 v26, 0x39a57b6b, v25
	v_mov_b32_e32 v27, 0x3bc7e707
	v_fmac_f32_e32 v27, v25, v26
	;; [unrolled: 2-line block ×12, first 2 shown]
	v_fmac_f32_e32 v28, v23, v29
	s_mov_b32 s20, 0xa2863e55
	v_fma_f32 v23, v25, -v28, s20
	v_fma_f32 v23, v24, v27, -v23
	v_add_f32_e32 v23, 0xbdf8cdce, v23
	v_add_f32_e32 v21, v21, v23
.LBB146_213:
	s_or_b64 exec, exec, s[12:13]
                                        ; implicit-def: $vgpr24
                                        ; implicit-def: $vgpr23
.LBB146_214:
	s_andn2_saveexec_b64 s[14:15], s[14:15]
	s_cbranch_execz .LBB146_218
; %bb.215:
	v_cmp_eq_u32_e64 s[12:13], 0, v24
	s_and_saveexec_b64 s[20:21], s[12:13]
	s_cbranch_execz .LBB146_217
; %bb.216:
	v_mul_f32_e32 v24, v23, v23
	v_mov_b32_e32 v25, 0x39679767
	v_fmac_f32_e32 v25, 0x37d383a2, v24
	v_mov_b32_e32 v26, 0x3a9c54a1
	v_fmac_f32_e32 v26, v24, v25
	;; [unrolled: 2-line block ×10, first 2 shown]
	v_mul_f32_e32 v24, v24, v26
	v_fmac_f32_e32 v24, v23, v25
	v_fmac_f32_e32 v24, -0.5, v23
	v_add_f32_e32 v21, v21, v24
.LBB146_217:
	s_or_b64 exec, exec, s[20:21]
.LBB146_218:
	s_or_b64 exec, exec, s[14:15]
.LBB146_219:
	s_or_b64 exec, exec, s[18:19]
.LBB146_220:
	s_andn2_saveexec_b64 s[16:17], s[16:17]
	s_cbranch_execz .LBB146_222
; %bb.221:
	s_mov_b32 s12, 0x3e8a8991
	v_mov_b32_e32 v21, 0xbecd26ab
	v_fma_f32 v21, |v20|, s12, v21
	s_mov_b32 s12, 0x3f528d33
	v_fma_f32 v21, |v20|, v21, s12
	s_mov_b32 s12, 0x800000
	v_cmp_lt_f32_e64 s[12:13], |v20|, s12
	v_cndmask_b32_e64 v23, 0, 32, s[12:13]
	v_ldexp_f32 v23, |v20|, v23
	v_log_f32_e32 v23, v23
	s_mov_b32 s14, 0xbf13c468
	v_fma_f32 v21, |v20|, v21, s14
	s_mov_b32 s14, 0x3f317217
	v_mul_f32_e32 v24, 0x3f317217, v23
	v_fma_f32 v25, v23, s14, -v24
	v_fmac_f32_e32 v25, 0x3377d1cf, v23
	s_mov_b32 s14, 0x7f800000
	v_add_f32_e32 v24, v24, v25
	v_cmp_lt_f32_e64 s[14:15], |v23|, s14
	v_cndmask_b32_e64 v23, v23, v24, s[14:15]
	v_mov_b32_e32 v24, 0x41b17218
	v_cndmask_b32_e64 v24, 0, v24, s[12:13]
	v_sub_f32_e32 v23, v23, v24
	v_fma_f32 v21, |v20|, v21, -v23
.LBB146_222:
	s_or_b64 exec, exec, s[16:17]
	v_cmp_le_f16_e64 s[12:13], 0, v19
	v_cmp_nle_f16_e64 s[14:15], 0, v19
	s_and_saveexec_b64 s[16:17], s[14:15]
	s_xor_b64 s[18:19], exec, s[16:17]
	s_cbranch_execz .LBB146_226
; %bb.223:
	s_mov_b32 s14, 0x4b000000
	s_mov_b32 s16, 0x35000000
	v_cmp_lt_f32_e64 s[14:15], |v20|, s14
	v_cmp_gt_f32_e64 s[16:17], |v20|, s16
	s_and_b64 s[14:15], s[14:15], s[16:17]
	s_and_saveexec_b64 s[20:21], s[14:15]
	s_cbranch_execz .LBB146_225
; %bb.224:
	v_mul_f32_e64 v23, |v20|, 0.5
	v_floor_f32_e32 v24, v23
	v_sub_f32_e32 v24, v23, v24
	v_min_f32_e32 v24, 0x3f7fffff, v24
	s_mov_b32 s16, 0x7f800000
	v_add_f32_e32 v24, v24, v24
	v_cmp_neq_f32_e64 s[14:15], s16, v23
	v_cndmask_b32_e64 v23, 0, v24, s[14:15]
	v_cmp_gt_f32_e64 s[14:15], |v20|, 1.0
	v_cndmask_b32_e64 v23, |v20|, v23, s[14:15]
	v_add_f32_e32 v24, v23, v23
	v_rndne_f32_e32 v24, v24
	v_fmac_f32_e32 v23, -0.5, v24
	v_mul_f32_e32 v25, v23, v23
	v_mov_b32_e32 v26, 0xbf1f24be
	v_fmac_f32_e32 v26, 0x3e75aa41, v25
	v_mov_b32_e32 v27, 0x40234736
	v_fmac_f32_e32 v27, v25, v26
	;; [unrolled: 2-line block ×3, first 2 shown]
	v_mul_f32_e32 v27, v23, v25
	v_mul_f32_e32 v26, v27, v26
	v_fmac_f32_e32 v26, 0x40490fdb, v23
	v_mov_b32_e32 v23, 0x3e642e9d
	v_cvt_i32_f32_e32 v24, v24
	v_fmac_f32_e32 v23, 0x3d4be544, v25
	v_mov_b32_e32 v27, 0xbfaad1da
	v_fmac_f32_e32 v27, v25, v23
	v_mov_b32_e32 v23, 0x4081e0d3
	;; [unrolled: 2-line block ×3, first 2 shown]
	v_fmac_f32_e32 v27, v25, v23
	v_fma_f32 v23, v25, v27, 1.0
	v_and_b32_e32 v25, 1, v24
	v_lshlrev_b32_e32 v24, 30, v24
	v_cmp_eq_u32_e64 s[14:15], 0, v25
	v_and_b32_e32 v24, 0x80000000, v24
	v_xor_b32_e32 v22, v22, v20
	v_cndmask_b32_e64 v23, v23, v26, s[14:15]
	v_xor_b32_e32 v22, v22, v24
	v_xor_b32_e32 v22, v22, v23
	v_mul_f32_e32 v22, v20, v22
	v_frexp_mant_f32_e64 v23, |v22|
	v_rcp_f32_e32 v23, v23
	v_frexp_exp_i32_f32_e32 v22, v22
	v_sub_u32_e32 v22, 2, v22
	s_mov_b32 s14, 0x800000
	v_mul_f32_e32 v23, 0x3f490fdb, v23
	v_ldexp_f32 v22, v23, v22
	v_cmp_gt_f32_e64 s[14:15], s14, v22
	v_cndmask_b32_e64 v23, 0, 32, s[14:15]
	v_ldexp_f32 v22, v22, v23
	v_log_f32_e32 v22, v22
	s_mov_b32 s17, 0x3f317217
	v_mul_f32_e32 v23, 0x3f317217, v22
	v_fma_f32 v24, v22, s17, -v23
	v_fmac_f32_e32 v24, 0x3377d1cf, v22
	v_add_f32_e32 v23, v23, v24
	v_cmp_lt_f32_e64 s[16:17], |v22|, s16
	v_cndmask_b32_e64 v22, v22, v23, s[16:17]
	v_mov_b32_e32 v23, 0x41b17218
	v_cndmask_b32_e64 v23, 0, v23, s[14:15]
	v_sub_f32_e32 v22, v22, v23
	v_sub_f32_e32 v21, v22, v21
	v_floor_f32_e32 v22, v20
	v_sub_f32_e32 v22, v20, v22
	v_min_f32_e32 v22, 0x3f7fffff, v22
	v_mov_b32_e32 v23, 0x7f800000
	v_cmp_neq_f32_e64 s[14:15], 0, v22
	v_cndmask_b32_e64 v21, v23, v21, s[14:15]
.LBB146_225:
	s_or_b64 exec, exec, s[20:21]
.LBB146_226:
	s_andn2_saveexec_b64 s[18:19], s[18:19]
; %bb.227:
	v_cmp_eq_f16_e64 s[14:15], 1.0, v19
	v_cmp_eq_f16_e64 s[16:17], 2.0, v19
	s_or_b64 s[14:15], s[14:15], s[16:17]
	v_cndmask_b32_e64 v21, v21, 0, s[14:15]
; %bb.228:
	s_or_b64 exec, exec, s[18:19]
	v_cvt_f32_f16_e32 v22, v5
	s_mov_b32 s14, 0x3c800000
                                        ; implicit-def: $vgpr23
	v_and_b32_e32 v24, 0x7fffffff, v22
	v_cmp_nlt_f32_e64 s[14:15], |v22|, s14
	s_and_saveexec_b64 s[16:17], s[14:15]
	s_xor_b64 s[18:19], exec, s[16:17]
	s_cbranch_execz .LBB146_258
; %bb.229:
	v_cmp_nlt_f32_e64 s[14:15], |v22|, 2.0
                                        ; implicit-def: $vgpr23
	s_and_saveexec_b64 s[16:17], s[14:15]
	s_xor_b64 s[20:21], exec, s[16:17]
	s_cbranch_execz .LBB146_239
; %bb.230:
	s_mov_b32 s14, 0x41000000
	v_cmp_nlt_f32_e64 s[14:15], |v22|, s14
                                        ; implicit-def: $vgpr23
	s_and_saveexec_b64 s[16:17], s[14:15]
	s_xor_b64 s[24:25], exec, s[16:17]
	s_cbranch_execz .LBB146_236
; %bb.231:
	s_mov_b32 s14, 0x5c800000
	v_cmp_nlt_f32_e64 s[14:15], |v22|, s14
                                        ; implicit-def: $vgpr23
	s_and_saveexec_b64 s[16:17], s[14:15]
	s_xor_b64 s[26:27], exec, s[16:17]
	s_cbranch_execz .LBB146_233
; %bb.232:
	s_mov_b32 s14, 0x800000
	v_cmp_lt_f32_e64 s[14:15], |v22|, s14
	v_cndmask_b32_e64 v23, 0, 32, s[14:15]
	v_ldexp_f32 v23, |v22|, v23
	v_log_f32_e32 v23, v23
	s_mov_b32 s16, 0x3f317217
	s_mov_b32 s17, 0x7f800000
	v_mul_f32_e32 v25, 0x3f317217, v23
	v_fma_f32 v26, v23, s16, -v25
	v_fmac_f32_e32 v26, 0x3377d1cf, v23
	v_add_f32_e32 v25, v25, v26
	v_cmp_lt_f32_e64 s[16:17], |v23|, s17
	v_cndmask_b32_e64 v23, v23, v25, s[16:17]
	v_mov_b32_e32 v25, 0x41b17218
	v_cndmask_b32_e64 v25, 0, v25, s[14:15]
	v_sub_f32_e32 v23, v23, v25
	v_fma_f32 v23, |v22|, v23, -|v22|
.LBB146_233:
	s_andn2_saveexec_b64 s[26:27], s[26:27]
	s_cbranch_execz .LBB146_235
; %bb.234:
	v_rcp_f32_e64 v25, |v22|
	v_mov_b32_e32 v23, 0x3a5b3dd2
	v_mov_b32_e32 v26, 0xba1c065c
	;; [unrolled: 1-line block ×3, first 2 shown]
	v_mul_f32_e32 v28, v25, v25
	v_fmac_f32_e32 v23, 0xbad5c4e8, v28
	v_fmac_f32_e32 v26, v28, v23
	s_mov_b32 s14, 0x800000
	v_fmac_f32_e32 v27, v28, v26
	v_mov_b32_e32 v23, 0xbb360b61
	v_cmp_lt_f32_e64 s[14:15], |v22|, s14
	v_fmac_f32_e32 v23, v28, v27
	v_cndmask_b32_e64 v27, 0, 32, s[14:15]
	v_ldexp_f32 v27, |v22|, v27
	v_log_f32_e32 v27, v27
	v_mov_b32_e32 v26, 0x3daaaaab
	v_fmac_f32_e32 v26, v28, v23
	v_mov_b32_e32 v23, 0x3ed67f1d
	v_fmac_f32_e32 v23, v25, v26
	s_mov_b32 s16, 0x3f317217
	v_mul_f32_e32 v26, 0x3f317217, v27
	v_fma_f32 v28, v27, s16, -v26
	v_fmac_f32_e32 v28, 0x3377d1cf, v27
	s_mov_b32 s16, 0x7f800000
	v_add_f32_e32 v26, v26, v28
	v_cmp_lt_f32_e64 s[16:17], |v27|, s16
	v_cndmask_b32_e64 v26, v27, v26, s[16:17]
	v_mov_b32_e32 v27, 0x41b17218
	v_cndmask_b32_e64 v27, 0, v27, s[14:15]
	v_sub_f32_e32 v26, v26, v27
	v_add_f32_e64 v25, |v22|, -0.5
	v_add_f32_e32 v26, -1.0, v26
	v_fmac_f32_e32 v23, v25, v26
.LBB146_235:
	s_or_b64 exec, exec, s[26:27]
.LBB146_236:
	s_andn2_saveexec_b64 s[24:25], s[24:25]
	s_cbranch_execz .LBB146_238
; %bb.237:
	v_cvt_i32_f32_e32 v23, v24
	v_mov_b32_e32 v26, 0x3af135b4
	v_mov_b32_e32 v27, 0x3cda40e4
	;; [unrolled: 1-line block ×3, first 2 shown]
	v_cvt_f32_i32_e32 v25, v23
	v_cmp_lt_i32_e64 s[14:15], 2, v23
	s_mov_b32 s16, 0x3f317217
	v_sub_f32_e64 v25, |v22|, v25
	v_fmac_f32_e32 v26, 0x3805ff67, v25
	v_fmac_f32_e32 v27, v25, v26
	v_mov_b32_e32 v26, 0x3e15dce6
	v_fmac_f32_e32 v26, v25, v27
	v_mov_b32_e32 v27, 0x3ea6cc7a
	;; [unrolled: 2-line block ×4, first 2 shown]
	v_fmac_f32_e32 v27, v25, v26
	v_mul_f32_e32 v26, v25, v27
	v_mov_b32_e32 v27, 0x3a4beed6
	v_fmac_f32_e32 v27, 0x36f5d7bd, v25
	v_fmac_f32_e32 v28, v25, v27
	v_mov_b32_e32 v27, 0x3e300f6e
	v_fmac_f32_e32 v27, v25, v28
	v_mov_b32_e32 v28, 0x3f38d0c5
	;; [unrolled: 2-line block ×3, first 2 shown]
	v_fmac_f32_e32 v27, v25, v28
	v_fma_f32 v27, v25, v27, 1.0
	v_rcp_f32_e32 v27, v27
	v_add_f32_e32 v28, 0x40400000, v25
	v_add_f32_e32 v29, 4.0, v25
	v_add_f32_e32 v30, 0x40a00000, v25
	v_mul_f32_e32 v26, v26, v27
	v_add_f32_e32 v27, 2.0, v25
	v_cndmask_b32_e64 v27, 1.0, v27, s[14:15]
	v_cmp_lt_i32_e64 s[14:15], 3, v23
	v_cndmask_b32_e64 v28, 1.0, v28, s[14:15]
	v_cmp_lt_i32_e64 s[14:15], 4, v23
	v_mul_f32_e32 v27, v27, v28
	v_cndmask_b32_e64 v28, 1.0, v29, s[14:15]
	v_cmp_lt_i32_e64 s[14:15], 5, v23
	v_fmac_f32_e32 v26, 0.5, v25
	v_add_f32_e32 v25, 0x40c00000, v25
	v_mul_f32_e32 v27, v28, v27
	v_cndmask_b32_e64 v28, 1.0, v30, s[14:15]
	v_cmp_lt_i32_e64 s[14:15], 6, v23
	v_mul_f32_e32 v27, v28, v27
	v_cndmask_b32_e64 v23, 1.0, v25, s[14:15]
	v_mul_f32_e32 v23, v23, v27
	s_mov_b32 s14, 0x800000
	v_cmp_gt_f32_e64 s[14:15], s14, v23
	v_cndmask_b32_e64 v25, 0, 32, s[14:15]
	v_ldexp_f32 v23, v23, v25
	v_log_f32_e32 v23, v23
	v_mul_f32_e32 v25, 0x3f317217, v23
	v_fma_f32 v27, v23, s16, -v25
	v_fmac_f32_e32 v27, 0x3377d1cf, v23
	s_mov_b32 s16, 0x7f800000
	v_add_f32_e32 v25, v25, v27
	v_cmp_lt_f32_e64 s[16:17], |v23|, s16
	v_cndmask_b32_e64 v23, v23, v25, s[16:17]
	v_mov_b32_e32 v25, 0x41b17218
	v_cndmask_b32_e64 v25, 0, v25, s[14:15]
	v_sub_f32_e32 v23, v23, v25
	v_add_f32_e32 v23, v23, v26
.LBB146_238:
	s_or_b64 exec, exec, s[24:25]
.LBB146_239:
	s_andn2_saveexec_b64 s[20:21], s[20:21]
	s_cbranch_execz .LBB146_257
; %bb.240:
	s_mov_b32 s14, 0x3f666666
	v_cmp_le_f32_e64 s[14:15], |v22|, s14
                                        ; implicit-def: $vgpr23
                                        ; implicit-def: $vgpr26
                                        ; implicit-def: $vgpr25
	s_and_saveexec_b64 s[16:17], s[14:15]
	s_xor_b64 s[24:25], exec, s[16:17]
	s_cbranch_execz .LBB146_242
; %bb.241:
	s_mov_b32 s14, 0x800000
	v_cmp_lt_f32_e64 s[14:15], |v22|, s14
	v_cndmask_b32_e64 v23, 0, 32, s[14:15]
	v_ldexp_f32 v23, |v22|, v23
	v_log_f32_e32 v23, v23
	s_mov_b32 s16, 0x3f317217
	s_mov_b32 s17, 0x7f800000
	v_mul_f32_e32 v25, 0x3f317217, v23
	v_fma_f32 v26, v23, s16, -v25
	v_fmac_f32_e32 v26, 0x3377d1cf, v23
	v_add_f32_e32 v25, v25, v26
	v_cmp_lt_f32_e64 s[16:17], |v23|, s17
	v_cndmask_b32_e64 v23, v23, v25, s[16:17]
	v_mov_b32_e32 v25, 0x41b17218
	v_cndmask_b32_e64 v25, 0, v25, s[14:15]
	s_mov_b32 s14, 0x3f3b4a23
	s_mov_b32 s15, 0xbeec5b0c
	v_sub_f32_e32 v23, v23, v25
	v_sub_f32_e64 v25, 1.0, |v22|
	v_add_f32_e64 v26, |v22|, s15
	v_cmp_lt_f32_e64 s[14:15], |v22|, s14
	v_cndmask_b32_e64 v25, v25, v26, s[14:15]
	v_cndmask_b32_e64 v26, 0, 1, s[14:15]
	s_mov_b32 s14, 0x3e6d3309
	v_cmp_lt_f32_e64 s[14:15], |v22|, s14
	v_xor_b32_e32 v23, 0x80000000, v23
	v_cndmask_b32_e64 v25, v25, |v22|, s[14:15]
	v_cndmask_b32_e64 v26, v26, 2, s[14:15]
.LBB146_242:
	s_andn2_saveexec_b64 s[16:17], s[24:25]
	s_cbranch_execz .LBB146_244
; %bb.243:
	s_mov_b32 s14, 0x3fdda512
	s_mov_b32 s15, 0xbfbb16c3
	v_sub_f32_e64 v23, 2.0, |v22|
	v_add_f32_e64 v25, |v22|, s15
	v_cmp_lt_f32_e64 s[14:15], |v22|, s14
	v_cndmask_b32_e64 v25, v23, v25, s[14:15]
	v_cndmask_b32_e64 v23, v23, 1.0, s[14:15]
	v_cvt_i32_f32_e32 v23, v23
	s_mov_b32 s14, 0x3f9d70a4
	v_add_f32_e64 v26, |v22|, -1.0
	v_cmp_lt_f32_e64 s[14:15], |v22|, s14
	v_cndmask_b32_e64 v25, v25, v26, s[14:15]
	v_cndmask_b32_e64 v26, v23, 2, s[14:15]
	v_mov_b32_e32 v23, 0
.LBB146_244:
	s_or_b64 exec, exec, s[16:17]
	v_cmp_lt_i32_e64 s[14:15], 0, v26
	s_and_saveexec_b64 s[16:17], s[14:15]
	s_xor_b64 s[16:17], exec, s[16:17]
	s_cbranch_execz .LBB146_252
; %bb.245:
	v_cmp_lt_i32_e64 s[14:15], 1, v26
	s_and_saveexec_b64 s[24:25], s[14:15]
	s_xor_b64 s[24:25], exec, s[24:25]
	s_cbranch_execz .LBB146_249
; %bb.246:
	v_cmp_eq_u32_e64 s[14:15], 2, v26
	s_and_saveexec_b64 s[26:27], s[14:15]
	s_cbranch_execz .LBB146_248
; %bb.247:
	v_mov_b32_e32 v26, 0x3e6a7578
	v_fmac_f32_e32 v26, 0x3c5b3c5e, v25
	v_mov_b32_e32 v27, 0x3f7a4bb2
	v_fmac_f32_e32 v27, v25, v26
	;; [unrolled: 2-line block ×8, first 2 shown]
	v_fma_f32 v26, v25, v28, 1.0
	v_rcp_f32_e32 v26, v26
	v_mov_b32_e32 v28, 0xbd9e233f
	v_fmac_f32_e32 v28, v25, v27
	v_mul_f32_e32 v27, v25, v28
	v_mul_f32_e32 v26, v27, v26
	v_fmac_f32_e32 v26, -0.5, v25
	v_add_f32_e32 v23, v23, v26
.LBB146_248:
	s_or_b64 exec, exec, s[26:27]
                                        ; implicit-def: $vgpr25
.LBB146_249:
	s_andn2_saveexec_b64 s[14:15], s[24:25]
	s_cbranch_execz .LBB146_251
; %bb.250:
	v_mul_f32_e32 v26, v25, v25
	v_mul_f32_e32 v27, v25, v26
	v_mov_b32_e32 v28, 0xbab7f476
	v_fmac_f32_e32 v28, 0x39a57b6b, v27
	v_mov_b32_e32 v29, 0x3bc7e707
	v_fmac_f32_e32 v29, v27, v28
	;; [unrolled: 2-line block ×12, first 2 shown]
	v_fmac_f32_e32 v30, v25, v31
	s_mov_b32 s24, 0xa2863e55
	v_fma_f32 v25, v27, -v30, s24
	v_fma_f32 v25, v26, v29, -v25
	v_add_f32_e32 v25, 0xbdf8cdce, v25
	v_add_f32_e32 v23, v23, v25
.LBB146_251:
	s_or_b64 exec, exec, s[14:15]
                                        ; implicit-def: $vgpr26
                                        ; implicit-def: $vgpr25
.LBB146_252:
	s_andn2_saveexec_b64 s[16:17], s[16:17]
	s_cbranch_execz .LBB146_256
; %bb.253:
	v_cmp_eq_u32_e64 s[14:15], 0, v26
	s_and_saveexec_b64 s[24:25], s[14:15]
	s_cbranch_execz .LBB146_255
; %bb.254:
	v_mul_f32_e32 v26, v25, v25
	v_mov_b32_e32 v27, 0x39679767
	v_fmac_f32_e32 v27, 0x37d383a2, v26
	v_mov_b32_e32 v28, 0x3a9c54a1
	v_fmac_f32_e32 v28, v26, v27
	;; [unrolled: 2-line block ×10, first 2 shown]
	v_mul_f32_e32 v26, v26, v28
	v_fmac_f32_e32 v26, v25, v27
	v_fmac_f32_e32 v26, -0.5, v25
	v_add_f32_e32 v23, v23, v26
.LBB146_255:
	s_or_b64 exec, exec, s[24:25]
.LBB146_256:
	s_or_b64 exec, exec, s[16:17]
.LBB146_257:
	s_or_b64 exec, exec, s[20:21]
.LBB146_258:
	s_andn2_saveexec_b64 s[18:19], s[18:19]
	s_cbranch_execz .LBB146_260
; %bb.259:
	s_mov_b32 s14, 0x3e8a8991
	v_mov_b32_e32 v23, 0xbecd26ab
	v_fma_f32 v23, |v22|, s14, v23
	s_mov_b32 s14, 0x3f528d33
	v_fma_f32 v23, |v22|, v23, s14
	s_mov_b32 s14, 0x800000
	v_cmp_lt_f32_e64 s[14:15], |v22|, s14
	v_cndmask_b32_e64 v25, 0, 32, s[14:15]
	v_ldexp_f32 v25, |v22|, v25
	v_log_f32_e32 v25, v25
	s_mov_b32 s16, 0xbf13c468
	v_fma_f32 v23, |v22|, v23, s16
	s_mov_b32 s16, 0x3f317217
	v_mul_f32_e32 v26, 0x3f317217, v25
	v_fma_f32 v27, v25, s16, -v26
	v_fmac_f32_e32 v27, 0x3377d1cf, v25
	s_mov_b32 s16, 0x7f800000
	v_add_f32_e32 v26, v26, v27
	v_cmp_lt_f32_e64 s[16:17], |v25|, s16
	v_cndmask_b32_e64 v25, v25, v26, s[16:17]
	v_mov_b32_e32 v26, 0x41b17218
	v_cndmask_b32_e64 v26, 0, v26, s[14:15]
	v_sub_f32_e32 v25, v25, v26
	v_fma_f32 v23, |v22|, v23, -v25
.LBB146_260:
	s_or_b64 exec, exec, s[18:19]
	v_cmp_le_f16_e64 s[14:15], 0, v5
	v_cmp_nle_f16_e64 s[16:17], 0, v5
	s_and_saveexec_b64 s[18:19], s[16:17]
	s_xor_b64 s[20:21], exec, s[18:19]
	s_cbranch_execz .LBB146_264
; %bb.261:
	s_mov_b32 s16, 0x4b000000
	s_mov_b32 s18, 0x35000000
	v_cmp_lt_f32_e64 s[16:17], |v22|, s16
	v_cmp_gt_f32_e64 s[18:19], |v22|, s18
	s_and_b64 s[16:17], s[16:17], s[18:19]
	s_and_saveexec_b64 s[24:25], s[16:17]
	s_cbranch_execz .LBB146_263
; %bb.262:
	v_mul_f32_e64 v25, |v22|, 0.5
	v_floor_f32_e32 v26, v25
	v_sub_f32_e32 v26, v25, v26
	v_min_f32_e32 v26, 0x3f7fffff, v26
	s_mov_b32 s18, 0x7f800000
	v_add_f32_e32 v26, v26, v26
	v_cmp_neq_f32_e64 s[16:17], s18, v25
	v_cndmask_b32_e64 v25, 0, v26, s[16:17]
	v_cmp_gt_f32_e64 s[16:17], |v22|, 1.0
	v_cndmask_b32_e64 v25, |v22|, v25, s[16:17]
	v_add_f32_e32 v26, v25, v25
	v_rndne_f32_e32 v26, v26
	v_fmac_f32_e32 v25, -0.5, v26
	v_mul_f32_e32 v27, v25, v25
	v_mov_b32_e32 v28, 0xbf1f24be
	v_fmac_f32_e32 v28, 0x3e75aa41, v27
	v_mov_b32_e32 v29, 0x40234736
	v_fmac_f32_e32 v29, v27, v28
	;; [unrolled: 2-line block ×3, first 2 shown]
	v_mul_f32_e32 v29, v25, v27
	v_mul_f32_e32 v28, v29, v28
	v_fmac_f32_e32 v28, 0x40490fdb, v25
	v_mov_b32_e32 v25, 0x3e642e9d
	v_cvt_i32_f32_e32 v26, v26
	v_fmac_f32_e32 v25, 0x3d4be544, v27
	v_mov_b32_e32 v29, 0xbfaad1da
	v_fmac_f32_e32 v29, v27, v25
	v_mov_b32_e32 v25, 0x4081e0d3
	v_fmac_f32_e32 v25, v27, v29
	v_mov_b32_e32 v29, 0xc09de9e6
	v_fmac_f32_e32 v29, v27, v25
	v_fma_f32 v25, v27, v29, 1.0
	v_and_b32_e32 v27, 1, v26
	v_lshlrev_b32_e32 v26, 30, v26
	v_cmp_eq_u32_e64 s[16:17], 0, v27
	v_and_b32_e32 v26, 0x80000000, v26
	v_xor_b32_e32 v24, v24, v22
	v_cndmask_b32_e64 v25, v25, v28, s[16:17]
	v_xor_b32_e32 v24, v24, v26
	v_xor_b32_e32 v24, v24, v25
	v_mul_f32_e32 v24, v22, v24
	v_frexp_mant_f32_e64 v25, |v24|
	v_rcp_f32_e32 v25, v25
	v_frexp_exp_i32_f32_e32 v24, v24
	v_sub_u32_e32 v24, 2, v24
	s_mov_b32 s16, 0x800000
	v_mul_f32_e32 v25, 0x3f490fdb, v25
	v_ldexp_f32 v24, v25, v24
	v_cmp_gt_f32_e64 s[16:17], s16, v24
	v_cndmask_b32_e64 v25, 0, 32, s[16:17]
	v_ldexp_f32 v24, v24, v25
	v_log_f32_e32 v24, v24
	s_mov_b32 s19, 0x3f317217
	v_mul_f32_e32 v25, 0x3f317217, v24
	v_fma_f32 v26, v24, s19, -v25
	v_fmac_f32_e32 v26, 0x3377d1cf, v24
	v_add_f32_e32 v25, v25, v26
	v_cmp_lt_f32_e64 s[18:19], |v24|, s18
	v_cndmask_b32_e64 v24, v24, v25, s[18:19]
	v_mov_b32_e32 v25, 0x41b17218
	v_cndmask_b32_e64 v25, 0, v25, s[16:17]
	v_sub_f32_e32 v24, v24, v25
	v_sub_f32_e32 v23, v24, v23
	v_floor_f32_e32 v24, v22
	v_sub_f32_e32 v24, v22, v24
	v_min_f32_e32 v24, 0x3f7fffff, v24
	v_mov_b32_e32 v25, 0x7f800000
	v_cmp_neq_f32_e64 s[16:17], 0, v24
	v_cndmask_b32_e64 v23, v25, v23, s[16:17]
.LBB146_263:
	s_or_b64 exec, exec, s[24:25]
.LBB146_264:
	s_andn2_saveexec_b64 s[20:21], s[20:21]
; %bb.265:
	v_cmp_eq_f16_e64 s[16:17], 1.0, v5
	v_cmp_eq_f16_e64 s[18:19], 2.0, v5
	s_or_b64 s[16:17], s[16:17], s[18:19]
	v_cndmask_b32_e64 v23, v23, 0, s[16:17]
; %bb.266:
	s_or_b64 exec, exec, s[20:21]
	v_lshrrev_b32_e32 v24, 16, v5
	v_cvt_f32_f16_e32 v25, v24
	s_mov_b32 s16, 0x3c800000
                                        ; implicit-def: $vgpr27
	v_and_b32_e32 v26, 0x7fffffff, v25
	v_cmp_nlt_f32_e64 s[16:17], |v25|, s16
	s_and_saveexec_b64 s[18:19], s[16:17]
	s_xor_b64 s[20:21], exec, s[18:19]
	s_cbranch_execz .LBB146_296
; %bb.267:
	v_cmp_nlt_f32_e64 s[16:17], |v25|, 2.0
                                        ; implicit-def: $vgpr27
	s_and_saveexec_b64 s[18:19], s[16:17]
	s_xor_b64 s[24:25], exec, s[18:19]
	s_cbranch_execz .LBB146_277
; %bb.268:
	s_mov_b32 s16, 0x41000000
	v_cmp_nlt_f32_e64 s[16:17], |v25|, s16
                                        ; implicit-def: $vgpr27
	s_and_saveexec_b64 s[18:19], s[16:17]
	s_xor_b64 s[26:27], exec, s[18:19]
	s_cbranch_execz .LBB146_274
; %bb.269:
	s_mov_b32 s16, 0x5c800000
	v_cmp_nlt_f32_e64 s[16:17], |v25|, s16
                                        ; implicit-def: $vgpr27
	s_and_saveexec_b64 s[18:19], s[16:17]
	s_xor_b64 s[28:29], exec, s[18:19]
	s_cbranch_execz .LBB146_271
; %bb.270:
	s_mov_b32 s16, 0x800000
	v_cmp_lt_f32_e64 s[16:17], |v25|, s16
	v_cndmask_b32_e64 v27, 0, 32, s[16:17]
	v_ldexp_f32 v27, |v25|, v27
	v_log_f32_e32 v27, v27
	s_mov_b32 s18, 0x3f317217
	s_mov_b32 s19, 0x7f800000
	v_mul_f32_e32 v28, 0x3f317217, v27
	v_fma_f32 v29, v27, s18, -v28
	v_fmac_f32_e32 v29, 0x3377d1cf, v27
	v_add_f32_e32 v28, v28, v29
	v_cmp_lt_f32_e64 s[18:19], |v27|, s19
	v_cndmask_b32_e64 v27, v27, v28, s[18:19]
	v_mov_b32_e32 v28, 0x41b17218
	v_cndmask_b32_e64 v28, 0, v28, s[16:17]
	v_sub_f32_e32 v27, v27, v28
	v_fma_f32 v27, |v25|, v27, -|v25|
.LBB146_271:
	s_andn2_saveexec_b64 s[28:29], s[28:29]
	s_cbranch_execz .LBB146_273
; %bb.272:
	v_rcp_f32_e64 v28, |v25|
	v_mov_b32_e32 v27, 0x3a5b3dd2
	v_mov_b32_e32 v29, 0xba1c065c
	;; [unrolled: 1-line block ×3, first 2 shown]
	v_mul_f32_e32 v31, v28, v28
	v_fmac_f32_e32 v27, 0xbad5c4e8, v31
	v_fmac_f32_e32 v29, v31, v27
	s_mov_b32 s16, 0x800000
	v_fmac_f32_e32 v30, v31, v29
	v_mov_b32_e32 v27, 0xbb360b61
	v_cmp_lt_f32_e64 s[16:17], |v25|, s16
	v_fmac_f32_e32 v27, v31, v30
	v_cndmask_b32_e64 v30, 0, 32, s[16:17]
	v_ldexp_f32 v30, |v25|, v30
	v_log_f32_e32 v30, v30
	v_mov_b32_e32 v29, 0x3daaaaab
	v_fmac_f32_e32 v29, v31, v27
	v_mov_b32_e32 v27, 0x3ed67f1d
	v_fmac_f32_e32 v27, v28, v29
	s_mov_b32 s18, 0x3f317217
	v_mul_f32_e32 v29, 0x3f317217, v30
	v_fma_f32 v31, v30, s18, -v29
	v_fmac_f32_e32 v31, 0x3377d1cf, v30
	s_mov_b32 s18, 0x7f800000
	v_add_f32_e32 v29, v29, v31
	v_cmp_lt_f32_e64 s[18:19], |v30|, s18
	v_cndmask_b32_e64 v29, v30, v29, s[18:19]
	v_mov_b32_e32 v30, 0x41b17218
	v_cndmask_b32_e64 v30, 0, v30, s[16:17]
	v_sub_f32_e32 v29, v29, v30
	v_add_f32_e64 v28, |v25|, -0.5
	v_add_f32_e32 v29, -1.0, v29
	v_fmac_f32_e32 v27, v28, v29
.LBB146_273:
	s_or_b64 exec, exec, s[28:29]
.LBB146_274:
	s_andn2_saveexec_b64 s[26:27], s[26:27]
	s_cbranch_execz .LBB146_276
; %bb.275:
	v_cvt_i32_f32_e32 v27, v26
	v_mov_b32_e32 v29, 0x3af135b4
	v_mov_b32_e32 v30, 0x3cda40e4
	;; [unrolled: 1-line block ×3, first 2 shown]
	v_cvt_f32_i32_e32 v28, v27
	v_cmp_lt_i32_e64 s[16:17], 2, v27
	s_mov_b32 s18, 0x3f317217
	v_sub_f32_e64 v28, |v25|, v28
	v_fmac_f32_e32 v29, 0x3805ff67, v28
	v_fmac_f32_e32 v30, v28, v29
	v_mov_b32_e32 v29, 0x3e15dce6
	v_fmac_f32_e32 v29, v28, v30
	v_mov_b32_e32 v30, 0x3ea6cc7a
	;; [unrolled: 2-line block ×4, first 2 shown]
	v_fmac_f32_e32 v30, v28, v29
	v_mul_f32_e32 v29, v28, v30
	v_mov_b32_e32 v30, 0x3a4beed6
	v_fmac_f32_e32 v30, 0x36f5d7bd, v28
	v_fmac_f32_e32 v31, v28, v30
	v_mov_b32_e32 v30, 0x3e300f6e
	v_fmac_f32_e32 v30, v28, v31
	v_mov_b32_e32 v31, 0x3f38d0c5
	;; [unrolled: 2-line block ×3, first 2 shown]
	v_fmac_f32_e32 v30, v28, v31
	v_fma_f32 v30, v28, v30, 1.0
	v_rcp_f32_e32 v30, v30
	v_add_f32_e32 v31, 0x40400000, v28
	v_add_f32_e32 v32, 4.0, v28
	v_add_f32_e32 v33, 0x40a00000, v28
	v_mul_f32_e32 v29, v29, v30
	v_add_f32_e32 v30, 2.0, v28
	v_cndmask_b32_e64 v30, 1.0, v30, s[16:17]
	v_cmp_lt_i32_e64 s[16:17], 3, v27
	v_cndmask_b32_e64 v31, 1.0, v31, s[16:17]
	v_cmp_lt_i32_e64 s[16:17], 4, v27
	v_mul_f32_e32 v30, v30, v31
	v_cndmask_b32_e64 v31, 1.0, v32, s[16:17]
	v_cmp_lt_i32_e64 s[16:17], 5, v27
	v_fmac_f32_e32 v29, 0.5, v28
	v_add_f32_e32 v28, 0x40c00000, v28
	v_mul_f32_e32 v30, v31, v30
	v_cndmask_b32_e64 v31, 1.0, v33, s[16:17]
	v_cmp_lt_i32_e64 s[16:17], 6, v27
	v_mul_f32_e32 v30, v31, v30
	v_cndmask_b32_e64 v27, 1.0, v28, s[16:17]
	v_mul_f32_e32 v27, v27, v30
	s_mov_b32 s16, 0x800000
	v_cmp_gt_f32_e64 s[16:17], s16, v27
	v_cndmask_b32_e64 v28, 0, 32, s[16:17]
	v_ldexp_f32 v27, v27, v28
	v_log_f32_e32 v27, v27
	v_mul_f32_e32 v28, 0x3f317217, v27
	v_fma_f32 v30, v27, s18, -v28
	v_fmac_f32_e32 v30, 0x3377d1cf, v27
	s_mov_b32 s18, 0x7f800000
	v_add_f32_e32 v28, v28, v30
	v_cmp_lt_f32_e64 s[18:19], |v27|, s18
	v_cndmask_b32_e64 v27, v27, v28, s[18:19]
	v_mov_b32_e32 v28, 0x41b17218
	v_cndmask_b32_e64 v28, 0, v28, s[16:17]
	v_sub_f32_e32 v27, v27, v28
	v_add_f32_e32 v27, v27, v29
.LBB146_276:
	s_or_b64 exec, exec, s[26:27]
.LBB146_277:
	s_andn2_saveexec_b64 s[24:25], s[24:25]
	s_cbranch_execz .LBB146_295
; %bb.278:
	s_mov_b32 s16, 0x3f666666
	v_cmp_le_f32_e64 s[16:17], |v25|, s16
                                        ; implicit-def: $vgpr27
                                        ; implicit-def: $vgpr29
                                        ; implicit-def: $vgpr28
	s_and_saveexec_b64 s[18:19], s[16:17]
	s_xor_b64 s[26:27], exec, s[18:19]
	s_cbranch_execz .LBB146_280
; %bb.279:
	s_mov_b32 s16, 0x800000
	v_cmp_lt_f32_e64 s[16:17], |v25|, s16
	v_cndmask_b32_e64 v27, 0, 32, s[16:17]
	v_ldexp_f32 v27, |v25|, v27
	v_log_f32_e32 v27, v27
	s_mov_b32 s18, 0x3f317217
	s_mov_b32 s19, 0x7f800000
	v_mul_f32_e32 v28, 0x3f317217, v27
	v_fma_f32 v29, v27, s18, -v28
	v_fmac_f32_e32 v29, 0x3377d1cf, v27
	v_add_f32_e32 v28, v28, v29
	v_cmp_lt_f32_e64 s[18:19], |v27|, s19
	v_cndmask_b32_e64 v27, v27, v28, s[18:19]
	v_mov_b32_e32 v28, 0x41b17218
	v_cndmask_b32_e64 v28, 0, v28, s[16:17]
	s_mov_b32 s16, 0x3f3b4a23
	s_mov_b32 s17, 0xbeec5b0c
	v_sub_f32_e32 v27, v27, v28
	v_sub_f32_e64 v28, 1.0, |v25|
	v_add_f32_e64 v29, |v25|, s17
	v_cmp_lt_f32_e64 s[16:17], |v25|, s16
	v_cndmask_b32_e64 v28, v28, v29, s[16:17]
	v_cndmask_b32_e64 v29, 0, 1, s[16:17]
	s_mov_b32 s16, 0x3e6d3309
	v_cmp_lt_f32_e64 s[16:17], |v25|, s16
	v_xor_b32_e32 v27, 0x80000000, v27
	v_cndmask_b32_e64 v28, v28, |v25|, s[16:17]
	v_cndmask_b32_e64 v29, v29, 2, s[16:17]
.LBB146_280:
	s_andn2_saveexec_b64 s[18:19], s[26:27]
	s_cbranch_execz .LBB146_282
; %bb.281:
	s_mov_b32 s16, 0x3fdda512
	s_mov_b32 s17, 0xbfbb16c3
	v_sub_f32_e64 v27, 2.0, |v25|
	v_add_f32_e64 v28, |v25|, s17
	v_cmp_lt_f32_e64 s[16:17], |v25|, s16
	v_cndmask_b32_e64 v28, v27, v28, s[16:17]
	v_cndmask_b32_e64 v27, v27, 1.0, s[16:17]
	v_cvt_i32_f32_e32 v27, v27
	s_mov_b32 s16, 0x3f9d70a4
	v_add_f32_e64 v29, |v25|, -1.0
	v_cmp_lt_f32_e64 s[16:17], |v25|, s16
	v_cndmask_b32_e64 v28, v28, v29, s[16:17]
	v_cndmask_b32_e64 v29, v27, 2, s[16:17]
	v_mov_b32_e32 v27, 0
.LBB146_282:
	s_or_b64 exec, exec, s[18:19]
	v_cmp_lt_i32_e64 s[16:17], 0, v29
	s_and_saveexec_b64 s[18:19], s[16:17]
	s_xor_b64 s[18:19], exec, s[18:19]
	s_cbranch_execz .LBB146_290
; %bb.283:
	v_cmp_lt_i32_e64 s[16:17], 1, v29
	s_and_saveexec_b64 s[26:27], s[16:17]
	s_xor_b64 s[26:27], exec, s[26:27]
	s_cbranch_execz .LBB146_287
; %bb.284:
	v_cmp_eq_u32_e64 s[16:17], 2, v29
	s_and_saveexec_b64 s[28:29], s[16:17]
	s_cbranch_execz .LBB146_286
; %bb.285:
	v_mov_b32_e32 v29, 0x3e6a7578
	v_fmac_f32_e32 v29, 0x3c5b3c5e, v28
	v_mov_b32_e32 v30, 0x3f7a4bb2
	v_fmac_f32_e32 v30, v28, v29
	;; [unrolled: 2-line block ×8, first 2 shown]
	v_fma_f32 v29, v28, v31, 1.0
	v_rcp_f32_e32 v29, v29
	v_mov_b32_e32 v31, 0xbd9e233f
	v_fmac_f32_e32 v31, v28, v30
	v_mul_f32_e32 v30, v28, v31
	v_mul_f32_e32 v29, v30, v29
	v_fmac_f32_e32 v29, -0.5, v28
	v_add_f32_e32 v27, v27, v29
.LBB146_286:
	s_or_b64 exec, exec, s[28:29]
                                        ; implicit-def: $vgpr28
.LBB146_287:
	s_andn2_saveexec_b64 s[16:17], s[26:27]
	s_cbranch_execz .LBB146_289
; %bb.288:
	v_mul_f32_e32 v29, v28, v28
	v_mul_f32_e32 v30, v28, v29
	v_mov_b32_e32 v31, 0xbab7f476
	v_fmac_f32_e32 v31, 0x39a57b6b, v30
	v_mov_b32_e32 v32, 0x3bc7e707
	v_fmac_f32_e32 v32, v30, v31
	;; [unrolled: 2-line block ×12, first 2 shown]
	v_fmac_f32_e32 v33, v28, v34
	s_mov_b32 s26, 0xa2863e55
	v_fma_f32 v28, v30, -v33, s26
	v_fma_f32 v28, v29, v32, -v28
	v_add_f32_e32 v28, 0xbdf8cdce, v28
	v_add_f32_e32 v27, v27, v28
.LBB146_289:
	s_or_b64 exec, exec, s[16:17]
                                        ; implicit-def: $vgpr29
                                        ; implicit-def: $vgpr28
.LBB146_290:
	s_andn2_saveexec_b64 s[18:19], s[18:19]
	s_cbranch_execz .LBB146_294
; %bb.291:
	v_cmp_eq_u32_e64 s[16:17], 0, v29
	s_and_saveexec_b64 s[26:27], s[16:17]
	s_cbranch_execz .LBB146_293
; %bb.292:
	v_mul_f32_e32 v29, v28, v28
	v_mov_b32_e32 v30, 0x39679767
	v_fmac_f32_e32 v30, 0x37d383a2, v29
	v_mov_b32_e32 v31, 0x3a9c54a1
	v_fmac_f32_e32 v31, v29, v30
	v_mov_b32_e32 v30, 0x3bf2027e
	v_fmac_f32_e32 v30, v29, v31
	v_mov_b32_e32 v31, 0x3d89f001
	v_fmac_f32_e32 v31, v29, v30
	v_mov_b32_e32 v30, 0x3d9e233f
	v_fmac_f32_e32 v30, v29, v31
	v_mov_b32_e32 v31, 0x38e28445
	v_fmac_f32_e32 v31, 0x383c2c75, v29
	v_mov_b32_e32 v32, 0x3a05b634
	v_fmac_f32_e32 v32, v29, v31
	v_mov_b32_e32 v31, 0x3b3d6ec6
	v_fmac_f32_e32 v31, v29, v32
	v_mov_b32_e32 v32, 0x3ca89915
	v_fmac_f32_e32 v32, v29, v31
	v_mov_b32_e32 v31, 0x3ea51a66
	v_fmac_f32_e32 v31, v29, v32
	v_mul_f32_e32 v29, v29, v31
	v_fmac_f32_e32 v29, v28, v30
	v_fmac_f32_e32 v29, -0.5, v28
	v_add_f32_e32 v27, v27, v29
.LBB146_293:
	s_or_b64 exec, exec, s[26:27]
.LBB146_294:
	s_or_b64 exec, exec, s[18:19]
.LBB146_295:
	s_or_b64 exec, exec, s[24:25]
.LBB146_296:
	s_andn2_saveexec_b64 s[20:21], s[20:21]
	s_cbranch_execz .LBB146_298
; %bb.297:
	s_mov_b32 s16, 0x3e8a8991
	v_mov_b32_e32 v27, 0xbecd26ab
	v_fma_f32 v27, |v25|, s16, v27
	s_mov_b32 s16, 0x3f528d33
	v_fma_f32 v27, |v25|, v27, s16
	s_mov_b32 s16, 0x800000
	v_cmp_lt_f32_e64 s[16:17], |v25|, s16
	v_cndmask_b32_e64 v28, 0, 32, s[16:17]
	v_ldexp_f32 v28, |v25|, v28
	v_log_f32_e32 v28, v28
	s_mov_b32 s18, 0xbf13c468
	v_fma_f32 v27, |v25|, v27, s18
	s_mov_b32 s18, 0x3f317217
	v_mul_f32_e32 v29, 0x3f317217, v28
	v_fma_f32 v30, v28, s18, -v29
	v_fmac_f32_e32 v30, 0x3377d1cf, v28
	s_mov_b32 s18, 0x7f800000
	v_add_f32_e32 v29, v29, v30
	v_cmp_lt_f32_e64 s[18:19], |v28|, s18
	v_cndmask_b32_e64 v28, v28, v29, s[18:19]
	v_mov_b32_e32 v29, 0x41b17218
	v_cndmask_b32_e64 v29, 0, v29, s[16:17]
	v_sub_f32_e32 v28, v28, v29
	v_fma_f32 v27, |v25|, v27, -v28
.LBB146_298:
	s_or_b64 exec, exec, s[20:21]
	v_cmp_le_f16_e64 s[16:17], 0, v24
	v_cmp_nle_f16_e64 s[18:19], 0, v24
	s_and_saveexec_b64 s[20:21], s[18:19]
	s_xor_b64 s[24:25], exec, s[20:21]
	s_cbranch_execz .LBB146_302
; %bb.299:
	s_mov_b32 s18, 0x4b000000
	s_mov_b32 s20, 0x35000000
	v_cmp_lt_f32_e64 s[18:19], |v25|, s18
	v_cmp_gt_f32_e64 s[20:21], |v25|, s20
	s_and_b64 s[18:19], s[18:19], s[20:21]
	s_and_saveexec_b64 s[26:27], s[18:19]
	s_cbranch_execz .LBB146_301
; %bb.300:
	v_mul_f32_e64 v28, |v25|, 0.5
	v_floor_f32_e32 v29, v28
	v_sub_f32_e32 v29, v28, v29
	v_min_f32_e32 v29, 0x3f7fffff, v29
	s_mov_b32 s20, 0x7f800000
	v_add_f32_e32 v29, v29, v29
	v_cmp_neq_f32_e64 s[18:19], s20, v28
	v_cndmask_b32_e64 v28, 0, v29, s[18:19]
	v_cmp_gt_f32_e64 s[18:19], |v25|, 1.0
	v_cndmask_b32_e64 v28, |v25|, v28, s[18:19]
	v_add_f32_e32 v29, v28, v28
	v_rndne_f32_e32 v29, v29
	v_fmac_f32_e32 v28, -0.5, v29
	v_mul_f32_e32 v30, v28, v28
	v_mov_b32_e32 v31, 0xbf1f24be
	v_fmac_f32_e32 v31, 0x3e75aa41, v30
	v_mov_b32_e32 v32, 0x40234736
	v_fmac_f32_e32 v32, v30, v31
	;; [unrolled: 2-line block ×3, first 2 shown]
	v_mul_f32_e32 v32, v28, v30
	v_mul_f32_e32 v31, v32, v31
	v_fmac_f32_e32 v31, 0x40490fdb, v28
	v_mov_b32_e32 v28, 0x3e642e9d
	v_cvt_i32_f32_e32 v29, v29
	v_fmac_f32_e32 v28, 0x3d4be544, v30
	v_mov_b32_e32 v32, 0xbfaad1da
	v_fmac_f32_e32 v32, v30, v28
	v_mov_b32_e32 v28, 0x4081e0d3
	;; [unrolled: 2-line block ×3, first 2 shown]
	v_fmac_f32_e32 v32, v30, v28
	v_fma_f32 v28, v30, v32, 1.0
	v_and_b32_e32 v30, 1, v29
	v_lshlrev_b32_e32 v29, 30, v29
	v_cmp_eq_u32_e64 s[18:19], 0, v30
	v_and_b32_e32 v29, 0x80000000, v29
	v_xor_b32_e32 v26, v26, v25
	v_cndmask_b32_e64 v28, v28, v31, s[18:19]
	v_xor_b32_e32 v26, v26, v29
	v_xor_b32_e32 v26, v26, v28
	v_mul_f32_e32 v26, v25, v26
	v_frexp_mant_f32_e64 v28, |v26|
	v_rcp_f32_e32 v28, v28
	v_frexp_exp_i32_f32_e32 v26, v26
	v_sub_u32_e32 v26, 2, v26
	s_mov_b32 s18, 0x800000
	v_mul_f32_e32 v28, 0x3f490fdb, v28
	v_ldexp_f32 v26, v28, v26
	v_cmp_gt_f32_e64 s[18:19], s18, v26
	v_cndmask_b32_e64 v28, 0, 32, s[18:19]
	v_ldexp_f32 v26, v26, v28
	v_log_f32_e32 v26, v26
	s_mov_b32 s21, 0x3f317217
	v_mul_f32_e32 v28, 0x3f317217, v26
	v_fma_f32 v29, v26, s21, -v28
	v_fmac_f32_e32 v29, 0x3377d1cf, v26
	v_add_f32_e32 v28, v28, v29
	v_cmp_lt_f32_e64 s[20:21], |v26|, s20
	v_cndmask_b32_e64 v26, v26, v28, s[20:21]
	v_mov_b32_e32 v28, 0x41b17218
	v_cndmask_b32_e64 v28, 0, v28, s[18:19]
	v_sub_f32_e32 v26, v26, v28
	v_sub_f32_e32 v26, v26, v27
	v_floor_f32_e32 v27, v25
	v_sub_f32_e32 v27, v25, v27
	v_min_f32_e32 v27, 0x3f7fffff, v27
	v_mov_b32_e32 v28, 0x7f800000
	v_cmp_neq_f32_e64 s[18:19], 0, v27
	v_cndmask_b32_e64 v27, v28, v26, s[18:19]
.LBB146_301:
	s_or_b64 exec, exec, s[26:27]
.LBB146_302:
	s_andn2_saveexec_b64 s[24:25], s[24:25]
; %bb.303:
	v_cmp_eq_f16_e64 s[18:19], 1.0, v24
	v_cmp_eq_f16_e64 s[20:21], 2.0, v24
	s_or_b64 s[18:19], s[18:19], s[20:21]
	v_cndmask_b32_e64 v27, v27, 0, s[18:19]
; %bb.304:
	s_or_b64 exec, exec, s[24:25]
	v_cvt_f16_f32_e32 v23, v23
	s_mov_b32 s20, 0x4b000000
	v_cmp_lt_f32_e64 s[18:19], |v22|, s20
	v_mov_b32_e32 v26, 0x264
	v_mov_b32_e32 v28, 0x7c00
	s_or_b64 s[14:15], s[14:15], s[18:19]
	v_cndmask_b32_e64 v23, v28, v23, s[14:15]
	v_cmp_class_f32_e64 s[14:15], v22, v26
	v_cvt_f16_f32_e32 v21, v21
	v_cndmask_b32_e64 v22, v23, v28, s[14:15]
	v_cmp_u_f16_e64 s[14:15], v5, v5
	v_cndmask_b32_e64 v22, v22, v5, s[14:15]
	v_cmp_lt_f32_e64 s[14:15], |v20|, s20
	s_or_b64 s[12:13], s[12:13], s[14:15]
	v_cndmask_b32_e64 v5, v28, v21, s[12:13]
	v_cmp_class_f32_e64 s[12:13], v20, v26
	v_cvt_f16_f32_e32 v18, v18
	v_cndmask_b32_e64 v5, v5, v28, s[12:13]
	v_cmp_u_f16_e64 s[12:13], v19, v19
	v_cndmask_b32_e64 v19, v5, v19, s[12:13]
	v_cmp_lt_f32_e64 s[12:13], |v17|, s20
	;; [unrolled: 8-line block ×6, first 2 shown]
	s_or_b64 vcc, vcc, s[4:5]
	v_cndmask_b32_e32 v3, v28, v4, vcc
	v_cvt_f16_f32_e32 v4, v27
	v_cmp_class_f32_e32 vcc, v7, v26
	v_cndmask_b32_e32 v3, v3, v28, vcc
	v_cmp_u_f16_e32 vcc, v2, v2
	v_cmp_lt_f32_e64 s[4:5], |v25|, s20
	v_cndmask_b32_e32 v7, v3, v2, vcc
	s_or_b64 vcc, s[16:17], s[4:5]
	v_cndmask_b32_e32 v2, v28, v4, vcc
	v_cmp_class_f32_e32 vcc, v25, v26
	v_cndmask_b32_e32 v2, v2, v28, vcc
	v_cmp_u_f16_e32 vcc, v24, v24
	v_cndmask_b32_e32 v2, v2, v24, vcc
	v_mov_b32_e32 v3, s23
	v_add_co_u32_e32 v0, vcc, s22, v0
	v_addc_co_u32_e32 v1, vcc, v1, v3, vcc
	v_add_co_u32_e32 v4, vcc, v0, v6
	s_mov_b32 s4, 0x5040100
	v_addc_co_u32_e32 v5, vcc, 0, v1, vcc
	v_perm_b32 v3, v2, v22, s4
	v_perm_b32 v2, v19, v17, s4
	;; [unrolled: 1-line block ×4, first 2 shown]
	flat_store_dwordx4 v[4:5], v[0:3]
	s_waitcnt vmcnt(0) lgkmcnt(0)
	s_setpc_b64 s[30:31]
.Lfunc_end146:
	.size	_ZN2at6native25elementwise_kernel_helperILb0EZZZNS0_18lgamma_kernel_cudaERNS_18TensorIteratorBaseEENKUlvE_clEvENKUlvE1_clEvEUlN3c104HalfEE_NS0_6memory8policies10vectorizedILi8ESt5arrayIPcLm2EELi8EEEEEvT0_T1_, .Lfunc_end146-_ZN2at6native25elementwise_kernel_helperILb0EZZZNS0_18lgamma_kernel_cudaERNS_18TensorIteratorBaseEENKUlvE_clEvENKUlvE1_clEvEUlN3c104HalfEE_NS0_6memory8policies10vectorizedILi8ESt5arrayIPcLm2EELi8EEEEEvT0_T1_
                                        ; -- End function
	.set .L_ZN2at6native25elementwise_kernel_helperILb0EZZZNS0_18lgamma_kernel_cudaERNS_18TensorIteratorBaseEENKUlvE_clEvENKUlvE1_clEvEUlN3c104HalfEE_NS0_6memory8policies10vectorizedILi8ESt5arrayIPcLm2EELi8EEEEEvT0_T1_.num_vgpr, 35
	.set .L_ZN2at6native25elementwise_kernel_helperILb0EZZZNS0_18lgamma_kernel_cudaERNS_18TensorIteratorBaseEENKUlvE_clEvENKUlvE1_clEvEUlN3c104HalfEE_NS0_6memory8policies10vectorizedILi8ESt5arrayIPcLm2EELi8EEEEEvT0_T1_.num_agpr, 0
	.set .L_ZN2at6native25elementwise_kernel_helperILb0EZZZNS0_18lgamma_kernel_cudaERNS_18TensorIteratorBaseEENKUlvE_clEvENKUlvE1_clEvEUlN3c104HalfEE_NS0_6memory8policies10vectorizedILi8ESt5arrayIPcLm2EELi8EEEEEvT0_T1_.numbered_sgpr, 32
	.set .L_ZN2at6native25elementwise_kernel_helperILb0EZZZNS0_18lgamma_kernel_cudaERNS_18TensorIteratorBaseEENKUlvE_clEvENKUlvE1_clEvEUlN3c104HalfEE_NS0_6memory8policies10vectorizedILi8ESt5arrayIPcLm2EELi8EEEEEvT0_T1_.num_named_barrier, 0
	.set .L_ZN2at6native25elementwise_kernel_helperILb0EZZZNS0_18lgamma_kernel_cudaERNS_18TensorIteratorBaseEENKUlvE_clEvENKUlvE1_clEvEUlN3c104HalfEE_NS0_6memory8policies10vectorizedILi8ESt5arrayIPcLm2EELi8EEEEEvT0_T1_.private_seg_size, 0
	.set .L_ZN2at6native25elementwise_kernel_helperILb0EZZZNS0_18lgamma_kernel_cudaERNS_18TensorIteratorBaseEENKUlvE_clEvENKUlvE1_clEvEUlN3c104HalfEE_NS0_6memory8policies10vectorizedILi8ESt5arrayIPcLm2EELi8EEEEEvT0_T1_.uses_vcc, 1
	.set .L_ZN2at6native25elementwise_kernel_helperILb0EZZZNS0_18lgamma_kernel_cudaERNS_18TensorIteratorBaseEENKUlvE_clEvENKUlvE1_clEvEUlN3c104HalfEE_NS0_6memory8policies10vectorizedILi8ESt5arrayIPcLm2EELi8EEEEEvT0_T1_.uses_flat_scratch, 0
	.set .L_ZN2at6native25elementwise_kernel_helperILb0EZZZNS0_18lgamma_kernel_cudaERNS_18TensorIteratorBaseEENKUlvE_clEvENKUlvE1_clEvEUlN3c104HalfEE_NS0_6memory8policies10vectorizedILi8ESt5arrayIPcLm2EELi8EEEEEvT0_T1_.has_dyn_sized_stack, 0
	.set .L_ZN2at6native25elementwise_kernel_helperILb0EZZZNS0_18lgamma_kernel_cudaERNS_18TensorIteratorBaseEENKUlvE_clEvENKUlvE1_clEvEUlN3c104HalfEE_NS0_6memory8policies10vectorizedILi8ESt5arrayIPcLm2EELi8EEEEEvT0_T1_.has_recursion, 0
	.set .L_ZN2at6native25elementwise_kernel_helperILb0EZZZNS0_18lgamma_kernel_cudaERNS_18TensorIteratorBaseEENKUlvE_clEvENKUlvE1_clEvEUlN3c104HalfEE_NS0_6memory8policies10vectorizedILi8ESt5arrayIPcLm2EELi8EEEEEvT0_T1_.has_indirect_call, 0
	.section	.AMDGPU.csdata,"",@progbits
; Function info:
; codeLenInByte = 21480
; TotalNumSgprs: 36
; NumVgprs: 35
; ScratchSize: 0
; MemoryBound: 0
	.section	.text._ZN2at6native29vectorized_elementwise_kernelILi16EZZZNS0_18lgamma_kernel_cudaERNS_18TensorIteratorBaseEENKUlvE_clEvENKUlvE1_clEvEUlN3c104HalfEE_St5arrayIPcLm2EEEEviT0_T1_,"axG",@progbits,_ZN2at6native29vectorized_elementwise_kernelILi16EZZZNS0_18lgamma_kernel_cudaERNS_18TensorIteratorBaseEENKUlvE_clEvENKUlvE1_clEvEUlN3c104HalfEE_St5arrayIPcLm2EEEEviT0_T1_,comdat
	.globl	_ZN2at6native29vectorized_elementwise_kernelILi16EZZZNS0_18lgamma_kernel_cudaERNS_18TensorIteratorBaseEENKUlvE_clEvENKUlvE1_clEvEUlN3c104HalfEE_St5arrayIPcLm2EEEEviT0_T1_ ; -- Begin function _ZN2at6native29vectorized_elementwise_kernelILi16EZZZNS0_18lgamma_kernel_cudaERNS_18TensorIteratorBaseEENKUlvE_clEvENKUlvE1_clEvEUlN3c104HalfEE_St5arrayIPcLm2EEEEviT0_T1_
	.p2align	8
	.type	_ZN2at6native29vectorized_elementwise_kernelILi16EZZZNS0_18lgamma_kernel_cudaERNS_18TensorIteratorBaseEENKUlvE_clEvENKUlvE1_clEvEUlN3c104HalfEE_St5arrayIPcLm2EEEEviT0_T1_,@function
_ZN2at6native29vectorized_elementwise_kernelILi16EZZZNS0_18lgamma_kernel_cudaERNS_18TensorIteratorBaseEENKUlvE_clEvENKUlvE1_clEvEUlN3c104HalfEE_St5arrayIPcLm2EEEEviT0_T1_: ; @_ZN2at6native29vectorized_elementwise_kernelILi16EZZZNS0_18lgamma_kernel_cudaERNS_18TensorIteratorBaseEENKUlvE_clEvENKUlvE1_clEvEUlN3c104HalfEE_St5arrayIPcLm2EEEEviT0_T1_
; %bb.0:
	s_mov_b32 s33, s6
	s_load_dword s6, s[4:5], 0x0
	s_load_dwordx4 s[36:39], s[4:5], 0x8
	s_add_u32 s0, s0, s7
	s_addc_u32 s1, s1, 0
	s_lshl_b32 s4, s33, 11
	s_waitcnt lgkmcnt(0)
	s_sub_i32 s34, s6, s4
	v_mov_b32_e32 v35, v0
	s_cmpk_gt_i32 s34, 0x7ff
	s_mov_b64 s[4:5], -1
	s_mov_b32 s32, 0
	s_cbranch_scc1 .LBB147_3
; %bb.1:
	s_andn2_b64 vcc, exec, s[4:5]
	s_cbranch_vccz .LBB147_4
.LBB147_2:
	s_endpgm
.LBB147_3:
	s_getpc_b64 s[4:5]
	s_add_u32 s4, s4, _ZN2at6native25elementwise_kernel_helperILb0EZZZNS0_18lgamma_kernel_cudaERNS_18TensorIteratorBaseEENKUlvE_clEvENKUlvE1_clEvEUlN3c104HalfEE_NS0_6memory8policies10vectorizedILi8ESt5arrayIPcLm2EELi8EEEEEvT0_T1_@rel32@lo+4
	s_addc_u32 s5, s5, _ZN2at6native25elementwise_kernel_helperILb0EZZZNS0_18lgamma_kernel_cudaERNS_18TensorIteratorBaseEENKUlvE_clEvENKUlvE1_clEvEUlN3c104HalfEE_NS0_6memory8policies10vectorizedILi8ESt5arrayIPcLm2EELi8EEEEEvT0_T1_@rel32@hi+12
	s_mov_b32 s12, s33
	v_mov_b32_e32 v31, v35
	v_mov_b32_e32 v0, s36
	;; [unrolled: 1-line block ×5, first 2 shown]
	s_swappc_b64 s[30:31], s[4:5]
	s_cbranch_execnz .LBB147_2
.LBB147_4:
	s_getpc_b64 s[4:5]
	s_add_u32 s4, s4, _ZN2at6native25elementwise_kernel_helperILb0EZZZNS0_18lgamma_kernel_cudaERNS_18TensorIteratorBaseEENKUlvE_clEvENKUlvE1_clEvEUlN3c104HalfEE_NS0_6memory8policies11unroll_baseILi256ESt5arrayIPcLm2EE23TrivialOffsetCalculatorILi1EjESG_NS9_15LoadWithoutCastENS9_16StoreWithoutCastELi8ELi1EEEEEvT0_T1_@rel32@lo+4
	s_addc_u32 s5, s5, _ZN2at6native25elementwise_kernel_helperILb0EZZZNS0_18lgamma_kernel_cudaERNS_18TensorIteratorBaseEENKUlvE_clEvENKUlvE1_clEvEUlN3c104HalfEE_NS0_6memory8policies11unroll_baseILi256ESt5arrayIPcLm2EE23TrivialOffsetCalculatorILi1EjESG_NS9_15LoadWithoutCastENS9_16StoreWithoutCastELi8ELi1EEEEEvT0_T1_@rel32@hi+12
	s_mov_b32 s12, s33
	v_mov_b32_e32 v31, v35
	v_mov_b32_e32 v0, s36
	;; [unrolled: 1-line block ×6, first 2 shown]
	s_swappc_b64 s[30:31], s[4:5]
	s_endpgm
	.section	.rodata,"a",@progbits
	.p2align	6, 0x0
	.amdhsa_kernel _ZN2at6native29vectorized_elementwise_kernelILi16EZZZNS0_18lgamma_kernel_cudaERNS_18TensorIteratorBaseEENKUlvE_clEvENKUlvE1_clEvEUlN3c104HalfEE_St5arrayIPcLm2EEEEviT0_T1_
		.amdhsa_group_segment_fixed_size 0
		.amdhsa_private_segment_fixed_size 0
		.amdhsa_kernarg_size 24
		.amdhsa_user_sgpr_count 6
		.amdhsa_user_sgpr_private_segment_buffer 1
		.amdhsa_user_sgpr_dispatch_ptr 0
		.amdhsa_user_sgpr_queue_ptr 0
		.amdhsa_user_sgpr_kernarg_segment_ptr 1
		.amdhsa_user_sgpr_dispatch_id 0
		.amdhsa_user_sgpr_flat_scratch_init 0
		.amdhsa_user_sgpr_private_segment_size 0
		.amdhsa_uses_dynamic_stack 0
		.amdhsa_system_sgpr_private_segment_wavefront_offset 0
		.amdhsa_system_sgpr_workgroup_id_x 1
		.amdhsa_system_sgpr_workgroup_id_y 0
		.amdhsa_system_sgpr_workgroup_id_z 0
		.amdhsa_system_sgpr_workgroup_info 0
		.amdhsa_system_vgpr_workitem_id 0
		.amdhsa_next_free_vgpr 36
		.amdhsa_next_free_sgpr 40
		.amdhsa_reserve_vcc 1
		.amdhsa_reserve_flat_scratch 0
		.amdhsa_float_round_mode_32 0
		.amdhsa_float_round_mode_16_64 0
		.amdhsa_float_denorm_mode_32 3
		.amdhsa_float_denorm_mode_16_64 3
		.amdhsa_dx10_clamp 1
		.amdhsa_ieee_mode 1
		.amdhsa_fp16_overflow 0
		.amdhsa_exception_fp_ieee_invalid_op 0
		.amdhsa_exception_fp_denorm_src 0
		.amdhsa_exception_fp_ieee_div_zero 0
		.amdhsa_exception_fp_ieee_overflow 0
		.amdhsa_exception_fp_ieee_underflow 0
		.amdhsa_exception_fp_ieee_inexact 0
		.amdhsa_exception_int_div_zero 0
	.end_amdhsa_kernel
	.section	.text._ZN2at6native29vectorized_elementwise_kernelILi16EZZZNS0_18lgamma_kernel_cudaERNS_18TensorIteratorBaseEENKUlvE_clEvENKUlvE1_clEvEUlN3c104HalfEE_St5arrayIPcLm2EEEEviT0_T1_,"axG",@progbits,_ZN2at6native29vectorized_elementwise_kernelILi16EZZZNS0_18lgamma_kernel_cudaERNS_18TensorIteratorBaseEENKUlvE_clEvENKUlvE1_clEvEUlN3c104HalfEE_St5arrayIPcLm2EEEEviT0_T1_,comdat
.Lfunc_end147:
	.size	_ZN2at6native29vectorized_elementwise_kernelILi16EZZZNS0_18lgamma_kernel_cudaERNS_18TensorIteratorBaseEENKUlvE_clEvENKUlvE1_clEvEUlN3c104HalfEE_St5arrayIPcLm2EEEEviT0_T1_, .Lfunc_end147-_ZN2at6native29vectorized_elementwise_kernelILi16EZZZNS0_18lgamma_kernel_cudaERNS_18TensorIteratorBaseEENKUlvE_clEvENKUlvE1_clEvEUlN3c104HalfEE_St5arrayIPcLm2EEEEviT0_T1_
                                        ; -- End function
	.set _ZN2at6native29vectorized_elementwise_kernelILi16EZZZNS0_18lgamma_kernel_cudaERNS_18TensorIteratorBaseEENKUlvE_clEvENKUlvE1_clEvEUlN3c104HalfEE_St5arrayIPcLm2EEEEviT0_T1_.num_vgpr, max(36, .L_ZN2at6native25elementwise_kernel_helperILb0EZZZNS0_18lgamma_kernel_cudaERNS_18TensorIteratorBaseEENKUlvE_clEvENKUlvE1_clEvEUlN3c104HalfEE_NS0_6memory8policies10vectorizedILi8ESt5arrayIPcLm2EELi8EEEEEvT0_T1_.num_vgpr, .L_ZN2at6native25elementwise_kernel_helperILb0EZZZNS0_18lgamma_kernel_cudaERNS_18TensorIteratorBaseEENKUlvE_clEvENKUlvE1_clEvEUlN3c104HalfEE_NS0_6memory8policies11unroll_baseILi256ESt5arrayIPcLm2EE23TrivialOffsetCalculatorILi1EjESG_NS9_15LoadWithoutCastENS9_16StoreWithoutCastELi8ELi1EEEEEvT0_T1_.num_vgpr)
	.set _ZN2at6native29vectorized_elementwise_kernelILi16EZZZNS0_18lgamma_kernel_cudaERNS_18TensorIteratorBaseEENKUlvE_clEvENKUlvE1_clEvEUlN3c104HalfEE_St5arrayIPcLm2EEEEviT0_T1_.num_agpr, max(0, .L_ZN2at6native25elementwise_kernel_helperILb0EZZZNS0_18lgamma_kernel_cudaERNS_18TensorIteratorBaseEENKUlvE_clEvENKUlvE1_clEvEUlN3c104HalfEE_NS0_6memory8policies10vectorizedILi8ESt5arrayIPcLm2EELi8EEEEEvT0_T1_.num_agpr, .L_ZN2at6native25elementwise_kernel_helperILb0EZZZNS0_18lgamma_kernel_cudaERNS_18TensorIteratorBaseEENKUlvE_clEvENKUlvE1_clEvEUlN3c104HalfEE_NS0_6memory8policies11unroll_baseILi256ESt5arrayIPcLm2EE23TrivialOffsetCalculatorILi1EjESG_NS9_15LoadWithoutCastENS9_16StoreWithoutCastELi8ELi1EEEEEvT0_T1_.num_agpr)
	.set _ZN2at6native29vectorized_elementwise_kernelILi16EZZZNS0_18lgamma_kernel_cudaERNS_18TensorIteratorBaseEENKUlvE_clEvENKUlvE1_clEvEUlN3c104HalfEE_St5arrayIPcLm2EEEEviT0_T1_.numbered_sgpr, max(40, .L_ZN2at6native25elementwise_kernel_helperILb0EZZZNS0_18lgamma_kernel_cudaERNS_18TensorIteratorBaseEENKUlvE_clEvENKUlvE1_clEvEUlN3c104HalfEE_NS0_6memory8policies10vectorizedILi8ESt5arrayIPcLm2EELi8EEEEEvT0_T1_.numbered_sgpr, .L_ZN2at6native25elementwise_kernel_helperILb0EZZZNS0_18lgamma_kernel_cudaERNS_18TensorIteratorBaseEENKUlvE_clEvENKUlvE1_clEvEUlN3c104HalfEE_NS0_6memory8policies11unroll_baseILi256ESt5arrayIPcLm2EE23TrivialOffsetCalculatorILi1EjESG_NS9_15LoadWithoutCastENS9_16StoreWithoutCastELi8ELi1EEEEEvT0_T1_.numbered_sgpr)
	.set _ZN2at6native29vectorized_elementwise_kernelILi16EZZZNS0_18lgamma_kernel_cudaERNS_18TensorIteratorBaseEENKUlvE_clEvENKUlvE1_clEvEUlN3c104HalfEE_St5arrayIPcLm2EEEEviT0_T1_.num_named_barrier, max(0, .L_ZN2at6native25elementwise_kernel_helperILb0EZZZNS0_18lgamma_kernel_cudaERNS_18TensorIteratorBaseEENKUlvE_clEvENKUlvE1_clEvEUlN3c104HalfEE_NS0_6memory8policies10vectorizedILi8ESt5arrayIPcLm2EELi8EEEEEvT0_T1_.num_named_barrier, .L_ZN2at6native25elementwise_kernel_helperILb0EZZZNS0_18lgamma_kernel_cudaERNS_18TensorIteratorBaseEENKUlvE_clEvENKUlvE1_clEvEUlN3c104HalfEE_NS0_6memory8policies11unroll_baseILi256ESt5arrayIPcLm2EE23TrivialOffsetCalculatorILi1EjESG_NS9_15LoadWithoutCastENS9_16StoreWithoutCastELi8ELi1EEEEEvT0_T1_.num_named_barrier)
	.set _ZN2at6native29vectorized_elementwise_kernelILi16EZZZNS0_18lgamma_kernel_cudaERNS_18TensorIteratorBaseEENKUlvE_clEvENKUlvE1_clEvEUlN3c104HalfEE_St5arrayIPcLm2EEEEviT0_T1_.private_seg_size, 0+max(.L_ZN2at6native25elementwise_kernel_helperILb0EZZZNS0_18lgamma_kernel_cudaERNS_18TensorIteratorBaseEENKUlvE_clEvENKUlvE1_clEvEUlN3c104HalfEE_NS0_6memory8policies10vectorizedILi8ESt5arrayIPcLm2EELi8EEEEEvT0_T1_.private_seg_size, .L_ZN2at6native25elementwise_kernel_helperILb0EZZZNS0_18lgamma_kernel_cudaERNS_18TensorIteratorBaseEENKUlvE_clEvENKUlvE1_clEvEUlN3c104HalfEE_NS0_6memory8policies11unroll_baseILi256ESt5arrayIPcLm2EE23TrivialOffsetCalculatorILi1EjESG_NS9_15LoadWithoutCastENS9_16StoreWithoutCastELi8ELi1EEEEEvT0_T1_.private_seg_size)
	.set _ZN2at6native29vectorized_elementwise_kernelILi16EZZZNS0_18lgamma_kernel_cudaERNS_18TensorIteratorBaseEENKUlvE_clEvENKUlvE1_clEvEUlN3c104HalfEE_St5arrayIPcLm2EEEEviT0_T1_.uses_vcc, or(1, .L_ZN2at6native25elementwise_kernel_helperILb0EZZZNS0_18lgamma_kernel_cudaERNS_18TensorIteratorBaseEENKUlvE_clEvENKUlvE1_clEvEUlN3c104HalfEE_NS0_6memory8policies10vectorizedILi8ESt5arrayIPcLm2EELi8EEEEEvT0_T1_.uses_vcc, .L_ZN2at6native25elementwise_kernel_helperILb0EZZZNS0_18lgamma_kernel_cudaERNS_18TensorIteratorBaseEENKUlvE_clEvENKUlvE1_clEvEUlN3c104HalfEE_NS0_6memory8policies11unroll_baseILi256ESt5arrayIPcLm2EE23TrivialOffsetCalculatorILi1EjESG_NS9_15LoadWithoutCastENS9_16StoreWithoutCastELi8ELi1EEEEEvT0_T1_.uses_vcc)
	.set _ZN2at6native29vectorized_elementwise_kernelILi16EZZZNS0_18lgamma_kernel_cudaERNS_18TensorIteratorBaseEENKUlvE_clEvENKUlvE1_clEvEUlN3c104HalfEE_St5arrayIPcLm2EEEEviT0_T1_.uses_flat_scratch, or(0, .L_ZN2at6native25elementwise_kernel_helperILb0EZZZNS0_18lgamma_kernel_cudaERNS_18TensorIteratorBaseEENKUlvE_clEvENKUlvE1_clEvEUlN3c104HalfEE_NS0_6memory8policies10vectorizedILi8ESt5arrayIPcLm2EELi8EEEEEvT0_T1_.uses_flat_scratch, .L_ZN2at6native25elementwise_kernel_helperILb0EZZZNS0_18lgamma_kernel_cudaERNS_18TensorIteratorBaseEENKUlvE_clEvENKUlvE1_clEvEUlN3c104HalfEE_NS0_6memory8policies11unroll_baseILi256ESt5arrayIPcLm2EE23TrivialOffsetCalculatorILi1EjESG_NS9_15LoadWithoutCastENS9_16StoreWithoutCastELi8ELi1EEEEEvT0_T1_.uses_flat_scratch)
	.set _ZN2at6native29vectorized_elementwise_kernelILi16EZZZNS0_18lgamma_kernel_cudaERNS_18TensorIteratorBaseEENKUlvE_clEvENKUlvE1_clEvEUlN3c104HalfEE_St5arrayIPcLm2EEEEviT0_T1_.has_dyn_sized_stack, or(0, .L_ZN2at6native25elementwise_kernel_helperILb0EZZZNS0_18lgamma_kernel_cudaERNS_18TensorIteratorBaseEENKUlvE_clEvENKUlvE1_clEvEUlN3c104HalfEE_NS0_6memory8policies10vectorizedILi8ESt5arrayIPcLm2EELi8EEEEEvT0_T1_.has_dyn_sized_stack, .L_ZN2at6native25elementwise_kernel_helperILb0EZZZNS0_18lgamma_kernel_cudaERNS_18TensorIteratorBaseEENKUlvE_clEvENKUlvE1_clEvEUlN3c104HalfEE_NS0_6memory8policies11unroll_baseILi256ESt5arrayIPcLm2EE23TrivialOffsetCalculatorILi1EjESG_NS9_15LoadWithoutCastENS9_16StoreWithoutCastELi8ELi1EEEEEvT0_T1_.has_dyn_sized_stack)
	.set _ZN2at6native29vectorized_elementwise_kernelILi16EZZZNS0_18lgamma_kernel_cudaERNS_18TensorIteratorBaseEENKUlvE_clEvENKUlvE1_clEvEUlN3c104HalfEE_St5arrayIPcLm2EEEEviT0_T1_.has_recursion, or(0, .L_ZN2at6native25elementwise_kernel_helperILb0EZZZNS0_18lgamma_kernel_cudaERNS_18TensorIteratorBaseEENKUlvE_clEvENKUlvE1_clEvEUlN3c104HalfEE_NS0_6memory8policies10vectorizedILi8ESt5arrayIPcLm2EELi8EEEEEvT0_T1_.has_recursion, .L_ZN2at6native25elementwise_kernel_helperILb0EZZZNS0_18lgamma_kernel_cudaERNS_18TensorIteratorBaseEENKUlvE_clEvENKUlvE1_clEvEUlN3c104HalfEE_NS0_6memory8policies11unroll_baseILi256ESt5arrayIPcLm2EE23TrivialOffsetCalculatorILi1EjESG_NS9_15LoadWithoutCastENS9_16StoreWithoutCastELi8ELi1EEEEEvT0_T1_.has_recursion)
	.set _ZN2at6native29vectorized_elementwise_kernelILi16EZZZNS0_18lgamma_kernel_cudaERNS_18TensorIteratorBaseEENKUlvE_clEvENKUlvE1_clEvEUlN3c104HalfEE_St5arrayIPcLm2EEEEviT0_T1_.has_indirect_call, or(0, .L_ZN2at6native25elementwise_kernel_helperILb0EZZZNS0_18lgamma_kernel_cudaERNS_18TensorIteratorBaseEENKUlvE_clEvENKUlvE1_clEvEUlN3c104HalfEE_NS0_6memory8policies10vectorizedILi8ESt5arrayIPcLm2EELi8EEEEEvT0_T1_.has_indirect_call, .L_ZN2at6native25elementwise_kernel_helperILb0EZZZNS0_18lgamma_kernel_cudaERNS_18TensorIteratorBaseEENKUlvE_clEvENKUlvE1_clEvEUlN3c104HalfEE_NS0_6memory8policies11unroll_baseILi256ESt5arrayIPcLm2EE23TrivialOffsetCalculatorILi1EjESG_NS9_15LoadWithoutCastENS9_16StoreWithoutCastELi8ELi1EEEEEvT0_T1_.has_indirect_call)
	.section	.AMDGPU.csdata,"",@progbits
; Kernel info:
; codeLenInByte = 180
; TotalNumSgprs: 44
; NumVgprs: 36
; ScratchSize: 0
; MemoryBound: 0
; FloatMode: 240
; IeeeMode: 1
; LDSByteSize: 0 bytes/workgroup (compile time only)
; SGPRBlocks: 5
; VGPRBlocks: 8
; NumSGPRsForWavesPerEU: 44
; NumVGPRsForWavesPerEU: 36
; Occupancy: 7
; WaveLimiterHint : 0
; COMPUTE_PGM_RSRC2:SCRATCH_EN: 0
; COMPUTE_PGM_RSRC2:USER_SGPR: 6
; COMPUTE_PGM_RSRC2:TRAP_HANDLER: 0
; COMPUTE_PGM_RSRC2:TGID_X_EN: 1
; COMPUTE_PGM_RSRC2:TGID_Y_EN: 0
; COMPUTE_PGM_RSRC2:TGID_Z_EN: 0
; COMPUTE_PGM_RSRC2:TIDIG_COMP_CNT: 0
	.section	.text._ZN2at6native29vectorized_elementwise_kernelILi8EZZZNS0_18lgamma_kernel_cudaERNS_18TensorIteratorBaseEENKUlvE_clEvENKUlvE1_clEvEUlN3c104HalfEE_St5arrayIPcLm2EEEEviT0_T1_,"axG",@progbits,_ZN2at6native29vectorized_elementwise_kernelILi8EZZZNS0_18lgamma_kernel_cudaERNS_18TensorIteratorBaseEENKUlvE_clEvENKUlvE1_clEvEUlN3c104HalfEE_St5arrayIPcLm2EEEEviT0_T1_,comdat
	.globl	_ZN2at6native29vectorized_elementwise_kernelILi8EZZZNS0_18lgamma_kernel_cudaERNS_18TensorIteratorBaseEENKUlvE_clEvENKUlvE1_clEvEUlN3c104HalfEE_St5arrayIPcLm2EEEEviT0_T1_ ; -- Begin function _ZN2at6native29vectorized_elementwise_kernelILi8EZZZNS0_18lgamma_kernel_cudaERNS_18TensorIteratorBaseEENKUlvE_clEvENKUlvE1_clEvEUlN3c104HalfEE_St5arrayIPcLm2EEEEviT0_T1_
	.p2align	8
	.type	_ZN2at6native29vectorized_elementwise_kernelILi8EZZZNS0_18lgamma_kernel_cudaERNS_18TensorIteratorBaseEENKUlvE_clEvENKUlvE1_clEvEUlN3c104HalfEE_St5arrayIPcLm2EEEEviT0_T1_,@function
_ZN2at6native29vectorized_elementwise_kernelILi8EZZZNS0_18lgamma_kernel_cudaERNS_18TensorIteratorBaseEENKUlvE_clEvENKUlvE1_clEvEUlN3c104HalfEE_St5arrayIPcLm2EEEEviT0_T1_: ; @_ZN2at6native29vectorized_elementwise_kernelILi8EZZZNS0_18lgamma_kernel_cudaERNS_18TensorIteratorBaseEENKUlvE_clEvENKUlvE1_clEvEUlN3c104HalfEE_St5arrayIPcLm2EEEEviT0_T1_
; %bb.0:
	s_mov_b32 s33, s6
	s_load_dword s6, s[4:5], 0x0
	s_load_dwordx4 s[36:39], s[4:5], 0x8
	s_add_u32 s0, s0, s7
	s_addc_u32 s1, s1, 0
	s_lshl_b32 s4, s33, 11
	s_waitcnt lgkmcnt(0)
	s_sub_i32 s34, s6, s4
	v_mov_b32_e32 v35, v0
	s_cmpk_gt_i32 s34, 0x7ff
	s_mov_b64 s[4:5], -1
	s_mov_b32 s32, 0
	s_cbranch_scc1 .LBB148_3
; %bb.1:
	s_andn2_b64 vcc, exec, s[4:5]
	s_cbranch_vccz .LBB148_4
.LBB148_2:
	s_endpgm
.LBB148_3:
	s_getpc_b64 s[4:5]
	s_add_u32 s4, s4, _ZN2at6native25elementwise_kernel_helperILb0EZZZNS0_18lgamma_kernel_cudaERNS_18TensorIteratorBaseEENKUlvE_clEvENKUlvE1_clEvEUlN3c104HalfEE_NS0_6memory8policies10vectorizedILi8ESt5arrayIPcLm2EELi8EEEEEvT0_T1_@rel32@lo+4
	s_addc_u32 s5, s5, _ZN2at6native25elementwise_kernel_helperILb0EZZZNS0_18lgamma_kernel_cudaERNS_18TensorIteratorBaseEENKUlvE_clEvENKUlvE1_clEvEUlN3c104HalfEE_NS0_6memory8policies10vectorizedILi8ESt5arrayIPcLm2EELi8EEEEEvT0_T1_@rel32@hi+12
	s_mov_b32 s12, s33
	v_mov_b32_e32 v31, v35
	v_mov_b32_e32 v0, s36
	;; [unrolled: 1-line block ×5, first 2 shown]
	s_swappc_b64 s[30:31], s[4:5]
	s_cbranch_execnz .LBB148_2
.LBB148_4:
	s_getpc_b64 s[4:5]
	s_add_u32 s4, s4, _ZN2at6native25elementwise_kernel_helperILb0EZZZNS0_18lgamma_kernel_cudaERNS_18TensorIteratorBaseEENKUlvE_clEvENKUlvE1_clEvEUlN3c104HalfEE_NS0_6memory8policies11unroll_baseILi256ESt5arrayIPcLm2EE23TrivialOffsetCalculatorILi1EjESG_NS9_15LoadWithoutCastENS9_16StoreWithoutCastELi8ELi1EEEEEvT0_T1_@rel32@lo+4
	s_addc_u32 s5, s5, _ZN2at6native25elementwise_kernel_helperILb0EZZZNS0_18lgamma_kernel_cudaERNS_18TensorIteratorBaseEENKUlvE_clEvENKUlvE1_clEvEUlN3c104HalfEE_NS0_6memory8policies11unroll_baseILi256ESt5arrayIPcLm2EE23TrivialOffsetCalculatorILi1EjESG_NS9_15LoadWithoutCastENS9_16StoreWithoutCastELi8ELi1EEEEEvT0_T1_@rel32@hi+12
	s_mov_b32 s12, s33
	v_mov_b32_e32 v31, v35
	v_mov_b32_e32 v0, s36
	;; [unrolled: 1-line block ×6, first 2 shown]
	s_swappc_b64 s[30:31], s[4:5]
	s_endpgm
	.section	.rodata,"a",@progbits
	.p2align	6, 0x0
	.amdhsa_kernel _ZN2at6native29vectorized_elementwise_kernelILi8EZZZNS0_18lgamma_kernel_cudaERNS_18TensorIteratorBaseEENKUlvE_clEvENKUlvE1_clEvEUlN3c104HalfEE_St5arrayIPcLm2EEEEviT0_T1_
		.amdhsa_group_segment_fixed_size 0
		.amdhsa_private_segment_fixed_size 0
		.amdhsa_kernarg_size 24
		.amdhsa_user_sgpr_count 6
		.amdhsa_user_sgpr_private_segment_buffer 1
		.amdhsa_user_sgpr_dispatch_ptr 0
		.amdhsa_user_sgpr_queue_ptr 0
		.amdhsa_user_sgpr_kernarg_segment_ptr 1
		.amdhsa_user_sgpr_dispatch_id 0
		.amdhsa_user_sgpr_flat_scratch_init 0
		.amdhsa_user_sgpr_private_segment_size 0
		.amdhsa_uses_dynamic_stack 0
		.amdhsa_system_sgpr_private_segment_wavefront_offset 0
		.amdhsa_system_sgpr_workgroup_id_x 1
		.amdhsa_system_sgpr_workgroup_id_y 0
		.amdhsa_system_sgpr_workgroup_id_z 0
		.amdhsa_system_sgpr_workgroup_info 0
		.amdhsa_system_vgpr_workitem_id 0
		.amdhsa_next_free_vgpr 36
		.amdhsa_next_free_sgpr 40
		.amdhsa_reserve_vcc 1
		.amdhsa_reserve_flat_scratch 0
		.amdhsa_float_round_mode_32 0
		.amdhsa_float_round_mode_16_64 0
		.amdhsa_float_denorm_mode_32 3
		.amdhsa_float_denorm_mode_16_64 3
		.amdhsa_dx10_clamp 1
		.amdhsa_ieee_mode 1
		.amdhsa_fp16_overflow 0
		.amdhsa_exception_fp_ieee_invalid_op 0
		.amdhsa_exception_fp_denorm_src 0
		.amdhsa_exception_fp_ieee_div_zero 0
		.amdhsa_exception_fp_ieee_overflow 0
		.amdhsa_exception_fp_ieee_underflow 0
		.amdhsa_exception_fp_ieee_inexact 0
		.amdhsa_exception_int_div_zero 0
	.end_amdhsa_kernel
	.section	.text._ZN2at6native29vectorized_elementwise_kernelILi8EZZZNS0_18lgamma_kernel_cudaERNS_18TensorIteratorBaseEENKUlvE_clEvENKUlvE1_clEvEUlN3c104HalfEE_St5arrayIPcLm2EEEEviT0_T1_,"axG",@progbits,_ZN2at6native29vectorized_elementwise_kernelILi8EZZZNS0_18lgamma_kernel_cudaERNS_18TensorIteratorBaseEENKUlvE_clEvENKUlvE1_clEvEUlN3c104HalfEE_St5arrayIPcLm2EEEEviT0_T1_,comdat
.Lfunc_end148:
	.size	_ZN2at6native29vectorized_elementwise_kernelILi8EZZZNS0_18lgamma_kernel_cudaERNS_18TensorIteratorBaseEENKUlvE_clEvENKUlvE1_clEvEUlN3c104HalfEE_St5arrayIPcLm2EEEEviT0_T1_, .Lfunc_end148-_ZN2at6native29vectorized_elementwise_kernelILi8EZZZNS0_18lgamma_kernel_cudaERNS_18TensorIteratorBaseEENKUlvE_clEvENKUlvE1_clEvEUlN3c104HalfEE_St5arrayIPcLm2EEEEviT0_T1_
                                        ; -- End function
	.set _ZN2at6native29vectorized_elementwise_kernelILi8EZZZNS0_18lgamma_kernel_cudaERNS_18TensorIteratorBaseEENKUlvE_clEvENKUlvE1_clEvEUlN3c104HalfEE_St5arrayIPcLm2EEEEviT0_T1_.num_vgpr, max(36, .L_ZN2at6native25elementwise_kernel_helperILb0EZZZNS0_18lgamma_kernel_cudaERNS_18TensorIteratorBaseEENKUlvE_clEvENKUlvE1_clEvEUlN3c104HalfEE_NS0_6memory8policies10vectorizedILi8ESt5arrayIPcLm2EELi8EEEEEvT0_T1_.num_vgpr, .L_ZN2at6native25elementwise_kernel_helperILb0EZZZNS0_18lgamma_kernel_cudaERNS_18TensorIteratorBaseEENKUlvE_clEvENKUlvE1_clEvEUlN3c104HalfEE_NS0_6memory8policies11unroll_baseILi256ESt5arrayIPcLm2EE23TrivialOffsetCalculatorILi1EjESG_NS9_15LoadWithoutCastENS9_16StoreWithoutCastELi8ELi1EEEEEvT0_T1_.num_vgpr)
	.set _ZN2at6native29vectorized_elementwise_kernelILi8EZZZNS0_18lgamma_kernel_cudaERNS_18TensorIteratorBaseEENKUlvE_clEvENKUlvE1_clEvEUlN3c104HalfEE_St5arrayIPcLm2EEEEviT0_T1_.num_agpr, max(0, .L_ZN2at6native25elementwise_kernel_helperILb0EZZZNS0_18lgamma_kernel_cudaERNS_18TensorIteratorBaseEENKUlvE_clEvENKUlvE1_clEvEUlN3c104HalfEE_NS0_6memory8policies10vectorizedILi8ESt5arrayIPcLm2EELi8EEEEEvT0_T1_.num_agpr, .L_ZN2at6native25elementwise_kernel_helperILb0EZZZNS0_18lgamma_kernel_cudaERNS_18TensorIteratorBaseEENKUlvE_clEvENKUlvE1_clEvEUlN3c104HalfEE_NS0_6memory8policies11unroll_baseILi256ESt5arrayIPcLm2EE23TrivialOffsetCalculatorILi1EjESG_NS9_15LoadWithoutCastENS9_16StoreWithoutCastELi8ELi1EEEEEvT0_T1_.num_agpr)
	.set _ZN2at6native29vectorized_elementwise_kernelILi8EZZZNS0_18lgamma_kernel_cudaERNS_18TensorIteratorBaseEENKUlvE_clEvENKUlvE1_clEvEUlN3c104HalfEE_St5arrayIPcLm2EEEEviT0_T1_.numbered_sgpr, max(40, .L_ZN2at6native25elementwise_kernel_helperILb0EZZZNS0_18lgamma_kernel_cudaERNS_18TensorIteratorBaseEENKUlvE_clEvENKUlvE1_clEvEUlN3c104HalfEE_NS0_6memory8policies10vectorizedILi8ESt5arrayIPcLm2EELi8EEEEEvT0_T1_.numbered_sgpr, .L_ZN2at6native25elementwise_kernel_helperILb0EZZZNS0_18lgamma_kernel_cudaERNS_18TensorIteratorBaseEENKUlvE_clEvENKUlvE1_clEvEUlN3c104HalfEE_NS0_6memory8policies11unroll_baseILi256ESt5arrayIPcLm2EE23TrivialOffsetCalculatorILi1EjESG_NS9_15LoadWithoutCastENS9_16StoreWithoutCastELi8ELi1EEEEEvT0_T1_.numbered_sgpr)
	.set _ZN2at6native29vectorized_elementwise_kernelILi8EZZZNS0_18lgamma_kernel_cudaERNS_18TensorIteratorBaseEENKUlvE_clEvENKUlvE1_clEvEUlN3c104HalfEE_St5arrayIPcLm2EEEEviT0_T1_.num_named_barrier, max(0, .L_ZN2at6native25elementwise_kernel_helperILb0EZZZNS0_18lgamma_kernel_cudaERNS_18TensorIteratorBaseEENKUlvE_clEvENKUlvE1_clEvEUlN3c104HalfEE_NS0_6memory8policies10vectorizedILi8ESt5arrayIPcLm2EELi8EEEEEvT0_T1_.num_named_barrier, .L_ZN2at6native25elementwise_kernel_helperILb0EZZZNS0_18lgamma_kernel_cudaERNS_18TensorIteratorBaseEENKUlvE_clEvENKUlvE1_clEvEUlN3c104HalfEE_NS0_6memory8policies11unroll_baseILi256ESt5arrayIPcLm2EE23TrivialOffsetCalculatorILi1EjESG_NS9_15LoadWithoutCastENS9_16StoreWithoutCastELi8ELi1EEEEEvT0_T1_.num_named_barrier)
	.set _ZN2at6native29vectorized_elementwise_kernelILi8EZZZNS0_18lgamma_kernel_cudaERNS_18TensorIteratorBaseEENKUlvE_clEvENKUlvE1_clEvEUlN3c104HalfEE_St5arrayIPcLm2EEEEviT0_T1_.private_seg_size, 0+max(.L_ZN2at6native25elementwise_kernel_helperILb0EZZZNS0_18lgamma_kernel_cudaERNS_18TensorIteratorBaseEENKUlvE_clEvENKUlvE1_clEvEUlN3c104HalfEE_NS0_6memory8policies10vectorizedILi8ESt5arrayIPcLm2EELi8EEEEEvT0_T1_.private_seg_size, .L_ZN2at6native25elementwise_kernel_helperILb0EZZZNS0_18lgamma_kernel_cudaERNS_18TensorIteratorBaseEENKUlvE_clEvENKUlvE1_clEvEUlN3c104HalfEE_NS0_6memory8policies11unroll_baseILi256ESt5arrayIPcLm2EE23TrivialOffsetCalculatorILi1EjESG_NS9_15LoadWithoutCastENS9_16StoreWithoutCastELi8ELi1EEEEEvT0_T1_.private_seg_size)
	.set _ZN2at6native29vectorized_elementwise_kernelILi8EZZZNS0_18lgamma_kernel_cudaERNS_18TensorIteratorBaseEENKUlvE_clEvENKUlvE1_clEvEUlN3c104HalfEE_St5arrayIPcLm2EEEEviT0_T1_.uses_vcc, or(1, .L_ZN2at6native25elementwise_kernel_helperILb0EZZZNS0_18lgamma_kernel_cudaERNS_18TensorIteratorBaseEENKUlvE_clEvENKUlvE1_clEvEUlN3c104HalfEE_NS0_6memory8policies10vectorizedILi8ESt5arrayIPcLm2EELi8EEEEEvT0_T1_.uses_vcc, .L_ZN2at6native25elementwise_kernel_helperILb0EZZZNS0_18lgamma_kernel_cudaERNS_18TensorIteratorBaseEENKUlvE_clEvENKUlvE1_clEvEUlN3c104HalfEE_NS0_6memory8policies11unroll_baseILi256ESt5arrayIPcLm2EE23TrivialOffsetCalculatorILi1EjESG_NS9_15LoadWithoutCastENS9_16StoreWithoutCastELi8ELi1EEEEEvT0_T1_.uses_vcc)
	.set _ZN2at6native29vectorized_elementwise_kernelILi8EZZZNS0_18lgamma_kernel_cudaERNS_18TensorIteratorBaseEENKUlvE_clEvENKUlvE1_clEvEUlN3c104HalfEE_St5arrayIPcLm2EEEEviT0_T1_.uses_flat_scratch, or(0, .L_ZN2at6native25elementwise_kernel_helperILb0EZZZNS0_18lgamma_kernel_cudaERNS_18TensorIteratorBaseEENKUlvE_clEvENKUlvE1_clEvEUlN3c104HalfEE_NS0_6memory8policies10vectorizedILi8ESt5arrayIPcLm2EELi8EEEEEvT0_T1_.uses_flat_scratch, .L_ZN2at6native25elementwise_kernel_helperILb0EZZZNS0_18lgamma_kernel_cudaERNS_18TensorIteratorBaseEENKUlvE_clEvENKUlvE1_clEvEUlN3c104HalfEE_NS0_6memory8policies11unroll_baseILi256ESt5arrayIPcLm2EE23TrivialOffsetCalculatorILi1EjESG_NS9_15LoadWithoutCastENS9_16StoreWithoutCastELi8ELi1EEEEEvT0_T1_.uses_flat_scratch)
	.set _ZN2at6native29vectorized_elementwise_kernelILi8EZZZNS0_18lgamma_kernel_cudaERNS_18TensorIteratorBaseEENKUlvE_clEvENKUlvE1_clEvEUlN3c104HalfEE_St5arrayIPcLm2EEEEviT0_T1_.has_dyn_sized_stack, or(0, .L_ZN2at6native25elementwise_kernel_helperILb0EZZZNS0_18lgamma_kernel_cudaERNS_18TensorIteratorBaseEENKUlvE_clEvENKUlvE1_clEvEUlN3c104HalfEE_NS0_6memory8policies10vectorizedILi8ESt5arrayIPcLm2EELi8EEEEEvT0_T1_.has_dyn_sized_stack, .L_ZN2at6native25elementwise_kernel_helperILb0EZZZNS0_18lgamma_kernel_cudaERNS_18TensorIteratorBaseEENKUlvE_clEvENKUlvE1_clEvEUlN3c104HalfEE_NS0_6memory8policies11unroll_baseILi256ESt5arrayIPcLm2EE23TrivialOffsetCalculatorILi1EjESG_NS9_15LoadWithoutCastENS9_16StoreWithoutCastELi8ELi1EEEEEvT0_T1_.has_dyn_sized_stack)
	.set _ZN2at6native29vectorized_elementwise_kernelILi8EZZZNS0_18lgamma_kernel_cudaERNS_18TensorIteratorBaseEENKUlvE_clEvENKUlvE1_clEvEUlN3c104HalfEE_St5arrayIPcLm2EEEEviT0_T1_.has_recursion, or(0, .L_ZN2at6native25elementwise_kernel_helperILb0EZZZNS0_18lgamma_kernel_cudaERNS_18TensorIteratorBaseEENKUlvE_clEvENKUlvE1_clEvEUlN3c104HalfEE_NS0_6memory8policies10vectorizedILi8ESt5arrayIPcLm2EELi8EEEEEvT0_T1_.has_recursion, .L_ZN2at6native25elementwise_kernel_helperILb0EZZZNS0_18lgamma_kernel_cudaERNS_18TensorIteratorBaseEENKUlvE_clEvENKUlvE1_clEvEUlN3c104HalfEE_NS0_6memory8policies11unroll_baseILi256ESt5arrayIPcLm2EE23TrivialOffsetCalculatorILi1EjESG_NS9_15LoadWithoutCastENS9_16StoreWithoutCastELi8ELi1EEEEEvT0_T1_.has_recursion)
	.set _ZN2at6native29vectorized_elementwise_kernelILi8EZZZNS0_18lgamma_kernel_cudaERNS_18TensorIteratorBaseEENKUlvE_clEvENKUlvE1_clEvEUlN3c104HalfEE_St5arrayIPcLm2EEEEviT0_T1_.has_indirect_call, or(0, .L_ZN2at6native25elementwise_kernel_helperILb0EZZZNS0_18lgamma_kernel_cudaERNS_18TensorIteratorBaseEENKUlvE_clEvENKUlvE1_clEvEUlN3c104HalfEE_NS0_6memory8policies10vectorizedILi8ESt5arrayIPcLm2EELi8EEEEEvT0_T1_.has_indirect_call, .L_ZN2at6native25elementwise_kernel_helperILb0EZZZNS0_18lgamma_kernel_cudaERNS_18TensorIteratorBaseEENKUlvE_clEvENKUlvE1_clEvEUlN3c104HalfEE_NS0_6memory8policies11unroll_baseILi256ESt5arrayIPcLm2EE23TrivialOffsetCalculatorILi1EjESG_NS9_15LoadWithoutCastENS9_16StoreWithoutCastELi8ELi1EEEEEvT0_T1_.has_indirect_call)
	.section	.AMDGPU.csdata,"",@progbits
; Kernel info:
; codeLenInByte = 180
; TotalNumSgprs: 44
; NumVgprs: 36
; ScratchSize: 0
; MemoryBound: 0
; FloatMode: 240
; IeeeMode: 1
; LDSByteSize: 0 bytes/workgroup (compile time only)
; SGPRBlocks: 5
; VGPRBlocks: 8
; NumSGPRsForWavesPerEU: 44
; NumVGPRsForWavesPerEU: 36
; Occupancy: 7
; WaveLimiterHint : 0
; COMPUTE_PGM_RSRC2:SCRATCH_EN: 0
; COMPUTE_PGM_RSRC2:USER_SGPR: 6
; COMPUTE_PGM_RSRC2:TRAP_HANDLER: 0
; COMPUTE_PGM_RSRC2:TGID_X_EN: 1
; COMPUTE_PGM_RSRC2:TGID_Y_EN: 0
; COMPUTE_PGM_RSRC2:TGID_Z_EN: 0
; COMPUTE_PGM_RSRC2:TIDIG_COMP_CNT: 0
	.section	.text._ZN2at6native29vectorized_elementwise_kernelILi4EZZZNS0_18lgamma_kernel_cudaERNS_18TensorIteratorBaseEENKUlvE_clEvENKUlvE1_clEvEUlN3c104HalfEE_St5arrayIPcLm2EEEEviT0_T1_,"axG",@progbits,_ZN2at6native29vectorized_elementwise_kernelILi4EZZZNS0_18lgamma_kernel_cudaERNS_18TensorIteratorBaseEENKUlvE_clEvENKUlvE1_clEvEUlN3c104HalfEE_St5arrayIPcLm2EEEEviT0_T1_,comdat
	.globl	_ZN2at6native29vectorized_elementwise_kernelILi4EZZZNS0_18lgamma_kernel_cudaERNS_18TensorIteratorBaseEENKUlvE_clEvENKUlvE1_clEvEUlN3c104HalfEE_St5arrayIPcLm2EEEEviT0_T1_ ; -- Begin function _ZN2at6native29vectorized_elementwise_kernelILi4EZZZNS0_18lgamma_kernel_cudaERNS_18TensorIteratorBaseEENKUlvE_clEvENKUlvE1_clEvEUlN3c104HalfEE_St5arrayIPcLm2EEEEviT0_T1_
	.p2align	8
	.type	_ZN2at6native29vectorized_elementwise_kernelILi4EZZZNS0_18lgamma_kernel_cudaERNS_18TensorIteratorBaseEENKUlvE_clEvENKUlvE1_clEvEUlN3c104HalfEE_St5arrayIPcLm2EEEEviT0_T1_,@function
_ZN2at6native29vectorized_elementwise_kernelILi4EZZZNS0_18lgamma_kernel_cudaERNS_18TensorIteratorBaseEENKUlvE_clEvENKUlvE1_clEvEUlN3c104HalfEE_St5arrayIPcLm2EEEEviT0_T1_: ; @_ZN2at6native29vectorized_elementwise_kernelILi4EZZZNS0_18lgamma_kernel_cudaERNS_18TensorIteratorBaseEENKUlvE_clEvENKUlvE1_clEvEUlN3c104HalfEE_St5arrayIPcLm2EEEEviT0_T1_
; %bb.0:
	s_add_u32 s0, s0, s7
	s_load_dword s7, s[4:5], 0x0
	s_load_dwordx4 s[24:27], s[4:5], 0x8
	s_addc_u32 s1, s1, 0
	s_lshl_b32 s4, s6, 11
	s_mov_b64 s[8:9], -1
	s_waitcnt lgkmcnt(0)
	s_sub_i32 s7, s7, s4
	s_cmpk_gt_i32 s7, 0x7ff
	s_mov_b32 s32, 0
	s_cbranch_scc1 .LBB149_3
; %bb.1:
	s_and_b64 vcc, exec, s[8:9]
	s_cbranch_vccnz .LBB149_308
.LBB149_2:
	s_endpgm
.LBB149_3:
	s_ashr_i32 s5, s4, 31
	s_lshl_b64 s[28:29], s[4:5], 1
	s_add_u32 s4, s26, s28
	s_addc_u32 s5, s27, s29
	v_lshlrev_b32_e32 v5, 3, v0
	global_load_dwordx2 v[1:2], v5, s[4:5]
	global_load_dwordx2 v[3:4], v5, s[4:5] offset:2048
	s_mov_b32 s4, 0x3c800000
                                        ; implicit-def: $vgpr7
	s_waitcnt vmcnt(1)
	v_cvt_f32_f16_e32 v6, v1
	v_and_b32_e32 v8, 0x7fffffff, v6
	v_cmp_nlt_f32_e64 s[4:5], |v6|, s4
	s_and_saveexec_b64 s[8:9], s[4:5]
	s_xor_b64 s[8:9], exec, s[8:9]
	s_cbranch_execz .LBB149_33
; %bb.4:
	v_cmp_nlt_f32_e64 s[4:5], |v6|, 2.0
                                        ; implicit-def: $vgpr7
	s_and_saveexec_b64 s[10:11], s[4:5]
	s_xor_b64 s[10:11], exec, s[10:11]
	s_cbranch_execz .LBB149_14
; %bb.5:
	s_mov_b32 s4, 0x41000000
	v_cmp_nlt_f32_e64 s[4:5], |v6|, s4
                                        ; implicit-def: $vgpr7
	s_and_saveexec_b64 s[12:13], s[4:5]
	s_xor_b64 s[12:13], exec, s[12:13]
	s_cbranch_execz .LBB149_11
; %bb.6:
	s_mov_b32 s4, 0x5c800000
	v_cmp_nlt_f32_e64 s[4:5], |v6|, s4
                                        ; implicit-def: $vgpr7
	s_and_saveexec_b64 s[14:15], s[4:5]
	s_xor_b64 s[14:15], exec, s[14:15]
	s_cbranch_execz .LBB149_8
; %bb.7:
	s_mov_b32 s4, 0x800000
	v_cmp_lt_f32_e64 vcc, |v6|, s4
	v_cndmask_b32_e64 v7, 0, 32, vcc
	v_ldexp_f32 v7, |v6|, v7
	v_log_f32_e32 v7, v7
	s_mov_b32 s4, 0x3f317217
	s_mov_b32 s5, 0x7f800000
	v_mul_f32_e32 v9, 0x3f317217, v7
	v_fma_f32 v10, v7, s4, -v9
	v_fmac_f32_e32 v10, 0x3377d1cf, v7
	v_add_f32_e32 v9, v9, v10
	v_cmp_lt_f32_e64 s[4:5], |v7|, s5
	v_cndmask_b32_e64 v7, v7, v9, s[4:5]
	v_mov_b32_e32 v9, 0x41b17218
	v_cndmask_b32_e32 v9, 0, v9, vcc
	v_sub_f32_e32 v7, v7, v9
	v_fma_f32 v7, |v6|, v7, -|v6|
.LBB149_8:
	s_andn2_saveexec_b64 s[14:15], s[14:15]
	s_cbranch_execz .LBB149_10
; %bb.9:
	v_rcp_f32_e64 v9, |v6|
	v_mov_b32_e32 v7, 0x3a5b3dd2
	v_mov_b32_e32 v10, 0xba1c065c
	;; [unrolled: 1-line block ×3, first 2 shown]
	v_mul_f32_e32 v12, v9, v9
	v_fmac_f32_e32 v7, 0xbad5c4e8, v12
	v_fmac_f32_e32 v10, v12, v7
	s_mov_b32 s4, 0x800000
	v_fmac_f32_e32 v11, v12, v10
	v_mov_b32_e32 v7, 0xbb360b61
	v_cmp_lt_f32_e64 vcc, |v6|, s4
	v_fmac_f32_e32 v7, v12, v11
	v_cndmask_b32_e64 v11, 0, 32, vcc
	v_ldexp_f32 v11, |v6|, v11
	v_log_f32_e32 v11, v11
	v_mov_b32_e32 v10, 0x3daaaaab
	v_fmac_f32_e32 v10, v12, v7
	v_mov_b32_e32 v7, 0x3ed67f1d
	v_fmac_f32_e32 v7, v9, v10
	s_mov_b32 s4, 0x3f317217
	v_mul_f32_e32 v10, 0x3f317217, v11
	v_fma_f32 v12, v11, s4, -v10
	v_fmac_f32_e32 v12, 0x3377d1cf, v11
	s_mov_b32 s4, 0x7f800000
	v_add_f32_e32 v10, v10, v12
	v_cmp_lt_f32_e64 s[4:5], |v11|, s4
	v_cndmask_b32_e64 v10, v11, v10, s[4:5]
	v_mov_b32_e32 v11, 0x41b17218
	v_cndmask_b32_e32 v11, 0, v11, vcc
	v_sub_f32_e32 v10, v10, v11
	v_add_f32_e64 v9, |v6|, -0.5
	v_add_f32_e32 v10, -1.0, v10
	v_fmac_f32_e32 v7, v9, v10
.LBB149_10:
	s_or_b64 exec, exec, s[14:15]
.LBB149_11:
	s_andn2_saveexec_b64 s[12:13], s[12:13]
	s_cbranch_execz .LBB149_13
; %bb.12:
	v_cvt_i32_f32_e32 v7, v8
	v_mov_b32_e32 v9, 0x3af135b4
	v_mov_b32_e32 v10, 0x3cda40e4
	;; [unrolled: 1-line block ×3, first 2 shown]
	v_cvt_f32_i32_e32 v12, v7
	v_mov_b32_e32 v13, 0x3ea6cc7a
	v_mov_b32_e32 v14, 0x3e5c245a
	v_cmp_lt_i32_e32 vcc, 2, v7
	v_sub_f32_e64 v12, |v6|, v12
	v_fmac_f32_e32 v9, 0x3805ff67, v12
	v_fmac_f32_e32 v10, v12, v9
	;; [unrolled: 1-line block ×3, first 2 shown]
	v_mov_b32_e32 v10, 0x3a4beed6
	v_fmac_f32_e32 v13, v12, v11
	v_fmac_f32_e32 v10, 0x36f5d7bd, v12
	v_mov_b32_e32 v11, 0x3c98bf54
	v_fmac_f32_e32 v11, v12, v10
	v_mov_b32_e32 v10, 0x3e300f6e
	v_fmac_f32_e32 v10, v12, v11
	v_mov_b32_e32 v11, 0x3f38d0c5
	v_fmac_f32_e32 v11, v12, v10
	v_mov_b32_e32 v10, 0x3fb22d3b
	v_fmac_f32_e32 v10, v12, v11
	v_add_f32_e32 v11, 2.0, v12
	v_mov_b32_e32 v15, 0xbd9e233f
	v_fmac_f32_e32 v14, v12, v13
	v_add_f32_e32 v13, 0x40400000, v12
	v_cndmask_b32_e32 v11, 1.0, v11, vcc
	v_cmp_lt_i32_e32 vcc, 3, v7
	v_fmac_f32_e32 v15, v12, v14
	v_add_f32_e32 v14, 4.0, v12
	v_cndmask_b32_e32 v13, 1.0, v13, vcc
	v_cmp_lt_i32_e32 vcc, 4, v7
	v_mul_f32_e32 v9, v12, v15
	v_add_f32_e32 v15, 0x40a00000, v12
	v_mul_f32_e32 v11, v11, v13
	v_cndmask_b32_e32 v13, 1.0, v14, vcc
	v_cmp_lt_i32_e32 vcc, 5, v7
	v_add_f32_e32 v16, 0x40c00000, v12
	v_mul_f32_e32 v11, v13, v11
	v_cndmask_b32_e32 v13, 1.0, v15, vcc
	v_cmp_lt_i32_e32 vcc, 6, v7
	v_mul_f32_e32 v11, v13, v11
	v_cndmask_b32_e32 v7, 1.0, v16, vcc
	v_mul_f32_e32 v7, v7, v11
	s_mov_b32 s4, 0x800000
	v_cmp_gt_f32_e32 vcc, s4, v7
	v_cndmask_b32_e64 v11, 0, 32, vcc
	v_fma_f32 v10, v12, v10, 1.0
	v_ldexp_f32 v7, v7, v11
	v_rcp_f32_e32 v10, v10
	v_log_f32_e32 v7, v7
	s_mov_b32 s4, 0x3f317217
	v_mul_f32_e32 v9, v9, v10
	v_mul_f32_e32 v10, 0x3f317217, v7
	v_fma_f32 v11, v7, s4, -v10
	v_fmac_f32_e32 v11, 0x3377d1cf, v7
	s_mov_b32 s4, 0x7f800000
	v_add_f32_e32 v10, v10, v11
	v_cmp_lt_f32_e64 s[4:5], |v7|, s4
	v_cndmask_b32_e64 v7, v7, v10, s[4:5]
	v_mov_b32_e32 v10, 0x41b17218
	v_cndmask_b32_e32 v10, 0, v10, vcc
	v_fmac_f32_e32 v9, 0.5, v12
	v_sub_f32_e32 v7, v7, v10
	v_add_f32_e32 v7, v7, v9
.LBB149_13:
	s_or_b64 exec, exec, s[12:13]
.LBB149_14:
	s_andn2_saveexec_b64 s[10:11], s[10:11]
	s_cbranch_execz .LBB149_32
; %bb.15:
	s_mov_b32 s4, 0x3f666666
	v_cmp_le_f32_e64 s[4:5], |v6|, s4
                                        ; implicit-def: $vgpr7
                                        ; implicit-def: $vgpr10
                                        ; implicit-def: $vgpr9
	s_and_saveexec_b64 s[12:13], s[4:5]
	s_xor_b64 s[12:13], exec, s[12:13]
	s_cbranch_execz .LBB149_17
; %bb.16:
	s_mov_b32 s4, 0x800000
	v_cmp_lt_f32_e64 vcc, |v6|, s4
	v_cndmask_b32_e64 v7, 0, 32, vcc
	v_ldexp_f32 v7, |v6|, v7
	v_log_f32_e32 v7, v7
	s_mov_b32 s4, 0x3f317217
	s_mov_b32 s5, 0x7f800000
	v_mul_f32_e32 v9, 0x3f317217, v7
	v_fma_f32 v10, v7, s4, -v9
	v_fmac_f32_e32 v10, 0x3377d1cf, v7
	v_add_f32_e32 v9, v9, v10
	v_cmp_lt_f32_e64 s[4:5], |v7|, s5
	v_cndmask_b32_e64 v7, v7, v9, s[4:5]
	v_mov_b32_e32 v9, 0x41b17218
	v_cndmask_b32_e32 v9, 0, v9, vcc
	s_mov_b32 s4, 0x3f3b4a23
	s_mov_b32 s5, 0xbeec5b0c
	v_sub_f32_e32 v7, v7, v9
	v_sub_f32_e64 v9, 1.0, |v6|
	v_add_f32_e64 v10, |v6|, s5
	v_cmp_lt_f32_e64 vcc, |v6|, s4
	s_mov_b32 s4, 0x3e6d3309
	v_cndmask_b32_e32 v9, v9, v10, vcc
	v_cndmask_b32_e64 v10, 0, 1, vcc
	v_cmp_lt_f32_e64 s[4:5], |v6|, s4
	v_xor_b32_e32 v7, 0x80000000, v7
	v_cndmask_b32_e64 v9, v9, |v6|, s[4:5]
	v_cndmask_b32_e64 v10, v10, 2, s[4:5]
.LBB149_17:
	s_andn2_saveexec_b64 s[4:5], s[12:13]
	s_cbranch_execz .LBB149_19
; %bb.18:
	s_mov_b32 s12, 0x3fdda512
	s_mov_b32 s13, 0xbfbb16c3
	v_sub_f32_e64 v7, 2.0, |v6|
	v_add_f32_e64 v9, |v6|, s13
	v_cmp_lt_f32_e64 vcc, |v6|, s12
	v_cndmask_b32_e32 v9, v7, v9, vcc
	v_cndmask_b32_e64 v7, v7, 1.0, vcc
	v_cvt_i32_f32_e32 v7, v7
	s_mov_b32 s12, 0x3f9d70a4
	v_add_f32_e64 v10, |v6|, -1.0
	v_cmp_lt_f32_e64 vcc, |v6|, s12
	v_cndmask_b32_e32 v9, v9, v10, vcc
	v_cndmask_b32_e64 v10, v7, 2, vcc
	v_mov_b32_e32 v7, 0
.LBB149_19:
	s_or_b64 exec, exec, s[4:5]
	v_cmp_lt_i32_e32 vcc, 0, v10
	s_and_saveexec_b64 s[4:5], vcc
	s_xor_b64 s[4:5], exec, s[4:5]
	s_cbranch_execz .LBB149_27
; %bb.20:
	v_cmp_lt_i32_e32 vcc, 1, v10
	s_and_saveexec_b64 s[12:13], vcc
	s_xor_b64 s[12:13], exec, s[12:13]
	s_cbranch_execz .LBB149_24
; %bb.21:
	v_cmp_eq_u32_e32 vcc, 2, v10
	s_and_saveexec_b64 s[14:15], vcc
	s_cbranch_execz .LBB149_23
; %bb.22:
	v_mov_b32_e32 v10, 0x3e6a7578
	v_fmac_f32_e32 v10, 0x3c5b3c5e, v9
	v_mov_b32_e32 v11, 0x3f7a4bb2
	v_fmac_f32_e32 v11, v9, v10
	;; [unrolled: 2-line block ×8, first 2 shown]
	v_fma_f32 v10, v9, v12, 1.0
	v_rcp_f32_e32 v10, v10
	v_mov_b32_e32 v12, 0xbd9e233f
	v_fmac_f32_e32 v12, v9, v11
	v_mul_f32_e32 v11, v9, v12
	v_mul_f32_e32 v10, v11, v10
	v_fmac_f32_e32 v10, -0.5, v9
	v_add_f32_e32 v7, v7, v10
.LBB149_23:
	s_or_b64 exec, exec, s[14:15]
                                        ; implicit-def: $vgpr9
.LBB149_24:
	s_andn2_saveexec_b64 s[12:13], s[12:13]
	s_cbranch_execz .LBB149_26
; %bb.25:
	v_mul_f32_e32 v10, v9, v9
	v_mul_f32_e32 v11, v9, v10
	v_mov_b32_e32 v12, 0xbab7f476
	v_fmac_f32_e32 v12, 0x39a57b6b, v11
	v_mov_b32_e32 v13, 0x3bc7e707
	v_fmac_f32_e32 v13, v11, v12
	;; [unrolled: 2-line block ×12, first 2 shown]
	v_fmac_f32_e32 v14, v9, v15
	s_mov_b32 s14, 0xa2863e55
	v_fma_f32 v9, v11, -v14, s14
	v_fma_f32 v9, v10, v13, -v9
	v_add_f32_e32 v9, 0xbdf8cdce, v9
	v_add_f32_e32 v7, v7, v9
.LBB149_26:
	s_or_b64 exec, exec, s[12:13]
                                        ; implicit-def: $vgpr10
                                        ; implicit-def: $vgpr9
.LBB149_27:
	s_andn2_saveexec_b64 s[4:5], s[4:5]
	s_cbranch_execz .LBB149_31
; %bb.28:
	v_cmp_eq_u32_e32 vcc, 0, v10
	s_and_saveexec_b64 s[12:13], vcc
	s_cbranch_execz .LBB149_30
; %bb.29:
	v_mul_f32_e32 v10, v9, v9
	v_mov_b32_e32 v11, 0x39679767
	v_fmac_f32_e32 v11, 0x37d383a2, v10
	v_mov_b32_e32 v12, 0x3a9c54a1
	v_fmac_f32_e32 v12, v10, v11
	;; [unrolled: 2-line block ×10, first 2 shown]
	v_mul_f32_e32 v10, v10, v12
	v_fmac_f32_e32 v10, v9, v11
	v_fmac_f32_e32 v10, -0.5, v9
	v_add_f32_e32 v7, v7, v10
.LBB149_30:
	s_or_b64 exec, exec, s[12:13]
.LBB149_31:
	s_or_b64 exec, exec, s[4:5]
.LBB149_32:
	s_or_b64 exec, exec, s[10:11]
.LBB149_33:
	s_andn2_saveexec_b64 s[8:9], s[8:9]
	s_cbranch_execz .LBB149_35
; %bb.34:
	s_mov_b32 s4, 0x3e8a8991
	v_mov_b32_e32 v7, 0xbecd26ab
	v_fma_f32 v7, |v6|, s4, v7
	s_mov_b32 s4, 0x3f528d33
	v_fma_f32 v7, |v6|, v7, s4
	s_mov_b32 s4, 0x800000
	v_cmp_lt_f32_e64 vcc, |v6|, s4
	v_cndmask_b32_e64 v9, 0, 32, vcc
	v_ldexp_f32 v9, |v6|, v9
	v_log_f32_e32 v9, v9
	s_mov_b32 s4, 0xbf13c468
	v_fma_f32 v7, |v6|, v7, s4
	s_mov_b32 s4, 0x3f317217
	v_mul_f32_e32 v10, 0x3f317217, v9
	v_fma_f32 v11, v9, s4, -v10
	v_fmac_f32_e32 v11, 0x3377d1cf, v9
	s_mov_b32 s4, 0x7f800000
	v_add_f32_e32 v10, v10, v11
	v_cmp_lt_f32_e64 s[4:5], |v9|, s4
	v_cndmask_b32_e64 v9, v9, v10, s[4:5]
	v_mov_b32_e32 v10, 0x41b17218
	v_cndmask_b32_e32 v10, 0, v10, vcc
	v_sub_f32_e32 v9, v9, v10
	v_fma_f32 v7, |v6|, v7, -v9
.LBB149_35:
	s_or_b64 exec, exec, s[8:9]
	v_cmp_le_f16_e32 vcc, 0, v1
	v_cmp_nle_f16_e64 s[4:5], 0, v1
	s_and_saveexec_b64 s[8:9], s[4:5]
	s_xor_b64 s[10:11], exec, s[8:9]
	s_cbranch_execz .LBB149_39
; %bb.36:
	s_mov_b32 s4, 0x4b000000
	s_mov_b32 s8, 0x35000000
	v_cmp_lt_f32_e64 s[4:5], |v6|, s4
	v_cmp_gt_f32_e64 s[8:9], |v6|, s8
	s_and_b64 s[4:5], s[4:5], s[8:9]
	s_and_saveexec_b64 s[12:13], s[4:5]
	s_cbranch_execz .LBB149_38
; %bb.37:
	v_mul_f32_e64 v9, |v6|, 0.5
	v_floor_f32_e32 v10, v9
	v_sub_f32_e32 v10, v9, v10
	v_min_f32_e32 v10, 0x3f7fffff, v10
	s_mov_b32 s8, 0x7f800000
	v_add_f32_e32 v10, v10, v10
	v_cmp_neq_f32_e64 s[4:5], s8, v9
	v_cndmask_b32_e64 v9, 0, v10, s[4:5]
	v_cmp_gt_f32_e64 s[4:5], |v6|, 1.0
	v_cndmask_b32_e64 v9, |v6|, v9, s[4:5]
	v_add_f32_e32 v10, v9, v9
	v_rndne_f32_e32 v10, v10
	v_fmac_f32_e32 v9, -0.5, v10
	v_mul_f32_e32 v11, v9, v9
	v_mov_b32_e32 v12, 0xbf1f24be
	v_fmac_f32_e32 v12, 0x3e75aa41, v11
	v_mov_b32_e32 v13, 0x40234736
	v_fmac_f32_e32 v13, v11, v12
	;; [unrolled: 2-line block ×3, first 2 shown]
	v_mul_f32_e32 v13, v9, v11
	v_mul_f32_e32 v12, v13, v12
	v_fmac_f32_e32 v12, 0x40490fdb, v9
	v_mov_b32_e32 v9, 0x3e642e9d
	v_cvt_i32_f32_e32 v10, v10
	v_fmac_f32_e32 v9, 0x3d4be544, v11
	v_mov_b32_e32 v13, 0xbfaad1da
	v_fmac_f32_e32 v13, v11, v9
	v_mov_b32_e32 v9, 0x4081e0d3
	;; [unrolled: 2-line block ×3, first 2 shown]
	v_fmac_f32_e32 v13, v11, v9
	v_fma_f32 v9, v11, v13, 1.0
	v_and_b32_e32 v11, 1, v10
	v_lshlrev_b32_e32 v10, 30, v10
	v_cmp_eq_u32_e64 s[4:5], 0, v11
	v_and_b32_e32 v10, 0x80000000, v10
	v_xor_b32_e32 v8, v8, v6
	v_cndmask_b32_e64 v9, v9, v12, s[4:5]
	v_xor_b32_e32 v8, v8, v10
	v_xor_b32_e32 v8, v8, v9
	v_mul_f32_e32 v8, v6, v8
	v_frexp_mant_f32_e64 v9, |v8|
	v_rcp_f32_e32 v9, v9
	v_frexp_exp_i32_f32_e32 v8, v8
	v_sub_u32_e32 v8, 2, v8
	s_mov_b32 s4, 0x800000
	v_mul_f32_e32 v9, 0x3f490fdb, v9
	v_ldexp_f32 v8, v9, v8
	v_cmp_gt_f32_e64 s[4:5], s4, v8
	v_cndmask_b32_e64 v9, 0, 32, s[4:5]
	v_ldexp_f32 v8, v8, v9
	v_log_f32_e32 v8, v8
	s_mov_b32 s9, 0x3f317217
	v_mul_f32_e32 v9, 0x3f317217, v8
	v_fma_f32 v10, v8, s9, -v9
	v_fmac_f32_e32 v10, 0x3377d1cf, v8
	v_add_f32_e32 v9, v9, v10
	v_cmp_lt_f32_e64 s[8:9], |v8|, s8
	v_cndmask_b32_e64 v8, v8, v9, s[8:9]
	v_mov_b32_e32 v9, 0x41b17218
	v_cndmask_b32_e64 v9, 0, v9, s[4:5]
	v_sub_f32_e32 v8, v8, v9
	v_sub_f32_e32 v7, v8, v7
	v_floor_f32_e32 v8, v6
	v_sub_f32_e32 v8, v6, v8
	v_min_f32_e32 v8, 0x3f7fffff, v8
	v_mov_b32_e32 v9, 0x7f800000
	v_cmp_neq_f32_e64 s[4:5], 0, v8
	v_cndmask_b32_e64 v7, v9, v7, s[4:5]
.LBB149_38:
	s_or_b64 exec, exec, s[12:13]
.LBB149_39:
	s_andn2_saveexec_b64 s[10:11], s[10:11]
; %bb.40:
	v_cmp_eq_f16_e64 s[4:5], 1.0, v1
	v_cmp_eq_f16_e64 s[8:9], 2.0, v1
	s_or_b64 s[4:5], s[4:5], s[8:9]
	v_cndmask_b32_e64 v7, v7, 0, s[4:5]
; %bb.41:
	s_or_b64 exec, exec, s[10:11]
	v_lshrrev_b32_e32 v8, 16, v1
	v_cvt_f32_f16_e32 v9, v8
	s_mov_b32 s4, 0x3c800000
                                        ; implicit-def: $vgpr10
	v_and_b32_e32 v11, 0x7fffffff, v9
	v_cmp_nlt_f32_e64 s[4:5], |v9|, s4
	s_and_saveexec_b64 s[8:9], s[4:5]
	s_xor_b64 s[10:11], exec, s[8:9]
	s_cbranch_execz .LBB149_71
; %bb.42:
	v_cmp_nlt_f32_e64 s[4:5], |v9|, 2.0
                                        ; implicit-def: $vgpr10
	s_and_saveexec_b64 s[8:9], s[4:5]
	s_xor_b64 s[12:13], exec, s[8:9]
	s_cbranch_execz .LBB149_52
; %bb.43:
	s_mov_b32 s4, 0x41000000
	v_cmp_nlt_f32_e64 s[4:5], |v9|, s4
                                        ; implicit-def: $vgpr10
	s_and_saveexec_b64 s[8:9], s[4:5]
	s_xor_b64 s[14:15], exec, s[8:9]
	s_cbranch_execz .LBB149_49
; %bb.44:
	s_mov_b32 s4, 0x5c800000
	v_cmp_nlt_f32_e64 s[4:5], |v9|, s4
                                        ; implicit-def: $vgpr10
	s_and_saveexec_b64 s[8:9], s[4:5]
	s_xor_b64 s[16:17], exec, s[8:9]
	s_cbranch_execz .LBB149_46
; %bb.45:
	s_mov_b32 s4, 0x800000
	v_cmp_lt_f32_e64 s[4:5], |v9|, s4
	v_cndmask_b32_e64 v10, 0, 32, s[4:5]
	v_ldexp_f32 v10, |v9|, v10
	v_log_f32_e32 v10, v10
	s_mov_b32 s8, 0x3f317217
	s_mov_b32 s9, 0x7f800000
	v_mul_f32_e32 v12, 0x3f317217, v10
	v_fma_f32 v13, v10, s8, -v12
	v_fmac_f32_e32 v13, 0x3377d1cf, v10
	v_add_f32_e32 v12, v12, v13
	v_cmp_lt_f32_e64 s[8:9], |v10|, s9
	v_cndmask_b32_e64 v10, v10, v12, s[8:9]
	v_mov_b32_e32 v12, 0x41b17218
	v_cndmask_b32_e64 v12, 0, v12, s[4:5]
	v_sub_f32_e32 v10, v10, v12
	v_fma_f32 v10, |v9|, v10, -|v9|
.LBB149_46:
	s_andn2_saveexec_b64 s[16:17], s[16:17]
	s_cbranch_execz .LBB149_48
; %bb.47:
	v_rcp_f32_e64 v12, |v9|
	v_mov_b32_e32 v10, 0x3a5b3dd2
	v_mov_b32_e32 v13, 0xba1c065c
	;; [unrolled: 1-line block ×3, first 2 shown]
	v_mul_f32_e32 v15, v12, v12
	v_fmac_f32_e32 v10, 0xbad5c4e8, v15
	v_fmac_f32_e32 v13, v15, v10
	s_mov_b32 s4, 0x800000
	v_fmac_f32_e32 v14, v15, v13
	v_mov_b32_e32 v10, 0xbb360b61
	v_cmp_lt_f32_e64 s[4:5], |v9|, s4
	v_fmac_f32_e32 v10, v15, v14
	v_cndmask_b32_e64 v14, 0, 32, s[4:5]
	v_ldexp_f32 v14, |v9|, v14
	v_log_f32_e32 v14, v14
	v_mov_b32_e32 v13, 0x3daaaaab
	v_fmac_f32_e32 v13, v15, v10
	v_mov_b32_e32 v10, 0x3ed67f1d
	v_fmac_f32_e32 v10, v12, v13
	s_mov_b32 s8, 0x3f317217
	v_mul_f32_e32 v13, 0x3f317217, v14
	v_fma_f32 v15, v14, s8, -v13
	v_fmac_f32_e32 v15, 0x3377d1cf, v14
	s_mov_b32 s8, 0x7f800000
	v_add_f32_e32 v13, v13, v15
	v_cmp_lt_f32_e64 s[8:9], |v14|, s8
	v_cndmask_b32_e64 v13, v14, v13, s[8:9]
	v_mov_b32_e32 v14, 0x41b17218
	v_cndmask_b32_e64 v14, 0, v14, s[4:5]
	v_sub_f32_e32 v13, v13, v14
	v_add_f32_e64 v12, |v9|, -0.5
	v_add_f32_e32 v13, -1.0, v13
	v_fmac_f32_e32 v10, v12, v13
.LBB149_48:
	s_or_b64 exec, exec, s[16:17]
.LBB149_49:
	s_andn2_saveexec_b64 s[14:15], s[14:15]
	s_cbranch_execz .LBB149_51
; %bb.50:
	v_cvt_i32_f32_e32 v10, v11
	v_mov_b32_e32 v12, 0x3af135b4
	v_mov_b32_e32 v13, 0x3cda40e4
	;; [unrolled: 1-line block ×3, first 2 shown]
	v_cvt_f32_i32_e32 v15, v10
	v_mov_b32_e32 v16, 0x3ea6cc7a
	v_mov_b32_e32 v17, 0x3e5c245a
	v_cmp_lt_i32_e64 s[4:5], 2, v10
	v_sub_f32_e64 v15, |v9|, v15
	v_fmac_f32_e32 v12, 0x3805ff67, v15
	v_fmac_f32_e32 v13, v15, v12
	;; [unrolled: 1-line block ×3, first 2 shown]
	v_mov_b32_e32 v13, 0x3a4beed6
	v_fmac_f32_e32 v16, v15, v14
	v_fmac_f32_e32 v13, 0x36f5d7bd, v15
	v_mov_b32_e32 v14, 0x3c98bf54
	v_fmac_f32_e32 v14, v15, v13
	v_mov_b32_e32 v13, 0x3e300f6e
	;; [unrolled: 2-line block ×4, first 2 shown]
	v_fmac_f32_e32 v13, v15, v14
	v_add_f32_e32 v14, 2.0, v15
	v_mov_b32_e32 v18, 0xbd9e233f
	v_fmac_f32_e32 v17, v15, v16
	v_add_f32_e32 v16, 0x40400000, v15
	v_cndmask_b32_e64 v14, 1.0, v14, s[4:5]
	v_cmp_lt_i32_e64 s[4:5], 3, v10
	v_fmac_f32_e32 v18, v15, v17
	v_add_f32_e32 v17, 4.0, v15
	v_cndmask_b32_e64 v16, 1.0, v16, s[4:5]
	v_cmp_lt_i32_e64 s[4:5], 4, v10
	v_mul_f32_e32 v12, v15, v18
	v_add_f32_e32 v18, 0x40a00000, v15
	v_mul_f32_e32 v14, v14, v16
	v_cndmask_b32_e64 v16, 1.0, v17, s[4:5]
	v_cmp_lt_i32_e64 s[4:5], 5, v10
	v_add_f32_e32 v19, 0x40c00000, v15
	v_mul_f32_e32 v14, v16, v14
	v_cndmask_b32_e64 v16, 1.0, v18, s[4:5]
	v_cmp_lt_i32_e64 s[4:5], 6, v10
	v_mul_f32_e32 v14, v16, v14
	v_cndmask_b32_e64 v10, 1.0, v19, s[4:5]
	v_mul_f32_e32 v10, v10, v14
	s_mov_b32 s4, 0x800000
	v_cmp_gt_f32_e64 s[4:5], s4, v10
	v_cndmask_b32_e64 v14, 0, 32, s[4:5]
	v_fma_f32 v13, v15, v13, 1.0
	v_ldexp_f32 v10, v10, v14
	v_rcp_f32_e32 v13, v13
	v_log_f32_e32 v10, v10
	s_mov_b32 s8, 0x3f317217
	v_mul_f32_e32 v12, v12, v13
	v_mul_f32_e32 v13, 0x3f317217, v10
	v_fma_f32 v14, v10, s8, -v13
	v_fmac_f32_e32 v14, 0x3377d1cf, v10
	s_mov_b32 s8, 0x7f800000
	v_add_f32_e32 v13, v13, v14
	v_cmp_lt_f32_e64 s[8:9], |v10|, s8
	v_cndmask_b32_e64 v10, v10, v13, s[8:9]
	v_mov_b32_e32 v13, 0x41b17218
	v_cndmask_b32_e64 v13, 0, v13, s[4:5]
	v_fmac_f32_e32 v12, 0.5, v15
	v_sub_f32_e32 v10, v10, v13
	v_add_f32_e32 v10, v10, v12
.LBB149_51:
	s_or_b64 exec, exec, s[14:15]
.LBB149_52:
	s_andn2_saveexec_b64 s[12:13], s[12:13]
	s_cbranch_execz .LBB149_70
; %bb.53:
	s_mov_b32 s4, 0x3f666666
	v_cmp_le_f32_e64 s[4:5], |v9|, s4
                                        ; implicit-def: $vgpr10
                                        ; implicit-def: $vgpr13
                                        ; implicit-def: $vgpr12
	s_and_saveexec_b64 s[8:9], s[4:5]
	s_xor_b64 s[14:15], exec, s[8:9]
	s_cbranch_execz .LBB149_55
; %bb.54:
	s_mov_b32 s4, 0x800000
	v_cmp_lt_f32_e64 s[4:5], |v9|, s4
	v_cndmask_b32_e64 v10, 0, 32, s[4:5]
	v_ldexp_f32 v10, |v9|, v10
	v_log_f32_e32 v10, v10
	s_mov_b32 s8, 0x3f317217
	s_mov_b32 s9, 0x7f800000
	v_mul_f32_e32 v12, 0x3f317217, v10
	v_fma_f32 v13, v10, s8, -v12
	v_fmac_f32_e32 v13, 0x3377d1cf, v10
	v_add_f32_e32 v12, v12, v13
	v_cmp_lt_f32_e64 s[8:9], |v10|, s9
	v_cndmask_b32_e64 v10, v10, v12, s[8:9]
	v_mov_b32_e32 v12, 0x41b17218
	v_cndmask_b32_e64 v12, 0, v12, s[4:5]
	s_mov_b32 s4, 0x3f3b4a23
	s_mov_b32 s5, 0xbeec5b0c
	v_sub_f32_e32 v10, v10, v12
	v_sub_f32_e64 v12, 1.0, |v9|
	v_add_f32_e64 v13, |v9|, s5
	v_cmp_lt_f32_e64 s[4:5], |v9|, s4
	v_cndmask_b32_e64 v12, v12, v13, s[4:5]
	v_cndmask_b32_e64 v13, 0, 1, s[4:5]
	s_mov_b32 s4, 0x3e6d3309
	v_cmp_lt_f32_e64 s[4:5], |v9|, s4
	v_xor_b32_e32 v10, 0x80000000, v10
	v_cndmask_b32_e64 v12, v12, |v9|, s[4:5]
	v_cndmask_b32_e64 v13, v13, 2, s[4:5]
.LBB149_55:
	s_andn2_saveexec_b64 s[8:9], s[14:15]
	s_cbranch_execz .LBB149_57
; %bb.56:
	s_mov_b32 s4, 0x3fdda512
	s_mov_b32 s5, 0xbfbb16c3
	v_sub_f32_e64 v10, 2.0, |v9|
	v_add_f32_e64 v12, |v9|, s5
	v_cmp_lt_f32_e64 s[4:5], |v9|, s4
	v_cndmask_b32_e64 v12, v10, v12, s[4:5]
	v_cndmask_b32_e64 v10, v10, 1.0, s[4:5]
	v_cvt_i32_f32_e32 v10, v10
	s_mov_b32 s4, 0x3f9d70a4
	v_add_f32_e64 v13, |v9|, -1.0
	v_cmp_lt_f32_e64 s[4:5], |v9|, s4
	v_cndmask_b32_e64 v12, v12, v13, s[4:5]
	v_cndmask_b32_e64 v13, v10, 2, s[4:5]
	v_mov_b32_e32 v10, 0
.LBB149_57:
	s_or_b64 exec, exec, s[8:9]
	v_cmp_lt_i32_e64 s[4:5], 0, v13
	s_and_saveexec_b64 s[8:9], s[4:5]
	s_xor_b64 s[8:9], exec, s[8:9]
	s_cbranch_execz .LBB149_65
; %bb.58:
	v_cmp_lt_i32_e64 s[4:5], 1, v13
	s_and_saveexec_b64 s[14:15], s[4:5]
	s_xor_b64 s[14:15], exec, s[14:15]
	s_cbranch_execz .LBB149_62
; %bb.59:
	v_cmp_eq_u32_e64 s[4:5], 2, v13
	s_and_saveexec_b64 s[16:17], s[4:5]
	s_cbranch_execz .LBB149_61
; %bb.60:
	v_mov_b32_e32 v13, 0x3e6a7578
	v_fmac_f32_e32 v13, 0x3c5b3c5e, v12
	v_mov_b32_e32 v14, 0x3f7a4bb2
	v_fmac_f32_e32 v14, v12, v13
	;; [unrolled: 2-line block ×8, first 2 shown]
	v_fma_f32 v13, v12, v15, 1.0
	v_rcp_f32_e32 v13, v13
	v_mov_b32_e32 v15, 0xbd9e233f
	v_fmac_f32_e32 v15, v12, v14
	v_mul_f32_e32 v14, v12, v15
	v_mul_f32_e32 v13, v14, v13
	v_fmac_f32_e32 v13, -0.5, v12
	v_add_f32_e32 v10, v10, v13
.LBB149_61:
	s_or_b64 exec, exec, s[16:17]
                                        ; implicit-def: $vgpr12
.LBB149_62:
	s_andn2_saveexec_b64 s[4:5], s[14:15]
	s_cbranch_execz .LBB149_64
; %bb.63:
	v_mul_f32_e32 v13, v12, v12
	v_mul_f32_e32 v14, v12, v13
	v_mov_b32_e32 v15, 0xbab7f476
	v_fmac_f32_e32 v15, 0x39a57b6b, v14
	v_mov_b32_e32 v16, 0x3bc7e707
	v_fmac_f32_e32 v16, v14, v15
	;; [unrolled: 2-line block ×12, first 2 shown]
	v_fmac_f32_e32 v17, v12, v18
	s_mov_b32 s14, 0xa2863e55
	v_fma_f32 v12, v14, -v17, s14
	v_fma_f32 v12, v13, v16, -v12
	v_add_f32_e32 v12, 0xbdf8cdce, v12
	v_add_f32_e32 v10, v10, v12
.LBB149_64:
	s_or_b64 exec, exec, s[4:5]
                                        ; implicit-def: $vgpr13
                                        ; implicit-def: $vgpr12
.LBB149_65:
	s_andn2_saveexec_b64 s[8:9], s[8:9]
	s_cbranch_execz .LBB149_69
; %bb.66:
	v_cmp_eq_u32_e64 s[4:5], 0, v13
	s_and_saveexec_b64 s[14:15], s[4:5]
	s_cbranch_execz .LBB149_68
; %bb.67:
	v_mul_f32_e32 v13, v12, v12
	v_mov_b32_e32 v14, 0x39679767
	v_fmac_f32_e32 v14, 0x37d383a2, v13
	v_mov_b32_e32 v15, 0x3a9c54a1
	v_fmac_f32_e32 v15, v13, v14
	;; [unrolled: 2-line block ×10, first 2 shown]
	v_mul_f32_e32 v13, v13, v15
	v_fmac_f32_e32 v13, v12, v14
	v_fmac_f32_e32 v13, -0.5, v12
	v_add_f32_e32 v10, v10, v13
.LBB149_68:
	s_or_b64 exec, exec, s[14:15]
.LBB149_69:
	s_or_b64 exec, exec, s[8:9]
.LBB149_70:
	s_or_b64 exec, exec, s[12:13]
.LBB149_71:
	s_andn2_saveexec_b64 s[10:11], s[10:11]
	s_cbranch_execz .LBB149_73
; %bb.72:
	s_mov_b32 s4, 0x3e8a8991
	v_mov_b32_e32 v10, 0xbecd26ab
	v_fma_f32 v10, |v9|, s4, v10
	s_mov_b32 s4, 0x3f528d33
	v_fma_f32 v10, |v9|, v10, s4
	s_mov_b32 s4, 0x800000
	v_cmp_lt_f32_e64 s[4:5], |v9|, s4
	v_cndmask_b32_e64 v12, 0, 32, s[4:5]
	v_ldexp_f32 v12, |v9|, v12
	v_log_f32_e32 v12, v12
	s_mov_b32 s8, 0xbf13c468
	v_fma_f32 v10, |v9|, v10, s8
	s_mov_b32 s8, 0x3f317217
	v_mul_f32_e32 v13, 0x3f317217, v12
	v_fma_f32 v14, v12, s8, -v13
	v_fmac_f32_e32 v14, 0x3377d1cf, v12
	s_mov_b32 s8, 0x7f800000
	v_add_f32_e32 v13, v13, v14
	v_cmp_lt_f32_e64 s[8:9], |v12|, s8
	v_cndmask_b32_e64 v12, v12, v13, s[8:9]
	v_mov_b32_e32 v13, 0x41b17218
	v_cndmask_b32_e64 v13, 0, v13, s[4:5]
	v_sub_f32_e32 v12, v12, v13
	v_fma_f32 v10, |v9|, v10, -v12
.LBB149_73:
	s_or_b64 exec, exec, s[10:11]
	v_cmp_le_f16_e64 s[4:5], 0, v8
	v_cmp_nle_f16_e64 s[8:9], 0, v8
	s_and_saveexec_b64 s[10:11], s[8:9]
	s_xor_b64 s[12:13], exec, s[10:11]
	s_cbranch_execz .LBB149_77
; %bb.74:
	s_mov_b32 s8, 0x4b000000
	s_mov_b32 s10, 0x35000000
	v_cmp_lt_f32_e64 s[8:9], |v9|, s8
	v_cmp_gt_f32_e64 s[10:11], |v9|, s10
	s_and_b64 s[8:9], s[8:9], s[10:11]
	s_and_saveexec_b64 s[14:15], s[8:9]
	s_cbranch_execz .LBB149_76
; %bb.75:
	v_mul_f32_e64 v12, |v9|, 0.5
	v_floor_f32_e32 v13, v12
	v_sub_f32_e32 v13, v12, v13
	v_min_f32_e32 v13, 0x3f7fffff, v13
	s_mov_b32 s10, 0x7f800000
	v_add_f32_e32 v13, v13, v13
	v_cmp_neq_f32_e64 s[8:9], s10, v12
	v_cndmask_b32_e64 v12, 0, v13, s[8:9]
	v_cmp_gt_f32_e64 s[8:9], |v9|, 1.0
	v_cndmask_b32_e64 v12, |v9|, v12, s[8:9]
	v_add_f32_e32 v13, v12, v12
	v_rndne_f32_e32 v13, v13
	v_fmac_f32_e32 v12, -0.5, v13
	v_mul_f32_e32 v14, v12, v12
	v_mov_b32_e32 v15, 0xbf1f24be
	v_fmac_f32_e32 v15, 0x3e75aa41, v14
	v_mov_b32_e32 v16, 0x40234736
	v_fmac_f32_e32 v16, v14, v15
	;; [unrolled: 2-line block ×3, first 2 shown]
	v_mul_f32_e32 v16, v12, v14
	v_mul_f32_e32 v15, v16, v15
	v_fmac_f32_e32 v15, 0x40490fdb, v12
	v_mov_b32_e32 v12, 0x3e642e9d
	v_cvt_i32_f32_e32 v13, v13
	v_fmac_f32_e32 v12, 0x3d4be544, v14
	v_mov_b32_e32 v16, 0xbfaad1da
	v_fmac_f32_e32 v16, v14, v12
	v_mov_b32_e32 v12, 0x4081e0d3
	;; [unrolled: 2-line block ×3, first 2 shown]
	v_fmac_f32_e32 v16, v14, v12
	v_fma_f32 v12, v14, v16, 1.0
	v_and_b32_e32 v14, 1, v13
	v_lshlrev_b32_e32 v13, 30, v13
	v_cmp_eq_u32_e64 s[8:9], 0, v14
	v_and_b32_e32 v13, 0x80000000, v13
	v_xor_b32_e32 v11, v11, v9
	v_cndmask_b32_e64 v12, v12, v15, s[8:9]
	v_xor_b32_e32 v11, v11, v13
	v_xor_b32_e32 v11, v11, v12
	v_mul_f32_e32 v11, v9, v11
	v_frexp_mant_f32_e64 v12, |v11|
	v_rcp_f32_e32 v12, v12
	v_frexp_exp_i32_f32_e32 v11, v11
	v_sub_u32_e32 v11, 2, v11
	s_mov_b32 s8, 0x800000
	v_mul_f32_e32 v12, 0x3f490fdb, v12
	v_ldexp_f32 v11, v12, v11
	v_cmp_gt_f32_e64 s[8:9], s8, v11
	v_cndmask_b32_e64 v12, 0, 32, s[8:9]
	v_ldexp_f32 v11, v11, v12
	v_log_f32_e32 v11, v11
	s_mov_b32 s11, 0x3f317217
	v_mul_f32_e32 v12, 0x3f317217, v11
	v_fma_f32 v13, v11, s11, -v12
	v_fmac_f32_e32 v13, 0x3377d1cf, v11
	v_add_f32_e32 v12, v12, v13
	v_cmp_lt_f32_e64 s[10:11], |v11|, s10
	v_cndmask_b32_e64 v11, v11, v12, s[10:11]
	v_mov_b32_e32 v12, 0x41b17218
	v_cndmask_b32_e64 v12, 0, v12, s[8:9]
	v_sub_f32_e32 v11, v11, v12
	v_sub_f32_e32 v10, v11, v10
	v_floor_f32_e32 v11, v9
	v_sub_f32_e32 v11, v9, v11
	v_min_f32_e32 v11, 0x3f7fffff, v11
	v_mov_b32_e32 v12, 0x7f800000
	v_cmp_neq_f32_e64 s[8:9], 0, v11
	v_cndmask_b32_e64 v10, v12, v10, s[8:9]
.LBB149_76:
	s_or_b64 exec, exec, s[14:15]
.LBB149_77:
	s_andn2_saveexec_b64 s[12:13], s[12:13]
; %bb.78:
	v_cmp_eq_f16_e64 s[8:9], 1.0, v8
	v_cmp_eq_f16_e64 s[10:11], 2.0, v8
	s_or_b64 s[8:9], s[8:9], s[10:11]
	v_cndmask_b32_e64 v10, v10, 0, s[8:9]
; %bb.79:
	s_or_b64 exec, exec, s[12:13]
	v_cvt_f32_f16_e32 v11, v2
	s_mov_b32 s8, 0x3c800000
                                        ; implicit-def: $vgpr12
	v_and_b32_e32 v13, 0x7fffffff, v11
	v_cmp_nlt_f32_e64 s[8:9], |v11|, s8
	s_and_saveexec_b64 s[10:11], s[8:9]
	s_xor_b64 s[12:13], exec, s[10:11]
	s_cbranch_execz .LBB149_109
; %bb.80:
	v_cmp_nlt_f32_e64 s[8:9], |v11|, 2.0
                                        ; implicit-def: $vgpr12
	s_and_saveexec_b64 s[10:11], s[8:9]
	s_xor_b64 s[14:15], exec, s[10:11]
	s_cbranch_execz .LBB149_90
; %bb.81:
	s_mov_b32 s8, 0x41000000
	v_cmp_nlt_f32_e64 s[8:9], |v11|, s8
                                        ; implicit-def: $vgpr12
	s_and_saveexec_b64 s[10:11], s[8:9]
	s_xor_b64 s[16:17], exec, s[10:11]
	s_cbranch_execz .LBB149_87
; %bb.82:
	s_mov_b32 s8, 0x5c800000
	v_cmp_nlt_f32_e64 s[8:9], |v11|, s8
                                        ; implicit-def: $vgpr12
	s_and_saveexec_b64 s[10:11], s[8:9]
	s_xor_b64 s[18:19], exec, s[10:11]
	s_cbranch_execz .LBB149_84
; %bb.83:
	s_mov_b32 s8, 0x800000
	v_cmp_lt_f32_e64 s[8:9], |v11|, s8
	v_cndmask_b32_e64 v12, 0, 32, s[8:9]
	v_ldexp_f32 v12, |v11|, v12
	v_log_f32_e32 v12, v12
	s_mov_b32 s10, 0x3f317217
	s_mov_b32 s11, 0x7f800000
	v_mul_f32_e32 v14, 0x3f317217, v12
	v_fma_f32 v15, v12, s10, -v14
	v_fmac_f32_e32 v15, 0x3377d1cf, v12
	v_add_f32_e32 v14, v14, v15
	v_cmp_lt_f32_e64 s[10:11], |v12|, s11
	v_cndmask_b32_e64 v12, v12, v14, s[10:11]
	v_mov_b32_e32 v14, 0x41b17218
	v_cndmask_b32_e64 v14, 0, v14, s[8:9]
	v_sub_f32_e32 v12, v12, v14
	v_fma_f32 v12, |v11|, v12, -|v11|
.LBB149_84:
	s_andn2_saveexec_b64 s[18:19], s[18:19]
	s_cbranch_execz .LBB149_86
; %bb.85:
	v_rcp_f32_e64 v14, |v11|
	v_mov_b32_e32 v12, 0x3a5b3dd2
	v_mov_b32_e32 v15, 0xba1c065c
	;; [unrolled: 1-line block ×3, first 2 shown]
	v_mul_f32_e32 v17, v14, v14
	v_fmac_f32_e32 v12, 0xbad5c4e8, v17
	v_fmac_f32_e32 v15, v17, v12
	s_mov_b32 s8, 0x800000
	v_fmac_f32_e32 v16, v17, v15
	v_mov_b32_e32 v12, 0xbb360b61
	v_cmp_lt_f32_e64 s[8:9], |v11|, s8
	v_fmac_f32_e32 v12, v17, v16
	v_cndmask_b32_e64 v16, 0, 32, s[8:9]
	v_ldexp_f32 v16, |v11|, v16
	v_log_f32_e32 v16, v16
	v_mov_b32_e32 v15, 0x3daaaaab
	v_fmac_f32_e32 v15, v17, v12
	v_mov_b32_e32 v12, 0x3ed67f1d
	v_fmac_f32_e32 v12, v14, v15
	s_mov_b32 s10, 0x3f317217
	v_mul_f32_e32 v15, 0x3f317217, v16
	v_fma_f32 v17, v16, s10, -v15
	v_fmac_f32_e32 v17, 0x3377d1cf, v16
	s_mov_b32 s10, 0x7f800000
	v_add_f32_e32 v15, v15, v17
	v_cmp_lt_f32_e64 s[10:11], |v16|, s10
	v_cndmask_b32_e64 v15, v16, v15, s[10:11]
	v_mov_b32_e32 v16, 0x41b17218
	v_cndmask_b32_e64 v16, 0, v16, s[8:9]
	v_sub_f32_e32 v15, v15, v16
	v_add_f32_e64 v14, |v11|, -0.5
	v_add_f32_e32 v15, -1.0, v15
	v_fmac_f32_e32 v12, v14, v15
.LBB149_86:
	s_or_b64 exec, exec, s[18:19]
.LBB149_87:
	s_andn2_saveexec_b64 s[16:17], s[16:17]
	s_cbranch_execz .LBB149_89
; %bb.88:
	v_cvt_i32_f32_e32 v12, v13
	v_mov_b32_e32 v14, 0x3af135b4
	v_mov_b32_e32 v15, 0x3cda40e4
	;; [unrolled: 1-line block ×3, first 2 shown]
	v_cvt_f32_i32_e32 v17, v12
	v_mov_b32_e32 v18, 0x3ea6cc7a
	v_mov_b32_e32 v19, 0x3e5c245a
	v_cmp_lt_i32_e64 s[8:9], 2, v12
	v_sub_f32_e64 v17, |v11|, v17
	v_fmac_f32_e32 v14, 0x3805ff67, v17
	v_fmac_f32_e32 v15, v17, v14
	v_fmac_f32_e32 v16, v17, v15
	v_mov_b32_e32 v15, 0x3a4beed6
	v_fmac_f32_e32 v18, v17, v16
	v_fmac_f32_e32 v15, 0x36f5d7bd, v17
	v_mov_b32_e32 v16, 0x3c98bf54
	v_fmac_f32_e32 v16, v17, v15
	v_mov_b32_e32 v15, 0x3e300f6e
	;; [unrolled: 2-line block ×4, first 2 shown]
	v_fmac_f32_e32 v15, v17, v16
	v_add_f32_e32 v16, 2.0, v17
	v_mov_b32_e32 v20, 0xbd9e233f
	v_fmac_f32_e32 v19, v17, v18
	v_add_f32_e32 v18, 0x40400000, v17
	v_cndmask_b32_e64 v16, 1.0, v16, s[8:9]
	v_cmp_lt_i32_e64 s[8:9], 3, v12
	v_fmac_f32_e32 v20, v17, v19
	v_add_f32_e32 v19, 4.0, v17
	v_cndmask_b32_e64 v18, 1.0, v18, s[8:9]
	v_cmp_lt_i32_e64 s[8:9], 4, v12
	v_mul_f32_e32 v14, v17, v20
	v_add_f32_e32 v20, 0x40a00000, v17
	v_mul_f32_e32 v16, v16, v18
	v_cndmask_b32_e64 v18, 1.0, v19, s[8:9]
	v_cmp_lt_i32_e64 s[8:9], 5, v12
	v_add_f32_e32 v21, 0x40c00000, v17
	v_mul_f32_e32 v16, v18, v16
	v_cndmask_b32_e64 v18, 1.0, v20, s[8:9]
	v_cmp_lt_i32_e64 s[8:9], 6, v12
	v_mul_f32_e32 v16, v18, v16
	v_cndmask_b32_e64 v12, 1.0, v21, s[8:9]
	v_mul_f32_e32 v12, v12, v16
	s_mov_b32 s8, 0x800000
	v_cmp_gt_f32_e64 s[8:9], s8, v12
	v_cndmask_b32_e64 v16, 0, 32, s[8:9]
	v_fma_f32 v15, v17, v15, 1.0
	v_ldexp_f32 v12, v12, v16
	v_rcp_f32_e32 v15, v15
	v_log_f32_e32 v12, v12
	s_mov_b32 s10, 0x3f317217
	v_mul_f32_e32 v14, v14, v15
	v_mul_f32_e32 v15, 0x3f317217, v12
	v_fma_f32 v16, v12, s10, -v15
	v_fmac_f32_e32 v16, 0x3377d1cf, v12
	s_mov_b32 s10, 0x7f800000
	v_add_f32_e32 v15, v15, v16
	v_cmp_lt_f32_e64 s[10:11], |v12|, s10
	v_cndmask_b32_e64 v12, v12, v15, s[10:11]
	v_mov_b32_e32 v15, 0x41b17218
	v_cndmask_b32_e64 v15, 0, v15, s[8:9]
	v_fmac_f32_e32 v14, 0.5, v17
	v_sub_f32_e32 v12, v12, v15
	v_add_f32_e32 v12, v12, v14
.LBB149_89:
	s_or_b64 exec, exec, s[16:17]
.LBB149_90:
	s_andn2_saveexec_b64 s[14:15], s[14:15]
	s_cbranch_execz .LBB149_108
; %bb.91:
	s_mov_b32 s8, 0x3f666666
	v_cmp_le_f32_e64 s[8:9], |v11|, s8
                                        ; implicit-def: $vgpr12
                                        ; implicit-def: $vgpr15
                                        ; implicit-def: $vgpr14
	s_and_saveexec_b64 s[10:11], s[8:9]
	s_xor_b64 s[16:17], exec, s[10:11]
	s_cbranch_execz .LBB149_93
; %bb.92:
	s_mov_b32 s8, 0x800000
	v_cmp_lt_f32_e64 s[8:9], |v11|, s8
	v_cndmask_b32_e64 v12, 0, 32, s[8:9]
	v_ldexp_f32 v12, |v11|, v12
	v_log_f32_e32 v12, v12
	s_mov_b32 s10, 0x3f317217
	s_mov_b32 s11, 0x7f800000
	v_mul_f32_e32 v14, 0x3f317217, v12
	v_fma_f32 v15, v12, s10, -v14
	v_fmac_f32_e32 v15, 0x3377d1cf, v12
	v_add_f32_e32 v14, v14, v15
	v_cmp_lt_f32_e64 s[10:11], |v12|, s11
	v_cndmask_b32_e64 v12, v12, v14, s[10:11]
	v_mov_b32_e32 v14, 0x41b17218
	v_cndmask_b32_e64 v14, 0, v14, s[8:9]
	s_mov_b32 s8, 0x3f3b4a23
	s_mov_b32 s9, 0xbeec5b0c
	v_sub_f32_e32 v12, v12, v14
	v_sub_f32_e64 v14, 1.0, |v11|
	v_add_f32_e64 v15, |v11|, s9
	v_cmp_lt_f32_e64 s[8:9], |v11|, s8
	v_cndmask_b32_e64 v14, v14, v15, s[8:9]
	v_cndmask_b32_e64 v15, 0, 1, s[8:9]
	s_mov_b32 s8, 0x3e6d3309
	v_cmp_lt_f32_e64 s[8:9], |v11|, s8
	v_xor_b32_e32 v12, 0x80000000, v12
	v_cndmask_b32_e64 v14, v14, |v11|, s[8:9]
	v_cndmask_b32_e64 v15, v15, 2, s[8:9]
.LBB149_93:
	s_andn2_saveexec_b64 s[10:11], s[16:17]
	s_cbranch_execz .LBB149_95
; %bb.94:
	s_mov_b32 s8, 0x3fdda512
	s_mov_b32 s9, 0xbfbb16c3
	v_sub_f32_e64 v12, 2.0, |v11|
	v_add_f32_e64 v14, |v11|, s9
	v_cmp_lt_f32_e64 s[8:9], |v11|, s8
	v_cndmask_b32_e64 v14, v12, v14, s[8:9]
	v_cndmask_b32_e64 v12, v12, 1.0, s[8:9]
	v_cvt_i32_f32_e32 v12, v12
	s_mov_b32 s8, 0x3f9d70a4
	v_add_f32_e64 v15, |v11|, -1.0
	v_cmp_lt_f32_e64 s[8:9], |v11|, s8
	v_cndmask_b32_e64 v14, v14, v15, s[8:9]
	v_cndmask_b32_e64 v15, v12, 2, s[8:9]
	v_mov_b32_e32 v12, 0
.LBB149_95:
	s_or_b64 exec, exec, s[10:11]
	v_cmp_lt_i32_e64 s[8:9], 0, v15
	s_and_saveexec_b64 s[10:11], s[8:9]
	s_xor_b64 s[10:11], exec, s[10:11]
	s_cbranch_execz .LBB149_103
; %bb.96:
	v_cmp_lt_i32_e64 s[8:9], 1, v15
	s_and_saveexec_b64 s[16:17], s[8:9]
	s_xor_b64 s[16:17], exec, s[16:17]
	s_cbranch_execz .LBB149_100
; %bb.97:
	v_cmp_eq_u32_e64 s[8:9], 2, v15
	s_and_saveexec_b64 s[18:19], s[8:9]
	s_cbranch_execz .LBB149_99
; %bb.98:
	v_mov_b32_e32 v15, 0x3e6a7578
	v_fmac_f32_e32 v15, 0x3c5b3c5e, v14
	v_mov_b32_e32 v16, 0x3f7a4bb2
	v_fmac_f32_e32 v16, v14, v15
	;; [unrolled: 2-line block ×8, first 2 shown]
	v_fma_f32 v15, v14, v17, 1.0
	v_rcp_f32_e32 v15, v15
	v_mov_b32_e32 v17, 0xbd9e233f
	v_fmac_f32_e32 v17, v14, v16
	v_mul_f32_e32 v16, v14, v17
	v_mul_f32_e32 v15, v16, v15
	v_fmac_f32_e32 v15, -0.5, v14
	v_add_f32_e32 v12, v12, v15
.LBB149_99:
	s_or_b64 exec, exec, s[18:19]
                                        ; implicit-def: $vgpr14
.LBB149_100:
	s_andn2_saveexec_b64 s[8:9], s[16:17]
	s_cbranch_execz .LBB149_102
; %bb.101:
	v_mul_f32_e32 v15, v14, v14
	v_mul_f32_e32 v16, v14, v15
	v_mov_b32_e32 v17, 0xbab7f476
	v_fmac_f32_e32 v17, 0x39a57b6b, v16
	v_mov_b32_e32 v18, 0x3bc7e707
	v_fmac_f32_e32 v18, v16, v17
	;; [unrolled: 2-line block ×12, first 2 shown]
	v_fmac_f32_e32 v19, v14, v20
	s_mov_b32 s16, 0xa2863e55
	v_fma_f32 v14, v16, -v19, s16
	v_fma_f32 v14, v15, v18, -v14
	v_add_f32_e32 v14, 0xbdf8cdce, v14
	v_add_f32_e32 v12, v12, v14
.LBB149_102:
	s_or_b64 exec, exec, s[8:9]
                                        ; implicit-def: $vgpr15
                                        ; implicit-def: $vgpr14
.LBB149_103:
	s_andn2_saveexec_b64 s[10:11], s[10:11]
	s_cbranch_execz .LBB149_107
; %bb.104:
	v_cmp_eq_u32_e64 s[8:9], 0, v15
	s_and_saveexec_b64 s[16:17], s[8:9]
	s_cbranch_execz .LBB149_106
; %bb.105:
	v_mul_f32_e32 v15, v14, v14
	v_mov_b32_e32 v16, 0x39679767
	v_fmac_f32_e32 v16, 0x37d383a2, v15
	v_mov_b32_e32 v17, 0x3a9c54a1
	v_fmac_f32_e32 v17, v15, v16
	;; [unrolled: 2-line block ×10, first 2 shown]
	v_mul_f32_e32 v15, v15, v17
	v_fmac_f32_e32 v15, v14, v16
	v_fmac_f32_e32 v15, -0.5, v14
	v_add_f32_e32 v12, v12, v15
.LBB149_106:
	s_or_b64 exec, exec, s[16:17]
.LBB149_107:
	s_or_b64 exec, exec, s[10:11]
.LBB149_108:
	s_or_b64 exec, exec, s[14:15]
.LBB149_109:
	s_andn2_saveexec_b64 s[12:13], s[12:13]
	s_cbranch_execz .LBB149_111
; %bb.110:
	s_mov_b32 s8, 0x3e8a8991
	v_mov_b32_e32 v12, 0xbecd26ab
	v_fma_f32 v12, |v11|, s8, v12
	s_mov_b32 s8, 0x3f528d33
	v_fma_f32 v12, |v11|, v12, s8
	s_mov_b32 s8, 0x800000
	v_cmp_lt_f32_e64 s[8:9], |v11|, s8
	v_cndmask_b32_e64 v14, 0, 32, s[8:9]
	v_ldexp_f32 v14, |v11|, v14
	v_log_f32_e32 v14, v14
	s_mov_b32 s10, 0xbf13c468
	v_fma_f32 v12, |v11|, v12, s10
	s_mov_b32 s10, 0x3f317217
	v_mul_f32_e32 v15, 0x3f317217, v14
	v_fma_f32 v16, v14, s10, -v15
	v_fmac_f32_e32 v16, 0x3377d1cf, v14
	s_mov_b32 s10, 0x7f800000
	v_add_f32_e32 v15, v15, v16
	v_cmp_lt_f32_e64 s[10:11], |v14|, s10
	v_cndmask_b32_e64 v14, v14, v15, s[10:11]
	v_mov_b32_e32 v15, 0x41b17218
	v_cndmask_b32_e64 v15, 0, v15, s[8:9]
	v_sub_f32_e32 v14, v14, v15
	v_fma_f32 v12, |v11|, v12, -v14
.LBB149_111:
	s_or_b64 exec, exec, s[12:13]
	v_cmp_le_f16_e64 s[18:19], 0, v2
	v_cmp_nle_f16_e64 s[8:9], 0, v2
	s_and_saveexec_b64 s[10:11], s[8:9]
	s_xor_b64 s[12:13], exec, s[10:11]
	s_cbranch_execz .LBB149_115
; %bb.112:
	s_mov_b32 s8, 0x4b000000
	s_mov_b32 s10, 0x35000000
	v_cmp_lt_f32_e64 s[8:9], |v11|, s8
	v_cmp_gt_f32_e64 s[10:11], |v11|, s10
	s_and_b64 s[8:9], s[8:9], s[10:11]
	s_and_saveexec_b64 s[14:15], s[8:9]
	s_cbranch_execz .LBB149_114
; %bb.113:
	v_mul_f32_e64 v14, |v11|, 0.5
	v_floor_f32_e32 v15, v14
	v_sub_f32_e32 v15, v14, v15
	v_min_f32_e32 v15, 0x3f7fffff, v15
	s_mov_b32 s10, 0x7f800000
	v_add_f32_e32 v15, v15, v15
	v_cmp_neq_f32_e64 s[8:9], s10, v14
	v_cndmask_b32_e64 v14, 0, v15, s[8:9]
	v_cmp_gt_f32_e64 s[8:9], |v11|, 1.0
	v_cndmask_b32_e64 v14, |v11|, v14, s[8:9]
	v_add_f32_e32 v15, v14, v14
	v_rndne_f32_e32 v15, v15
	v_fmac_f32_e32 v14, -0.5, v15
	v_mul_f32_e32 v16, v14, v14
	v_mov_b32_e32 v17, 0xbf1f24be
	v_fmac_f32_e32 v17, 0x3e75aa41, v16
	v_mov_b32_e32 v18, 0x40234736
	v_fmac_f32_e32 v18, v16, v17
	;; [unrolled: 2-line block ×3, first 2 shown]
	v_mul_f32_e32 v18, v14, v16
	v_mul_f32_e32 v17, v18, v17
	v_fmac_f32_e32 v17, 0x40490fdb, v14
	v_mov_b32_e32 v14, 0x3e642e9d
	v_cvt_i32_f32_e32 v15, v15
	v_fmac_f32_e32 v14, 0x3d4be544, v16
	v_mov_b32_e32 v18, 0xbfaad1da
	v_fmac_f32_e32 v18, v16, v14
	v_mov_b32_e32 v14, 0x4081e0d3
	;; [unrolled: 2-line block ×3, first 2 shown]
	v_fmac_f32_e32 v18, v16, v14
	v_fma_f32 v14, v16, v18, 1.0
	v_and_b32_e32 v16, 1, v15
	v_lshlrev_b32_e32 v15, 30, v15
	v_cmp_eq_u32_e64 s[8:9], 0, v16
	v_and_b32_e32 v15, 0x80000000, v15
	v_xor_b32_e32 v13, v13, v11
	v_cndmask_b32_e64 v14, v14, v17, s[8:9]
	v_xor_b32_e32 v13, v13, v15
	v_xor_b32_e32 v13, v13, v14
	v_mul_f32_e32 v13, v11, v13
	v_frexp_mant_f32_e64 v14, |v13|
	v_rcp_f32_e32 v14, v14
	v_frexp_exp_i32_f32_e32 v13, v13
	v_sub_u32_e32 v13, 2, v13
	s_mov_b32 s8, 0x800000
	v_mul_f32_e32 v14, 0x3f490fdb, v14
	v_ldexp_f32 v13, v14, v13
	v_cmp_gt_f32_e64 s[8:9], s8, v13
	v_cndmask_b32_e64 v14, 0, 32, s[8:9]
	v_ldexp_f32 v13, v13, v14
	v_log_f32_e32 v13, v13
	s_mov_b32 s11, 0x3f317217
	v_mul_f32_e32 v14, 0x3f317217, v13
	v_fma_f32 v15, v13, s11, -v14
	v_fmac_f32_e32 v15, 0x3377d1cf, v13
	v_add_f32_e32 v14, v14, v15
	v_cmp_lt_f32_e64 s[10:11], |v13|, s10
	v_cndmask_b32_e64 v13, v13, v14, s[10:11]
	v_mov_b32_e32 v14, 0x41b17218
	v_cndmask_b32_e64 v14, 0, v14, s[8:9]
	v_sub_f32_e32 v13, v13, v14
	v_sub_f32_e32 v12, v13, v12
	v_floor_f32_e32 v13, v11
	v_sub_f32_e32 v13, v11, v13
	v_min_f32_e32 v13, 0x3f7fffff, v13
	v_mov_b32_e32 v14, 0x7f800000
	v_cmp_neq_f32_e64 s[8:9], 0, v13
	v_cndmask_b32_e64 v12, v14, v12, s[8:9]
.LBB149_114:
	s_or_b64 exec, exec, s[14:15]
.LBB149_115:
	s_andn2_saveexec_b64 s[12:13], s[12:13]
; %bb.116:
	v_cmp_eq_f16_e64 s[8:9], 1.0, v2
	v_cmp_eq_f16_e64 s[10:11], 2.0, v2
	s_or_b64 s[8:9], s[8:9], s[10:11]
	v_cndmask_b32_e64 v12, v12, 0, s[8:9]
; %bb.117:
	s_or_b64 exec, exec, s[12:13]
	v_lshrrev_b32_e32 v13, 16, v2
	v_cvt_f32_f16_e32 v14, v13
	s_mov_b32 s8, 0x3c800000
                                        ; implicit-def: $vgpr15
	v_and_b32_e32 v16, 0x7fffffff, v14
	v_cmp_nlt_f32_e64 s[8:9], |v14|, s8
	s_and_saveexec_b64 s[10:11], s[8:9]
	s_xor_b64 s[12:13], exec, s[10:11]
	s_cbranch_execz .LBB149_147
; %bb.118:
	v_cmp_nlt_f32_e64 s[8:9], |v14|, 2.0
                                        ; implicit-def: $vgpr15
	s_and_saveexec_b64 s[10:11], s[8:9]
	s_xor_b64 s[14:15], exec, s[10:11]
	s_cbranch_execz .LBB149_128
; %bb.119:
	s_mov_b32 s8, 0x41000000
	v_cmp_nlt_f32_e64 s[8:9], |v14|, s8
                                        ; implicit-def: $vgpr15
	s_and_saveexec_b64 s[10:11], s[8:9]
	s_xor_b64 s[16:17], exec, s[10:11]
	s_cbranch_execz .LBB149_125
; %bb.120:
	s_mov_b32 s8, 0x5c800000
	v_cmp_nlt_f32_e64 s[8:9], |v14|, s8
                                        ; implicit-def: $vgpr15
	s_and_saveexec_b64 s[10:11], s[8:9]
	s_xor_b64 s[20:21], exec, s[10:11]
	s_cbranch_execz .LBB149_122
; %bb.121:
	s_mov_b32 s8, 0x800000
	v_cmp_lt_f32_e64 s[8:9], |v14|, s8
	v_cndmask_b32_e64 v15, 0, 32, s[8:9]
	v_ldexp_f32 v15, |v14|, v15
	v_log_f32_e32 v15, v15
	s_mov_b32 s10, 0x3f317217
	s_mov_b32 s11, 0x7f800000
	v_mul_f32_e32 v17, 0x3f317217, v15
	v_fma_f32 v18, v15, s10, -v17
	v_fmac_f32_e32 v18, 0x3377d1cf, v15
	v_add_f32_e32 v17, v17, v18
	v_cmp_lt_f32_e64 s[10:11], |v15|, s11
	v_cndmask_b32_e64 v15, v15, v17, s[10:11]
	v_mov_b32_e32 v17, 0x41b17218
	v_cndmask_b32_e64 v17, 0, v17, s[8:9]
	v_sub_f32_e32 v15, v15, v17
	v_fma_f32 v15, |v14|, v15, -|v14|
.LBB149_122:
	s_andn2_saveexec_b64 s[20:21], s[20:21]
	s_cbranch_execz .LBB149_124
; %bb.123:
	v_rcp_f32_e64 v17, |v14|
	v_mov_b32_e32 v15, 0x3a5b3dd2
	v_mov_b32_e32 v18, 0xba1c065c
	;; [unrolled: 1-line block ×3, first 2 shown]
	v_mul_f32_e32 v20, v17, v17
	v_fmac_f32_e32 v15, 0xbad5c4e8, v20
	v_fmac_f32_e32 v18, v20, v15
	s_mov_b32 s8, 0x800000
	v_fmac_f32_e32 v19, v20, v18
	v_mov_b32_e32 v15, 0xbb360b61
	v_cmp_lt_f32_e64 s[8:9], |v14|, s8
	v_fmac_f32_e32 v15, v20, v19
	v_cndmask_b32_e64 v19, 0, 32, s[8:9]
	v_ldexp_f32 v19, |v14|, v19
	v_log_f32_e32 v19, v19
	v_mov_b32_e32 v18, 0x3daaaaab
	v_fmac_f32_e32 v18, v20, v15
	v_mov_b32_e32 v15, 0x3ed67f1d
	v_fmac_f32_e32 v15, v17, v18
	s_mov_b32 s10, 0x3f317217
	v_mul_f32_e32 v18, 0x3f317217, v19
	v_fma_f32 v20, v19, s10, -v18
	v_fmac_f32_e32 v20, 0x3377d1cf, v19
	s_mov_b32 s10, 0x7f800000
	v_add_f32_e32 v18, v18, v20
	v_cmp_lt_f32_e64 s[10:11], |v19|, s10
	v_cndmask_b32_e64 v18, v19, v18, s[10:11]
	v_mov_b32_e32 v19, 0x41b17218
	v_cndmask_b32_e64 v19, 0, v19, s[8:9]
	v_sub_f32_e32 v18, v18, v19
	v_add_f32_e64 v17, |v14|, -0.5
	v_add_f32_e32 v18, -1.0, v18
	v_fmac_f32_e32 v15, v17, v18
.LBB149_124:
	s_or_b64 exec, exec, s[20:21]
.LBB149_125:
	s_andn2_saveexec_b64 s[16:17], s[16:17]
	s_cbranch_execz .LBB149_127
; %bb.126:
	v_cvt_i32_f32_e32 v15, v16
	v_mov_b32_e32 v17, 0x3af135b4
	v_mov_b32_e32 v18, 0x3cda40e4
	;; [unrolled: 1-line block ×3, first 2 shown]
	v_cvt_f32_i32_e32 v20, v15
	v_mov_b32_e32 v21, 0x3ea6cc7a
	v_mov_b32_e32 v22, 0x3e5c245a
	v_cmp_lt_i32_e64 s[8:9], 2, v15
	v_sub_f32_e64 v20, |v14|, v20
	v_fmac_f32_e32 v17, 0x3805ff67, v20
	v_fmac_f32_e32 v18, v20, v17
	;; [unrolled: 1-line block ×3, first 2 shown]
	v_mov_b32_e32 v18, 0x3a4beed6
	v_fmac_f32_e32 v21, v20, v19
	v_fmac_f32_e32 v18, 0x36f5d7bd, v20
	v_mov_b32_e32 v19, 0x3c98bf54
	v_fmac_f32_e32 v19, v20, v18
	v_mov_b32_e32 v18, 0x3e300f6e
	;; [unrolled: 2-line block ×4, first 2 shown]
	v_fmac_f32_e32 v18, v20, v19
	v_add_f32_e32 v19, 2.0, v20
	v_mov_b32_e32 v23, 0xbd9e233f
	v_fmac_f32_e32 v22, v20, v21
	v_add_f32_e32 v21, 0x40400000, v20
	v_cndmask_b32_e64 v19, 1.0, v19, s[8:9]
	v_cmp_lt_i32_e64 s[8:9], 3, v15
	v_fmac_f32_e32 v23, v20, v22
	v_add_f32_e32 v22, 4.0, v20
	v_cndmask_b32_e64 v21, 1.0, v21, s[8:9]
	v_cmp_lt_i32_e64 s[8:9], 4, v15
	v_mul_f32_e32 v17, v20, v23
	v_add_f32_e32 v23, 0x40a00000, v20
	v_mul_f32_e32 v19, v19, v21
	v_cndmask_b32_e64 v21, 1.0, v22, s[8:9]
	v_cmp_lt_i32_e64 s[8:9], 5, v15
	v_add_f32_e32 v24, 0x40c00000, v20
	v_mul_f32_e32 v19, v21, v19
	v_cndmask_b32_e64 v21, 1.0, v23, s[8:9]
	v_cmp_lt_i32_e64 s[8:9], 6, v15
	v_mul_f32_e32 v19, v21, v19
	v_cndmask_b32_e64 v15, 1.0, v24, s[8:9]
	v_mul_f32_e32 v15, v15, v19
	s_mov_b32 s8, 0x800000
	v_cmp_gt_f32_e64 s[8:9], s8, v15
	v_cndmask_b32_e64 v19, 0, 32, s[8:9]
	v_fma_f32 v18, v20, v18, 1.0
	v_ldexp_f32 v15, v15, v19
	v_rcp_f32_e32 v18, v18
	v_log_f32_e32 v15, v15
	s_mov_b32 s10, 0x3f317217
	v_mul_f32_e32 v17, v17, v18
	v_mul_f32_e32 v18, 0x3f317217, v15
	v_fma_f32 v19, v15, s10, -v18
	v_fmac_f32_e32 v19, 0x3377d1cf, v15
	s_mov_b32 s10, 0x7f800000
	v_add_f32_e32 v18, v18, v19
	v_cmp_lt_f32_e64 s[10:11], |v15|, s10
	v_cndmask_b32_e64 v15, v15, v18, s[10:11]
	v_mov_b32_e32 v18, 0x41b17218
	v_cndmask_b32_e64 v18, 0, v18, s[8:9]
	v_fmac_f32_e32 v17, 0.5, v20
	v_sub_f32_e32 v15, v15, v18
	v_add_f32_e32 v15, v15, v17
.LBB149_127:
	s_or_b64 exec, exec, s[16:17]
.LBB149_128:
	s_andn2_saveexec_b64 s[14:15], s[14:15]
	s_cbranch_execz .LBB149_146
; %bb.129:
	s_mov_b32 s8, 0x3f666666
	v_cmp_le_f32_e64 s[8:9], |v14|, s8
                                        ; implicit-def: $vgpr15
                                        ; implicit-def: $vgpr18
                                        ; implicit-def: $vgpr17
	s_and_saveexec_b64 s[10:11], s[8:9]
	s_xor_b64 s[16:17], exec, s[10:11]
	s_cbranch_execz .LBB149_131
; %bb.130:
	s_mov_b32 s8, 0x800000
	v_cmp_lt_f32_e64 s[8:9], |v14|, s8
	v_cndmask_b32_e64 v15, 0, 32, s[8:9]
	v_ldexp_f32 v15, |v14|, v15
	v_log_f32_e32 v15, v15
	s_mov_b32 s10, 0x3f317217
	s_mov_b32 s11, 0x7f800000
	v_mul_f32_e32 v17, 0x3f317217, v15
	v_fma_f32 v18, v15, s10, -v17
	v_fmac_f32_e32 v18, 0x3377d1cf, v15
	v_add_f32_e32 v17, v17, v18
	v_cmp_lt_f32_e64 s[10:11], |v15|, s11
	v_cndmask_b32_e64 v15, v15, v17, s[10:11]
	v_mov_b32_e32 v17, 0x41b17218
	v_cndmask_b32_e64 v17, 0, v17, s[8:9]
	s_mov_b32 s8, 0x3f3b4a23
	s_mov_b32 s9, 0xbeec5b0c
	v_sub_f32_e32 v15, v15, v17
	v_sub_f32_e64 v17, 1.0, |v14|
	v_add_f32_e64 v18, |v14|, s9
	v_cmp_lt_f32_e64 s[8:9], |v14|, s8
	v_cndmask_b32_e64 v17, v17, v18, s[8:9]
	v_cndmask_b32_e64 v18, 0, 1, s[8:9]
	s_mov_b32 s8, 0x3e6d3309
	v_cmp_lt_f32_e64 s[8:9], |v14|, s8
	v_xor_b32_e32 v15, 0x80000000, v15
	v_cndmask_b32_e64 v17, v17, |v14|, s[8:9]
	v_cndmask_b32_e64 v18, v18, 2, s[8:9]
.LBB149_131:
	s_andn2_saveexec_b64 s[10:11], s[16:17]
	s_cbranch_execz .LBB149_133
; %bb.132:
	s_mov_b32 s8, 0x3fdda512
	s_mov_b32 s9, 0xbfbb16c3
	v_sub_f32_e64 v15, 2.0, |v14|
	v_add_f32_e64 v17, |v14|, s9
	v_cmp_lt_f32_e64 s[8:9], |v14|, s8
	v_cndmask_b32_e64 v17, v15, v17, s[8:9]
	v_cndmask_b32_e64 v15, v15, 1.0, s[8:9]
	v_cvt_i32_f32_e32 v15, v15
	s_mov_b32 s8, 0x3f9d70a4
	v_add_f32_e64 v18, |v14|, -1.0
	v_cmp_lt_f32_e64 s[8:9], |v14|, s8
	v_cndmask_b32_e64 v17, v17, v18, s[8:9]
	v_cndmask_b32_e64 v18, v15, 2, s[8:9]
	v_mov_b32_e32 v15, 0
.LBB149_133:
	s_or_b64 exec, exec, s[10:11]
	v_cmp_lt_i32_e64 s[8:9], 0, v18
	s_and_saveexec_b64 s[10:11], s[8:9]
	s_xor_b64 s[10:11], exec, s[10:11]
	s_cbranch_execz .LBB149_141
; %bb.134:
	v_cmp_lt_i32_e64 s[8:9], 1, v18
	s_and_saveexec_b64 s[16:17], s[8:9]
	s_xor_b64 s[16:17], exec, s[16:17]
	s_cbranch_execz .LBB149_138
; %bb.135:
	v_cmp_eq_u32_e64 s[8:9], 2, v18
	s_and_saveexec_b64 s[20:21], s[8:9]
	s_cbranch_execz .LBB149_137
; %bb.136:
	v_mov_b32_e32 v18, 0x3e6a7578
	v_fmac_f32_e32 v18, 0x3c5b3c5e, v17
	v_mov_b32_e32 v19, 0x3f7a4bb2
	v_fmac_f32_e32 v19, v17, v18
	;; [unrolled: 2-line block ×8, first 2 shown]
	v_fma_f32 v18, v17, v20, 1.0
	v_rcp_f32_e32 v18, v18
	v_mov_b32_e32 v20, 0xbd9e233f
	v_fmac_f32_e32 v20, v17, v19
	v_mul_f32_e32 v19, v17, v20
	v_mul_f32_e32 v18, v19, v18
	v_fmac_f32_e32 v18, -0.5, v17
	v_add_f32_e32 v15, v15, v18
.LBB149_137:
	s_or_b64 exec, exec, s[20:21]
                                        ; implicit-def: $vgpr17
.LBB149_138:
	s_andn2_saveexec_b64 s[8:9], s[16:17]
	s_cbranch_execz .LBB149_140
; %bb.139:
	v_mul_f32_e32 v18, v17, v17
	v_mul_f32_e32 v19, v17, v18
	v_mov_b32_e32 v20, 0xbab7f476
	v_fmac_f32_e32 v20, 0x39a57b6b, v19
	v_mov_b32_e32 v21, 0x3bc7e707
	v_fmac_f32_e32 v21, v19, v20
	;; [unrolled: 2-line block ×12, first 2 shown]
	v_fmac_f32_e32 v22, v17, v23
	s_mov_b32 s16, 0xa2863e55
	v_fma_f32 v17, v19, -v22, s16
	v_fma_f32 v17, v18, v21, -v17
	v_add_f32_e32 v17, 0xbdf8cdce, v17
	v_add_f32_e32 v15, v15, v17
.LBB149_140:
	s_or_b64 exec, exec, s[8:9]
                                        ; implicit-def: $vgpr18
                                        ; implicit-def: $vgpr17
.LBB149_141:
	s_andn2_saveexec_b64 s[10:11], s[10:11]
	s_cbranch_execz .LBB149_145
; %bb.142:
	v_cmp_eq_u32_e64 s[8:9], 0, v18
	s_and_saveexec_b64 s[16:17], s[8:9]
	s_cbranch_execz .LBB149_144
; %bb.143:
	v_mul_f32_e32 v18, v17, v17
	v_mov_b32_e32 v19, 0x39679767
	v_fmac_f32_e32 v19, 0x37d383a2, v18
	v_mov_b32_e32 v20, 0x3a9c54a1
	v_fmac_f32_e32 v20, v18, v19
	v_mov_b32_e32 v19, 0x3bf2027e
	v_fmac_f32_e32 v19, v18, v20
	v_mov_b32_e32 v20, 0x3d89f001
	v_fmac_f32_e32 v20, v18, v19
	v_mov_b32_e32 v19, 0x3d9e233f
	v_fmac_f32_e32 v19, v18, v20
	v_mov_b32_e32 v20, 0x38e28445
	v_fmac_f32_e32 v20, 0x383c2c75, v18
	v_mov_b32_e32 v21, 0x3a05b634
	v_fmac_f32_e32 v21, v18, v20
	v_mov_b32_e32 v20, 0x3b3d6ec6
	v_fmac_f32_e32 v20, v18, v21
	v_mov_b32_e32 v21, 0x3ca89915
	v_fmac_f32_e32 v21, v18, v20
	v_mov_b32_e32 v20, 0x3ea51a66
	v_fmac_f32_e32 v20, v18, v21
	v_mul_f32_e32 v18, v18, v20
	v_fmac_f32_e32 v18, v17, v19
	v_fmac_f32_e32 v18, -0.5, v17
	v_add_f32_e32 v15, v15, v18
.LBB149_144:
	s_or_b64 exec, exec, s[16:17]
.LBB149_145:
	s_or_b64 exec, exec, s[10:11]
.LBB149_146:
	s_or_b64 exec, exec, s[14:15]
.LBB149_147:
	s_andn2_saveexec_b64 s[12:13], s[12:13]
	s_cbranch_execz .LBB149_149
; %bb.148:
	s_mov_b32 s8, 0x3e8a8991
	v_mov_b32_e32 v15, 0xbecd26ab
	v_fma_f32 v15, |v14|, s8, v15
	s_mov_b32 s8, 0x3f528d33
	v_fma_f32 v15, |v14|, v15, s8
	s_mov_b32 s8, 0x800000
	v_cmp_lt_f32_e64 s[8:9], |v14|, s8
	v_cndmask_b32_e64 v17, 0, 32, s[8:9]
	v_ldexp_f32 v17, |v14|, v17
	v_log_f32_e32 v17, v17
	s_mov_b32 s10, 0xbf13c468
	v_fma_f32 v15, |v14|, v15, s10
	s_mov_b32 s10, 0x3f317217
	v_mul_f32_e32 v18, 0x3f317217, v17
	v_fma_f32 v19, v17, s10, -v18
	v_fmac_f32_e32 v19, 0x3377d1cf, v17
	s_mov_b32 s10, 0x7f800000
	v_add_f32_e32 v18, v18, v19
	v_cmp_lt_f32_e64 s[10:11], |v17|, s10
	v_cndmask_b32_e64 v17, v17, v18, s[10:11]
	v_mov_b32_e32 v18, 0x41b17218
	v_cndmask_b32_e64 v18, 0, v18, s[8:9]
	v_sub_f32_e32 v17, v17, v18
	v_fma_f32 v15, |v14|, v15, -v17
.LBB149_149:
	s_or_b64 exec, exec, s[12:13]
	v_cmp_le_f16_e64 s[8:9], 0, v13
	v_cmp_nle_f16_e64 s[10:11], 0, v13
	s_and_saveexec_b64 s[12:13], s[10:11]
	s_xor_b64 s[14:15], exec, s[12:13]
	s_cbranch_execz .LBB149_153
; %bb.150:
	s_mov_b32 s10, 0x4b000000
	s_mov_b32 s12, 0x35000000
	v_cmp_lt_f32_e64 s[10:11], |v14|, s10
	v_cmp_gt_f32_e64 s[12:13], |v14|, s12
	s_and_b64 s[10:11], s[10:11], s[12:13]
	s_and_saveexec_b64 s[16:17], s[10:11]
	s_cbranch_execz .LBB149_152
; %bb.151:
	v_mul_f32_e64 v17, |v14|, 0.5
	v_floor_f32_e32 v18, v17
	v_sub_f32_e32 v18, v17, v18
	v_min_f32_e32 v18, 0x3f7fffff, v18
	s_mov_b32 s12, 0x7f800000
	v_add_f32_e32 v18, v18, v18
	v_cmp_neq_f32_e64 s[10:11], s12, v17
	v_cndmask_b32_e64 v17, 0, v18, s[10:11]
	v_cmp_gt_f32_e64 s[10:11], |v14|, 1.0
	v_cndmask_b32_e64 v17, |v14|, v17, s[10:11]
	v_add_f32_e32 v18, v17, v17
	v_rndne_f32_e32 v18, v18
	v_fmac_f32_e32 v17, -0.5, v18
	v_mul_f32_e32 v19, v17, v17
	v_mov_b32_e32 v20, 0xbf1f24be
	v_fmac_f32_e32 v20, 0x3e75aa41, v19
	v_mov_b32_e32 v21, 0x40234736
	v_fmac_f32_e32 v21, v19, v20
	;; [unrolled: 2-line block ×3, first 2 shown]
	v_mul_f32_e32 v21, v17, v19
	v_mul_f32_e32 v20, v21, v20
	v_fmac_f32_e32 v20, 0x40490fdb, v17
	v_mov_b32_e32 v17, 0x3e642e9d
	v_cvt_i32_f32_e32 v18, v18
	v_fmac_f32_e32 v17, 0x3d4be544, v19
	v_mov_b32_e32 v21, 0xbfaad1da
	v_fmac_f32_e32 v21, v19, v17
	v_mov_b32_e32 v17, 0x4081e0d3
	;; [unrolled: 2-line block ×3, first 2 shown]
	v_fmac_f32_e32 v21, v19, v17
	v_fma_f32 v17, v19, v21, 1.0
	v_and_b32_e32 v19, 1, v18
	v_lshlrev_b32_e32 v18, 30, v18
	v_cmp_eq_u32_e64 s[10:11], 0, v19
	v_and_b32_e32 v18, 0x80000000, v18
	v_xor_b32_e32 v16, v16, v14
	v_cndmask_b32_e64 v17, v17, v20, s[10:11]
	v_xor_b32_e32 v16, v16, v18
	v_xor_b32_e32 v16, v16, v17
	v_mul_f32_e32 v16, v14, v16
	v_frexp_mant_f32_e64 v17, |v16|
	v_rcp_f32_e32 v17, v17
	v_frexp_exp_i32_f32_e32 v16, v16
	v_sub_u32_e32 v16, 2, v16
	s_mov_b32 s10, 0x800000
	v_mul_f32_e32 v17, 0x3f490fdb, v17
	v_ldexp_f32 v16, v17, v16
	v_cmp_gt_f32_e64 s[10:11], s10, v16
	v_cndmask_b32_e64 v17, 0, 32, s[10:11]
	v_ldexp_f32 v16, v16, v17
	v_log_f32_e32 v16, v16
	s_mov_b32 s13, 0x3f317217
	v_mul_f32_e32 v17, 0x3f317217, v16
	v_fma_f32 v18, v16, s13, -v17
	v_fmac_f32_e32 v18, 0x3377d1cf, v16
	v_add_f32_e32 v17, v17, v18
	v_cmp_lt_f32_e64 s[12:13], |v16|, s12
	v_cndmask_b32_e64 v16, v16, v17, s[12:13]
	v_mov_b32_e32 v17, 0x41b17218
	v_cndmask_b32_e64 v17, 0, v17, s[10:11]
	v_sub_f32_e32 v16, v16, v17
	v_sub_f32_e32 v15, v16, v15
	v_floor_f32_e32 v16, v14
	v_sub_f32_e32 v16, v14, v16
	v_min_f32_e32 v16, 0x3f7fffff, v16
	v_mov_b32_e32 v17, 0x7f800000
	v_cmp_neq_f32_e64 s[10:11], 0, v16
	v_cndmask_b32_e64 v15, v17, v15, s[10:11]
.LBB149_152:
	s_or_b64 exec, exec, s[16:17]
.LBB149_153:
	s_andn2_saveexec_b64 s[14:15], s[14:15]
; %bb.154:
	v_cmp_eq_f16_e64 s[10:11], 1.0, v13
	v_cmp_eq_f16_e64 s[12:13], 2.0, v13
	s_or_b64 s[10:11], s[10:11], s[12:13]
	v_cndmask_b32_e64 v15, v15, 0, s[10:11]
; %bb.155:
	s_or_b64 exec, exec, s[14:15]
	s_waitcnt vmcnt(0)
	v_cvt_f32_f16_e32 v16, v3
	s_mov_b32 s10, 0x3c800000
                                        ; implicit-def: $vgpr17
	v_and_b32_e32 v18, 0x7fffffff, v16
	v_cmp_nlt_f32_e64 s[10:11], |v16|, s10
	s_and_saveexec_b64 s[12:13], s[10:11]
	s_xor_b64 s[14:15], exec, s[12:13]
	s_cbranch_execz .LBB149_185
; %bb.156:
	v_cmp_nlt_f32_e64 s[10:11], |v16|, 2.0
                                        ; implicit-def: $vgpr17
	s_and_saveexec_b64 s[12:13], s[10:11]
	s_xor_b64 s[16:17], exec, s[12:13]
	s_cbranch_execz .LBB149_166
; %bb.157:
	s_mov_b32 s10, 0x41000000
	v_cmp_nlt_f32_e64 s[10:11], |v16|, s10
                                        ; implicit-def: $vgpr17
	s_and_saveexec_b64 s[12:13], s[10:11]
	s_xor_b64 s[20:21], exec, s[12:13]
	s_cbranch_execz .LBB149_163
; %bb.158:
	s_mov_b32 s10, 0x5c800000
	v_cmp_nlt_f32_e64 s[10:11], |v16|, s10
                                        ; implicit-def: $vgpr17
	s_and_saveexec_b64 s[12:13], s[10:11]
	s_xor_b64 s[22:23], exec, s[12:13]
	s_cbranch_execz .LBB149_160
; %bb.159:
	s_mov_b32 s10, 0x800000
	v_cmp_lt_f32_e64 s[10:11], |v16|, s10
	v_cndmask_b32_e64 v17, 0, 32, s[10:11]
	v_ldexp_f32 v17, |v16|, v17
	v_log_f32_e32 v17, v17
	s_mov_b32 s12, 0x3f317217
	s_mov_b32 s13, 0x7f800000
	v_mul_f32_e32 v19, 0x3f317217, v17
	v_fma_f32 v20, v17, s12, -v19
	v_fmac_f32_e32 v20, 0x3377d1cf, v17
	v_add_f32_e32 v19, v19, v20
	v_cmp_lt_f32_e64 s[12:13], |v17|, s13
	v_cndmask_b32_e64 v17, v17, v19, s[12:13]
	v_mov_b32_e32 v19, 0x41b17218
	v_cndmask_b32_e64 v19, 0, v19, s[10:11]
	v_sub_f32_e32 v17, v17, v19
	v_fma_f32 v17, |v16|, v17, -|v16|
.LBB149_160:
	s_andn2_saveexec_b64 s[22:23], s[22:23]
	s_cbranch_execz .LBB149_162
; %bb.161:
	v_rcp_f32_e64 v19, |v16|
	v_mov_b32_e32 v17, 0x3a5b3dd2
	v_mov_b32_e32 v20, 0xba1c065c
	;; [unrolled: 1-line block ×3, first 2 shown]
	v_mul_f32_e32 v22, v19, v19
	v_fmac_f32_e32 v17, 0xbad5c4e8, v22
	v_fmac_f32_e32 v20, v22, v17
	s_mov_b32 s10, 0x800000
	v_fmac_f32_e32 v21, v22, v20
	v_mov_b32_e32 v17, 0xbb360b61
	v_cmp_lt_f32_e64 s[10:11], |v16|, s10
	v_fmac_f32_e32 v17, v22, v21
	v_cndmask_b32_e64 v21, 0, 32, s[10:11]
	v_ldexp_f32 v21, |v16|, v21
	v_log_f32_e32 v21, v21
	v_mov_b32_e32 v20, 0x3daaaaab
	v_fmac_f32_e32 v20, v22, v17
	v_mov_b32_e32 v17, 0x3ed67f1d
	v_fmac_f32_e32 v17, v19, v20
	s_mov_b32 s12, 0x3f317217
	v_mul_f32_e32 v20, 0x3f317217, v21
	v_fma_f32 v22, v21, s12, -v20
	v_fmac_f32_e32 v22, 0x3377d1cf, v21
	s_mov_b32 s12, 0x7f800000
	v_add_f32_e32 v20, v20, v22
	v_cmp_lt_f32_e64 s[12:13], |v21|, s12
	v_cndmask_b32_e64 v20, v21, v20, s[12:13]
	v_mov_b32_e32 v21, 0x41b17218
	v_cndmask_b32_e64 v21, 0, v21, s[10:11]
	v_sub_f32_e32 v20, v20, v21
	v_add_f32_e64 v19, |v16|, -0.5
	v_add_f32_e32 v20, -1.0, v20
	v_fmac_f32_e32 v17, v19, v20
.LBB149_162:
	s_or_b64 exec, exec, s[22:23]
.LBB149_163:
	s_andn2_saveexec_b64 s[20:21], s[20:21]
	s_cbranch_execz .LBB149_165
; %bb.164:
	v_cvt_i32_f32_e32 v17, v18
	v_mov_b32_e32 v19, 0x3af135b4
	v_mov_b32_e32 v20, 0x3cda40e4
	;; [unrolled: 1-line block ×3, first 2 shown]
	v_cvt_f32_i32_e32 v22, v17
	v_mov_b32_e32 v23, 0x3ea6cc7a
	v_mov_b32_e32 v24, 0x3e5c245a
	v_cmp_lt_i32_e64 s[10:11], 2, v17
	v_sub_f32_e64 v22, |v16|, v22
	v_fmac_f32_e32 v19, 0x3805ff67, v22
	v_fmac_f32_e32 v20, v22, v19
	;; [unrolled: 1-line block ×3, first 2 shown]
	v_mov_b32_e32 v20, 0x3a4beed6
	v_fmac_f32_e32 v23, v22, v21
	v_fmac_f32_e32 v20, 0x36f5d7bd, v22
	v_mov_b32_e32 v21, 0x3c98bf54
	v_fmac_f32_e32 v21, v22, v20
	v_mov_b32_e32 v20, 0x3e300f6e
	;; [unrolled: 2-line block ×4, first 2 shown]
	v_fmac_f32_e32 v20, v22, v21
	v_add_f32_e32 v21, 2.0, v22
	v_mov_b32_e32 v25, 0xbd9e233f
	v_fmac_f32_e32 v24, v22, v23
	v_add_f32_e32 v23, 0x40400000, v22
	v_cndmask_b32_e64 v21, 1.0, v21, s[10:11]
	v_cmp_lt_i32_e64 s[10:11], 3, v17
	v_fmac_f32_e32 v25, v22, v24
	v_add_f32_e32 v24, 4.0, v22
	v_cndmask_b32_e64 v23, 1.0, v23, s[10:11]
	v_cmp_lt_i32_e64 s[10:11], 4, v17
	v_mul_f32_e32 v19, v22, v25
	v_add_f32_e32 v25, 0x40a00000, v22
	v_mul_f32_e32 v21, v21, v23
	v_cndmask_b32_e64 v23, 1.0, v24, s[10:11]
	v_cmp_lt_i32_e64 s[10:11], 5, v17
	v_add_f32_e32 v26, 0x40c00000, v22
	v_mul_f32_e32 v21, v23, v21
	v_cndmask_b32_e64 v23, 1.0, v25, s[10:11]
	v_cmp_lt_i32_e64 s[10:11], 6, v17
	v_mul_f32_e32 v21, v23, v21
	v_cndmask_b32_e64 v17, 1.0, v26, s[10:11]
	v_mul_f32_e32 v17, v17, v21
	s_mov_b32 s10, 0x800000
	v_cmp_gt_f32_e64 s[10:11], s10, v17
	v_cndmask_b32_e64 v21, 0, 32, s[10:11]
	v_fma_f32 v20, v22, v20, 1.0
	v_ldexp_f32 v17, v17, v21
	v_rcp_f32_e32 v20, v20
	v_log_f32_e32 v17, v17
	s_mov_b32 s12, 0x3f317217
	v_mul_f32_e32 v19, v19, v20
	v_mul_f32_e32 v20, 0x3f317217, v17
	v_fma_f32 v21, v17, s12, -v20
	v_fmac_f32_e32 v21, 0x3377d1cf, v17
	s_mov_b32 s12, 0x7f800000
	v_add_f32_e32 v20, v20, v21
	v_cmp_lt_f32_e64 s[12:13], |v17|, s12
	v_cndmask_b32_e64 v17, v17, v20, s[12:13]
	v_mov_b32_e32 v20, 0x41b17218
	v_cndmask_b32_e64 v20, 0, v20, s[10:11]
	v_fmac_f32_e32 v19, 0.5, v22
	v_sub_f32_e32 v17, v17, v20
	v_add_f32_e32 v17, v17, v19
.LBB149_165:
	s_or_b64 exec, exec, s[20:21]
.LBB149_166:
	s_andn2_saveexec_b64 s[16:17], s[16:17]
	s_cbranch_execz .LBB149_184
; %bb.167:
	s_mov_b32 s10, 0x3f666666
	v_cmp_le_f32_e64 s[10:11], |v16|, s10
                                        ; implicit-def: $vgpr17
                                        ; implicit-def: $vgpr20
                                        ; implicit-def: $vgpr19
	s_and_saveexec_b64 s[12:13], s[10:11]
	s_xor_b64 s[20:21], exec, s[12:13]
	s_cbranch_execz .LBB149_169
; %bb.168:
	s_mov_b32 s10, 0x800000
	v_cmp_lt_f32_e64 s[10:11], |v16|, s10
	v_cndmask_b32_e64 v17, 0, 32, s[10:11]
	v_ldexp_f32 v17, |v16|, v17
	v_log_f32_e32 v17, v17
	s_mov_b32 s12, 0x3f317217
	s_mov_b32 s13, 0x7f800000
	v_mul_f32_e32 v19, 0x3f317217, v17
	v_fma_f32 v20, v17, s12, -v19
	v_fmac_f32_e32 v20, 0x3377d1cf, v17
	v_add_f32_e32 v19, v19, v20
	v_cmp_lt_f32_e64 s[12:13], |v17|, s13
	v_cndmask_b32_e64 v17, v17, v19, s[12:13]
	v_mov_b32_e32 v19, 0x41b17218
	v_cndmask_b32_e64 v19, 0, v19, s[10:11]
	s_mov_b32 s10, 0x3f3b4a23
	s_mov_b32 s11, 0xbeec5b0c
	v_sub_f32_e32 v17, v17, v19
	v_sub_f32_e64 v19, 1.0, |v16|
	v_add_f32_e64 v20, |v16|, s11
	v_cmp_lt_f32_e64 s[10:11], |v16|, s10
	v_cndmask_b32_e64 v19, v19, v20, s[10:11]
	v_cndmask_b32_e64 v20, 0, 1, s[10:11]
	s_mov_b32 s10, 0x3e6d3309
	v_cmp_lt_f32_e64 s[10:11], |v16|, s10
	v_xor_b32_e32 v17, 0x80000000, v17
	v_cndmask_b32_e64 v19, v19, |v16|, s[10:11]
	v_cndmask_b32_e64 v20, v20, 2, s[10:11]
.LBB149_169:
	s_andn2_saveexec_b64 s[12:13], s[20:21]
	s_cbranch_execz .LBB149_171
; %bb.170:
	s_mov_b32 s10, 0x3fdda512
	s_mov_b32 s11, 0xbfbb16c3
	v_sub_f32_e64 v17, 2.0, |v16|
	v_add_f32_e64 v19, |v16|, s11
	v_cmp_lt_f32_e64 s[10:11], |v16|, s10
	v_cndmask_b32_e64 v19, v17, v19, s[10:11]
	v_cndmask_b32_e64 v17, v17, 1.0, s[10:11]
	v_cvt_i32_f32_e32 v17, v17
	s_mov_b32 s10, 0x3f9d70a4
	v_add_f32_e64 v20, |v16|, -1.0
	v_cmp_lt_f32_e64 s[10:11], |v16|, s10
	v_cndmask_b32_e64 v19, v19, v20, s[10:11]
	v_cndmask_b32_e64 v20, v17, 2, s[10:11]
	v_mov_b32_e32 v17, 0
.LBB149_171:
	s_or_b64 exec, exec, s[12:13]
	v_cmp_lt_i32_e64 s[10:11], 0, v20
	s_and_saveexec_b64 s[12:13], s[10:11]
	s_xor_b64 s[12:13], exec, s[12:13]
	s_cbranch_execz .LBB149_179
; %bb.172:
	v_cmp_lt_i32_e64 s[10:11], 1, v20
	s_and_saveexec_b64 s[20:21], s[10:11]
	s_xor_b64 s[20:21], exec, s[20:21]
	s_cbranch_execz .LBB149_176
; %bb.173:
	v_cmp_eq_u32_e64 s[10:11], 2, v20
	s_and_saveexec_b64 s[22:23], s[10:11]
	s_cbranch_execz .LBB149_175
; %bb.174:
	v_mov_b32_e32 v20, 0x3e6a7578
	v_fmac_f32_e32 v20, 0x3c5b3c5e, v19
	v_mov_b32_e32 v21, 0x3f7a4bb2
	v_fmac_f32_e32 v21, v19, v20
	;; [unrolled: 2-line block ×8, first 2 shown]
	v_fma_f32 v20, v19, v22, 1.0
	v_rcp_f32_e32 v20, v20
	v_mov_b32_e32 v22, 0xbd9e233f
	v_fmac_f32_e32 v22, v19, v21
	v_mul_f32_e32 v21, v19, v22
	v_mul_f32_e32 v20, v21, v20
	v_fmac_f32_e32 v20, -0.5, v19
	v_add_f32_e32 v17, v17, v20
.LBB149_175:
	s_or_b64 exec, exec, s[22:23]
                                        ; implicit-def: $vgpr19
.LBB149_176:
	s_andn2_saveexec_b64 s[10:11], s[20:21]
	s_cbranch_execz .LBB149_178
; %bb.177:
	v_mul_f32_e32 v20, v19, v19
	v_mul_f32_e32 v21, v19, v20
	v_mov_b32_e32 v22, 0xbab7f476
	v_fmac_f32_e32 v22, 0x39a57b6b, v21
	v_mov_b32_e32 v23, 0x3bc7e707
	v_fmac_f32_e32 v23, v21, v22
	;; [unrolled: 2-line block ×12, first 2 shown]
	v_fmac_f32_e32 v24, v19, v25
	s_mov_b32 s20, 0xa2863e55
	v_fma_f32 v19, v21, -v24, s20
	v_fma_f32 v19, v20, v23, -v19
	v_add_f32_e32 v19, 0xbdf8cdce, v19
	v_add_f32_e32 v17, v17, v19
.LBB149_178:
	s_or_b64 exec, exec, s[10:11]
                                        ; implicit-def: $vgpr20
                                        ; implicit-def: $vgpr19
.LBB149_179:
	s_andn2_saveexec_b64 s[12:13], s[12:13]
	s_cbranch_execz .LBB149_183
; %bb.180:
	v_cmp_eq_u32_e64 s[10:11], 0, v20
	s_and_saveexec_b64 s[20:21], s[10:11]
	s_cbranch_execz .LBB149_182
; %bb.181:
	v_mul_f32_e32 v20, v19, v19
	v_mov_b32_e32 v21, 0x39679767
	v_fmac_f32_e32 v21, 0x37d383a2, v20
	v_mov_b32_e32 v22, 0x3a9c54a1
	v_fmac_f32_e32 v22, v20, v21
	;; [unrolled: 2-line block ×10, first 2 shown]
	v_mul_f32_e32 v20, v20, v22
	v_fmac_f32_e32 v20, v19, v21
	v_fmac_f32_e32 v20, -0.5, v19
	v_add_f32_e32 v17, v17, v20
.LBB149_182:
	s_or_b64 exec, exec, s[20:21]
.LBB149_183:
	s_or_b64 exec, exec, s[12:13]
.LBB149_184:
	s_or_b64 exec, exec, s[16:17]
.LBB149_185:
	s_andn2_saveexec_b64 s[14:15], s[14:15]
	s_cbranch_execz .LBB149_187
; %bb.186:
	s_mov_b32 s10, 0x3e8a8991
	v_mov_b32_e32 v17, 0xbecd26ab
	v_fma_f32 v17, |v16|, s10, v17
	s_mov_b32 s10, 0x3f528d33
	v_fma_f32 v17, |v16|, v17, s10
	s_mov_b32 s10, 0x800000
	v_cmp_lt_f32_e64 s[10:11], |v16|, s10
	v_cndmask_b32_e64 v19, 0, 32, s[10:11]
	v_ldexp_f32 v19, |v16|, v19
	v_log_f32_e32 v19, v19
	s_mov_b32 s12, 0xbf13c468
	v_fma_f32 v17, |v16|, v17, s12
	s_mov_b32 s12, 0x3f317217
	v_mul_f32_e32 v20, 0x3f317217, v19
	v_fma_f32 v21, v19, s12, -v20
	v_fmac_f32_e32 v21, 0x3377d1cf, v19
	s_mov_b32 s12, 0x7f800000
	v_add_f32_e32 v20, v20, v21
	v_cmp_lt_f32_e64 s[12:13], |v19|, s12
	v_cndmask_b32_e64 v19, v19, v20, s[12:13]
	v_mov_b32_e32 v20, 0x41b17218
	v_cndmask_b32_e64 v20, 0, v20, s[10:11]
	v_sub_f32_e32 v19, v19, v20
	v_fma_f32 v17, |v16|, v17, -v19
.LBB149_187:
	s_or_b64 exec, exec, s[14:15]
	v_cmp_le_f16_e64 s[10:11], 0, v3
	v_cmp_nle_f16_e64 s[12:13], 0, v3
	s_and_saveexec_b64 s[14:15], s[12:13]
	s_xor_b64 s[16:17], exec, s[14:15]
	s_cbranch_execz .LBB149_191
; %bb.188:
	s_mov_b32 s12, 0x4b000000
	s_mov_b32 s14, 0x35000000
	v_cmp_lt_f32_e64 s[12:13], |v16|, s12
	v_cmp_gt_f32_e64 s[14:15], |v16|, s14
	s_and_b64 s[12:13], s[12:13], s[14:15]
	s_and_saveexec_b64 s[20:21], s[12:13]
	s_cbranch_execz .LBB149_190
; %bb.189:
	v_mul_f32_e64 v19, |v16|, 0.5
	v_floor_f32_e32 v20, v19
	v_sub_f32_e32 v20, v19, v20
	v_min_f32_e32 v20, 0x3f7fffff, v20
	s_mov_b32 s14, 0x7f800000
	v_add_f32_e32 v20, v20, v20
	v_cmp_neq_f32_e64 s[12:13], s14, v19
	v_cndmask_b32_e64 v19, 0, v20, s[12:13]
	v_cmp_gt_f32_e64 s[12:13], |v16|, 1.0
	v_cndmask_b32_e64 v19, |v16|, v19, s[12:13]
	v_add_f32_e32 v20, v19, v19
	v_rndne_f32_e32 v20, v20
	v_fmac_f32_e32 v19, -0.5, v20
	v_mul_f32_e32 v21, v19, v19
	v_mov_b32_e32 v22, 0xbf1f24be
	v_fmac_f32_e32 v22, 0x3e75aa41, v21
	v_mov_b32_e32 v23, 0x40234736
	v_fmac_f32_e32 v23, v21, v22
	;; [unrolled: 2-line block ×3, first 2 shown]
	v_mul_f32_e32 v23, v19, v21
	v_mul_f32_e32 v22, v23, v22
	v_fmac_f32_e32 v22, 0x40490fdb, v19
	v_mov_b32_e32 v19, 0x3e642e9d
	v_cvt_i32_f32_e32 v20, v20
	v_fmac_f32_e32 v19, 0x3d4be544, v21
	v_mov_b32_e32 v23, 0xbfaad1da
	v_fmac_f32_e32 v23, v21, v19
	v_mov_b32_e32 v19, 0x4081e0d3
	;; [unrolled: 2-line block ×3, first 2 shown]
	v_fmac_f32_e32 v23, v21, v19
	v_fma_f32 v19, v21, v23, 1.0
	v_and_b32_e32 v21, 1, v20
	v_lshlrev_b32_e32 v20, 30, v20
	v_cmp_eq_u32_e64 s[12:13], 0, v21
	v_and_b32_e32 v20, 0x80000000, v20
	v_xor_b32_e32 v18, v18, v16
	v_cndmask_b32_e64 v19, v19, v22, s[12:13]
	v_xor_b32_e32 v18, v18, v20
	v_xor_b32_e32 v18, v18, v19
	v_mul_f32_e32 v18, v16, v18
	v_frexp_mant_f32_e64 v19, |v18|
	v_rcp_f32_e32 v19, v19
	v_frexp_exp_i32_f32_e32 v18, v18
	v_sub_u32_e32 v18, 2, v18
	s_mov_b32 s12, 0x800000
	v_mul_f32_e32 v19, 0x3f490fdb, v19
	v_ldexp_f32 v18, v19, v18
	v_cmp_gt_f32_e64 s[12:13], s12, v18
	v_cndmask_b32_e64 v19, 0, 32, s[12:13]
	v_ldexp_f32 v18, v18, v19
	v_log_f32_e32 v18, v18
	s_mov_b32 s15, 0x3f317217
	v_mul_f32_e32 v19, 0x3f317217, v18
	v_fma_f32 v20, v18, s15, -v19
	v_fmac_f32_e32 v20, 0x3377d1cf, v18
	v_add_f32_e32 v19, v19, v20
	v_cmp_lt_f32_e64 s[14:15], |v18|, s14
	v_cndmask_b32_e64 v18, v18, v19, s[14:15]
	v_mov_b32_e32 v19, 0x41b17218
	v_cndmask_b32_e64 v19, 0, v19, s[12:13]
	v_sub_f32_e32 v18, v18, v19
	v_sub_f32_e32 v17, v18, v17
	v_floor_f32_e32 v18, v16
	v_sub_f32_e32 v18, v16, v18
	v_min_f32_e32 v18, 0x3f7fffff, v18
	v_mov_b32_e32 v19, 0x7f800000
	v_cmp_neq_f32_e64 s[12:13], 0, v18
	v_cndmask_b32_e64 v17, v19, v17, s[12:13]
.LBB149_190:
	s_or_b64 exec, exec, s[20:21]
.LBB149_191:
	s_andn2_saveexec_b64 s[16:17], s[16:17]
; %bb.192:
	v_cmp_eq_f16_e64 s[12:13], 1.0, v3
	v_cmp_eq_f16_e64 s[14:15], 2.0, v3
	s_or_b64 s[12:13], s[12:13], s[14:15]
	v_cndmask_b32_e64 v17, v17, 0, s[12:13]
; %bb.193:
	s_or_b64 exec, exec, s[16:17]
	v_lshrrev_b32_e32 v18, 16, v3
	v_cvt_f32_f16_e32 v19, v18
	s_mov_b32 s12, 0x3c800000
                                        ; implicit-def: $vgpr20
	v_and_b32_e32 v21, 0x7fffffff, v19
	v_cmp_nlt_f32_e64 s[12:13], |v19|, s12
	s_and_saveexec_b64 s[14:15], s[12:13]
	s_xor_b64 s[16:17], exec, s[14:15]
	s_cbranch_execz .LBB149_223
; %bb.194:
	v_cmp_nlt_f32_e64 s[12:13], |v19|, 2.0
                                        ; implicit-def: $vgpr20
	s_and_saveexec_b64 s[14:15], s[12:13]
	s_xor_b64 s[20:21], exec, s[14:15]
	s_cbranch_execz .LBB149_204
; %bb.195:
	s_mov_b32 s12, 0x41000000
	v_cmp_nlt_f32_e64 s[12:13], |v19|, s12
                                        ; implicit-def: $vgpr20
	s_and_saveexec_b64 s[14:15], s[12:13]
	s_xor_b64 s[22:23], exec, s[14:15]
	s_cbranch_execz .LBB149_201
; %bb.196:
	s_mov_b32 s12, 0x5c800000
	v_cmp_nlt_f32_e64 s[12:13], |v19|, s12
                                        ; implicit-def: $vgpr20
	s_and_saveexec_b64 s[14:15], s[12:13]
	s_xor_b64 s[30:31], exec, s[14:15]
	s_cbranch_execz .LBB149_198
; %bb.197:
	s_mov_b32 s12, 0x800000
	v_cmp_lt_f32_e64 s[12:13], |v19|, s12
	v_cndmask_b32_e64 v20, 0, 32, s[12:13]
	v_ldexp_f32 v20, |v19|, v20
	v_log_f32_e32 v20, v20
	s_mov_b32 s14, 0x3f317217
	s_mov_b32 s15, 0x7f800000
	v_mul_f32_e32 v22, 0x3f317217, v20
	v_fma_f32 v23, v20, s14, -v22
	v_fmac_f32_e32 v23, 0x3377d1cf, v20
	v_add_f32_e32 v22, v22, v23
	v_cmp_lt_f32_e64 s[14:15], |v20|, s15
	v_cndmask_b32_e64 v20, v20, v22, s[14:15]
	v_mov_b32_e32 v22, 0x41b17218
	v_cndmask_b32_e64 v22, 0, v22, s[12:13]
	v_sub_f32_e32 v20, v20, v22
	v_fma_f32 v20, |v19|, v20, -|v19|
.LBB149_198:
	s_andn2_saveexec_b64 s[30:31], s[30:31]
	s_cbranch_execz .LBB149_200
; %bb.199:
	v_rcp_f32_e64 v22, |v19|
	v_mov_b32_e32 v20, 0x3a5b3dd2
	v_mov_b32_e32 v23, 0xba1c065c
	;; [unrolled: 1-line block ×3, first 2 shown]
	v_mul_f32_e32 v25, v22, v22
	v_fmac_f32_e32 v20, 0xbad5c4e8, v25
	v_fmac_f32_e32 v23, v25, v20
	s_mov_b32 s12, 0x800000
	v_fmac_f32_e32 v24, v25, v23
	v_mov_b32_e32 v20, 0xbb360b61
	v_cmp_lt_f32_e64 s[12:13], |v19|, s12
	v_fmac_f32_e32 v20, v25, v24
	v_cndmask_b32_e64 v24, 0, 32, s[12:13]
	v_ldexp_f32 v24, |v19|, v24
	v_log_f32_e32 v24, v24
	v_mov_b32_e32 v23, 0x3daaaaab
	v_fmac_f32_e32 v23, v25, v20
	v_mov_b32_e32 v20, 0x3ed67f1d
	v_fmac_f32_e32 v20, v22, v23
	s_mov_b32 s14, 0x3f317217
	v_mul_f32_e32 v23, 0x3f317217, v24
	v_fma_f32 v25, v24, s14, -v23
	v_fmac_f32_e32 v25, 0x3377d1cf, v24
	s_mov_b32 s14, 0x7f800000
	v_add_f32_e32 v23, v23, v25
	v_cmp_lt_f32_e64 s[14:15], |v24|, s14
	v_cndmask_b32_e64 v23, v24, v23, s[14:15]
	v_mov_b32_e32 v24, 0x41b17218
	v_cndmask_b32_e64 v24, 0, v24, s[12:13]
	v_sub_f32_e32 v23, v23, v24
	v_add_f32_e64 v22, |v19|, -0.5
	v_add_f32_e32 v23, -1.0, v23
	v_fmac_f32_e32 v20, v22, v23
.LBB149_200:
	s_or_b64 exec, exec, s[30:31]
.LBB149_201:
	s_andn2_saveexec_b64 s[22:23], s[22:23]
	s_cbranch_execz .LBB149_203
; %bb.202:
	v_cvt_i32_f32_e32 v20, v21
	v_mov_b32_e32 v22, 0x3af135b4
	v_mov_b32_e32 v23, 0x3cda40e4
	;; [unrolled: 1-line block ×3, first 2 shown]
	v_cvt_f32_i32_e32 v25, v20
	v_mov_b32_e32 v26, 0x3ea6cc7a
	v_mov_b32_e32 v27, 0x3e5c245a
	v_cmp_lt_i32_e64 s[12:13], 2, v20
	v_sub_f32_e64 v25, |v19|, v25
	v_fmac_f32_e32 v22, 0x3805ff67, v25
	v_fmac_f32_e32 v23, v25, v22
	v_fmac_f32_e32 v24, v25, v23
	v_mov_b32_e32 v23, 0x3a4beed6
	v_fmac_f32_e32 v26, v25, v24
	v_fmac_f32_e32 v23, 0x36f5d7bd, v25
	v_mov_b32_e32 v24, 0x3c98bf54
	v_fmac_f32_e32 v24, v25, v23
	v_mov_b32_e32 v23, 0x3e300f6e
	;; [unrolled: 2-line block ×4, first 2 shown]
	v_fmac_f32_e32 v23, v25, v24
	v_add_f32_e32 v24, 2.0, v25
	v_mov_b32_e32 v28, 0xbd9e233f
	v_fmac_f32_e32 v27, v25, v26
	v_add_f32_e32 v26, 0x40400000, v25
	v_cndmask_b32_e64 v24, 1.0, v24, s[12:13]
	v_cmp_lt_i32_e64 s[12:13], 3, v20
	v_fmac_f32_e32 v28, v25, v27
	v_add_f32_e32 v27, 4.0, v25
	v_cndmask_b32_e64 v26, 1.0, v26, s[12:13]
	v_cmp_lt_i32_e64 s[12:13], 4, v20
	v_mul_f32_e32 v22, v25, v28
	v_add_f32_e32 v28, 0x40a00000, v25
	v_mul_f32_e32 v24, v24, v26
	v_cndmask_b32_e64 v26, 1.0, v27, s[12:13]
	v_cmp_lt_i32_e64 s[12:13], 5, v20
	v_add_f32_e32 v29, 0x40c00000, v25
	v_mul_f32_e32 v24, v26, v24
	v_cndmask_b32_e64 v26, 1.0, v28, s[12:13]
	v_cmp_lt_i32_e64 s[12:13], 6, v20
	v_mul_f32_e32 v24, v26, v24
	v_cndmask_b32_e64 v20, 1.0, v29, s[12:13]
	v_mul_f32_e32 v20, v20, v24
	s_mov_b32 s12, 0x800000
	v_cmp_gt_f32_e64 s[12:13], s12, v20
	v_cndmask_b32_e64 v24, 0, 32, s[12:13]
	v_fma_f32 v23, v25, v23, 1.0
	v_ldexp_f32 v20, v20, v24
	v_rcp_f32_e32 v23, v23
	v_log_f32_e32 v20, v20
	s_mov_b32 s14, 0x3f317217
	v_mul_f32_e32 v22, v22, v23
	v_mul_f32_e32 v23, 0x3f317217, v20
	v_fma_f32 v24, v20, s14, -v23
	v_fmac_f32_e32 v24, 0x3377d1cf, v20
	s_mov_b32 s14, 0x7f800000
	v_add_f32_e32 v23, v23, v24
	v_cmp_lt_f32_e64 s[14:15], |v20|, s14
	v_cndmask_b32_e64 v20, v20, v23, s[14:15]
	v_mov_b32_e32 v23, 0x41b17218
	v_cndmask_b32_e64 v23, 0, v23, s[12:13]
	v_fmac_f32_e32 v22, 0.5, v25
	v_sub_f32_e32 v20, v20, v23
	v_add_f32_e32 v20, v20, v22
.LBB149_203:
	s_or_b64 exec, exec, s[22:23]
.LBB149_204:
	s_andn2_saveexec_b64 s[20:21], s[20:21]
	s_cbranch_execz .LBB149_222
; %bb.205:
	s_mov_b32 s12, 0x3f666666
	v_cmp_le_f32_e64 s[12:13], |v19|, s12
                                        ; implicit-def: $vgpr20
                                        ; implicit-def: $vgpr23
                                        ; implicit-def: $vgpr22
	s_and_saveexec_b64 s[14:15], s[12:13]
	s_xor_b64 s[22:23], exec, s[14:15]
	s_cbranch_execz .LBB149_207
; %bb.206:
	s_mov_b32 s12, 0x800000
	v_cmp_lt_f32_e64 s[12:13], |v19|, s12
	v_cndmask_b32_e64 v20, 0, 32, s[12:13]
	v_ldexp_f32 v20, |v19|, v20
	v_log_f32_e32 v20, v20
	s_mov_b32 s14, 0x3f317217
	s_mov_b32 s15, 0x7f800000
	v_mul_f32_e32 v22, 0x3f317217, v20
	v_fma_f32 v23, v20, s14, -v22
	v_fmac_f32_e32 v23, 0x3377d1cf, v20
	v_add_f32_e32 v22, v22, v23
	v_cmp_lt_f32_e64 s[14:15], |v20|, s15
	v_cndmask_b32_e64 v20, v20, v22, s[14:15]
	v_mov_b32_e32 v22, 0x41b17218
	v_cndmask_b32_e64 v22, 0, v22, s[12:13]
	s_mov_b32 s12, 0x3f3b4a23
	s_mov_b32 s13, 0xbeec5b0c
	v_sub_f32_e32 v20, v20, v22
	v_sub_f32_e64 v22, 1.0, |v19|
	v_add_f32_e64 v23, |v19|, s13
	v_cmp_lt_f32_e64 s[12:13], |v19|, s12
	v_cndmask_b32_e64 v22, v22, v23, s[12:13]
	v_cndmask_b32_e64 v23, 0, 1, s[12:13]
	s_mov_b32 s12, 0x3e6d3309
	v_cmp_lt_f32_e64 s[12:13], |v19|, s12
	v_xor_b32_e32 v20, 0x80000000, v20
	v_cndmask_b32_e64 v22, v22, |v19|, s[12:13]
	v_cndmask_b32_e64 v23, v23, 2, s[12:13]
.LBB149_207:
	s_andn2_saveexec_b64 s[14:15], s[22:23]
	s_cbranch_execz .LBB149_209
; %bb.208:
	s_mov_b32 s12, 0x3fdda512
	s_mov_b32 s13, 0xbfbb16c3
	v_sub_f32_e64 v20, 2.0, |v19|
	v_add_f32_e64 v22, |v19|, s13
	v_cmp_lt_f32_e64 s[12:13], |v19|, s12
	v_cndmask_b32_e64 v22, v20, v22, s[12:13]
	v_cndmask_b32_e64 v20, v20, 1.0, s[12:13]
	v_cvt_i32_f32_e32 v20, v20
	s_mov_b32 s12, 0x3f9d70a4
	v_add_f32_e64 v23, |v19|, -1.0
	v_cmp_lt_f32_e64 s[12:13], |v19|, s12
	v_cndmask_b32_e64 v22, v22, v23, s[12:13]
	v_cndmask_b32_e64 v23, v20, 2, s[12:13]
	v_mov_b32_e32 v20, 0
.LBB149_209:
	s_or_b64 exec, exec, s[14:15]
	v_cmp_lt_i32_e64 s[12:13], 0, v23
	s_and_saveexec_b64 s[14:15], s[12:13]
	s_xor_b64 s[14:15], exec, s[14:15]
	s_cbranch_execz .LBB149_217
; %bb.210:
	v_cmp_lt_i32_e64 s[12:13], 1, v23
	s_and_saveexec_b64 s[22:23], s[12:13]
	s_xor_b64 s[22:23], exec, s[22:23]
	s_cbranch_execz .LBB149_214
; %bb.211:
	v_cmp_eq_u32_e64 s[12:13], 2, v23
	s_and_saveexec_b64 s[30:31], s[12:13]
	s_cbranch_execz .LBB149_213
; %bb.212:
	v_mov_b32_e32 v23, 0x3e6a7578
	v_fmac_f32_e32 v23, 0x3c5b3c5e, v22
	v_mov_b32_e32 v24, 0x3f7a4bb2
	v_fmac_f32_e32 v24, v22, v23
	;; [unrolled: 2-line block ×8, first 2 shown]
	v_fma_f32 v23, v22, v25, 1.0
	v_rcp_f32_e32 v23, v23
	v_mov_b32_e32 v25, 0xbd9e233f
	v_fmac_f32_e32 v25, v22, v24
	v_mul_f32_e32 v24, v22, v25
	v_mul_f32_e32 v23, v24, v23
	v_fmac_f32_e32 v23, -0.5, v22
	v_add_f32_e32 v20, v20, v23
.LBB149_213:
	s_or_b64 exec, exec, s[30:31]
                                        ; implicit-def: $vgpr22
.LBB149_214:
	s_andn2_saveexec_b64 s[12:13], s[22:23]
	s_cbranch_execz .LBB149_216
; %bb.215:
	v_mul_f32_e32 v23, v22, v22
	v_mul_f32_e32 v24, v22, v23
	v_mov_b32_e32 v25, 0xbab7f476
	v_fmac_f32_e32 v25, 0x39a57b6b, v24
	v_mov_b32_e32 v26, 0x3bc7e707
	v_fmac_f32_e32 v26, v24, v25
	;; [unrolled: 2-line block ×12, first 2 shown]
	v_fmac_f32_e32 v27, v22, v28
	s_mov_b32 s22, 0xa2863e55
	v_fma_f32 v22, v24, -v27, s22
	v_fma_f32 v22, v23, v26, -v22
	v_add_f32_e32 v22, 0xbdf8cdce, v22
	v_add_f32_e32 v20, v20, v22
.LBB149_216:
	s_or_b64 exec, exec, s[12:13]
                                        ; implicit-def: $vgpr23
                                        ; implicit-def: $vgpr22
.LBB149_217:
	s_andn2_saveexec_b64 s[14:15], s[14:15]
	s_cbranch_execz .LBB149_221
; %bb.218:
	v_cmp_eq_u32_e64 s[12:13], 0, v23
	s_and_saveexec_b64 s[22:23], s[12:13]
	s_cbranch_execz .LBB149_220
; %bb.219:
	v_mul_f32_e32 v23, v22, v22
	v_mov_b32_e32 v24, 0x39679767
	v_fmac_f32_e32 v24, 0x37d383a2, v23
	v_mov_b32_e32 v25, 0x3a9c54a1
	v_fmac_f32_e32 v25, v23, v24
	;; [unrolled: 2-line block ×10, first 2 shown]
	v_mul_f32_e32 v23, v23, v25
	v_fmac_f32_e32 v23, v22, v24
	v_fmac_f32_e32 v23, -0.5, v22
	v_add_f32_e32 v20, v20, v23
.LBB149_220:
	s_or_b64 exec, exec, s[22:23]
.LBB149_221:
	s_or_b64 exec, exec, s[14:15]
.LBB149_222:
	s_or_b64 exec, exec, s[20:21]
.LBB149_223:
	s_andn2_saveexec_b64 s[16:17], s[16:17]
	s_cbranch_execz .LBB149_225
; %bb.224:
	s_mov_b32 s12, 0x3e8a8991
	v_mov_b32_e32 v20, 0xbecd26ab
	v_fma_f32 v20, |v19|, s12, v20
	s_mov_b32 s12, 0x3f528d33
	v_fma_f32 v20, |v19|, v20, s12
	s_mov_b32 s12, 0x800000
	v_cmp_lt_f32_e64 s[12:13], |v19|, s12
	v_cndmask_b32_e64 v22, 0, 32, s[12:13]
	v_ldexp_f32 v22, |v19|, v22
	v_log_f32_e32 v22, v22
	s_mov_b32 s14, 0xbf13c468
	v_fma_f32 v20, |v19|, v20, s14
	s_mov_b32 s14, 0x3f317217
	v_mul_f32_e32 v23, 0x3f317217, v22
	v_fma_f32 v24, v22, s14, -v23
	v_fmac_f32_e32 v24, 0x3377d1cf, v22
	s_mov_b32 s14, 0x7f800000
	v_add_f32_e32 v23, v23, v24
	v_cmp_lt_f32_e64 s[14:15], |v22|, s14
	v_cndmask_b32_e64 v22, v22, v23, s[14:15]
	v_mov_b32_e32 v23, 0x41b17218
	v_cndmask_b32_e64 v23, 0, v23, s[12:13]
	v_sub_f32_e32 v22, v22, v23
	v_fma_f32 v20, |v19|, v20, -v22
.LBB149_225:
	s_or_b64 exec, exec, s[16:17]
	v_cmp_le_f16_e64 s[12:13], 0, v18
	v_cmp_nle_f16_e64 s[14:15], 0, v18
	s_and_saveexec_b64 s[16:17], s[14:15]
	s_xor_b64 s[20:21], exec, s[16:17]
	s_cbranch_execz .LBB149_229
; %bb.226:
	s_mov_b32 s14, 0x4b000000
	s_mov_b32 s16, 0x35000000
	v_cmp_lt_f32_e64 s[14:15], |v19|, s14
	v_cmp_gt_f32_e64 s[16:17], |v19|, s16
	s_and_b64 s[14:15], s[14:15], s[16:17]
	s_and_saveexec_b64 s[22:23], s[14:15]
	s_cbranch_execz .LBB149_228
; %bb.227:
	v_mul_f32_e64 v22, |v19|, 0.5
	v_floor_f32_e32 v23, v22
	v_sub_f32_e32 v23, v22, v23
	v_min_f32_e32 v23, 0x3f7fffff, v23
	s_mov_b32 s16, 0x7f800000
	v_add_f32_e32 v23, v23, v23
	v_cmp_neq_f32_e64 s[14:15], s16, v22
	v_cndmask_b32_e64 v22, 0, v23, s[14:15]
	v_cmp_gt_f32_e64 s[14:15], |v19|, 1.0
	v_cndmask_b32_e64 v22, |v19|, v22, s[14:15]
	v_add_f32_e32 v23, v22, v22
	v_rndne_f32_e32 v23, v23
	v_fmac_f32_e32 v22, -0.5, v23
	v_mul_f32_e32 v24, v22, v22
	v_mov_b32_e32 v25, 0xbf1f24be
	v_fmac_f32_e32 v25, 0x3e75aa41, v24
	v_mov_b32_e32 v26, 0x40234736
	v_fmac_f32_e32 v26, v24, v25
	;; [unrolled: 2-line block ×3, first 2 shown]
	v_mul_f32_e32 v26, v22, v24
	v_mul_f32_e32 v25, v26, v25
	v_fmac_f32_e32 v25, 0x40490fdb, v22
	v_mov_b32_e32 v22, 0x3e642e9d
	v_cvt_i32_f32_e32 v23, v23
	v_fmac_f32_e32 v22, 0x3d4be544, v24
	v_mov_b32_e32 v26, 0xbfaad1da
	v_fmac_f32_e32 v26, v24, v22
	v_mov_b32_e32 v22, 0x4081e0d3
	;; [unrolled: 2-line block ×3, first 2 shown]
	v_fmac_f32_e32 v26, v24, v22
	v_fma_f32 v22, v24, v26, 1.0
	v_and_b32_e32 v24, 1, v23
	v_lshlrev_b32_e32 v23, 30, v23
	v_cmp_eq_u32_e64 s[14:15], 0, v24
	v_and_b32_e32 v23, 0x80000000, v23
	v_xor_b32_e32 v21, v21, v19
	v_cndmask_b32_e64 v22, v22, v25, s[14:15]
	v_xor_b32_e32 v21, v21, v23
	v_xor_b32_e32 v21, v21, v22
	v_mul_f32_e32 v21, v19, v21
	v_frexp_mant_f32_e64 v22, |v21|
	v_rcp_f32_e32 v22, v22
	v_frexp_exp_i32_f32_e32 v21, v21
	v_sub_u32_e32 v21, 2, v21
	s_mov_b32 s14, 0x800000
	v_mul_f32_e32 v22, 0x3f490fdb, v22
	v_ldexp_f32 v21, v22, v21
	v_cmp_gt_f32_e64 s[14:15], s14, v21
	v_cndmask_b32_e64 v22, 0, 32, s[14:15]
	v_ldexp_f32 v21, v21, v22
	v_log_f32_e32 v21, v21
	s_mov_b32 s17, 0x3f317217
	v_mul_f32_e32 v22, 0x3f317217, v21
	v_fma_f32 v23, v21, s17, -v22
	v_fmac_f32_e32 v23, 0x3377d1cf, v21
	v_add_f32_e32 v22, v22, v23
	v_cmp_lt_f32_e64 s[16:17], |v21|, s16
	v_cndmask_b32_e64 v21, v21, v22, s[16:17]
	v_mov_b32_e32 v22, 0x41b17218
	v_cndmask_b32_e64 v22, 0, v22, s[14:15]
	v_sub_f32_e32 v21, v21, v22
	v_sub_f32_e32 v20, v21, v20
	v_floor_f32_e32 v21, v19
	v_sub_f32_e32 v21, v19, v21
	v_min_f32_e32 v21, 0x3f7fffff, v21
	v_mov_b32_e32 v22, 0x7f800000
	v_cmp_neq_f32_e64 s[14:15], 0, v21
	v_cndmask_b32_e64 v20, v22, v20, s[14:15]
.LBB149_228:
	s_or_b64 exec, exec, s[22:23]
.LBB149_229:
	s_andn2_saveexec_b64 s[20:21], s[20:21]
; %bb.230:
	v_cmp_eq_f16_e64 s[14:15], 1.0, v18
	v_cmp_eq_f16_e64 s[16:17], 2.0, v18
	s_or_b64 s[14:15], s[14:15], s[16:17]
	v_cndmask_b32_e64 v20, v20, 0, s[14:15]
; %bb.231:
	s_or_b64 exec, exec, s[20:21]
	v_cvt_f32_f16_e32 v21, v4
	s_mov_b32 s14, 0x3c800000
                                        ; implicit-def: $vgpr22
	v_and_b32_e32 v23, 0x7fffffff, v21
	v_cmp_nlt_f32_e64 s[14:15], |v21|, s14
	s_and_saveexec_b64 s[16:17], s[14:15]
	s_xor_b64 s[20:21], exec, s[16:17]
	s_cbranch_execz .LBB149_261
; %bb.232:
	v_cmp_nlt_f32_e64 s[14:15], |v21|, 2.0
                                        ; implicit-def: $vgpr22
	s_and_saveexec_b64 s[16:17], s[14:15]
	s_xor_b64 s[22:23], exec, s[16:17]
	s_cbranch_execz .LBB149_242
; %bb.233:
	s_mov_b32 s14, 0x41000000
	v_cmp_nlt_f32_e64 s[14:15], |v21|, s14
                                        ; implicit-def: $vgpr22
	s_and_saveexec_b64 s[16:17], s[14:15]
	s_xor_b64 s[30:31], exec, s[16:17]
	s_cbranch_execz .LBB149_239
; %bb.234:
	s_mov_b32 s14, 0x5c800000
	v_cmp_nlt_f32_e64 s[14:15], |v21|, s14
                                        ; implicit-def: $vgpr22
	s_and_saveexec_b64 s[16:17], s[14:15]
	s_xor_b64 s[34:35], exec, s[16:17]
	s_cbranch_execz .LBB149_236
; %bb.235:
	s_mov_b32 s14, 0x800000
	v_cmp_lt_f32_e64 s[14:15], |v21|, s14
	v_cndmask_b32_e64 v22, 0, 32, s[14:15]
	v_ldexp_f32 v22, |v21|, v22
	v_log_f32_e32 v22, v22
	s_mov_b32 s16, 0x3f317217
	s_mov_b32 s17, 0x7f800000
	v_mul_f32_e32 v24, 0x3f317217, v22
	v_fma_f32 v25, v22, s16, -v24
	v_fmac_f32_e32 v25, 0x3377d1cf, v22
	v_add_f32_e32 v24, v24, v25
	v_cmp_lt_f32_e64 s[16:17], |v22|, s17
	v_cndmask_b32_e64 v22, v22, v24, s[16:17]
	v_mov_b32_e32 v24, 0x41b17218
	v_cndmask_b32_e64 v24, 0, v24, s[14:15]
	v_sub_f32_e32 v22, v22, v24
	v_fma_f32 v22, |v21|, v22, -|v21|
.LBB149_236:
	s_andn2_saveexec_b64 s[34:35], s[34:35]
	s_cbranch_execz .LBB149_238
; %bb.237:
	v_rcp_f32_e64 v24, |v21|
	v_mov_b32_e32 v22, 0x3a5b3dd2
	v_mov_b32_e32 v25, 0xba1c065c
	v_mov_b32_e32 v26, 0x3a500cfd
	v_mul_f32_e32 v27, v24, v24
	v_fmac_f32_e32 v22, 0xbad5c4e8, v27
	v_fmac_f32_e32 v25, v27, v22
	s_mov_b32 s14, 0x800000
	v_fmac_f32_e32 v26, v27, v25
	v_mov_b32_e32 v22, 0xbb360b61
	v_cmp_lt_f32_e64 s[14:15], |v21|, s14
	v_fmac_f32_e32 v22, v27, v26
	v_cndmask_b32_e64 v26, 0, 32, s[14:15]
	v_ldexp_f32 v26, |v21|, v26
	v_log_f32_e32 v26, v26
	v_mov_b32_e32 v25, 0x3daaaaab
	v_fmac_f32_e32 v25, v27, v22
	v_mov_b32_e32 v22, 0x3ed67f1d
	v_fmac_f32_e32 v22, v24, v25
	s_mov_b32 s16, 0x3f317217
	v_mul_f32_e32 v25, 0x3f317217, v26
	v_fma_f32 v27, v26, s16, -v25
	v_fmac_f32_e32 v27, 0x3377d1cf, v26
	s_mov_b32 s16, 0x7f800000
	v_add_f32_e32 v25, v25, v27
	v_cmp_lt_f32_e64 s[16:17], |v26|, s16
	v_cndmask_b32_e64 v25, v26, v25, s[16:17]
	v_mov_b32_e32 v26, 0x41b17218
	v_cndmask_b32_e64 v26, 0, v26, s[14:15]
	v_sub_f32_e32 v25, v25, v26
	v_add_f32_e64 v24, |v21|, -0.5
	v_add_f32_e32 v25, -1.0, v25
	v_fmac_f32_e32 v22, v24, v25
.LBB149_238:
	s_or_b64 exec, exec, s[34:35]
.LBB149_239:
	s_andn2_saveexec_b64 s[30:31], s[30:31]
	s_cbranch_execz .LBB149_241
; %bb.240:
	v_cvt_i32_f32_e32 v22, v23
	v_mov_b32_e32 v24, 0x3af135b4
	v_mov_b32_e32 v25, 0x3cda40e4
	v_mov_b32_e32 v26, 0x3e15dce6
	v_cvt_f32_i32_e32 v27, v22
	v_mov_b32_e32 v28, 0x3ea6cc7a
	v_mov_b32_e32 v29, 0x3e5c245a
	v_cmp_lt_i32_e64 s[14:15], 2, v22
	v_sub_f32_e64 v27, |v21|, v27
	v_fmac_f32_e32 v24, 0x3805ff67, v27
	v_fmac_f32_e32 v25, v27, v24
	;; [unrolled: 1-line block ×3, first 2 shown]
	v_mov_b32_e32 v25, 0x3a4beed6
	v_fmac_f32_e32 v28, v27, v26
	v_fmac_f32_e32 v25, 0x36f5d7bd, v27
	v_mov_b32_e32 v26, 0x3c98bf54
	v_fmac_f32_e32 v26, v27, v25
	v_mov_b32_e32 v25, 0x3e300f6e
	;; [unrolled: 2-line block ×4, first 2 shown]
	v_fmac_f32_e32 v25, v27, v26
	v_add_f32_e32 v26, 2.0, v27
	v_mov_b32_e32 v30, 0xbd9e233f
	v_fmac_f32_e32 v29, v27, v28
	v_add_f32_e32 v28, 0x40400000, v27
	v_cndmask_b32_e64 v26, 1.0, v26, s[14:15]
	v_cmp_lt_i32_e64 s[14:15], 3, v22
	v_fmac_f32_e32 v30, v27, v29
	v_add_f32_e32 v29, 4.0, v27
	v_cndmask_b32_e64 v28, 1.0, v28, s[14:15]
	v_cmp_lt_i32_e64 s[14:15], 4, v22
	v_mul_f32_e32 v24, v27, v30
	v_add_f32_e32 v30, 0x40a00000, v27
	v_mul_f32_e32 v26, v26, v28
	v_cndmask_b32_e64 v28, 1.0, v29, s[14:15]
	v_cmp_lt_i32_e64 s[14:15], 5, v22
	v_add_f32_e32 v31, 0x40c00000, v27
	v_mul_f32_e32 v26, v28, v26
	v_cndmask_b32_e64 v28, 1.0, v30, s[14:15]
	v_cmp_lt_i32_e64 s[14:15], 6, v22
	v_mul_f32_e32 v26, v28, v26
	v_cndmask_b32_e64 v22, 1.0, v31, s[14:15]
	v_mul_f32_e32 v22, v22, v26
	s_mov_b32 s14, 0x800000
	v_cmp_gt_f32_e64 s[14:15], s14, v22
	v_cndmask_b32_e64 v26, 0, 32, s[14:15]
	v_fma_f32 v25, v27, v25, 1.0
	v_ldexp_f32 v22, v22, v26
	v_rcp_f32_e32 v25, v25
	v_log_f32_e32 v22, v22
	s_mov_b32 s16, 0x3f317217
	v_mul_f32_e32 v24, v24, v25
	v_mul_f32_e32 v25, 0x3f317217, v22
	v_fma_f32 v26, v22, s16, -v25
	v_fmac_f32_e32 v26, 0x3377d1cf, v22
	s_mov_b32 s16, 0x7f800000
	v_add_f32_e32 v25, v25, v26
	v_cmp_lt_f32_e64 s[16:17], |v22|, s16
	v_cndmask_b32_e64 v22, v22, v25, s[16:17]
	v_mov_b32_e32 v25, 0x41b17218
	v_cndmask_b32_e64 v25, 0, v25, s[14:15]
	v_fmac_f32_e32 v24, 0.5, v27
	v_sub_f32_e32 v22, v22, v25
	v_add_f32_e32 v22, v22, v24
.LBB149_241:
	s_or_b64 exec, exec, s[30:31]
.LBB149_242:
	s_andn2_saveexec_b64 s[22:23], s[22:23]
	s_cbranch_execz .LBB149_260
; %bb.243:
	s_mov_b32 s14, 0x3f666666
	v_cmp_le_f32_e64 s[14:15], |v21|, s14
                                        ; implicit-def: $vgpr22
                                        ; implicit-def: $vgpr25
                                        ; implicit-def: $vgpr24
	s_and_saveexec_b64 s[16:17], s[14:15]
	s_xor_b64 s[30:31], exec, s[16:17]
	s_cbranch_execz .LBB149_245
; %bb.244:
	s_mov_b32 s14, 0x800000
	v_cmp_lt_f32_e64 s[14:15], |v21|, s14
	v_cndmask_b32_e64 v22, 0, 32, s[14:15]
	v_ldexp_f32 v22, |v21|, v22
	v_log_f32_e32 v22, v22
	s_mov_b32 s16, 0x3f317217
	s_mov_b32 s17, 0x7f800000
	v_mul_f32_e32 v24, 0x3f317217, v22
	v_fma_f32 v25, v22, s16, -v24
	v_fmac_f32_e32 v25, 0x3377d1cf, v22
	v_add_f32_e32 v24, v24, v25
	v_cmp_lt_f32_e64 s[16:17], |v22|, s17
	v_cndmask_b32_e64 v22, v22, v24, s[16:17]
	v_mov_b32_e32 v24, 0x41b17218
	v_cndmask_b32_e64 v24, 0, v24, s[14:15]
	s_mov_b32 s14, 0x3f3b4a23
	s_mov_b32 s15, 0xbeec5b0c
	v_sub_f32_e32 v22, v22, v24
	v_sub_f32_e64 v24, 1.0, |v21|
	v_add_f32_e64 v25, |v21|, s15
	v_cmp_lt_f32_e64 s[14:15], |v21|, s14
	v_cndmask_b32_e64 v24, v24, v25, s[14:15]
	v_cndmask_b32_e64 v25, 0, 1, s[14:15]
	s_mov_b32 s14, 0x3e6d3309
	v_cmp_lt_f32_e64 s[14:15], |v21|, s14
	v_xor_b32_e32 v22, 0x80000000, v22
	v_cndmask_b32_e64 v24, v24, |v21|, s[14:15]
	v_cndmask_b32_e64 v25, v25, 2, s[14:15]
.LBB149_245:
	s_andn2_saveexec_b64 s[16:17], s[30:31]
	s_cbranch_execz .LBB149_247
; %bb.246:
	s_mov_b32 s14, 0x3fdda512
	s_mov_b32 s15, 0xbfbb16c3
	v_sub_f32_e64 v22, 2.0, |v21|
	v_add_f32_e64 v24, |v21|, s15
	v_cmp_lt_f32_e64 s[14:15], |v21|, s14
	v_cndmask_b32_e64 v24, v22, v24, s[14:15]
	v_cndmask_b32_e64 v22, v22, 1.0, s[14:15]
	v_cvt_i32_f32_e32 v22, v22
	s_mov_b32 s14, 0x3f9d70a4
	v_add_f32_e64 v25, |v21|, -1.0
	v_cmp_lt_f32_e64 s[14:15], |v21|, s14
	v_cndmask_b32_e64 v24, v24, v25, s[14:15]
	v_cndmask_b32_e64 v25, v22, 2, s[14:15]
	v_mov_b32_e32 v22, 0
.LBB149_247:
	s_or_b64 exec, exec, s[16:17]
	v_cmp_lt_i32_e64 s[14:15], 0, v25
	s_and_saveexec_b64 s[16:17], s[14:15]
	s_xor_b64 s[16:17], exec, s[16:17]
	s_cbranch_execz .LBB149_255
; %bb.248:
	v_cmp_lt_i32_e64 s[14:15], 1, v25
	s_and_saveexec_b64 s[30:31], s[14:15]
	s_xor_b64 s[30:31], exec, s[30:31]
	s_cbranch_execz .LBB149_252
; %bb.249:
	v_cmp_eq_u32_e64 s[14:15], 2, v25
	s_and_saveexec_b64 s[34:35], s[14:15]
	s_cbranch_execz .LBB149_251
; %bb.250:
	v_mov_b32_e32 v25, 0x3e6a7578
	v_fmac_f32_e32 v25, 0x3c5b3c5e, v24
	v_mov_b32_e32 v26, 0x3f7a4bb2
	v_fmac_f32_e32 v26, v24, v25
	;; [unrolled: 2-line block ×8, first 2 shown]
	v_fma_f32 v25, v24, v27, 1.0
	v_rcp_f32_e32 v25, v25
	v_mov_b32_e32 v27, 0xbd9e233f
	v_fmac_f32_e32 v27, v24, v26
	v_mul_f32_e32 v26, v24, v27
	v_mul_f32_e32 v25, v26, v25
	v_fmac_f32_e32 v25, -0.5, v24
	v_add_f32_e32 v22, v22, v25
.LBB149_251:
	s_or_b64 exec, exec, s[34:35]
                                        ; implicit-def: $vgpr24
.LBB149_252:
	s_andn2_saveexec_b64 s[14:15], s[30:31]
	s_cbranch_execz .LBB149_254
; %bb.253:
	v_mul_f32_e32 v25, v24, v24
	v_mul_f32_e32 v26, v24, v25
	v_mov_b32_e32 v27, 0xbab7f476
	v_fmac_f32_e32 v27, 0x39a57b6b, v26
	v_mov_b32_e32 v28, 0x3bc7e707
	v_fmac_f32_e32 v28, v26, v27
	;; [unrolled: 2-line block ×12, first 2 shown]
	v_fmac_f32_e32 v29, v24, v30
	s_mov_b32 s30, 0xa2863e55
	v_fma_f32 v24, v26, -v29, s30
	v_fma_f32 v24, v25, v28, -v24
	v_add_f32_e32 v24, 0xbdf8cdce, v24
	v_add_f32_e32 v22, v22, v24
.LBB149_254:
	s_or_b64 exec, exec, s[14:15]
                                        ; implicit-def: $vgpr25
                                        ; implicit-def: $vgpr24
.LBB149_255:
	s_andn2_saveexec_b64 s[16:17], s[16:17]
	s_cbranch_execz .LBB149_259
; %bb.256:
	v_cmp_eq_u32_e64 s[14:15], 0, v25
	s_and_saveexec_b64 s[30:31], s[14:15]
	s_cbranch_execz .LBB149_258
; %bb.257:
	v_mul_f32_e32 v25, v24, v24
	v_mov_b32_e32 v26, 0x39679767
	v_fmac_f32_e32 v26, 0x37d383a2, v25
	v_mov_b32_e32 v27, 0x3a9c54a1
	v_fmac_f32_e32 v27, v25, v26
	;; [unrolled: 2-line block ×10, first 2 shown]
	v_mul_f32_e32 v25, v25, v27
	v_fmac_f32_e32 v25, v24, v26
	v_fmac_f32_e32 v25, -0.5, v24
	v_add_f32_e32 v22, v22, v25
.LBB149_258:
	s_or_b64 exec, exec, s[30:31]
.LBB149_259:
	s_or_b64 exec, exec, s[16:17]
.LBB149_260:
	s_or_b64 exec, exec, s[22:23]
.LBB149_261:
	s_andn2_saveexec_b64 s[20:21], s[20:21]
	s_cbranch_execz .LBB149_263
; %bb.262:
	s_mov_b32 s14, 0x3e8a8991
	v_mov_b32_e32 v22, 0xbecd26ab
	v_fma_f32 v22, |v21|, s14, v22
	s_mov_b32 s14, 0x3f528d33
	v_fma_f32 v22, |v21|, v22, s14
	s_mov_b32 s14, 0x800000
	v_cmp_lt_f32_e64 s[14:15], |v21|, s14
	v_cndmask_b32_e64 v24, 0, 32, s[14:15]
	v_ldexp_f32 v24, |v21|, v24
	v_log_f32_e32 v24, v24
	s_mov_b32 s16, 0xbf13c468
	v_fma_f32 v22, |v21|, v22, s16
	s_mov_b32 s16, 0x3f317217
	v_mul_f32_e32 v25, 0x3f317217, v24
	v_fma_f32 v26, v24, s16, -v25
	v_fmac_f32_e32 v26, 0x3377d1cf, v24
	s_mov_b32 s16, 0x7f800000
	v_add_f32_e32 v25, v25, v26
	v_cmp_lt_f32_e64 s[16:17], |v24|, s16
	v_cndmask_b32_e64 v24, v24, v25, s[16:17]
	v_mov_b32_e32 v25, 0x41b17218
	v_cndmask_b32_e64 v25, 0, v25, s[14:15]
	v_sub_f32_e32 v24, v24, v25
	v_fma_f32 v22, |v21|, v22, -v24
.LBB149_263:
	s_or_b64 exec, exec, s[20:21]
	v_cmp_le_f16_e64 s[14:15], 0, v4
	v_cmp_nle_f16_e64 s[16:17], 0, v4
	s_and_saveexec_b64 s[20:21], s[16:17]
	s_xor_b64 s[22:23], exec, s[20:21]
	s_cbranch_execz .LBB149_267
; %bb.264:
	s_mov_b32 s16, 0x4b000000
	s_mov_b32 s20, 0x35000000
	v_cmp_lt_f32_e64 s[16:17], |v21|, s16
	v_cmp_gt_f32_e64 s[20:21], |v21|, s20
	s_and_b64 s[16:17], s[16:17], s[20:21]
	s_and_saveexec_b64 s[30:31], s[16:17]
	s_cbranch_execz .LBB149_266
; %bb.265:
	v_mul_f32_e64 v24, |v21|, 0.5
	v_floor_f32_e32 v25, v24
	v_sub_f32_e32 v25, v24, v25
	v_min_f32_e32 v25, 0x3f7fffff, v25
	s_mov_b32 s20, 0x7f800000
	v_add_f32_e32 v25, v25, v25
	v_cmp_neq_f32_e64 s[16:17], s20, v24
	v_cndmask_b32_e64 v24, 0, v25, s[16:17]
	v_cmp_gt_f32_e64 s[16:17], |v21|, 1.0
	v_cndmask_b32_e64 v24, |v21|, v24, s[16:17]
	v_add_f32_e32 v25, v24, v24
	v_rndne_f32_e32 v25, v25
	v_fmac_f32_e32 v24, -0.5, v25
	v_mul_f32_e32 v26, v24, v24
	v_mov_b32_e32 v27, 0xbf1f24be
	v_fmac_f32_e32 v27, 0x3e75aa41, v26
	v_mov_b32_e32 v28, 0x40234736
	v_fmac_f32_e32 v28, v26, v27
	;; [unrolled: 2-line block ×3, first 2 shown]
	v_mul_f32_e32 v28, v24, v26
	v_mul_f32_e32 v27, v28, v27
	v_fmac_f32_e32 v27, 0x40490fdb, v24
	v_mov_b32_e32 v24, 0x3e642e9d
	v_cvt_i32_f32_e32 v25, v25
	v_fmac_f32_e32 v24, 0x3d4be544, v26
	v_mov_b32_e32 v28, 0xbfaad1da
	v_fmac_f32_e32 v28, v26, v24
	v_mov_b32_e32 v24, 0x4081e0d3
	;; [unrolled: 2-line block ×3, first 2 shown]
	v_fmac_f32_e32 v28, v26, v24
	v_fma_f32 v24, v26, v28, 1.0
	v_and_b32_e32 v26, 1, v25
	v_lshlrev_b32_e32 v25, 30, v25
	v_cmp_eq_u32_e64 s[16:17], 0, v26
	v_and_b32_e32 v25, 0x80000000, v25
	v_xor_b32_e32 v23, v23, v21
	v_cndmask_b32_e64 v24, v24, v27, s[16:17]
	v_xor_b32_e32 v23, v23, v25
	v_xor_b32_e32 v23, v23, v24
	v_mul_f32_e32 v23, v21, v23
	v_frexp_mant_f32_e64 v24, |v23|
	v_rcp_f32_e32 v24, v24
	v_frexp_exp_i32_f32_e32 v23, v23
	v_sub_u32_e32 v23, 2, v23
	s_mov_b32 s16, 0x800000
	v_mul_f32_e32 v24, 0x3f490fdb, v24
	v_ldexp_f32 v23, v24, v23
	v_cmp_gt_f32_e64 s[16:17], s16, v23
	v_cndmask_b32_e64 v24, 0, 32, s[16:17]
	v_ldexp_f32 v23, v23, v24
	v_log_f32_e32 v23, v23
	s_mov_b32 s21, 0x3f317217
	v_mul_f32_e32 v24, 0x3f317217, v23
	v_fma_f32 v25, v23, s21, -v24
	v_fmac_f32_e32 v25, 0x3377d1cf, v23
	v_add_f32_e32 v24, v24, v25
	v_cmp_lt_f32_e64 s[20:21], |v23|, s20
	v_cndmask_b32_e64 v23, v23, v24, s[20:21]
	v_mov_b32_e32 v24, 0x41b17218
	v_cndmask_b32_e64 v24, 0, v24, s[16:17]
	v_sub_f32_e32 v23, v23, v24
	v_sub_f32_e32 v22, v23, v22
	v_floor_f32_e32 v23, v21
	v_sub_f32_e32 v23, v21, v23
	v_min_f32_e32 v23, 0x3f7fffff, v23
	v_mov_b32_e32 v24, 0x7f800000
	v_cmp_neq_f32_e64 s[16:17], 0, v23
	v_cndmask_b32_e64 v22, v24, v22, s[16:17]
.LBB149_266:
	s_or_b64 exec, exec, s[30:31]
.LBB149_267:
	s_andn2_saveexec_b64 s[22:23], s[22:23]
; %bb.268:
	v_cmp_eq_f16_e64 s[16:17], 1.0, v4
	v_cmp_eq_f16_e64 s[20:21], 2.0, v4
	s_or_b64 s[16:17], s[16:17], s[20:21]
	v_cndmask_b32_e64 v22, v22, 0, s[16:17]
; %bb.269:
	s_or_b64 exec, exec, s[22:23]
	v_lshrrev_b32_e32 v23, 16, v4
	v_cvt_f32_f16_e32 v24, v23
	s_mov_b32 s16, 0x3c800000
                                        ; implicit-def: $vgpr26
	v_and_b32_e32 v25, 0x7fffffff, v24
	v_cmp_nlt_f32_e64 s[16:17], |v24|, s16
	s_and_saveexec_b64 s[20:21], s[16:17]
	s_xor_b64 s[22:23], exec, s[20:21]
	s_cbranch_execz .LBB149_299
; %bb.270:
	v_cmp_nlt_f32_e64 s[16:17], |v24|, 2.0
                                        ; implicit-def: $vgpr26
	s_and_saveexec_b64 s[20:21], s[16:17]
	s_xor_b64 s[30:31], exec, s[20:21]
	s_cbranch_execz .LBB149_280
; %bb.271:
	s_mov_b32 s16, 0x41000000
	v_cmp_nlt_f32_e64 s[16:17], |v24|, s16
                                        ; implicit-def: $vgpr26
	s_and_saveexec_b64 s[20:21], s[16:17]
	s_xor_b64 s[34:35], exec, s[20:21]
	s_cbranch_execz .LBB149_277
; %bb.272:
	s_mov_b32 s16, 0x5c800000
	v_cmp_nlt_f32_e64 s[16:17], |v24|, s16
                                        ; implicit-def: $vgpr26
	s_and_saveexec_b64 s[20:21], s[16:17]
	s_xor_b64 s[36:37], exec, s[20:21]
	s_cbranch_execz .LBB149_274
; %bb.273:
	s_mov_b32 s16, 0x800000
	v_cmp_lt_f32_e64 s[16:17], |v24|, s16
	v_cndmask_b32_e64 v26, 0, 32, s[16:17]
	v_ldexp_f32 v26, |v24|, v26
	v_log_f32_e32 v26, v26
	s_mov_b32 s20, 0x3f317217
	s_mov_b32 s21, 0x7f800000
	v_mul_f32_e32 v27, 0x3f317217, v26
	v_fma_f32 v28, v26, s20, -v27
	v_fmac_f32_e32 v28, 0x3377d1cf, v26
	v_add_f32_e32 v27, v27, v28
	v_cmp_lt_f32_e64 s[20:21], |v26|, s21
	v_cndmask_b32_e64 v26, v26, v27, s[20:21]
	v_mov_b32_e32 v27, 0x41b17218
	v_cndmask_b32_e64 v27, 0, v27, s[16:17]
	v_sub_f32_e32 v26, v26, v27
	v_fma_f32 v26, |v24|, v26, -|v24|
.LBB149_274:
	s_andn2_saveexec_b64 s[36:37], s[36:37]
	s_cbranch_execz .LBB149_276
; %bb.275:
	v_rcp_f32_e64 v27, |v24|
	v_mov_b32_e32 v26, 0x3a5b3dd2
	v_mov_b32_e32 v28, 0xba1c065c
	;; [unrolled: 1-line block ×3, first 2 shown]
	v_mul_f32_e32 v30, v27, v27
	v_fmac_f32_e32 v26, 0xbad5c4e8, v30
	v_fmac_f32_e32 v28, v30, v26
	s_mov_b32 s16, 0x800000
	v_fmac_f32_e32 v29, v30, v28
	v_mov_b32_e32 v26, 0xbb360b61
	v_cmp_lt_f32_e64 s[16:17], |v24|, s16
	v_fmac_f32_e32 v26, v30, v29
	v_cndmask_b32_e64 v29, 0, 32, s[16:17]
	v_ldexp_f32 v29, |v24|, v29
	v_log_f32_e32 v29, v29
	v_mov_b32_e32 v28, 0x3daaaaab
	v_fmac_f32_e32 v28, v30, v26
	v_mov_b32_e32 v26, 0x3ed67f1d
	v_fmac_f32_e32 v26, v27, v28
	s_mov_b32 s20, 0x3f317217
	v_mul_f32_e32 v28, 0x3f317217, v29
	v_fma_f32 v30, v29, s20, -v28
	v_fmac_f32_e32 v30, 0x3377d1cf, v29
	s_mov_b32 s20, 0x7f800000
	v_add_f32_e32 v28, v28, v30
	v_cmp_lt_f32_e64 s[20:21], |v29|, s20
	v_cndmask_b32_e64 v28, v29, v28, s[20:21]
	v_mov_b32_e32 v29, 0x41b17218
	v_cndmask_b32_e64 v29, 0, v29, s[16:17]
	v_sub_f32_e32 v28, v28, v29
	v_add_f32_e64 v27, |v24|, -0.5
	v_add_f32_e32 v28, -1.0, v28
	v_fmac_f32_e32 v26, v27, v28
.LBB149_276:
	s_or_b64 exec, exec, s[36:37]
.LBB149_277:
	s_andn2_saveexec_b64 s[34:35], s[34:35]
	s_cbranch_execz .LBB149_279
; %bb.278:
	v_cvt_i32_f32_e32 v26, v25
	v_mov_b32_e32 v27, 0x3af135b4
	v_mov_b32_e32 v28, 0x3cda40e4
	;; [unrolled: 1-line block ×3, first 2 shown]
	v_cvt_f32_i32_e32 v30, v26
	v_mov_b32_e32 v31, 0x3ea6cc7a
	v_mov_b32_e32 v32, 0x3e5c245a
	v_cmp_lt_i32_e64 s[16:17], 2, v26
	v_sub_f32_e64 v30, |v24|, v30
	v_fmac_f32_e32 v27, 0x3805ff67, v30
	v_fmac_f32_e32 v28, v30, v27
	;; [unrolled: 1-line block ×3, first 2 shown]
	v_mov_b32_e32 v28, 0x3a4beed6
	v_fmac_f32_e32 v31, v30, v29
	v_fmac_f32_e32 v28, 0x36f5d7bd, v30
	v_mov_b32_e32 v29, 0x3c98bf54
	v_fmac_f32_e32 v29, v30, v28
	v_mov_b32_e32 v28, 0x3e300f6e
	;; [unrolled: 2-line block ×4, first 2 shown]
	v_fmac_f32_e32 v28, v30, v29
	v_add_f32_e32 v29, 2.0, v30
	v_mov_b32_e32 v33, 0xbd9e233f
	v_fmac_f32_e32 v32, v30, v31
	v_add_f32_e32 v31, 0x40400000, v30
	v_cndmask_b32_e64 v29, 1.0, v29, s[16:17]
	v_cmp_lt_i32_e64 s[16:17], 3, v26
	v_fmac_f32_e32 v33, v30, v32
	v_add_f32_e32 v32, 4.0, v30
	v_cndmask_b32_e64 v31, 1.0, v31, s[16:17]
	v_cmp_lt_i32_e64 s[16:17], 4, v26
	v_mul_f32_e32 v27, v30, v33
	v_add_f32_e32 v33, 0x40a00000, v30
	v_mul_f32_e32 v29, v29, v31
	v_cndmask_b32_e64 v31, 1.0, v32, s[16:17]
	v_cmp_lt_i32_e64 s[16:17], 5, v26
	v_add_f32_e32 v34, 0x40c00000, v30
	v_mul_f32_e32 v29, v31, v29
	v_cndmask_b32_e64 v31, 1.0, v33, s[16:17]
	v_cmp_lt_i32_e64 s[16:17], 6, v26
	v_mul_f32_e32 v29, v31, v29
	v_cndmask_b32_e64 v26, 1.0, v34, s[16:17]
	v_mul_f32_e32 v26, v26, v29
	s_mov_b32 s16, 0x800000
	v_cmp_gt_f32_e64 s[16:17], s16, v26
	v_cndmask_b32_e64 v29, 0, 32, s[16:17]
	v_fma_f32 v28, v30, v28, 1.0
	v_ldexp_f32 v26, v26, v29
	v_rcp_f32_e32 v28, v28
	v_log_f32_e32 v26, v26
	s_mov_b32 s20, 0x3f317217
	v_mul_f32_e32 v27, v27, v28
	v_mul_f32_e32 v28, 0x3f317217, v26
	v_fma_f32 v29, v26, s20, -v28
	v_fmac_f32_e32 v29, 0x3377d1cf, v26
	s_mov_b32 s20, 0x7f800000
	v_add_f32_e32 v28, v28, v29
	v_cmp_lt_f32_e64 s[20:21], |v26|, s20
	v_cndmask_b32_e64 v26, v26, v28, s[20:21]
	v_mov_b32_e32 v28, 0x41b17218
	v_cndmask_b32_e64 v28, 0, v28, s[16:17]
	v_fmac_f32_e32 v27, 0.5, v30
	v_sub_f32_e32 v26, v26, v28
	v_add_f32_e32 v26, v26, v27
.LBB149_279:
	s_or_b64 exec, exec, s[34:35]
.LBB149_280:
	s_andn2_saveexec_b64 s[30:31], s[30:31]
	s_cbranch_execz .LBB149_298
; %bb.281:
	s_mov_b32 s16, 0x3f666666
	v_cmp_le_f32_e64 s[16:17], |v24|, s16
                                        ; implicit-def: $vgpr26
                                        ; implicit-def: $vgpr28
                                        ; implicit-def: $vgpr27
	s_and_saveexec_b64 s[20:21], s[16:17]
	s_xor_b64 s[34:35], exec, s[20:21]
	s_cbranch_execz .LBB149_283
; %bb.282:
	s_mov_b32 s16, 0x800000
	v_cmp_lt_f32_e64 s[16:17], |v24|, s16
	v_cndmask_b32_e64 v26, 0, 32, s[16:17]
	v_ldexp_f32 v26, |v24|, v26
	v_log_f32_e32 v26, v26
	s_mov_b32 s20, 0x3f317217
	s_mov_b32 s21, 0x7f800000
	v_mul_f32_e32 v27, 0x3f317217, v26
	v_fma_f32 v28, v26, s20, -v27
	v_fmac_f32_e32 v28, 0x3377d1cf, v26
	v_add_f32_e32 v27, v27, v28
	v_cmp_lt_f32_e64 s[20:21], |v26|, s21
	v_cndmask_b32_e64 v26, v26, v27, s[20:21]
	v_mov_b32_e32 v27, 0x41b17218
	v_cndmask_b32_e64 v27, 0, v27, s[16:17]
	s_mov_b32 s16, 0x3f3b4a23
	s_mov_b32 s17, 0xbeec5b0c
	v_sub_f32_e32 v26, v26, v27
	v_sub_f32_e64 v27, 1.0, |v24|
	v_add_f32_e64 v28, |v24|, s17
	v_cmp_lt_f32_e64 s[16:17], |v24|, s16
	v_cndmask_b32_e64 v27, v27, v28, s[16:17]
	v_cndmask_b32_e64 v28, 0, 1, s[16:17]
	s_mov_b32 s16, 0x3e6d3309
	v_cmp_lt_f32_e64 s[16:17], |v24|, s16
	v_xor_b32_e32 v26, 0x80000000, v26
	v_cndmask_b32_e64 v27, v27, |v24|, s[16:17]
	v_cndmask_b32_e64 v28, v28, 2, s[16:17]
.LBB149_283:
	s_andn2_saveexec_b64 s[20:21], s[34:35]
	s_cbranch_execz .LBB149_285
; %bb.284:
	s_mov_b32 s16, 0x3fdda512
	s_mov_b32 s17, 0xbfbb16c3
	v_sub_f32_e64 v26, 2.0, |v24|
	v_add_f32_e64 v27, |v24|, s17
	v_cmp_lt_f32_e64 s[16:17], |v24|, s16
	v_cndmask_b32_e64 v27, v26, v27, s[16:17]
	v_cndmask_b32_e64 v26, v26, 1.0, s[16:17]
	v_cvt_i32_f32_e32 v26, v26
	s_mov_b32 s16, 0x3f9d70a4
	v_add_f32_e64 v28, |v24|, -1.0
	v_cmp_lt_f32_e64 s[16:17], |v24|, s16
	v_cndmask_b32_e64 v27, v27, v28, s[16:17]
	v_cndmask_b32_e64 v28, v26, 2, s[16:17]
	v_mov_b32_e32 v26, 0
.LBB149_285:
	s_or_b64 exec, exec, s[20:21]
	v_cmp_lt_i32_e64 s[16:17], 0, v28
	s_and_saveexec_b64 s[20:21], s[16:17]
	s_xor_b64 s[20:21], exec, s[20:21]
	s_cbranch_execz .LBB149_293
; %bb.286:
	v_cmp_lt_i32_e64 s[16:17], 1, v28
	s_and_saveexec_b64 s[34:35], s[16:17]
	s_xor_b64 s[34:35], exec, s[34:35]
	s_cbranch_execz .LBB149_290
; %bb.287:
	v_cmp_eq_u32_e64 s[16:17], 2, v28
	s_and_saveexec_b64 s[36:37], s[16:17]
	s_cbranch_execz .LBB149_289
; %bb.288:
	v_mov_b32_e32 v28, 0x3e6a7578
	v_fmac_f32_e32 v28, 0x3c5b3c5e, v27
	v_mov_b32_e32 v29, 0x3f7a4bb2
	v_fmac_f32_e32 v29, v27, v28
	;; [unrolled: 2-line block ×8, first 2 shown]
	v_fma_f32 v28, v27, v30, 1.0
	v_rcp_f32_e32 v28, v28
	v_mov_b32_e32 v30, 0xbd9e233f
	v_fmac_f32_e32 v30, v27, v29
	v_mul_f32_e32 v29, v27, v30
	v_mul_f32_e32 v28, v29, v28
	v_fmac_f32_e32 v28, -0.5, v27
	v_add_f32_e32 v26, v26, v28
.LBB149_289:
	s_or_b64 exec, exec, s[36:37]
                                        ; implicit-def: $vgpr27
.LBB149_290:
	s_andn2_saveexec_b64 s[16:17], s[34:35]
	s_cbranch_execz .LBB149_292
; %bb.291:
	v_mul_f32_e32 v28, v27, v27
	v_mul_f32_e32 v29, v27, v28
	v_mov_b32_e32 v30, 0xbab7f476
	v_fmac_f32_e32 v30, 0x39a57b6b, v29
	v_mov_b32_e32 v31, 0x3bc7e707
	v_fmac_f32_e32 v31, v29, v30
	;; [unrolled: 2-line block ×12, first 2 shown]
	v_fmac_f32_e32 v32, v27, v33
	s_mov_b32 s33, 0xa2863e55
	v_fma_f32 v27, v29, -v32, s33
	v_fma_f32 v27, v28, v31, -v27
	v_add_f32_e32 v27, 0xbdf8cdce, v27
	v_add_f32_e32 v26, v26, v27
.LBB149_292:
	s_or_b64 exec, exec, s[16:17]
                                        ; implicit-def: $vgpr28
                                        ; implicit-def: $vgpr27
.LBB149_293:
	s_andn2_saveexec_b64 s[20:21], s[20:21]
	s_cbranch_execz .LBB149_297
; %bb.294:
	v_cmp_eq_u32_e64 s[16:17], 0, v28
	s_and_saveexec_b64 s[34:35], s[16:17]
	s_cbranch_execz .LBB149_296
; %bb.295:
	v_mul_f32_e32 v28, v27, v27
	v_mov_b32_e32 v29, 0x39679767
	v_fmac_f32_e32 v29, 0x37d383a2, v28
	v_mov_b32_e32 v30, 0x3a9c54a1
	v_fmac_f32_e32 v30, v28, v29
	;; [unrolled: 2-line block ×10, first 2 shown]
	v_mul_f32_e32 v28, v28, v30
	v_fmac_f32_e32 v28, v27, v29
	v_fmac_f32_e32 v28, -0.5, v27
	v_add_f32_e32 v26, v26, v28
.LBB149_296:
	s_or_b64 exec, exec, s[34:35]
.LBB149_297:
	s_or_b64 exec, exec, s[20:21]
.LBB149_298:
	s_or_b64 exec, exec, s[30:31]
.LBB149_299:
	s_andn2_saveexec_b64 s[22:23], s[22:23]
	s_cbranch_execz .LBB149_301
; %bb.300:
	s_mov_b32 s16, 0x3e8a8991
	v_mov_b32_e32 v26, 0xbecd26ab
	v_fma_f32 v26, |v24|, s16, v26
	s_mov_b32 s16, 0x3f528d33
	v_fma_f32 v26, |v24|, v26, s16
	s_mov_b32 s16, 0x800000
	v_cmp_lt_f32_e64 s[16:17], |v24|, s16
	v_cndmask_b32_e64 v27, 0, 32, s[16:17]
	v_ldexp_f32 v27, |v24|, v27
	v_log_f32_e32 v27, v27
	s_mov_b32 s20, 0xbf13c468
	v_fma_f32 v26, |v24|, v26, s20
	s_mov_b32 s20, 0x3f317217
	v_mul_f32_e32 v28, 0x3f317217, v27
	v_fma_f32 v29, v27, s20, -v28
	v_fmac_f32_e32 v29, 0x3377d1cf, v27
	s_mov_b32 s20, 0x7f800000
	v_add_f32_e32 v28, v28, v29
	v_cmp_lt_f32_e64 s[20:21], |v27|, s20
	v_cndmask_b32_e64 v27, v27, v28, s[20:21]
	v_mov_b32_e32 v28, 0x41b17218
	v_cndmask_b32_e64 v28, 0, v28, s[16:17]
	v_sub_f32_e32 v27, v27, v28
	v_fma_f32 v26, |v24|, v26, -v27
.LBB149_301:
	s_or_b64 exec, exec, s[22:23]
	v_cmp_le_f16_e64 s[16:17], 0, v23
	v_cmp_nle_f16_e64 s[20:21], 0, v23
	s_and_saveexec_b64 s[22:23], s[20:21]
	s_xor_b64 s[30:31], exec, s[22:23]
	s_cbranch_execz .LBB149_305
; %bb.302:
	s_mov_b32 s20, 0x4b000000
	s_mov_b32 s22, 0x35000000
	v_cmp_lt_f32_e64 s[20:21], |v24|, s20
	v_cmp_gt_f32_e64 s[22:23], |v24|, s22
	s_and_b64 s[20:21], s[20:21], s[22:23]
	s_and_saveexec_b64 s[34:35], s[20:21]
	s_cbranch_execz .LBB149_304
; %bb.303:
	v_mul_f32_e64 v27, |v24|, 0.5
	v_floor_f32_e32 v28, v27
	v_sub_f32_e32 v28, v27, v28
	v_min_f32_e32 v28, 0x3f7fffff, v28
	s_mov_b32 s22, 0x7f800000
	v_add_f32_e32 v28, v28, v28
	v_cmp_neq_f32_e64 s[20:21], s22, v27
	v_cndmask_b32_e64 v27, 0, v28, s[20:21]
	v_cmp_gt_f32_e64 s[20:21], |v24|, 1.0
	v_cndmask_b32_e64 v27, |v24|, v27, s[20:21]
	v_add_f32_e32 v28, v27, v27
	v_rndne_f32_e32 v28, v28
	v_fmac_f32_e32 v27, -0.5, v28
	v_mul_f32_e32 v29, v27, v27
	v_mov_b32_e32 v30, 0xbf1f24be
	v_fmac_f32_e32 v30, 0x3e75aa41, v29
	v_mov_b32_e32 v31, 0x40234736
	v_fmac_f32_e32 v31, v29, v30
	;; [unrolled: 2-line block ×3, first 2 shown]
	v_mul_f32_e32 v31, v27, v29
	v_mul_f32_e32 v30, v31, v30
	v_fmac_f32_e32 v30, 0x40490fdb, v27
	v_mov_b32_e32 v27, 0x3e642e9d
	v_cvt_i32_f32_e32 v28, v28
	v_fmac_f32_e32 v27, 0x3d4be544, v29
	v_mov_b32_e32 v31, 0xbfaad1da
	v_fmac_f32_e32 v31, v29, v27
	v_mov_b32_e32 v27, 0x4081e0d3
	;; [unrolled: 2-line block ×3, first 2 shown]
	v_fmac_f32_e32 v31, v29, v27
	v_fma_f32 v27, v29, v31, 1.0
	v_and_b32_e32 v29, 1, v28
	v_lshlrev_b32_e32 v28, 30, v28
	v_cmp_eq_u32_e64 s[20:21], 0, v29
	v_and_b32_e32 v28, 0x80000000, v28
	v_xor_b32_e32 v25, v25, v24
	v_cndmask_b32_e64 v27, v27, v30, s[20:21]
	v_xor_b32_e32 v25, v25, v28
	v_xor_b32_e32 v25, v25, v27
	v_mul_f32_e32 v25, v24, v25
	v_frexp_mant_f32_e64 v27, |v25|
	v_rcp_f32_e32 v27, v27
	v_frexp_exp_i32_f32_e32 v25, v25
	v_sub_u32_e32 v25, 2, v25
	s_mov_b32 s20, 0x800000
	v_mul_f32_e32 v27, 0x3f490fdb, v27
	v_ldexp_f32 v25, v27, v25
	v_cmp_gt_f32_e64 s[20:21], s20, v25
	v_cndmask_b32_e64 v27, 0, 32, s[20:21]
	v_ldexp_f32 v25, v25, v27
	v_log_f32_e32 v25, v25
	s_mov_b32 s23, 0x3f317217
	v_mul_f32_e32 v27, 0x3f317217, v25
	v_fma_f32 v28, v25, s23, -v27
	v_fmac_f32_e32 v28, 0x3377d1cf, v25
	v_add_f32_e32 v27, v27, v28
	v_cmp_lt_f32_e64 s[22:23], |v25|, s22
	v_cndmask_b32_e64 v25, v25, v27, s[22:23]
	v_mov_b32_e32 v27, 0x41b17218
	v_cndmask_b32_e64 v27, 0, v27, s[20:21]
	v_sub_f32_e32 v25, v25, v27
	v_sub_f32_e32 v25, v25, v26
	v_floor_f32_e32 v26, v24
	v_sub_f32_e32 v26, v24, v26
	v_min_f32_e32 v26, 0x3f7fffff, v26
	v_mov_b32_e32 v27, 0x7f800000
	v_cmp_neq_f32_e64 s[20:21], 0, v26
	v_cndmask_b32_e64 v26, v27, v25, s[20:21]
.LBB149_304:
	s_or_b64 exec, exec, s[34:35]
.LBB149_305:
	s_andn2_saveexec_b64 s[30:31], s[30:31]
; %bb.306:
	v_cmp_eq_f16_e64 s[20:21], 1.0, v23
	v_cmp_eq_f16_e64 s[22:23], 2.0, v23
	s_or_b64 s[20:21], s[20:21], s[22:23]
	v_cndmask_b32_e64 v26, v26, 0, s[20:21]
; %bb.307:
	s_or_b64 exec, exec, s[30:31]
	v_cvt_f16_f32_e32 v22, v22
	s_mov_b32 s22, 0x4b000000
	v_cmp_lt_f32_e64 s[20:21], |v21|, s22
	v_mov_b32_e32 v25, 0x264
	v_mov_b32_e32 v27, 0x7c00
	s_or_b64 s[14:15], s[14:15], s[20:21]
	v_cndmask_b32_e64 v22, v27, v22, s[14:15]
	v_cmp_class_f32_e64 s[14:15], v21, v25
	v_cvt_f16_f32_e32 v20, v20
	v_cndmask_b32_e64 v21, v22, v27, s[14:15]
	v_cmp_u_f16_e64 s[14:15], v4, v4
	v_cndmask_b32_e64 v4, v21, v4, s[14:15]
	v_cmp_lt_f32_e64 s[14:15], |v19|, s22
	s_or_b64 s[12:13], s[12:13], s[14:15]
	v_cndmask_b32_e64 v20, v27, v20, s[12:13]
	v_cmp_class_f32_e64 s[12:13], v19, v25
	v_cvt_f16_f32_e32 v17, v17
	v_cndmask_b32_e64 v19, v20, v27, s[12:13]
	v_cmp_u_f16_e64 s[12:13], v18, v18
	v_cndmask_b32_e64 v18, v19, v18, s[12:13]
	v_cmp_lt_f32_e64 s[12:13], |v16|, s22
	;; [unrolled: 8-line block ×6, first 2 shown]
	s_or_b64 vcc, vcc, s[4:5]
	v_cndmask_b32_e32 v7, v27, v7, vcc
	v_cmp_class_f32_e32 vcc, v6, v25
	v_cndmask_b32_e32 v6, v7, v27, vcc
	v_cvt_f16_f32_e32 v7, v26
	v_cmp_u_f16_e32 vcc, v1, v1
	v_cmp_lt_f32_e64 s[4:5], |v24|, s22
	v_cndmask_b32_e32 v1, v6, v1, vcc
	s_or_b64 vcc, s[16:17], s[4:5]
	v_cndmask_b32_e32 v6, v27, v7, vcc
	v_cmp_class_f32_e32 vcc, v24, v25
	v_cndmask_b32_e32 v6, v6, v27, vcc
	v_cmp_u_f16_e32 vcc, v23, v23
	s_add_u32 s4, s24, s28
	s_mov_b32 s8, 0x5040100
	v_cndmask_b32_e32 v6, v6, v23, vcc
	s_addc_u32 s5, s25, s29
	v_perm_b32 v2, v13, v2, s8
	v_perm_b32 v1, v8, v1, s8
	global_store_dwordx2 v5, v[1:2], s[4:5]
	v_perm_b32 v2, v6, v4, s8
	v_perm_b32 v1, v18, v3, s8
	global_store_dwordx2 v5, v[1:2], s[4:5] offset:2048
	s_branch .LBB149_2
.LBB149_308:
	s_getpc_b64 s[4:5]
	s_add_u32 s4, s4, _ZN2at6native25elementwise_kernel_helperILb0EZZZNS0_18lgamma_kernel_cudaERNS_18TensorIteratorBaseEENKUlvE_clEvENKUlvE1_clEvEUlN3c104HalfEE_NS0_6memory8policies11unroll_baseILi256ESt5arrayIPcLm2EE23TrivialOffsetCalculatorILi1EjESG_NS9_15LoadWithoutCastENS9_16StoreWithoutCastELi8ELi1EEEEEvT0_T1_@rel32@lo+4
	s_addc_u32 s5, s5, _ZN2at6native25elementwise_kernel_helperILb0EZZZNS0_18lgamma_kernel_cudaERNS_18TensorIteratorBaseEENKUlvE_clEvENKUlvE1_clEvEUlN3c104HalfEE_NS0_6memory8policies11unroll_baseILi256ESt5arrayIPcLm2EE23TrivialOffsetCalculatorILi1EjESG_NS9_15LoadWithoutCastENS9_16StoreWithoutCastELi8ELi1EEEEEvT0_T1_@rel32@hi+12
	s_mov_b32 s12, s6
	v_mov_b32_e32 v31, v0
	v_mov_b32_e32 v0, s24
	;; [unrolled: 1-line block ×6, first 2 shown]
	s_swappc_b64 s[30:31], s[4:5]
	s_endpgm
	.section	.rodata,"a",@progbits
	.p2align	6, 0x0
	.amdhsa_kernel _ZN2at6native29vectorized_elementwise_kernelILi4EZZZNS0_18lgamma_kernel_cudaERNS_18TensorIteratorBaseEENKUlvE_clEvENKUlvE1_clEvEUlN3c104HalfEE_St5arrayIPcLm2EEEEviT0_T1_
		.amdhsa_group_segment_fixed_size 0
		.amdhsa_private_segment_fixed_size 0
		.amdhsa_kernarg_size 24
		.amdhsa_user_sgpr_count 6
		.amdhsa_user_sgpr_private_segment_buffer 1
		.amdhsa_user_sgpr_dispatch_ptr 0
		.amdhsa_user_sgpr_queue_ptr 0
		.amdhsa_user_sgpr_kernarg_segment_ptr 1
		.amdhsa_user_sgpr_dispatch_id 0
		.amdhsa_user_sgpr_flat_scratch_init 0
		.amdhsa_user_sgpr_private_segment_size 0
		.amdhsa_uses_dynamic_stack 0
		.amdhsa_system_sgpr_private_segment_wavefront_offset 0
		.amdhsa_system_sgpr_workgroup_id_x 1
		.amdhsa_system_sgpr_workgroup_id_y 0
		.amdhsa_system_sgpr_workgroup_id_z 0
		.amdhsa_system_sgpr_workgroup_info 0
		.amdhsa_system_vgpr_workitem_id 0
		.amdhsa_next_free_vgpr 35
		.amdhsa_next_free_sgpr 38
		.amdhsa_reserve_vcc 1
		.amdhsa_reserve_flat_scratch 0
		.amdhsa_float_round_mode_32 0
		.amdhsa_float_round_mode_16_64 0
		.amdhsa_float_denorm_mode_32 3
		.amdhsa_float_denorm_mode_16_64 3
		.amdhsa_dx10_clamp 1
		.amdhsa_ieee_mode 1
		.amdhsa_fp16_overflow 0
		.amdhsa_exception_fp_ieee_invalid_op 0
		.amdhsa_exception_fp_denorm_src 0
		.amdhsa_exception_fp_ieee_div_zero 0
		.amdhsa_exception_fp_ieee_overflow 0
		.amdhsa_exception_fp_ieee_underflow 0
		.amdhsa_exception_fp_ieee_inexact 0
		.amdhsa_exception_int_div_zero 0
	.end_amdhsa_kernel
	.section	.text._ZN2at6native29vectorized_elementwise_kernelILi4EZZZNS0_18lgamma_kernel_cudaERNS_18TensorIteratorBaseEENKUlvE_clEvENKUlvE1_clEvEUlN3c104HalfEE_St5arrayIPcLm2EEEEviT0_T1_,"axG",@progbits,_ZN2at6native29vectorized_elementwise_kernelILi4EZZZNS0_18lgamma_kernel_cudaERNS_18TensorIteratorBaseEENKUlvE_clEvENKUlvE1_clEvEUlN3c104HalfEE_St5arrayIPcLm2EEEEviT0_T1_,comdat
.Lfunc_end149:
	.size	_ZN2at6native29vectorized_elementwise_kernelILi4EZZZNS0_18lgamma_kernel_cudaERNS_18TensorIteratorBaseEENKUlvE_clEvENKUlvE1_clEvEUlN3c104HalfEE_St5arrayIPcLm2EEEEviT0_T1_, .Lfunc_end149-_ZN2at6native29vectorized_elementwise_kernelILi4EZZZNS0_18lgamma_kernel_cudaERNS_18TensorIteratorBaseEENKUlvE_clEvENKUlvE1_clEvEUlN3c104HalfEE_St5arrayIPcLm2EEEEviT0_T1_
                                        ; -- End function
	.set _ZN2at6native29vectorized_elementwise_kernelILi4EZZZNS0_18lgamma_kernel_cudaERNS_18TensorIteratorBaseEENKUlvE_clEvENKUlvE1_clEvEUlN3c104HalfEE_St5arrayIPcLm2EEEEviT0_T1_.num_vgpr, max(35, .L_ZN2at6native25elementwise_kernel_helperILb0EZZZNS0_18lgamma_kernel_cudaERNS_18TensorIteratorBaseEENKUlvE_clEvENKUlvE1_clEvEUlN3c104HalfEE_NS0_6memory8policies11unroll_baseILi256ESt5arrayIPcLm2EE23TrivialOffsetCalculatorILi1EjESG_NS9_15LoadWithoutCastENS9_16StoreWithoutCastELi8ELi1EEEEEvT0_T1_.num_vgpr)
	.set _ZN2at6native29vectorized_elementwise_kernelILi4EZZZNS0_18lgamma_kernel_cudaERNS_18TensorIteratorBaseEENKUlvE_clEvENKUlvE1_clEvEUlN3c104HalfEE_St5arrayIPcLm2EEEEviT0_T1_.num_agpr, max(0, .L_ZN2at6native25elementwise_kernel_helperILb0EZZZNS0_18lgamma_kernel_cudaERNS_18TensorIteratorBaseEENKUlvE_clEvENKUlvE1_clEvEUlN3c104HalfEE_NS0_6memory8policies11unroll_baseILi256ESt5arrayIPcLm2EE23TrivialOffsetCalculatorILi1EjESG_NS9_15LoadWithoutCastENS9_16StoreWithoutCastELi8ELi1EEEEEvT0_T1_.num_agpr)
	.set _ZN2at6native29vectorized_elementwise_kernelILi4EZZZNS0_18lgamma_kernel_cudaERNS_18TensorIteratorBaseEENKUlvE_clEvENKUlvE1_clEvEUlN3c104HalfEE_St5arrayIPcLm2EEEEviT0_T1_.numbered_sgpr, max(38, .L_ZN2at6native25elementwise_kernel_helperILb0EZZZNS0_18lgamma_kernel_cudaERNS_18TensorIteratorBaseEENKUlvE_clEvENKUlvE1_clEvEUlN3c104HalfEE_NS0_6memory8policies11unroll_baseILi256ESt5arrayIPcLm2EE23TrivialOffsetCalculatorILi1EjESG_NS9_15LoadWithoutCastENS9_16StoreWithoutCastELi8ELi1EEEEEvT0_T1_.numbered_sgpr)
	.set _ZN2at6native29vectorized_elementwise_kernelILi4EZZZNS0_18lgamma_kernel_cudaERNS_18TensorIteratorBaseEENKUlvE_clEvENKUlvE1_clEvEUlN3c104HalfEE_St5arrayIPcLm2EEEEviT0_T1_.num_named_barrier, max(0, .L_ZN2at6native25elementwise_kernel_helperILb0EZZZNS0_18lgamma_kernel_cudaERNS_18TensorIteratorBaseEENKUlvE_clEvENKUlvE1_clEvEUlN3c104HalfEE_NS0_6memory8policies11unroll_baseILi256ESt5arrayIPcLm2EE23TrivialOffsetCalculatorILi1EjESG_NS9_15LoadWithoutCastENS9_16StoreWithoutCastELi8ELi1EEEEEvT0_T1_.num_named_barrier)
	.set _ZN2at6native29vectorized_elementwise_kernelILi4EZZZNS0_18lgamma_kernel_cudaERNS_18TensorIteratorBaseEENKUlvE_clEvENKUlvE1_clEvEUlN3c104HalfEE_St5arrayIPcLm2EEEEviT0_T1_.private_seg_size, 0+max(.L_ZN2at6native25elementwise_kernel_helperILb0EZZZNS0_18lgamma_kernel_cudaERNS_18TensorIteratorBaseEENKUlvE_clEvENKUlvE1_clEvEUlN3c104HalfEE_NS0_6memory8policies11unroll_baseILi256ESt5arrayIPcLm2EE23TrivialOffsetCalculatorILi1EjESG_NS9_15LoadWithoutCastENS9_16StoreWithoutCastELi8ELi1EEEEEvT0_T1_.private_seg_size)
	.set _ZN2at6native29vectorized_elementwise_kernelILi4EZZZNS0_18lgamma_kernel_cudaERNS_18TensorIteratorBaseEENKUlvE_clEvENKUlvE1_clEvEUlN3c104HalfEE_St5arrayIPcLm2EEEEviT0_T1_.uses_vcc, or(1, .L_ZN2at6native25elementwise_kernel_helperILb0EZZZNS0_18lgamma_kernel_cudaERNS_18TensorIteratorBaseEENKUlvE_clEvENKUlvE1_clEvEUlN3c104HalfEE_NS0_6memory8policies11unroll_baseILi256ESt5arrayIPcLm2EE23TrivialOffsetCalculatorILi1EjESG_NS9_15LoadWithoutCastENS9_16StoreWithoutCastELi8ELi1EEEEEvT0_T1_.uses_vcc)
	.set _ZN2at6native29vectorized_elementwise_kernelILi4EZZZNS0_18lgamma_kernel_cudaERNS_18TensorIteratorBaseEENKUlvE_clEvENKUlvE1_clEvEUlN3c104HalfEE_St5arrayIPcLm2EEEEviT0_T1_.uses_flat_scratch, or(0, .L_ZN2at6native25elementwise_kernel_helperILb0EZZZNS0_18lgamma_kernel_cudaERNS_18TensorIteratorBaseEENKUlvE_clEvENKUlvE1_clEvEUlN3c104HalfEE_NS0_6memory8policies11unroll_baseILi256ESt5arrayIPcLm2EE23TrivialOffsetCalculatorILi1EjESG_NS9_15LoadWithoutCastENS9_16StoreWithoutCastELi8ELi1EEEEEvT0_T1_.uses_flat_scratch)
	.set _ZN2at6native29vectorized_elementwise_kernelILi4EZZZNS0_18lgamma_kernel_cudaERNS_18TensorIteratorBaseEENKUlvE_clEvENKUlvE1_clEvEUlN3c104HalfEE_St5arrayIPcLm2EEEEviT0_T1_.has_dyn_sized_stack, or(0, .L_ZN2at6native25elementwise_kernel_helperILb0EZZZNS0_18lgamma_kernel_cudaERNS_18TensorIteratorBaseEENKUlvE_clEvENKUlvE1_clEvEUlN3c104HalfEE_NS0_6memory8policies11unroll_baseILi256ESt5arrayIPcLm2EE23TrivialOffsetCalculatorILi1EjESG_NS9_15LoadWithoutCastENS9_16StoreWithoutCastELi8ELi1EEEEEvT0_T1_.has_dyn_sized_stack)
	.set _ZN2at6native29vectorized_elementwise_kernelILi4EZZZNS0_18lgamma_kernel_cudaERNS_18TensorIteratorBaseEENKUlvE_clEvENKUlvE1_clEvEUlN3c104HalfEE_St5arrayIPcLm2EEEEviT0_T1_.has_recursion, or(0, .L_ZN2at6native25elementwise_kernel_helperILb0EZZZNS0_18lgamma_kernel_cudaERNS_18TensorIteratorBaseEENKUlvE_clEvENKUlvE1_clEvEUlN3c104HalfEE_NS0_6memory8policies11unroll_baseILi256ESt5arrayIPcLm2EE23TrivialOffsetCalculatorILi1EjESG_NS9_15LoadWithoutCastENS9_16StoreWithoutCastELi8ELi1EEEEEvT0_T1_.has_recursion)
	.set _ZN2at6native29vectorized_elementwise_kernelILi4EZZZNS0_18lgamma_kernel_cudaERNS_18TensorIteratorBaseEENKUlvE_clEvENKUlvE1_clEvEUlN3c104HalfEE_St5arrayIPcLm2EEEEviT0_T1_.has_indirect_call, or(0, .L_ZN2at6native25elementwise_kernel_helperILb0EZZZNS0_18lgamma_kernel_cudaERNS_18TensorIteratorBaseEENKUlvE_clEvENKUlvE1_clEvEUlN3c104HalfEE_NS0_6memory8policies11unroll_baseILi256ESt5arrayIPcLm2EE23TrivialOffsetCalculatorILi1EjESG_NS9_15LoadWithoutCastENS9_16StoreWithoutCastELi8ELi1EEEEEvT0_T1_.has_indirect_call)
	.section	.AMDGPU.csdata,"",@progbits
; Kernel info:
; codeLenInByte = 21576
; TotalNumSgprs: 42
; NumVgprs: 35
; ScratchSize: 0
; MemoryBound: 0
; FloatMode: 240
; IeeeMode: 1
; LDSByteSize: 0 bytes/workgroup (compile time only)
; SGPRBlocks: 5
; VGPRBlocks: 8
; NumSGPRsForWavesPerEU: 42
; NumVGPRsForWavesPerEU: 35
; Occupancy: 7
; WaveLimiterHint : 1
; COMPUTE_PGM_RSRC2:SCRATCH_EN: 0
; COMPUTE_PGM_RSRC2:USER_SGPR: 6
; COMPUTE_PGM_RSRC2:TRAP_HANDLER: 0
; COMPUTE_PGM_RSRC2:TGID_X_EN: 1
; COMPUTE_PGM_RSRC2:TGID_Y_EN: 0
; COMPUTE_PGM_RSRC2:TGID_Z_EN: 0
; COMPUTE_PGM_RSRC2:TIDIG_COMP_CNT: 0
	.section	.text._ZN2at6native29vectorized_elementwise_kernelILi2EZZZNS0_18lgamma_kernel_cudaERNS_18TensorIteratorBaseEENKUlvE_clEvENKUlvE1_clEvEUlN3c104HalfEE_St5arrayIPcLm2EEEEviT0_T1_,"axG",@progbits,_ZN2at6native29vectorized_elementwise_kernelILi2EZZZNS0_18lgamma_kernel_cudaERNS_18TensorIteratorBaseEENKUlvE_clEvENKUlvE1_clEvEUlN3c104HalfEE_St5arrayIPcLm2EEEEviT0_T1_,comdat
	.globl	_ZN2at6native29vectorized_elementwise_kernelILi2EZZZNS0_18lgamma_kernel_cudaERNS_18TensorIteratorBaseEENKUlvE_clEvENKUlvE1_clEvEUlN3c104HalfEE_St5arrayIPcLm2EEEEviT0_T1_ ; -- Begin function _ZN2at6native29vectorized_elementwise_kernelILi2EZZZNS0_18lgamma_kernel_cudaERNS_18TensorIteratorBaseEENKUlvE_clEvENKUlvE1_clEvEUlN3c104HalfEE_St5arrayIPcLm2EEEEviT0_T1_
	.p2align	8
	.type	_ZN2at6native29vectorized_elementwise_kernelILi2EZZZNS0_18lgamma_kernel_cudaERNS_18TensorIteratorBaseEENKUlvE_clEvENKUlvE1_clEvEUlN3c104HalfEE_St5arrayIPcLm2EEEEviT0_T1_,@function
_ZN2at6native29vectorized_elementwise_kernelILi2EZZZNS0_18lgamma_kernel_cudaERNS_18TensorIteratorBaseEENKUlvE_clEvENKUlvE1_clEvEUlN3c104HalfEE_St5arrayIPcLm2EEEEviT0_T1_: ; @_ZN2at6native29vectorized_elementwise_kernelILi2EZZZNS0_18lgamma_kernel_cudaERNS_18TensorIteratorBaseEENKUlvE_clEvENKUlvE1_clEvEUlN3c104HalfEE_St5arrayIPcLm2EEEEviT0_T1_
; %bb.0:
	s_add_u32 s0, s0, s7
	s_load_dword s7, s[4:5], 0x0
	s_load_dwordx4 s[24:27], s[4:5], 0x8
	s_addc_u32 s1, s1, 0
	s_lshl_b32 s4, s6, 11
	s_mov_b64 s[8:9], -1
	s_waitcnt lgkmcnt(0)
	s_sub_i32 s7, s7, s4
	s_cmpk_gt_i32 s7, 0x7ff
	s_mov_b32 s32, 0
	s_cbranch_scc1 .LBB150_3
; %bb.1:
	s_and_b64 vcc, exec, s[8:9]
	s_cbranch_vccnz .LBB150_308
.LBB150_2:
	s_endpgm
.LBB150_3:
	s_ashr_i32 s5, s4, 31
	s_lshl_b64 s[28:29], s[4:5], 1
	s_add_u32 s4, s26, s28
	s_addc_u32 s5, s27, s29
	v_lshlrev_b32_e32 v1, 2, v0
	global_load_dword v2, v1, s[4:5]
	global_load_dword v4, v1, s[4:5] offset:1024
	global_load_dword v5, v1, s[4:5] offset:2048
	;; [unrolled: 1-line block ×3, first 2 shown]
	s_mov_b32 s4, 0x3c800000
                                        ; implicit-def: $vgpr7
	s_waitcnt vmcnt(3)
	v_cvt_f32_f16_e32 v3, v2
	v_and_b32_e32 v8, 0x7fffffff, v3
	v_cmp_nlt_f32_e64 s[4:5], |v3|, s4
	s_and_saveexec_b64 s[8:9], s[4:5]
	s_xor_b64 s[8:9], exec, s[8:9]
	s_cbranch_execz .LBB150_33
; %bb.4:
	v_cmp_nlt_f32_e64 s[4:5], |v3|, 2.0
                                        ; implicit-def: $vgpr7
	s_and_saveexec_b64 s[10:11], s[4:5]
	s_xor_b64 s[10:11], exec, s[10:11]
	s_cbranch_execz .LBB150_14
; %bb.5:
	s_mov_b32 s4, 0x41000000
	v_cmp_nlt_f32_e64 s[4:5], |v3|, s4
                                        ; implicit-def: $vgpr7
	s_and_saveexec_b64 s[12:13], s[4:5]
	s_xor_b64 s[12:13], exec, s[12:13]
	s_cbranch_execz .LBB150_11
; %bb.6:
	s_mov_b32 s4, 0x5c800000
	v_cmp_nlt_f32_e64 s[4:5], |v3|, s4
                                        ; implicit-def: $vgpr7
	s_and_saveexec_b64 s[14:15], s[4:5]
	s_xor_b64 s[14:15], exec, s[14:15]
	s_cbranch_execz .LBB150_8
; %bb.7:
	s_mov_b32 s4, 0x800000
	v_cmp_lt_f32_e64 vcc, |v3|, s4
	v_cndmask_b32_e64 v7, 0, 32, vcc
	v_ldexp_f32 v7, |v3|, v7
	v_log_f32_e32 v7, v7
	s_mov_b32 s4, 0x3f317217
	s_mov_b32 s5, 0x7f800000
	v_mul_f32_e32 v9, 0x3f317217, v7
	v_fma_f32 v10, v7, s4, -v9
	v_fmac_f32_e32 v10, 0x3377d1cf, v7
	v_add_f32_e32 v9, v9, v10
	v_cmp_lt_f32_e64 s[4:5], |v7|, s5
	v_cndmask_b32_e64 v7, v7, v9, s[4:5]
	v_mov_b32_e32 v9, 0x41b17218
	v_cndmask_b32_e32 v9, 0, v9, vcc
	v_sub_f32_e32 v7, v7, v9
	v_fma_f32 v7, |v3|, v7, -|v3|
.LBB150_8:
	s_andn2_saveexec_b64 s[14:15], s[14:15]
	s_cbranch_execz .LBB150_10
; %bb.9:
	v_rcp_f32_e64 v9, |v3|
	v_mov_b32_e32 v7, 0x3a5b3dd2
	v_mov_b32_e32 v10, 0xba1c065c
	;; [unrolled: 1-line block ×3, first 2 shown]
	v_mul_f32_e32 v12, v9, v9
	v_fmac_f32_e32 v7, 0xbad5c4e8, v12
	v_fmac_f32_e32 v10, v12, v7
	s_mov_b32 s4, 0x800000
	v_fmac_f32_e32 v11, v12, v10
	v_mov_b32_e32 v7, 0xbb360b61
	v_cmp_lt_f32_e64 vcc, |v3|, s4
	v_fmac_f32_e32 v7, v12, v11
	v_cndmask_b32_e64 v11, 0, 32, vcc
	v_ldexp_f32 v11, |v3|, v11
	v_log_f32_e32 v11, v11
	v_mov_b32_e32 v10, 0x3daaaaab
	v_fmac_f32_e32 v10, v12, v7
	v_mov_b32_e32 v7, 0x3ed67f1d
	v_fmac_f32_e32 v7, v9, v10
	s_mov_b32 s4, 0x3f317217
	v_mul_f32_e32 v10, 0x3f317217, v11
	v_fma_f32 v12, v11, s4, -v10
	v_fmac_f32_e32 v12, 0x3377d1cf, v11
	s_mov_b32 s4, 0x7f800000
	v_add_f32_e32 v10, v10, v12
	v_cmp_lt_f32_e64 s[4:5], |v11|, s4
	v_cndmask_b32_e64 v10, v11, v10, s[4:5]
	v_mov_b32_e32 v11, 0x41b17218
	v_cndmask_b32_e32 v11, 0, v11, vcc
	v_sub_f32_e32 v10, v10, v11
	v_add_f32_e64 v9, |v3|, -0.5
	v_add_f32_e32 v10, -1.0, v10
	v_fmac_f32_e32 v7, v9, v10
.LBB150_10:
	s_or_b64 exec, exec, s[14:15]
.LBB150_11:
	s_andn2_saveexec_b64 s[12:13], s[12:13]
	s_cbranch_execz .LBB150_13
; %bb.12:
	v_cvt_i32_f32_e32 v7, v8
	v_mov_b32_e32 v9, 0x3af135b4
	v_mov_b32_e32 v10, 0x3cda40e4
	;; [unrolled: 1-line block ×3, first 2 shown]
	v_cvt_f32_i32_e32 v12, v7
	v_mov_b32_e32 v13, 0x3ea6cc7a
	v_mov_b32_e32 v14, 0x3e5c245a
	v_cmp_lt_i32_e32 vcc, 2, v7
	v_sub_f32_e64 v12, |v3|, v12
	v_fmac_f32_e32 v9, 0x3805ff67, v12
	v_fmac_f32_e32 v10, v12, v9
	;; [unrolled: 1-line block ×3, first 2 shown]
	v_mov_b32_e32 v10, 0x3a4beed6
	v_fmac_f32_e32 v13, v12, v11
	v_fmac_f32_e32 v10, 0x36f5d7bd, v12
	v_mov_b32_e32 v11, 0x3c98bf54
	v_fmac_f32_e32 v11, v12, v10
	v_mov_b32_e32 v10, 0x3e300f6e
	;; [unrolled: 2-line block ×4, first 2 shown]
	v_fmac_f32_e32 v10, v12, v11
	v_add_f32_e32 v11, 2.0, v12
	v_mov_b32_e32 v15, 0xbd9e233f
	v_fmac_f32_e32 v14, v12, v13
	v_add_f32_e32 v13, 0x40400000, v12
	v_cndmask_b32_e32 v11, 1.0, v11, vcc
	v_cmp_lt_i32_e32 vcc, 3, v7
	v_fmac_f32_e32 v15, v12, v14
	v_add_f32_e32 v14, 4.0, v12
	v_cndmask_b32_e32 v13, 1.0, v13, vcc
	v_cmp_lt_i32_e32 vcc, 4, v7
	v_mul_f32_e32 v9, v12, v15
	v_add_f32_e32 v15, 0x40a00000, v12
	v_mul_f32_e32 v11, v11, v13
	v_cndmask_b32_e32 v13, 1.0, v14, vcc
	v_cmp_lt_i32_e32 vcc, 5, v7
	v_add_f32_e32 v16, 0x40c00000, v12
	v_mul_f32_e32 v11, v13, v11
	v_cndmask_b32_e32 v13, 1.0, v15, vcc
	v_cmp_lt_i32_e32 vcc, 6, v7
	v_mul_f32_e32 v11, v13, v11
	v_cndmask_b32_e32 v7, 1.0, v16, vcc
	v_mul_f32_e32 v7, v7, v11
	s_mov_b32 s4, 0x800000
	v_cmp_gt_f32_e32 vcc, s4, v7
	v_cndmask_b32_e64 v11, 0, 32, vcc
	v_fma_f32 v10, v12, v10, 1.0
	v_ldexp_f32 v7, v7, v11
	v_rcp_f32_e32 v10, v10
	v_log_f32_e32 v7, v7
	s_mov_b32 s4, 0x3f317217
	v_mul_f32_e32 v9, v9, v10
	v_mul_f32_e32 v10, 0x3f317217, v7
	v_fma_f32 v11, v7, s4, -v10
	v_fmac_f32_e32 v11, 0x3377d1cf, v7
	s_mov_b32 s4, 0x7f800000
	v_add_f32_e32 v10, v10, v11
	v_cmp_lt_f32_e64 s[4:5], |v7|, s4
	v_cndmask_b32_e64 v7, v7, v10, s[4:5]
	v_mov_b32_e32 v10, 0x41b17218
	v_cndmask_b32_e32 v10, 0, v10, vcc
	v_fmac_f32_e32 v9, 0.5, v12
	v_sub_f32_e32 v7, v7, v10
	v_add_f32_e32 v7, v7, v9
.LBB150_13:
	s_or_b64 exec, exec, s[12:13]
.LBB150_14:
	s_andn2_saveexec_b64 s[10:11], s[10:11]
	s_cbranch_execz .LBB150_32
; %bb.15:
	s_mov_b32 s4, 0x3f666666
	v_cmp_le_f32_e64 s[4:5], |v3|, s4
                                        ; implicit-def: $vgpr7
                                        ; implicit-def: $vgpr10
                                        ; implicit-def: $vgpr9
	s_and_saveexec_b64 s[12:13], s[4:5]
	s_xor_b64 s[12:13], exec, s[12:13]
	s_cbranch_execz .LBB150_17
; %bb.16:
	s_mov_b32 s4, 0x800000
	v_cmp_lt_f32_e64 vcc, |v3|, s4
	v_cndmask_b32_e64 v7, 0, 32, vcc
	v_ldexp_f32 v7, |v3|, v7
	v_log_f32_e32 v7, v7
	s_mov_b32 s4, 0x3f317217
	s_mov_b32 s5, 0x7f800000
	v_mul_f32_e32 v9, 0x3f317217, v7
	v_fma_f32 v10, v7, s4, -v9
	v_fmac_f32_e32 v10, 0x3377d1cf, v7
	v_add_f32_e32 v9, v9, v10
	v_cmp_lt_f32_e64 s[4:5], |v7|, s5
	v_cndmask_b32_e64 v7, v7, v9, s[4:5]
	v_mov_b32_e32 v9, 0x41b17218
	v_cndmask_b32_e32 v9, 0, v9, vcc
	s_mov_b32 s4, 0x3f3b4a23
	s_mov_b32 s5, 0xbeec5b0c
	v_sub_f32_e32 v7, v7, v9
	v_sub_f32_e64 v9, 1.0, |v3|
	v_add_f32_e64 v10, |v3|, s5
	v_cmp_lt_f32_e64 vcc, |v3|, s4
	s_mov_b32 s4, 0x3e6d3309
	v_cndmask_b32_e32 v9, v9, v10, vcc
	v_cndmask_b32_e64 v10, 0, 1, vcc
	v_cmp_lt_f32_e64 s[4:5], |v3|, s4
	v_xor_b32_e32 v7, 0x80000000, v7
	v_cndmask_b32_e64 v9, v9, |v3|, s[4:5]
	v_cndmask_b32_e64 v10, v10, 2, s[4:5]
.LBB150_17:
	s_andn2_saveexec_b64 s[4:5], s[12:13]
	s_cbranch_execz .LBB150_19
; %bb.18:
	s_mov_b32 s12, 0x3fdda512
	s_mov_b32 s13, 0xbfbb16c3
	v_sub_f32_e64 v7, 2.0, |v3|
	v_add_f32_e64 v9, |v3|, s13
	v_cmp_lt_f32_e64 vcc, |v3|, s12
	v_cndmask_b32_e32 v9, v7, v9, vcc
	v_cndmask_b32_e64 v7, v7, 1.0, vcc
	v_cvt_i32_f32_e32 v7, v7
	s_mov_b32 s12, 0x3f9d70a4
	v_add_f32_e64 v10, |v3|, -1.0
	v_cmp_lt_f32_e64 vcc, |v3|, s12
	v_cndmask_b32_e32 v9, v9, v10, vcc
	v_cndmask_b32_e64 v10, v7, 2, vcc
	v_mov_b32_e32 v7, 0
.LBB150_19:
	s_or_b64 exec, exec, s[4:5]
	v_cmp_lt_i32_e32 vcc, 0, v10
	s_and_saveexec_b64 s[4:5], vcc
	s_xor_b64 s[4:5], exec, s[4:5]
	s_cbranch_execz .LBB150_27
; %bb.20:
	v_cmp_lt_i32_e32 vcc, 1, v10
	s_and_saveexec_b64 s[12:13], vcc
	s_xor_b64 s[12:13], exec, s[12:13]
	s_cbranch_execz .LBB150_24
; %bb.21:
	v_cmp_eq_u32_e32 vcc, 2, v10
	s_and_saveexec_b64 s[14:15], vcc
	s_cbranch_execz .LBB150_23
; %bb.22:
	v_mov_b32_e32 v10, 0x3e6a7578
	v_fmac_f32_e32 v10, 0x3c5b3c5e, v9
	v_mov_b32_e32 v11, 0x3f7a4bb2
	v_fmac_f32_e32 v11, v9, v10
	;; [unrolled: 2-line block ×8, first 2 shown]
	v_fma_f32 v10, v9, v12, 1.0
	v_rcp_f32_e32 v10, v10
	v_mov_b32_e32 v12, 0xbd9e233f
	v_fmac_f32_e32 v12, v9, v11
	v_mul_f32_e32 v11, v9, v12
	v_mul_f32_e32 v10, v11, v10
	v_fmac_f32_e32 v10, -0.5, v9
	v_add_f32_e32 v7, v7, v10
.LBB150_23:
	s_or_b64 exec, exec, s[14:15]
                                        ; implicit-def: $vgpr9
.LBB150_24:
	s_andn2_saveexec_b64 s[12:13], s[12:13]
	s_cbranch_execz .LBB150_26
; %bb.25:
	v_mul_f32_e32 v10, v9, v9
	v_mul_f32_e32 v11, v9, v10
	v_mov_b32_e32 v12, 0xbab7f476
	v_fmac_f32_e32 v12, 0x39a57b6b, v11
	v_mov_b32_e32 v13, 0x3bc7e707
	v_fmac_f32_e32 v13, v11, v12
	;; [unrolled: 2-line block ×12, first 2 shown]
	v_fmac_f32_e32 v14, v9, v15
	s_mov_b32 s14, 0xa2863e55
	v_fma_f32 v9, v11, -v14, s14
	v_fma_f32 v9, v10, v13, -v9
	v_add_f32_e32 v9, 0xbdf8cdce, v9
	v_add_f32_e32 v7, v7, v9
.LBB150_26:
	s_or_b64 exec, exec, s[12:13]
                                        ; implicit-def: $vgpr10
                                        ; implicit-def: $vgpr9
.LBB150_27:
	s_andn2_saveexec_b64 s[4:5], s[4:5]
	s_cbranch_execz .LBB150_31
; %bb.28:
	v_cmp_eq_u32_e32 vcc, 0, v10
	s_and_saveexec_b64 s[12:13], vcc
	s_cbranch_execz .LBB150_30
; %bb.29:
	v_mul_f32_e32 v10, v9, v9
	v_mov_b32_e32 v11, 0x39679767
	v_fmac_f32_e32 v11, 0x37d383a2, v10
	v_mov_b32_e32 v12, 0x3a9c54a1
	v_fmac_f32_e32 v12, v10, v11
	;; [unrolled: 2-line block ×10, first 2 shown]
	v_mul_f32_e32 v10, v10, v12
	v_fmac_f32_e32 v10, v9, v11
	v_fmac_f32_e32 v10, -0.5, v9
	v_add_f32_e32 v7, v7, v10
.LBB150_30:
	s_or_b64 exec, exec, s[12:13]
.LBB150_31:
	s_or_b64 exec, exec, s[4:5]
.LBB150_32:
	s_or_b64 exec, exec, s[10:11]
.LBB150_33:
	s_andn2_saveexec_b64 s[8:9], s[8:9]
	s_cbranch_execz .LBB150_35
; %bb.34:
	s_mov_b32 s4, 0x3e8a8991
	v_mov_b32_e32 v7, 0xbecd26ab
	v_fma_f32 v7, |v3|, s4, v7
	s_mov_b32 s4, 0x3f528d33
	v_fma_f32 v7, |v3|, v7, s4
	s_mov_b32 s4, 0x800000
	v_cmp_lt_f32_e64 vcc, |v3|, s4
	v_cndmask_b32_e64 v9, 0, 32, vcc
	v_ldexp_f32 v9, |v3|, v9
	v_log_f32_e32 v9, v9
	s_mov_b32 s4, 0xbf13c468
	v_fma_f32 v7, |v3|, v7, s4
	s_mov_b32 s4, 0x3f317217
	v_mul_f32_e32 v10, 0x3f317217, v9
	v_fma_f32 v11, v9, s4, -v10
	v_fmac_f32_e32 v11, 0x3377d1cf, v9
	s_mov_b32 s4, 0x7f800000
	v_add_f32_e32 v10, v10, v11
	v_cmp_lt_f32_e64 s[4:5], |v9|, s4
	v_cndmask_b32_e64 v9, v9, v10, s[4:5]
	v_mov_b32_e32 v10, 0x41b17218
	v_cndmask_b32_e32 v10, 0, v10, vcc
	v_sub_f32_e32 v9, v9, v10
	v_fma_f32 v7, |v3|, v7, -v9
.LBB150_35:
	s_or_b64 exec, exec, s[8:9]
	v_cmp_le_f16_e32 vcc, 0, v2
	v_cmp_nle_f16_e64 s[4:5], 0, v2
	s_and_saveexec_b64 s[8:9], s[4:5]
	s_xor_b64 s[10:11], exec, s[8:9]
	s_cbranch_execz .LBB150_39
; %bb.36:
	s_mov_b32 s4, 0x4b000000
	s_mov_b32 s8, 0x35000000
	v_cmp_lt_f32_e64 s[4:5], |v3|, s4
	v_cmp_gt_f32_e64 s[8:9], |v3|, s8
	s_and_b64 s[4:5], s[4:5], s[8:9]
	s_and_saveexec_b64 s[12:13], s[4:5]
	s_cbranch_execz .LBB150_38
; %bb.37:
	v_mul_f32_e64 v9, |v3|, 0.5
	v_floor_f32_e32 v10, v9
	v_sub_f32_e32 v10, v9, v10
	v_min_f32_e32 v10, 0x3f7fffff, v10
	s_mov_b32 s8, 0x7f800000
	v_add_f32_e32 v10, v10, v10
	v_cmp_neq_f32_e64 s[4:5], s8, v9
	v_cndmask_b32_e64 v9, 0, v10, s[4:5]
	v_cmp_gt_f32_e64 s[4:5], |v3|, 1.0
	v_cndmask_b32_e64 v9, |v3|, v9, s[4:5]
	v_add_f32_e32 v10, v9, v9
	v_rndne_f32_e32 v10, v10
	v_fmac_f32_e32 v9, -0.5, v10
	v_mul_f32_e32 v11, v9, v9
	v_mov_b32_e32 v12, 0xbf1f24be
	v_fmac_f32_e32 v12, 0x3e75aa41, v11
	v_mov_b32_e32 v13, 0x40234736
	v_fmac_f32_e32 v13, v11, v12
	;; [unrolled: 2-line block ×3, first 2 shown]
	v_mul_f32_e32 v13, v9, v11
	v_mul_f32_e32 v12, v13, v12
	v_fmac_f32_e32 v12, 0x40490fdb, v9
	v_mov_b32_e32 v9, 0x3e642e9d
	v_cvt_i32_f32_e32 v10, v10
	v_fmac_f32_e32 v9, 0x3d4be544, v11
	v_mov_b32_e32 v13, 0xbfaad1da
	v_fmac_f32_e32 v13, v11, v9
	v_mov_b32_e32 v9, 0x4081e0d3
	;; [unrolled: 2-line block ×3, first 2 shown]
	v_fmac_f32_e32 v13, v11, v9
	v_fma_f32 v9, v11, v13, 1.0
	v_and_b32_e32 v11, 1, v10
	v_lshlrev_b32_e32 v10, 30, v10
	v_cmp_eq_u32_e64 s[4:5], 0, v11
	v_and_b32_e32 v10, 0x80000000, v10
	v_xor_b32_e32 v8, v8, v3
	v_cndmask_b32_e64 v9, v9, v12, s[4:5]
	v_xor_b32_e32 v8, v8, v10
	v_xor_b32_e32 v8, v8, v9
	v_mul_f32_e32 v8, v3, v8
	v_frexp_mant_f32_e64 v9, |v8|
	v_rcp_f32_e32 v9, v9
	v_frexp_exp_i32_f32_e32 v8, v8
	v_sub_u32_e32 v8, 2, v8
	s_mov_b32 s4, 0x800000
	v_mul_f32_e32 v9, 0x3f490fdb, v9
	v_ldexp_f32 v8, v9, v8
	v_cmp_gt_f32_e64 s[4:5], s4, v8
	v_cndmask_b32_e64 v9, 0, 32, s[4:5]
	v_ldexp_f32 v8, v8, v9
	v_log_f32_e32 v8, v8
	s_mov_b32 s9, 0x3f317217
	v_mul_f32_e32 v9, 0x3f317217, v8
	v_fma_f32 v10, v8, s9, -v9
	v_fmac_f32_e32 v10, 0x3377d1cf, v8
	v_add_f32_e32 v9, v9, v10
	v_cmp_lt_f32_e64 s[8:9], |v8|, s8
	v_cndmask_b32_e64 v8, v8, v9, s[8:9]
	v_mov_b32_e32 v9, 0x41b17218
	v_cndmask_b32_e64 v9, 0, v9, s[4:5]
	v_sub_f32_e32 v8, v8, v9
	v_sub_f32_e32 v7, v8, v7
	v_floor_f32_e32 v8, v3
	v_sub_f32_e32 v8, v3, v8
	v_min_f32_e32 v8, 0x3f7fffff, v8
	v_mov_b32_e32 v9, 0x7f800000
	v_cmp_neq_f32_e64 s[4:5], 0, v8
	v_cndmask_b32_e64 v7, v9, v7, s[4:5]
.LBB150_38:
	s_or_b64 exec, exec, s[12:13]
.LBB150_39:
	s_andn2_saveexec_b64 s[10:11], s[10:11]
; %bb.40:
	v_cmp_eq_f16_e64 s[4:5], 1.0, v2
	v_cmp_eq_f16_e64 s[8:9], 2.0, v2
	s_or_b64 s[4:5], s[4:5], s[8:9]
	v_cndmask_b32_e64 v7, v7, 0, s[4:5]
; %bb.41:
	s_or_b64 exec, exec, s[10:11]
	v_lshrrev_b32_e32 v8, 16, v2
	v_cvt_f32_f16_e32 v9, v8
	s_mov_b32 s4, 0x3c800000
                                        ; implicit-def: $vgpr10
	v_and_b32_e32 v11, 0x7fffffff, v9
	v_cmp_nlt_f32_e64 s[4:5], |v9|, s4
	s_and_saveexec_b64 s[8:9], s[4:5]
	s_xor_b64 s[10:11], exec, s[8:9]
	s_cbranch_execz .LBB150_71
; %bb.42:
	v_cmp_nlt_f32_e64 s[4:5], |v9|, 2.0
                                        ; implicit-def: $vgpr10
	s_and_saveexec_b64 s[8:9], s[4:5]
	s_xor_b64 s[12:13], exec, s[8:9]
	s_cbranch_execz .LBB150_52
; %bb.43:
	s_mov_b32 s4, 0x41000000
	v_cmp_nlt_f32_e64 s[4:5], |v9|, s4
                                        ; implicit-def: $vgpr10
	s_and_saveexec_b64 s[8:9], s[4:5]
	s_xor_b64 s[14:15], exec, s[8:9]
	s_cbranch_execz .LBB150_49
; %bb.44:
	s_mov_b32 s4, 0x5c800000
	v_cmp_nlt_f32_e64 s[4:5], |v9|, s4
                                        ; implicit-def: $vgpr10
	s_and_saveexec_b64 s[8:9], s[4:5]
	s_xor_b64 s[16:17], exec, s[8:9]
	s_cbranch_execz .LBB150_46
; %bb.45:
	s_mov_b32 s4, 0x800000
	v_cmp_lt_f32_e64 s[4:5], |v9|, s4
	v_cndmask_b32_e64 v10, 0, 32, s[4:5]
	v_ldexp_f32 v10, |v9|, v10
	v_log_f32_e32 v10, v10
	s_mov_b32 s8, 0x3f317217
	s_mov_b32 s9, 0x7f800000
	v_mul_f32_e32 v12, 0x3f317217, v10
	v_fma_f32 v13, v10, s8, -v12
	v_fmac_f32_e32 v13, 0x3377d1cf, v10
	v_add_f32_e32 v12, v12, v13
	v_cmp_lt_f32_e64 s[8:9], |v10|, s9
	v_cndmask_b32_e64 v10, v10, v12, s[8:9]
	v_mov_b32_e32 v12, 0x41b17218
	v_cndmask_b32_e64 v12, 0, v12, s[4:5]
	v_sub_f32_e32 v10, v10, v12
	v_fma_f32 v10, |v9|, v10, -|v9|
.LBB150_46:
	s_andn2_saveexec_b64 s[16:17], s[16:17]
	s_cbranch_execz .LBB150_48
; %bb.47:
	v_rcp_f32_e64 v12, |v9|
	v_mov_b32_e32 v10, 0x3a5b3dd2
	v_mov_b32_e32 v13, 0xba1c065c
	;; [unrolled: 1-line block ×3, first 2 shown]
	v_mul_f32_e32 v15, v12, v12
	v_fmac_f32_e32 v10, 0xbad5c4e8, v15
	v_fmac_f32_e32 v13, v15, v10
	s_mov_b32 s4, 0x800000
	v_fmac_f32_e32 v14, v15, v13
	v_mov_b32_e32 v10, 0xbb360b61
	v_cmp_lt_f32_e64 s[4:5], |v9|, s4
	v_fmac_f32_e32 v10, v15, v14
	v_cndmask_b32_e64 v14, 0, 32, s[4:5]
	v_ldexp_f32 v14, |v9|, v14
	v_log_f32_e32 v14, v14
	v_mov_b32_e32 v13, 0x3daaaaab
	v_fmac_f32_e32 v13, v15, v10
	v_mov_b32_e32 v10, 0x3ed67f1d
	v_fmac_f32_e32 v10, v12, v13
	s_mov_b32 s8, 0x3f317217
	v_mul_f32_e32 v13, 0x3f317217, v14
	v_fma_f32 v15, v14, s8, -v13
	v_fmac_f32_e32 v15, 0x3377d1cf, v14
	s_mov_b32 s8, 0x7f800000
	v_add_f32_e32 v13, v13, v15
	v_cmp_lt_f32_e64 s[8:9], |v14|, s8
	v_cndmask_b32_e64 v13, v14, v13, s[8:9]
	v_mov_b32_e32 v14, 0x41b17218
	v_cndmask_b32_e64 v14, 0, v14, s[4:5]
	v_sub_f32_e32 v13, v13, v14
	v_add_f32_e64 v12, |v9|, -0.5
	v_add_f32_e32 v13, -1.0, v13
	v_fmac_f32_e32 v10, v12, v13
.LBB150_48:
	s_or_b64 exec, exec, s[16:17]
.LBB150_49:
	s_andn2_saveexec_b64 s[14:15], s[14:15]
	s_cbranch_execz .LBB150_51
; %bb.50:
	v_cvt_i32_f32_e32 v10, v11
	v_mov_b32_e32 v12, 0x3af135b4
	v_mov_b32_e32 v13, 0x3cda40e4
	;; [unrolled: 1-line block ×3, first 2 shown]
	v_cvt_f32_i32_e32 v15, v10
	v_mov_b32_e32 v16, 0x3ea6cc7a
	v_mov_b32_e32 v17, 0x3e5c245a
	v_cmp_lt_i32_e64 s[4:5], 2, v10
	v_sub_f32_e64 v15, |v9|, v15
	v_fmac_f32_e32 v12, 0x3805ff67, v15
	v_fmac_f32_e32 v13, v15, v12
	;; [unrolled: 1-line block ×3, first 2 shown]
	v_mov_b32_e32 v13, 0x3a4beed6
	v_fmac_f32_e32 v16, v15, v14
	v_fmac_f32_e32 v13, 0x36f5d7bd, v15
	v_mov_b32_e32 v14, 0x3c98bf54
	v_fmac_f32_e32 v14, v15, v13
	v_mov_b32_e32 v13, 0x3e300f6e
	;; [unrolled: 2-line block ×4, first 2 shown]
	v_fmac_f32_e32 v13, v15, v14
	v_add_f32_e32 v14, 2.0, v15
	v_mov_b32_e32 v18, 0xbd9e233f
	v_fmac_f32_e32 v17, v15, v16
	v_add_f32_e32 v16, 0x40400000, v15
	v_cndmask_b32_e64 v14, 1.0, v14, s[4:5]
	v_cmp_lt_i32_e64 s[4:5], 3, v10
	v_fmac_f32_e32 v18, v15, v17
	v_add_f32_e32 v17, 4.0, v15
	v_cndmask_b32_e64 v16, 1.0, v16, s[4:5]
	v_cmp_lt_i32_e64 s[4:5], 4, v10
	v_mul_f32_e32 v12, v15, v18
	v_add_f32_e32 v18, 0x40a00000, v15
	v_mul_f32_e32 v14, v14, v16
	v_cndmask_b32_e64 v16, 1.0, v17, s[4:5]
	v_cmp_lt_i32_e64 s[4:5], 5, v10
	v_add_f32_e32 v19, 0x40c00000, v15
	v_mul_f32_e32 v14, v16, v14
	v_cndmask_b32_e64 v16, 1.0, v18, s[4:5]
	v_cmp_lt_i32_e64 s[4:5], 6, v10
	v_mul_f32_e32 v14, v16, v14
	v_cndmask_b32_e64 v10, 1.0, v19, s[4:5]
	v_mul_f32_e32 v10, v10, v14
	s_mov_b32 s4, 0x800000
	v_cmp_gt_f32_e64 s[4:5], s4, v10
	v_cndmask_b32_e64 v14, 0, 32, s[4:5]
	v_fma_f32 v13, v15, v13, 1.0
	v_ldexp_f32 v10, v10, v14
	v_rcp_f32_e32 v13, v13
	v_log_f32_e32 v10, v10
	s_mov_b32 s8, 0x3f317217
	v_mul_f32_e32 v12, v12, v13
	v_mul_f32_e32 v13, 0x3f317217, v10
	v_fma_f32 v14, v10, s8, -v13
	v_fmac_f32_e32 v14, 0x3377d1cf, v10
	s_mov_b32 s8, 0x7f800000
	v_add_f32_e32 v13, v13, v14
	v_cmp_lt_f32_e64 s[8:9], |v10|, s8
	v_cndmask_b32_e64 v10, v10, v13, s[8:9]
	v_mov_b32_e32 v13, 0x41b17218
	v_cndmask_b32_e64 v13, 0, v13, s[4:5]
	v_fmac_f32_e32 v12, 0.5, v15
	v_sub_f32_e32 v10, v10, v13
	v_add_f32_e32 v10, v10, v12
.LBB150_51:
	s_or_b64 exec, exec, s[14:15]
.LBB150_52:
	s_andn2_saveexec_b64 s[12:13], s[12:13]
	s_cbranch_execz .LBB150_70
; %bb.53:
	s_mov_b32 s4, 0x3f666666
	v_cmp_le_f32_e64 s[4:5], |v9|, s4
                                        ; implicit-def: $vgpr10
                                        ; implicit-def: $vgpr13
                                        ; implicit-def: $vgpr12
	s_and_saveexec_b64 s[8:9], s[4:5]
	s_xor_b64 s[14:15], exec, s[8:9]
	s_cbranch_execz .LBB150_55
; %bb.54:
	s_mov_b32 s4, 0x800000
	v_cmp_lt_f32_e64 s[4:5], |v9|, s4
	v_cndmask_b32_e64 v10, 0, 32, s[4:5]
	v_ldexp_f32 v10, |v9|, v10
	v_log_f32_e32 v10, v10
	s_mov_b32 s8, 0x3f317217
	s_mov_b32 s9, 0x7f800000
	v_mul_f32_e32 v12, 0x3f317217, v10
	v_fma_f32 v13, v10, s8, -v12
	v_fmac_f32_e32 v13, 0x3377d1cf, v10
	v_add_f32_e32 v12, v12, v13
	v_cmp_lt_f32_e64 s[8:9], |v10|, s9
	v_cndmask_b32_e64 v10, v10, v12, s[8:9]
	v_mov_b32_e32 v12, 0x41b17218
	v_cndmask_b32_e64 v12, 0, v12, s[4:5]
	s_mov_b32 s4, 0x3f3b4a23
	s_mov_b32 s5, 0xbeec5b0c
	v_sub_f32_e32 v10, v10, v12
	v_sub_f32_e64 v12, 1.0, |v9|
	v_add_f32_e64 v13, |v9|, s5
	v_cmp_lt_f32_e64 s[4:5], |v9|, s4
	v_cndmask_b32_e64 v12, v12, v13, s[4:5]
	v_cndmask_b32_e64 v13, 0, 1, s[4:5]
	s_mov_b32 s4, 0x3e6d3309
	v_cmp_lt_f32_e64 s[4:5], |v9|, s4
	v_xor_b32_e32 v10, 0x80000000, v10
	v_cndmask_b32_e64 v12, v12, |v9|, s[4:5]
	v_cndmask_b32_e64 v13, v13, 2, s[4:5]
.LBB150_55:
	s_andn2_saveexec_b64 s[8:9], s[14:15]
	s_cbranch_execz .LBB150_57
; %bb.56:
	s_mov_b32 s4, 0x3fdda512
	s_mov_b32 s5, 0xbfbb16c3
	v_sub_f32_e64 v10, 2.0, |v9|
	v_add_f32_e64 v12, |v9|, s5
	v_cmp_lt_f32_e64 s[4:5], |v9|, s4
	v_cndmask_b32_e64 v12, v10, v12, s[4:5]
	v_cndmask_b32_e64 v10, v10, 1.0, s[4:5]
	v_cvt_i32_f32_e32 v10, v10
	s_mov_b32 s4, 0x3f9d70a4
	v_add_f32_e64 v13, |v9|, -1.0
	v_cmp_lt_f32_e64 s[4:5], |v9|, s4
	v_cndmask_b32_e64 v12, v12, v13, s[4:5]
	v_cndmask_b32_e64 v13, v10, 2, s[4:5]
	v_mov_b32_e32 v10, 0
.LBB150_57:
	s_or_b64 exec, exec, s[8:9]
	v_cmp_lt_i32_e64 s[4:5], 0, v13
	s_and_saveexec_b64 s[8:9], s[4:5]
	s_xor_b64 s[8:9], exec, s[8:9]
	s_cbranch_execz .LBB150_65
; %bb.58:
	v_cmp_lt_i32_e64 s[4:5], 1, v13
	s_and_saveexec_b64 s[14:15], s[4:5]
	s_xor_b64 s[14:15], exec, s[14:15]
	s_cbranch_execz .LBB150_62
; %bb.59:
	v_cmp_eq_u32_e64 s[4:5], 2, v13
	s_and_saveexec_b64 s[16:17], s[4:5]
	s_cbranch_execz .LBB150_61
; %bb.60:
	v_mov_b32_e32 v13, 0x3e6a7578
	v_fmac_f32_e32 v13, 0x3c5b3c5e, v12
	v_mov_b32_e32 v14, 0x3f7a4bb2
	v_fmac_f32_e32 v14, v12, v13
	;; [unrolled: 2-line block ×8, first 2 shown]
	v_fma_f32 v13, v12, v15, 1.0
	v_rcp_f32_e32 v13, v13
	v_mov_b32_e32 v15, 0xbd9e233f
	v_fmac_f32_e32 v15, v12, v14
	v_mul_f32_e32 v14, v12, v15
	v_mul_f32_e32 v13, v14, v13
	v_fmac_f32_e32 v13, -0.5, v12
	v_add_f32_e32 v10, v10, v13
.LBB150_61:
	s_or_b64 exec, exec, s[16:17]
                                        ; implicit-def: $vgpr12
.LBB150_62:
	s_andn2_saveexec_b64 s[4:5], s[14:15]
	s_cbranch_execz .LBB150_64
; %bb.63:
	v_mul_f32_e32 v13, v12, v12
	v_mul_f32_e32 v14, v12, v13
	v_mov_b32_e32 v15, 0xbab7f476
	v_fmac_f32_e32 v15, 0x39a57b6b, v14
	v_mov_b32_e32 v16, 0x3bc7e707
	v_fmac_f32_e32 v16, v14, v15
	;; [unrolled: 2-line block ×12, first 2 shown]
	v_fmac_f32_e32 v17, v12, v18
	s_mov_b32 s14, 0xa2863e55
	v_fma_f32 v12, v14, -v17, s14
	v_fma_f32 v12, v13, v16, -v12
	v_add_f32_e32 v12, 0xbdf8cdce, v12
	v_add_f32_e32 v10, v10, v12
.LBB150_64:
	s_or_b64 exec, exec, s[4:5]
                                        ; implicit-def: $vgpr13
                                        ; implicit-def: $vgpr12
.LBB150_65:
	s_andn2_saveexec_b64 s[8:9], s[8:9]
	s_cbranch_execz .LBB150_69
; %bb.66:
	v_cmp_eq_u32_e64 s[4:5], 0, v13
	s_and_saveexec_b64 s[14:15], s[4:5]
	s_cbranch_execz .LBB150_68
; %bb.67:
	v_mul_f32_e32 v13, v12, v12
	v_mov_b32_e32 v14, 0x39679767
	v_fmac_f32_e32 v14, 0x37d383a2, v13
	v_mov_b32_e32 v15, 0x3a9c54a1
	v_fmac_f32_e32 v15, v13, v14
	;; [unrolled: 2-line block ×10, first 2 shown]
	v_mul_f32_e32 v13, v13, v15
	v_fmac_f32_e32 v13, v12, v14
	v_fmac_f32_e32 v13, -0.5, v12
	v_add_f32_e32 v10, v10, v13
.LBB150_68:
	s_or_b64 exec, exec, s[14:15]
.LBB150_69:
	s_or_b64 exec, exec, s[8:9]
.LBB150_70:
	s_or_b64 exec, exec, s[12:13]
.LBB150_71:
	s_andn2_saveexec_b64 s[10:11], s[10:11]
	s_cbranch_execz .LBB150_73
; %bb.72:
	s_mov_b32 s4, 0x3e8a8991
	v_mov_b32_e32 v10, 0xbecd26ab
	v_fma_f32 v10, |v9|, s4, v10
	s_mov_b32 s4, 0x3f528d33
	v_fma_f32 v10, |v9|, v10, s4
	s_mov_b32 s4, 0x800000
	v_cmp_lt_f32_e64 s[4:5], |v9|, s4
	v_cndmask_b32_e64 v12, 0, 32, s[4:5]
	v_ldexp_f32 v12, |v9|, v12
	v_log_f32_e32 v12, v12
	s_mov_b32 s8, 0xbf13c468
	v_fma_f32 v10, |v9|, v10, s8
	s_mov_b32 s8, 0x3f317217
	v_mul_f32_e32 v13, 0x3f317217, v12
	v_fma_f32 v14, v12, s8, -v13
	v_fmac_f32_e32 v14, 0x3377d1cf, v12
	s_mov_b32 s8, 0x7f800000
	v_add_f32_e32 v13, v13, v14
	v_cmp_lt_f32_e64 s[8:9], |v12|, s8
	v_cndmask_b32_e64 v12, v12, v13, s[8:9]
	v_mov_b32_e32 v13, 0x41b17218
	v_cndmask_b32_e64 v13, 0, v13, s[4:5]
	v_sub_f32_e32 v12, v12, v13
	v_fma_f32 v10, |v9|, v10, -v12
.LBB150_73:
	s_or_b64 exec, exec, s[10:11]
	v_cmp_le_f16_e64 s[4:5], 0, v8
	v_cmp_nle_f16_e64 s[8:9], 0, v8
	s_and_saveexec_b64 s[10:11], s[8:9]
	s_xor_b64 s[12:13], exec, s[10:11]
	s_cbranch_execz .LBB150_77
; %bb.74:
	s_mov_b32 s8, 0x4b000000
	s_mov_b32 s10, 0x35000000
	v_cmp_lt_f32_e64 s[8:9], |v9|, s8
	v_cmp_gt_f32_e64 s[10:11], |v9|, s10
	s_and_b64 s[8:9], s[8:9], s[10:11]
	s_and_saveexec_b64 s[14:15], s[8:9]
	s_cbranch_execz .LBB150_76
; %bb.75:
	v_mul_f32_e64 v12, |v9|, 0.5
	v_floor_f32_e32 v13, v12
	v_sub_f32_e32 v13, v12, v13
	v_min_f32_e32 v13, 0x3f7fffff, v13
	s_mov_b32 s10, 0x7f800000
	v_add_f32_e32 v13, v13, v13
	v_cmp_neq_f32_e64 s[8:9], s10, v12
	v_cndmask_b32_e64 v12, 0, v13, s[8:9]
	v_cmp_gt_f32_e64 s[8:9], |v9|, 1.0
	v_cndmask_b32_e64 v12, |v9|, v12, s[8:9]
	v_add_f32_e32 v13, v12, v12
	v_rndne_f32_e32 v13, v13
	v_fmac_f32_e32 v12, -0.5, v13
	v_mul_f32_e32 v14, v12, v12
	v_mov_b32_e32 v15, 0xbf1f24be
	v_fmac_f32_e32 v15, 0x3e75aa41, v14
	v_mov_b32_e32 v16, 0x40234736
	v_fmac_f32_e32 v16, v14, v15
	;; [unrolled: 2-line block ×3, first 2 shown]
	v_mul_f32_e32 v16, v12, v14
	v_mul_f32_e32 v15, v16, v15
	v_fmac_f32_e32 v15, 0x40490fdb, v12
	v_mov_b32_e32 v12, 0x3e642e9d
	v_cvt_i32_f32_e32 v13, v13
	v_fmac_f32_e32 v12, 0x3d4be544, v14
	v_mov_b32_e32 v16, 0xbfaad1da
	v_fmac_f32_e32 v16, v14, v12
	v_mov_b32_e32 v12, 0x4081e0d3
	v_fmac_f32_e32 v12, v14, v16
	v_mov_b32_e32 v16, 0xc09de9e6
	v_fmac_f32_e32 v16, v14, v12
	v_fma_f32 v12, v14, v16, 1.0
	v_and_b32_e32 v14, 1, v13
	v_lshlrev_b32_e32 v13, 30, v13
	v_cmp_eq_u32_e64 s[8:9], 0, v14
	v_and_b32_e32 v13, 0x80000000, v13
	v_xor_b32_e32 v11, v11, v9
	v_cndmask_b32_e64 v12, v12, v15, s[8:9]
	v_xor_b32_e32 v11, v11, v13
	v_xor_b32_e32 v11, v11, v12
	v_mul_f32_e32 v11, v9, v11
	v_frexp_mant_f32_e64 v12, |v11|
	v_rcp_f32_e32 v12, v12
	v_frexp_exp_i32_f32_e32 v11, v11
	v_sub_u32_e32 v11, 2, v11
	s_mov_b32 s8, 0x800000
	v_mul_f32_e32 v12, 0x3f490fdb, v12
	v_ldexp_f32 v11, v12, v11
	v_cmp_gt_f32_e64 s[8:9], s8, v11
	v_cndmask_b32_e64 v12, 0, 32, s[8:9]
	v_ldexp_f32 v11, v11, v12
	v_log_f32_e32 v11, v11
	s_mov_b32 s11, 0x3f317217
	v_mul_f32_e32 v12, 0x3f317217, v11
	v_fma_f32 v13, v11, s11, -v12
	v_fmac_f32_e32 v13, 0x3377d1cf, v11
	v_add_f32_e32 v12, v12, v13
	v_cmp_lt_f32_e64 s[10:11], |v11|, s10
	v_cndmask_b32_e64 v11, v11, v12, s[10:11]
	v_mov_b32_e32 v12, 0x41b17218
	v_cndmask_b32_e64 v12, 0, v12, s[8:9]
	v_sub_f32_e32 v11, v11, v12
	v_sub_f32_e32 v10, v11, v10
	v_floor_f32_e32 v11, v9
	v_sub_f32_e32 v11, v9, v11
	v_min_f32_e32 v11, 0x3f7fffff, v11
	v_mov_b32_e32 v12, 0x7f800000
	v_cmp_neq_f32_e64 s[8:9], 0, v11
	v_cndmask_b32_e64 v10, v12, v10, s[8:9]
.LBB150_76:
	s_or_b64 exec, exec, s[14:15]
.LBB150_77:
	s_andn2_saveexec_b64 s[12:13], s[12:13]
; %bb.78:
	v_cmp_eq_f16_e64 s[8:9], 1.0, v8
	v_cmp_eq_f16_e64 s[10:11], 2.0, v8
	s_or_b64 s[8:9], s[8:9], s[10:11]
	v_cndmask_b32_e64 v10, v10, 0, s[8:9]
; %bb.79:
	s_or_b64 exec, exec, s[12:13]
	s_waitcnt vmcnt(2)
	v_cvt_f32_f16_e32 v11, v4
	s_mov_b32 s8, 0x3c800000
                                        ; implicit-def: $vgpr12
	v_and_b32_e32 v13, 0x7fffffff, v11
	v_cmp_nlt_f32_e64 s[8:9], |v11|, s8
	s_and_saveexec_b64 s[10:11], s[8:9]
	s_xor_b64 s[12:13], exec, s[10:11]
	s_cbranch_execz .LBB150_109
; %bb.80:
	v_cmp_nlt_f32_e64 s[8:9], |v11|, 2.0
                                        ; implicit-def: $vgpr12
	s_and_saveexec_b64 s[10:11], s[8:9]
	s_xor_b64 s[14:15], exec, s[10:11]
	s_cbranch_execz .LBB150_90
; %bb.81:
	s_mov_b32 s8, 0x41000000
	v_cmp_nlt_f32_e64 s[8:9], |v11|, s8
                                        ; implicit-def: $vgpr12
	s_and_saveexec_b64 s[10:11], s[8:9]
	s_xor_b64 s[16:17], exec, s[10:11]
	s_cbranch_execz .LBB150_87
; %bb.82:
	s_mov_b32 s8, 0x5c800000
	v_cmp_nlt_f32_e64 s[8:9], |v11|, s8
                                        ; implicit-def: $vgpr12
	s_and_saveexec_b64 s[10:11], s[8:9]
	s_xor_b64 s[18:19], exec, s[10:11]
	s_cbranch_execz .LBB150_84
; %bb.83:
	s_mov_b32 s8, 0x800000
	v_cmp_lt_f32_e64 s[8:9], |v11|, s8
	v_cndmask_b32_e64 v12, 0, 32, s[8:9]
	v_ldexp_f32 v12, |v11|, v12
	v_log_f32_e32 v12, v12
	s_mov_b32 s10, 0x3f317217
	s_mov_b32 s11, 0x7f800000
	v_mul_f32_e32 v14, 0x3f317217, v12
	v_fma_f32 v15, v12, s10, -v14
	v_fmac_f32_e32 v15, 0x3377d1cf, v12
	v_add_f32_e32 v14, v14, v15
	v_cmp_lt_f32_e64 s[10:11], |v12|, s11
	v_cndmask_b32_e64 v12, v12, v14, s[10:11]
	v_mov_b32_e32 v14, 0x41b17218
	v_cndmask_b32_e64 v14, 0, v14, s[8:9]
	v_sub_f32_e32 v12, v12, v14
	v_fma_f32 v12, |v11|, v12, -|v11|
.LBB150_84:
	s_andn2_saveexec_b64 s[18:19], s[18:19]
	s_cbranch_execz .LBB150_86
; %bb.85:
	v_rcp_f32_e64 v14, |v11|
	v_mov_b32_e32 v12, 0x3a5b3dd2
	v_mov_b32_e32 v15, 0xba1c065c
	;; [unrolled: 1-line block ×3, first 2 shown]
	v_mul_f32_e32 v17, v14, v14
	v_fmac_f32_e32 v12, 0xbad5c4e8, v17
	v_fmac_f32_e32 v15, v17, v12
	s_mov_b32 s8, 0x800000
	v_fmac_f32_e32 v16, v17, v15
	v_mov_b32_e32 v12, 0xbb360b61
	v_cmp_lt_f32_e64 s[8:9], |v11|, s8
	v_fmac_f32_e32 v12, v17, v16
	v_cndmask_b32_e64 v16, 0, 32, s[8:9]
	v_ldexp_f32 v16, |v11|, v16
	v_log_f32_e32 v16, v16
	v_mov_b32_e32 v15, 0x3daaaaab
	v_fmac_f32_e32 v15, v17, v12
	v_mov_b32_e32 v12, 0x3ed67f1d
	v_fmac_f32_e32 v12, v14, v15
	s_mov_b32 s10, 0x3f317217
	v_mul_f32_e32 v15, 0x3f317217, v16
	v_fma_f32 v17, v16, s10, -v15
	v_fmac_f32_e32 v17, 0x3377d1cf, v16
	s_mov_b32 s10, 0x7f800000
	v_add_f32_e32 v15, v15, v17
	v_cmp_lt_f32_e64 s[10:11], |v16|, s10
	v_cndmask_b32_e64 v15, v16, v15, s[10:11]
	v_mov_b32_e32 v16, 0x41b17218
	v_cndmask_b32_e64 v16, 0, v16, s[8:9]
	v_sub_f32_e32 v15, v15, v16
	v_add_f32_e64 v14, |v11|, -0.5
	v_add_f32_e32 v15, -1.0, v15
	v_fmac_f32_e32 v12, v14, v15
.LBB150_86:
	s_or_b64 exec, exec, s[18:19]
.LBB150_87:
	s_andn2_saveexec_b64 s[16:17], s[16:17]
	s_cbranch_execz .LBB150_89
; %bb.88:
	v_cvt_i32_f32_e32 v12, v13
	v_mov_b32_e32 v14, 0x3af135b4
	v_mov_b32_e32 v15, 0x3cda40e4
	;; [unrolled: 1-line block ×3, first 2 shown]
	v_cvt_f32_i32_e32 v17, v12
	v_mov_b32_e32 v18, 0x3ea6cc7a
	v_mov_b32_e32 v19, 0x3e5c245a
	v_cmp_lt_i32_e64 s[8:9], 2, v12
	v_sub_f32_e64 v17, |v11|, v17
	v_fmac_f32_e32 v14, 0x3805ff67, v17
	v_fmac_f32_e32 v15, v17, v14
	;; [unrolled: 1-line block ×3, first 2 shown]
	v_mov_b32_e32 v15, 0x3a4beed6
	v_fmac_f32_e32 v18, v17, v16
	v_fmac_f32_e32 v15, 0x36f5d7bd, v17
	v_mov_b32_e32 v16, 0x3c98bf54
	v_fmac_f32_e32 v16, v17, v15
	v_mov_b32_e32 v15, 0x3e300f6e
	;; [unrolled: 2-line block ×4, first 2 shown]
	v_fmac_f32_e32 v15, v17, v16
	v_add_f32_e32 v16, 2.0, v17
	v_mov_b32_e32 v20, 0xbd9e233f
	v_fmac_f32_e32 v19, v17, v18
	v_add_f32_e32 v18, 0x40400000, v17
	v_cndmask_b32_e64 v16, 1.0, v16, s[8:9]
	v_cmp_lt_i32_e64 s[8:9], 3, v12
	v_fmac_f32_e32 v20, v17, v19
	v_add_f32_e32 v19, 4.0, v17
	v_cndmask_b32_e64 v18, 1.0, v18, s[8:9]
	v_cmp_lt_i32_e64 s[8:9], 4, v12
	v_mul_f32_e32 v14, v17, v20
	v_add_f32_e32 v20, 0x40a00000, v17
	v_mul_f32_e32 v16, v16, v18
	v_cndmask_b32_e64 v18, 1.0, v19, s[8:9]
	v_cmp_lt_i32_e64 s[8:9], 5, v12
	v_add_f32_e32 v21, 0x40c00000, v17
	v_mul_f32_e32 v16, v18, v16
	v_cndmask_b32_e64 v18, 1.0, v20, s[8:9]
	v_cmp_lt_i32_e64 s[8:9], 6, v12
	v_mul_f32_e32 v16, v18, v16
	v_cndmask_b32_e64 v12, 1.0, v21, s[8:9]
	v_mul_f32_e32 v12, v12, v16
	s_mov_b32 s8, 0x800000
	v_cmp_gt_f32_e64 s[8:9], s8, v12
	v_cndmask_b32_e64 v16, 0, 32, s[8:9]
	v_fma_f32 v15, v17, v15, 1.0
	v_ldexp_f32 v12, v12, v16
	v_rcp_f32_e32 v15, v15
	v_log_f32_e32 v12, v12
	s_mov_b32 s10, 0x3f317217
	v_mul_f32_e32 v14, v14, v15
	v_mul_f32_e32 v15, 0x3f317217, v12
	v_fma_f32 v16, v12, s10, -v15
	v_fmac_f32_e32 v16, 0x3377d1cf, v12
	s_mov_b32 s10, 0x7f800000
	v_add_f32_e32 v15, v15, v16
	v_cmp_lt_f32_e64 s[10:11], |v12|, s10
	v_cndmask_b32_e64 v12, v12, v15, s[10:11]
	v_mov_b32_e32 v15, 0x41b17218
	v_cndmask_b32_e64 v15, 0, v15, s[8:9]
	v_fmac_f32_e32 v14, 0.5, v17
	v_sub_f32_e32 v12, v12, v15
	v_add_f32_e32 v12, v12, v14
.LBB150_89:
	s_or_b64 exec, exec, s[16:17]
.LBB150_90:
	s_andn2_saveexec_b64 s[14:15], s[14:15]
	s_cbranch_execz .LBB150_108
; %bb.91:
	s_mov_b32 s8, 0x3f666666
	v_cmp_le_f32_e64 s[8:9], |v11|, s8
                                        ; implicit-def: $vgpr12
                                        ; implicit-def: $vgpr15
                                        ; implicit-def: $vgpr14
	s_and_saveexec_b64 s[10:11], s[8:9]
	s_xor_b64 s[16:17], exec, s[10:11]
	s_cbranch_execz .LBB150_93
; %bb.92:
	s_mov_b32 s8, 0x800000
	v_cmp_lt_f32_e64 s[8:9], |v11|, s8
	v_cndmask_b32_e64 v12, 0, 32, s[8:9]
	v_ldexp_f32 v12, |v11|, v12
	v_log_f32_e32 v12, v12
	s_mov_b32 s10, 0x3f317217
	s_mov_b32 s11, 0x7f800000
	v_mul_f32_e32 v14, 0x3f317217, v12
	v_fma_f32 v15, v12, s10, -v14
	v_fmac_f32_e32 v15, 0x3377d1cf, v12
	v_add_f32_e32 v14, v14, v15
	v_cmp_lt_f32_e64 s[10:11], |v12|, s11
	v_cndmask_b32_e64 v12, v12, v14, s[10:11]
	v_mov_b32_e32 v14, 0x41b17218
	v_cndmask_b32_e64 v14, 0, v14, s[8:9]
	s_mov_b32 s8, 0x3f3b4a23
	s_mov_b32 s9, 0xbeec5b0c
	v_sub_f32_e32 v12, v12, v14
	v_sub_f32_e64 v14, 1.0, |v11|
	v_add_f32_e64 v15, |v11|, s9
	v_cmp_lt_f32_e64 s[8:9], |v11|, s8
	v_cndmask_b32_e64 v14, v14, v15, s[8:9]
	v_cndmask_b32_e64 v15, 0, 1, s[8:9]
	s_mov_b32 s8, 0x3e6d3309
	v_cmp_lt_f32_e64 s[8:9], |v11|, s8
	v_xor_b32_e32 v12, 0x80000000, v12
	v_cndmask_b32_e64 v14, v14, |v11|, s[8:9]
	v_cndmask_b32_e64 v15, v15, 2, s[8:9]
.LBB150_93:
	s_andn2_saveexec_b64 s[10:11], s[16:17]
	s_cbranch_execz .LBB150_95
; %bb.94:
	s_mov_b32 s8, 0x3fdda512
	s_mov_b32 s9, 0xbfbb16c3
	v_sub_f32_e64 v12, 2.0, |v11|
	v_add_f32_e64 v14, |v11|, s9
	v_cmp_lt_f32_e64 s[8:9], |v11|, s8
	v_cndmask_b32_e64 v14, v12, v14, s[8:9]
	v_cndmask_b32_e64 v12, v12, 1.0, s[8:9]
	v_cvt_i32_f32_e32 v12, v12
	s_mov_b32 s8, 0x3f9d70a4
	v_add_f32_e64 v15, |v11|, -1.0
	v_cmp_lt_f32_e64 s[8:9], |v11|, s8
	v_cndmask_b32_e64 v14, v14, v15, s[8:9]
	v_cndmask_b32_e64 v15, v12, 2, s[8:9]
	v_mov_b32_e32 v12, 0
.LBB150_95:
	s_or_b64 exec, exec, s[10:11]
	v_cmp_lt_i32_e64 s[8:9], 0, v15
	s_and_saveexec_b64 s[10:11], s[8:9]
	s_xor_b64 s[10:11], exec, s[10:11]
	s_cbranch_execz .LBB150_103
; %bb.96:
	v_cmp_lt_i32_e64 s[8:9], 1, v15
	s_and_saveexec_b64 s[16:17], s[8:9]
	s_xor_b64 s[16:17], exec, s[16:17]
	s_cbranch_execz .LBB150_100
; %bb.97:
	v_cmp_eq_u32_e64 s[8:9], 2, v15
	s_and_saveexec_b64 s[18:19], s[8:9]
	s_cbranch_execz .LBB150_99
; %bb.98:
	v_mov_b32_e32 v15, 0x3e6a7578
	v_fmac_f32_e32 v15, 0x3c5b3c5e, v14
	v_mov_b32_e32 v16, 0x3f7a4bb2
	v_fmac_f32_e32 v16, v14, v15
	v_mov_b32_e32 v15, 0x3fba3ae7
	v_fmac_f32_e32 v15, v14, v16
	v_mov_b32_e32 v16, 0x3f2200f4
	v_fmac_f32_e32 v16, v14, v15
	v_mov_b32_e32 v15, 0x3dd572af
	v_fmac_f32_e32 v15, 0x3b52d5db, v14
	v_mov_b32_e32 v17, 0x3f44efdf
	v_fmac_f32_e32 v17, v14, v15
	v_mov_b32_e32 v15, 0x4008392d
	v_fmac_f32_e32 v15, v14, v17
	v_mov_b32_e32 v17, 0x401d2ebe
	v_fmac_f32_e32 v17, v14, v15
	v_fma_f32 v15, v14, v17, 1.0
	v_rcp_f32_e32 v15, v15
	v_mov_b32_e32 v17, 0xbd9e233f
	v_fmac_f32_e32 v17, v14, v16
	v_mul_f32_e32 v16, v14, v17
	v_mul_f32_e32 v15, v16, v15
	v_fmac_f32_e32 v15, -0.5, v14
	v_add_f32_e32 v12, v12, v15
.LBB150_99:
	s_or_b64 exec, exec, s[18:19]
                                        ; implicit-def: $vgpr14
.LBB150_100:
	s_andn2_saveexec_b64 s[8:9], s[16:17]
	s_cbranch_execz .LBB150_102
; %bb.101:
	v_mul_f32_e32 v15, v14, v14
	v_mul_f32_e32 v16, v14, v15
	v_mov_b32_e32 v17, 0xbab7f476
	v_fmac_f32_e32 v17, 0x39a57b6b, v16
	v_mov_b32_e32 v18, 0x3bc7e707
	v_fmac_f32_e32 v18, v16, v17
	;; [unrolled: 2-line block ×12, first 2 shown]
	v_fmac_f32_e32 v19, v14, v20
	s_mov_b32 s16, 0xa2863e55
	v_fma_f32 v14, v16, -v19, s16
	v_fma_f32 v14, v15, v18, -v14
	v_add_f32_e32 v14, 0xbdf8cdce, v14
	v_add_f32_e32 v12, v12, v14
.LBB150_102:
	s_or_b64 exec, exec, s[8:9]
                                        ; implicit-def: $vgpr15
                                        ; implicit-def: $vgpr14
.LBB150_103:
	s_andn2_saveexec_b64 s[10:11], s[10:11]
	s_cbranch_execz .LBB150_107
; %bb.104:
	v_cmp_eq_u32_e64 s[8:9], 0, v15
	s_and_saveexec_b64 s[16:17], s[8:9]
	s_cbranch_execz .LBB150_106
; %bb.105:
	v_mul_f32_e32 v15, v14, v14
	v_mov_b32_e32 v16, 0x39679767
	v_fmac_f32_e32 v16, 0x37d383a2, v15
	v_mov_b32_e32 v17, 0x3a9c54a1
	v_fmac_f32_e32 v17, v15, v16
	;; [unrolled: 2-line block ×10, first 2 shown]
	v_mul_f32_e32 v15, v15, v17
	v_fmac_f32_e32 v15, v14, v16
	v_fmac_f32_e32 v15, -0.5, v14
	v_add_f32_e32 v12, v12, v15
.LBB150_106:
	s_or_b64 exec, exec, s[16:17]
.LBB150_107:
	s_or_b64 exec, exec, s[10:11]
.LBB150_108:
	s_or_b64 exec, exec, s[14:15]
.LBB150_109:
	s_andn2_saveexec_b64 s[12:13], s[12:13]
	s_cbranch_execz .LBB150_111
; %bb.110:
	s_mov_b32 s8, 0x3e8a8991
	v_mov_b32_e32 v12, 0xbecd26ab
	v_fma_f32 v12, |v11|, s8, v12
	s_mov_b32 s8, 0x3f528d33
	v_fma_f32 v12, |v11|, v12, s8
	s_mov_b32 s8, 0x800000
	v_cmp_lt_f32_e64 s[8:9], |v11|, s8
	v_cndmask_b32_e64 v14, 0, 32, s[8:9]
	v_ldexp_f32 v14, |v11|, v14
	v_log_f32_e32 v14, v14
	s_mov_b32 s10, 0xbf13c468
	v_fma_f32 v12, |v11|, v12, s10
	s_mov_b32 s10, 0x3f317217
	v_mul_f32_e32 v15, 0x3f317217, v14
	v_fma_f32 v16, v14, s10, -v15
	v_fmac_f32_e32 v16, 0x3377d1cf, v14
	s_mov_b32 s10, 0x7f800000
	v_add_f32_e32 v15, v15, v16
	v_cmp_lt_f32_e64 s[10:11], |v14|, s10
	v_cndmask_b32_e64 v14, v14, v15, s[10:11]
	v_mov_b32_e32 v15, 0x41b17218
	v_cndmask_b32_e64 v15, 0, v15, s[8:9]
	v_sub_f32_e32 v14, v14, v15
	v_fma_f32 v12, |v11|, v12, -v14
.LBB150_111:
	s_or_b64 exec, exec, s[12:13]
	v_cmp_le_f16_e64 s[18:19], 0, v4
	v_cmp_nle_f16_e64 s[8:9], 0, v4
	s_and_saveexec_b64 s[10:11], s[8:9]
	s_xor_b64 s[12:13], exec, s[10:11]
	s_cbranch_execz .LBB150_115
; %bb.112:
	s_mov_b32 s8, 0x4b000000
	s_mov_b32 s10, 0x35000000
	v_cmp_lt_f32_e64 s[8:9], |v11|, s8
	v_cmp_gt_f32_e64 s[10:11], |v11|, s10
	s_and_b64 s[8:9], s[8:9], s[10:11]
	s_and_saveexec_b64 s[14:15], s[8:9]
	s_cbranch_execz .LBB150_114
; %bb.113:
	v_mul_f32_e64 v14, |v11|, 0.5
	v_floor_f32_e32 v15, v14
	v_sub_f32_e32 v15, v14, v15
	v_min_f32_e32 v15, 0x3f7fffff, v15
	s_mov_b32 s10, 0x7f800000
	v_add_f32_e32 v15, v15, v15
	v_cmp_neq_f32_e64 s[8:9], s10, v14
	v_cndmask_b32_e64 v14, 0, v15, s[8:9]
	v_cmp_gt_f32_e64 s[8:9], |v11|, 1.0
	v_cndmask_b32_e64 v14, |v11|, v14, s[8:9]
	v_add_f32_e32 v15, v14, v14
	v_rndne_f32_e32 v15, v15
	v_fmac_f32_e32 v14, -0.5, v15
	v_mul_f32_e32 v16, v14, v14
	v_mov_b32_e32 v17, 0xbf1f24be
	v_fmac_f32_e32 v17, 0x3e75aa41, v16
	v_mov_b32_e32 v18, 0x40234736
	v_fmac_f32_e32 v18, v16, v17
	;; [unrolled: 2-line block ×3, first 2 shown]
	v_mul_f32_e32 v18, v14, v16
	v_mul_f32_e32 v17, v18, v17
	v_fmac_f32_e32 v17, 0x40490fdb, v14
	v_mov_b32_e32 v14, 0x3e642e9d
	v_cvt_i32_f32_e32 v15, v15
	v_fmac_f32_e32 v14, 0x3d4be544, v16
	v_mov_b32_e32 v18, 0xbfaad1da
	v_fmac_f32_e32 v18, v16, v14
	v_mov_b32_e32 v14, 0x4081e0d3
	;; [unrolled: 2-line block ×3, first 2 shown]
	v_fmac_f32_e32 v18, v16, v14
	v_fma_f32 v14, v16, v18, 1.0
	v_and_b32_e32 v16, 1, v15
	v_lshlrev_b32_e32 v15, 30, v15
	v_cmp_eq_u32_e64 s[8:9], 0, v16
	v_and_b32_e32 v15, 0x80000000, v15
	v_xor_b32_e32 v13, v13, v11
	v_cndmask_b32_e64 v14, v14, v17, s[8:9]
	v_xor_b32_e32 v13, v13, v15
	v_xor_b32_e32 v13, v13, v14
	v_mul_f32_e32 v13, v11, v13
	v_frexp_mant_f32_e64 v14, |v13|
	v_rcp_f32_e32 v14, v14
	v_frexp_exp_i32_f32_e32 v13, v13
	v_sub_u32_e32 v13, 2, v13
	s_mov_b32 s8, 0x800000
	v_mul_f32_e32 v14, 0x3f490fdb, v14
	v_ldexp_f32 v13, v14, v13
	v_cmp_gt_f32_e64 s[8:9], s8, v13
	v_cndmask_b32_e64 v14, 0, 32, s[8:9]
	v_ldexp_f32 v13, v13, v14
	v_log_f32_e32 v13, v13
	s_mov_b32 s11, 0x3f317217
	v_mul_f32_e32 v14, 0x3f317217, v13
	v_fma_f32 v15, v13, s11, -v14
	v_fmac_f32_e32 v15, 0x3377d1cf, v13
	v_add_f32_e32 v14, v14, v15
	v_cmp_lt_f32_e64 s[10:11], |v13|, s10
	v_cndmask_b32_e64 v13, v13, v14, s[10:11]
	v_mov_b32_e32 v14, 0x41b17218
	v_cndmask_b32_e64 v14, 0, v14, s[8:9]
	v_sub_f32_e32 v13, v13, v14
	v_sub_f32_e32 v12, v13, v12
	v_floor_f32_e32 v13, v11
	v_sub_f32_e32 v13, v11, v13
	v_min_f32_e32 v13, 0x3f7fffff, v13
	v_mov_b32_e32 v14, 0x7f800000
	v_cmp_neq_f32_e64 s[8:9], 0, v13
	v_cndmask_b32_e64 v12, v14, v12, s[8:9]
.LBB150_114:
	s_or_b64 exec, exec, s[14:15]
.LBB150_115:
	s_andn2_saveexec_b64 s[12:13], s[12:13]
; %bb.116:
	v_cmp_eq_f16_e64 s[8:9], 1.0, v4
	v_cmp_eq_f16_e64 s[10:11], 2.0, v4
	s_or_b64 s[8:9], s[8:9], s[10:11]
	v_cndmask_b32_e64 v12, v12, 0, s[8:9]
; %bb.117:
	s_or_b64 exec, exec, s[12:13]
	v_lshrrev_b32_e32 v13, 16, v4
	v_cvt_f32_f16_e32 v14, v13
	s_mov_b32 s8, 0x3c800000
                                        ; implicit-def: $vgpr15
	v_and_b32_e32 v16, 0x7fffffff, v14
	v_cmp_nlt_f32_e64 s[8:9], |v14|, s8
	s_and_saveexec_b64 s[10:11], s[8:9]
	s_xor_b64 s[12:13], exec, s[10:11]
	s_cbranch_execz .LBB150_147
; %bb.118:
	v_cmp_nlt_f32_e64 s[8:9], |v14|, 2.0
                                        ; implicit-def: $vgpr15
	s_and_saveexec_b64 s[10:11], s[8:9]
	s_xor_b64 s[14:15], exec, s[10:11]
	s_cbranch_execz .LBB150_128
; %bb.119:
	s_mov_b32 s8, 0x41000000
	v_cmp_nlt_f32_e64 s[8:9], |v14|, s8
                                        ; implicit-def: $vgpr15
	s_and_saveexec_b64 s[10:11], s[8:9]
	s_xor_b64 s[16:17], exec, s[10:11]
	s_cbranch_execz .LBB150_125
; %bb.120:
	s_mov_b32 s8, 0x5c800000
	v_cmp_nlt_f32_e64 s[8:9], |v14|, s8
                                        ; implicit-def: $vgpr15
	s_and_saveexec_b64 s[10:11], s[8:9]
	s_xor_b64 s[20:21], exec, s[10:11]
	s_cbranch_execz .LBB150_122
; %bb.121:
	s_mov_b32 s8, 0x800000
	v_cmp_lt_f32_e64 s[8:9], |v14|, s8
	v_cndmask_b32_e64 v15, 0, 32, s[8:9]
	v_ldexp_f32 v15, |v14|, v15
	v_log_f32_e32 v15, v15
	s_mov_b32 s10, 0x3f317217
	s_mov_b32 s11, 0x7f800000
	v_mul_f32_e32 v17, 0x3f317217, v15
	v_fma_f32 v18, v15, s10, -v17
	v_fmac_f32_e32 v18, 0x3377d1cf, v15
	v_add_f32_e32 v17, v17, v18
	v_cmp_lt_f32_e64 s[10:11], |v15|, s11
	v_cndmask_b32_e64 v15, v15, v17, s[10:11]
	v_mov_b32_e32 v17, 0x41b17218
	v_cndmask_b32_e64 v17, 0, v17, s[8:9]
	v_sub_f32_e32 v15, v15, v17
	v_fma_f32 v15, |v14|, v15, -|v14|
.LBB150_122:
	s_andn2_saveexec_b64 s[20:21], s[20:21]
	s_cbranch_execz .LBB150_124
; %bb.123:
	v_rcp_f32_e64 v17, |v14|
	v_mov_b32_e32 v15, 0x3a5b3dd2
	v_mov_b32_e32 v18, 0xba1c065c
	v_mov_b32_e32 v19, 0x3a500cfd
	v_mul_f32_e32 v20, v17, v17
	v_fmac_f32_e32 v15, 0xbad5c4e8, v20
	v_fmac_f32_e32 v18, v20, v15
	s_mov_b32 s8, 0x800000
	v_fmac_f32_e32 v19, v20, v18
	v_mov_b32_e32 v15, 0xbb360b61
	v_cmp_lt_f32_e64 s[8:9], |v14|, s8
	v_fmac_f32_e32 v15, v20, v19
	v_cndmask_b32_e64 v19, 0, 32, s[8:9]
	v_ldexp_f32 v19, |v14|, v19
	v_log_f32_e32 v19, v19
	v_mov_b32_e32 v18, 0x3daaaaab
	v_fmac_f32_e32 v18, v20, v15
	v_mov_b32_e32 v15, 0x3ed67f1d
	v_fmac_f32_e32 v15, v17, v18
	s_mov_b32 s10, 0x3f317217
	v_mul_f32_e32 v18, 0x3f317217, v19
	v_fma_f32 v20, v19, s10, -v18
	v_fmac_f32_e32 v20, 0x3377d1cf, v19
	s_mov_b32 s10, 0x7f800000
	v_add_f32_e32 v18, v18, v20
	v_cmp_lt_f32_e64 s[10:11], |v19|, s10
	v_cndmask_b32_e64 v18, v19, v18, s[10:11]
	v_mov_b32_e32 v19, 0x41b17218
	v_cndmask_b32_e64 v19, 0, v19, s[8:9]
	v_sub_f32_e32 v18, v18, v19
	v_add_f32_e64 v17, |v14|, -0.5
	v_add_f32_e32 v18, -1.0, v18
	v_fmac_f32_e32 v15, v17, v18
.LBB150_124:
	s_or_b64 exec, exec, s[20:21]
.LBB150_125:
	s_andn2_saveexec_b64 s[16:17], s[16:17]
	s_cbranch_execz .LBB150_127
; %bb.126:
	v_cvt_i32_f32_e32 v15, v16
	v_mov_b32_e32 v17, 0x3af135b4
	v_mov_b32_e32 v18, 0x3cda40e4
	;; [unrolled: 1-line block ×3, first 2 shown]
	v_cvt_f32_i32_e32 v20, v15
	v_mov_b32_e32 v21, 0x3ea6cc7a
	v_mov_b32_e32 v22, 0x3e5c245a
	v_cmp_lt_i32_e64 s[8:9], 2, v15
	v_sub_f32_e64 v20, |v14|, v20
	v_fmac_f32_e32 v17, 0x3805ff67, v20
	v_fmac_f32_e32 v18, v20, v17
	;; [unrolled: 1-line block ×3, first 2 shown]
	v_mov_b32_e32 v18, 0x3a4beed6
	v_fmac_f32_e32 v21, v20, v19
	v_fmac_f32_e32 v18, 0x36f5d7bd, v20
	v_mov_b32_e32 v19, 0x3c98bf54
	v_fmac_f32_e32 v19, v20, v18
	v_mov_b32_e32 v18, 0x3e300f6e
	;; [unrolled: 2-line block ×4, first 2 shown]
	v_fmac_f32_e32 v18, v20, v19
	v_add_f32_e32 v19, 2.0, v20
	v_mov_b32_e32 v23, 0xbd9e233f
	v_fmac_f32_e32 v22, v20, v21
	v_add_f32_e32 v21, 0x40400000, v20
	v_cndmask_b32_e64 v19, 1.0, v19, s[8:9]
	v_cmp_lt_i32_e64 s[8:9], 3, v15
	v_fmac_f32_e32 v23, v20, v22
	v_add_f32_e32 v22, 4.0, v20
	v_cndmask_b32_e64 v21, 1.0, v21, s[8:9]
	v_cmp_lt_i32_e64 s[8:9], 4, v15
	v_mul_f32_e32 v17, v20, v23
	v_add_f32_e32 v23, 0x40a00000, v20
	v_mul_f32_e32 v19, v19, v21
	v_cndmask_b32_e64 v21, 1.0, v22, s[8:9]
	v_cmp_lt_i32_e64 s[8:9], 5, v15
	v_add_f32_e32 v24, 0x40c00000, v20
	v_mul_f32_e32 v19, v21, v19
	v_cndmask_b32_e64 v21, 1.0, v23, s[8:9]
	v_cmp_lt_i32_e64 s[8:9], 6, v15
	v_mul_f32_e32 v19, v21, v19
	v_cndmask_b32_e64 v15, 1.0, v24, s[8:9]
	v_mul_f32_e32 v15, v15, v19
	s_mov_b32 s8, 0x800000
	v_cmp_gt_f32_e64 s[8:9], s8, v15
	v_cndmask_b32_e64 v19, 0, 32, s[8:9]
	v_fma_f32 v18, v20, v18, 1.0
	v_ldexp_f32 v15, v15, v19
	v_rcp_f32_e32 v18, v18
	v_log_f32_e32 v15, v15
	s_mov_b32 s10, 0x3f317217
	v_mul_f32_e32 v17, v17, v18
	v_mul_f32_e32 v18, 0x3f317217, v15
	v_fma_f32 v19, v15, s10, -v18
	v_fmac_f32_e32 v19, 0x3377d1cf, v15
	s_mov_b32 s10, 0x7f800000
	v_add_f32_e32 v18, v18, v19
	v_cmp_lt_f32_e64 s[10:11], |v15|, s10
	v_cndmask_b32_e64 v15, v15, v18, s[10:11]
	v_mov_b32_e32 v18, 0x41b17218
	v_cndmask_b32_e64 v18, 0, v18, s[8:9]
	v_fmac_f32_e32 v17, 0.5, v20
	v_sub_f32_e32 v15, v15, v18
	v_add_f32_e32 v15, v15, v17
.LBB150_127:
	s_or_b64 exec, exec, s[16:17]
.LBB150_128:
	s_andn2_saveexec_b64 s[14:15], s[14:15]
	s_cbranch_execz .LBB150_146
; %bb.129:
	s_mov_b32 s8, 0x3f666666
	v_cmp_le_f32_e64 s[8:9], |v14|, s8
                                        ; implicit-def: $vgpr15
                                        ; implicit-def: $vgpr18
                                        ; implicit-def: $vgpr17
	s_and_saveexec_b64 s[10:11], s[8:9]
	s_xor_b64 s[16:17], exec, s[10:11]
	s_cbranch_execz .LBB150_131
; %bb.130:
	s_mov_b32 s8, 0x800000
	v_cmp_lt_f32_e64 s[8:9], |v14|, s8
	v_cndmask_b32_e64 v15, 0, 32, s[8:9]
	v_ldexp_f32 v15, |v14|, v15
	v_log_f32_e32 v15, v15
	s_mov_b32 s10, 0x3f317217
	s_mov_b32 s11, 0x7f800000
	v_mul_f32_e32 v17, 0x3f317217, v15
	v_fma_f32 v18, v15, s10, -v17
	v_fmac_f32_e32 v18, 0x3377d1cf, v15
	v_add_f32_e32 v17, v17, v18
	v_cmp_lt_f32_e64 s[10:11], |v15|, s11
	v_cndmask_b32_e64 v15, v15, v17, s[10:11]
	v_mov_b32_e32 v17, 0x41b17218
	v_cndmask_b32_e64 v17, 0, v17, s[8:9]
	s_mov_b32 s8, 0x3f3b4a23
	s_mov_b32 s9, 0xbeec5b0c
	v_sub_f32_e32 v15, v15, v17
	v_sub_f32_e64 v17, 1.0, |v14|
	v_add_f32_e64 v18, |v14|, s9
	v_cmp_lt_f32_e64 s[8:9], |v14|, s8
	v_cndmask_b32_e64 v17, v17, v18, s[8:9]
	v_cndmask_b32_e64 v18, 0, 1, s[8:9]
	s_mov_b32 s8, 0x3e6d3309
	v_cmp_lt_f32_e64 s[8:9], |v14|, s8
	v_xor_b32_e32 v15, 0x80000000, v15
	v_cndmask_b32_e64 v17, v17, |v14|, s[8:9]
	v_cndmask_b32_e64 v18, v18, 2, s[8:9]
.LBB150_131:
	s_andn2_saveexec_b64 s[10:11], s[16:17]
	s_cbranch_execz .LBB150_133
; %bb.132:
	s_mov_b32 s8, 0x3fdda512
	s_mov_b32 s9, 0xbfbb16c3
	v_sub_f32_e64 v15, 2.0, |v14|
	v_add_f32_e64 v17, |v14|, s9
	v_cmp_lt_f32_e64 s[8:9], |v14|, s8
	v_cndmask_b32_e64 v17, v15, v17, s[8:9]
	v_cndmask_b32_e64 v15, v15, 1.0, s[8:9]
	v_cvt_i32_f32_e32 v15, v15
	s_mov_b32 s8, 0x3f9d70a4
	v_add_f32_e64 v18, |v14|, -1.0
	v_cmp_lt_f32_e64 s[8:9], |v14|, s8
	v_cndmask_b32_e64 v17, v17, v18, s[8:9]
	v_cndmask_b32_e64 v18, v15, 2, s[8:9]
	v_mov_b32_e32 v15, 0
.LBB150_133:
	s_or_b64 exec, exec, s[10:11]
	v_cmp_lt_i32_e64 s[8:9], 0, v18
	s_and_saveexec_b64 s[10:11], s[8:9]
	s_xor_b64 s[10:11], exec, s[10:11]
	s_cbranch_execz .LBB150_141
; %bb.134:
	v_cmp_lt_i32_e64 s[8:9], 1, v18
	s_and_saveexec_b64 s[16:17], s[8:9]
	s_xor_b64 s[16:17], exec, s[16:17]
	s_cbranch_execz .LBB150_138
; %bb.135:
	v_cmp_eq_u32_e64 s[8:9], 2, v18
	s_and_saveexec_b64 s[20:21], s[8:9]
	s_cbranch_execz .LBB150_137
; %bb.136:
	v_mov_b32_e32 v18, 0x3e6a7578
	v_fmac_f32_e32 v18, 0x3c5b3c5e, v17
	v_mov_b32_e32 v19, 0x3f7a4bb2
	v_fmac_f32_e32 v19, v17, v18
	;; [unrolled: 2-line block ×8, first 2 shown]
	v_fma_f32 v18, v17, v20, 1.0
	v_rcp_f32_e32 v18, v18
	v_mov_b32_e32 v20, 0xbd9e233f
	v_fmac_f32_e32 v20, v17, v19
	v_mul_f32_e32 v19, v17, v20
	v_mul_f32_e32 v18, v19, v18
	v_fmac_f32_e32 v18, -0.5, v17
	v_add_f32_e32 v15, v15, v18
.LBB150_137:
	s_or_b64 exec, exec, s[20:21]
                                        ; implicit-def: $vgpr17
.LBB150_138:
	s_andn2_saveexec_b64 s[8:9], s[16:17]
	s_cbranch_execz .LBB150_140
; %bb.139:
	v_mul_f32_e32 v18, v17, v17
	v_mul_f32_e32 v19, v17, v18
	v_mov_b32_e32 v20, 0xbab7f476
	v_fmac_f32_e32 v20, 0x39a57b6b, v19
	v_mov_b32_e32 v21, 0x3bc7e707
	v_fmac_f32_e32 v21, v19, v20
	;; [unrolled: 2-line block ×12, first 2 shown]
	v_fmac_f32_e32 v22, v17, v23
	s_mov_b32 s16, 0xa2863e55
	v_fma_f32 v17, v19, -v22, s16
	v_fma_f32 v17, v18, v21, -v17
	v_add_f32_e32 v17, 0xbdf8cdce, v17
	v_add_f32_e32 v15, v15, v17
.LBB150_140:
	s_or_b64 exec, exec, s[8:9]
                                        ; implicit-def: $vgpr18
                                        ; implicit-def: $vgpr17
.LBB150_141:
	s_andn2_saveexec_b64 s[10:11], s[10:11]
	s_cbranch_execz .LBB150_145
; %bb.142:
	v_cmp_eq_u32_e64 s[8:9], 0, v18
	s_and_saveexec_b64 s[16:17], s[8:9]
	s_cbranch_execz .LBB150_144
; %bb.143:
	v_mul_f32_e32 v18, v17, v17
	v_mov_b32_e32 v19, 0x39679767
	v_fmac_f32_e32 v19, 0x37d383a2, v18
	v_mov_b32_e32 v20, 0x3a9c54a1
	v_fmac_f32_e32 v20, v18, v19
	;; [unrolled: 2-line block ×10, first 2 shown]
	v_mul_f32_e32 v18, v18, v20
	v_fmac_f32_e32 v18, v17, v19
	v_fmac_f32_e32 v18, -0.5, v17
	v_add_f32_e32 v15, v15, v18
.LBB150_144:
	s_or_b64 exec, exec, s[16:17]
.LBB150_145:
	s_or_b64 exec, exec, s[10:11]
.LBB150_146:
	s_or_b64 exec, exec, s[14:15]
.LBB150_147:
	s_andn2_saveexec_b64 s[12:13], s[12:13]
	s_cbranch_execz .LBB150_149
; %bb.148:
	s_mov_b32 s8, 0x3e8a8991
	v_mov_b32_e32 v15, 0xbecd26ab
	v_fma_f32 v15, |v14|, s8, v15
	s_mov_b32 s8, 0x3f528d33
	v_fma_f32 v15, |v14|, v15, s8
	s_mov_b32 s8, 0x800000
	v_cmp_lt_f32_e64 s[8:9], |v14|, s8
	v_cndmask_b32_e64 v17, 0, 32, s[8:9]
	v_ldexp_f32 v17, |v14|, v17
	v_log_f32_e32 v17, v17
	s_mov_b32 s10, 0xbf13c468
	v_fma_f32 v15, |v14|, v15, s10
	s_mov_b32 s10, 0x3f317217
	v_mul_f32_e32 v18, 0x3f317217, v17
	v_fma_f32 v19, v17, s10, -v18
	v_fmac_f32_e32 v19, 0x3377d1cf, v17
	s_mov_b32 s10, 0x7f800000
	v_add_f32_e32 v18, v18, v19
	v_cmp_lt_f32_e64 s[10:11], |v17|, s10
	v_cndmask_b32_e64 v17, v17, v18, s[10:11]
	v_mov_b32_e32 v18, 0x41b17218
	v_cndmask_b32_e64 v18, 0, v18, s[8:9]
	v_sub_f32_e32 v17, v17, v18
	v_fma_f32 v15, |v14|, v15, -v17
.LBB150_149:
	s_or_b64 exec, exec, s[12:13]
	v_cmp_le_f16_e64 s[8:9], 0, v13
	v_cmp_nle_f16_e64 s[10:11], 0, v13
	s_and_saveexec_b64 s[12:13], s[10:11]
	s_xor_b64 s[14:15], exec, s[12:13]
	s_cbranch_execz .LBB150_153
; %bb.150:
	s_mov_b32 s10, 0x4b000000
	s_mov_b32 s12, 0x35000000
	v_cmp_lt_f32_e64 s[10:11], |v14|, s10
	v_cmp_gt_f32_e64 s[12:13], |v14|, s12
	s_and_b64 s[10:11], s[10:11], s[12:13]
	s_and_saveexec_b64 s[16:17], s[10:11]
	s_cbranch_execz .LBB150_152
; %bb.151:
	v_mul_f32_e64 v17, |v14|, 0.5
	v_floor_f32_e32 v18, v17
	v_sub_f32_e32 v18, v17, v18
	v_min_f32_e32 v18, 0x3f7fffff, v18
	s_mov_b32 s12, 0x7f800000
	v_add_f32_e32 v18, v18, v18
	v_cmp_neq_f32_e64 s[10:11], s12, v17
	v_cndmask_b32_e64 v17, 0, v18, s[10:11]
	v_cmp_gt_f32_e64 s[10:11], |v14|, 1.0
	v_cndmask_b32_e64 v17, |v14|, v17, s[10:11]
	v_add_f32_e32 v18, v17, v17
	v_rndne_f32_e32 v18, v18
	v_fmac_f32_e32 v17, -0.5, v18
	v_mul_f32_e32 v19, v17, v17
	v_mov_b32_e32 v20, 0xbf1f24be
	v_fmac_f32_e32 v20, 0x3e75aa41, v19
	v_mov_b32_e32 v21, 0x40234736
	v_fmac_f32_e32 v21, v19, v20
	;; [unrolled: 2-line block ×3, first 2 shown]
	v_mul_f32_e32 v21, v17, v19
	v_mul_f32_e32 v20, v21, v20
	v_fmac_f32_e32 v20, 0x40490fdb, v17
	v_mov_b32_e32 v17, 0x3e642e9d
	v_cvt_i32_f32_e32 v18, v18
	v_fmac_f32_e32 v17, 0x3d4be544, v19
	v_mov_b32_e32 v21, 0xbfaad1da
	v_fmac_f32_e32 v21, v19, v17
	v_mov_b32_e32 v17, 0x4081e0d3
	;; [unrolled: 2-line block ×3, first 2 shown]
	v_fmac_f32_e32 v21, v19, v17
	v_fma_f32 v17, v19, v21, 1.0
	v_and_b32_e32 v19, 1, v18
	v_lshlrev_b32_e32 v18, 30, v18
	v_cmp_eq_u32_e64 s[10:11], 0, v19
	v_and_b32_e32 v18, 0x80000000, v18
	v_xor_b32_e32 v16, v16, v14
	v_cndmask_b32_e64 v17, v17, v20, s[10:11]
	v_xor_b32_e32 v16, v16, v18
	v_xor_b32_e32 v16, v16, v17
	v_mul_f32_e32 v16, v14, v16
	v_frexp_mant_f32_e64 v17, |v16|
	v_rcp_f32_e32 v17, v17
	v_frexp_exp_i32_f32_e32 v16, v16
	v_sub_u32_e32 v16, 2, v16
	s_mov_b32 s10, 0x800000
	v_mul_f32_e32 v17, 0x3f490fdb, v17
	v_ldexp_f32 v16, v17, v16
	v_cmp_gt_f32_e64 s[10:11], s10, v16
	v_cndmask_b32_e64 v17, 0, 32, s[10:11]
	v_ldexp_f32 v16, v16, v17
	v_log_f32_e32 v16, v16
	s_mov_b32 s13, 0x3f317217
	v_mul_f32_e32 v17, 0x3f317217, v16
	v_fma_f32 v18, v16, s13, -v17
	v_fmac_f32_e32 v18, 0x3377d1cf, v16
	v_add_f32_e32 v17, v17, v18
	v_cmp_lt_f32_e64 s[12:13], |v16|, s12
	v_cndmask_b32_e64 v16, v16, v17, s[12:13]
	v_mov_b32_e32 v17, 0x41b17218
	v_cndmask_b32_e64 v17, 0, v17, s[10:11]
	v_sub_f32_e32 v16, v16, v17
	v_sub_f32_e32 v15, v16, v15
	v_floor_f32_e32 v16, v14
	v_sub_f32_e32 v16, v14, v16
	v_min_f32_e32 v16, 0x3f7fffff, v16
	v_mov_b32_e32 v17, 0x7f800000
	v_cmp_neq_f32_e64 s[10:11], 0, v16
	v_cndmask_b32_e64 v15, v17, v15, s[10:11]
.LBB150_152:
	s_or_b64 exec, exec, s[16:17]
.LBB150_153:
	s_andn2_saveexec_b64 s[14:15], s[14:15]
; %bb.154:
	v_cmp_eq_f16_e64 s[10:11], 1.0, v13
	v_cmp_eq_f16_e64 s[12:13], 2.0, v13
	s_or_b64 s[10:11], s[10:11], s[12:13]
	v_cndmask_b32_e64 v15, v15, 0, s[10:11]
; %bb.155:
	s_or_b64 exec, exec, s[14:15]
	s_waitcnt vmcnt(1)
	v_cvt_f32_f16_e32 v16, v5
	s_mov_b32 s10, 0x3c800000
                                        ; implicit-def: $vgpr17
	v_and_b32_e32 v18, 0x7fffffff, v16
	v_cmp_nlt_f32_e64 s[10:11], |v16|, s10
	s_and_saveexec_b64 s[12:13], s[10:11]
	s_xor_b64 s[14:15], exec, s[12:13]
	s_cbranch_execz .LBB150_185
; %bb.156:
	v_cmp_nlt_f32_e64 s[10:11], |v16|, 2.0
                                        ; implicit-def: $vgpr17
	s_and_saveexec_b64 s[12:13], s[10:11]
	s_xor_b64 s[16:17], exec, s[12:13]
	s_cbranch_execz .LBB150_166
; %bb.157:
	s_mov_b32 s10, 0x41000000
	v_cmp_nlt_f32_e64 s[10:11], |v16|, s10
                                        ; implicit-def: $vgpr17
	s_and_saveexec_b64 s[12:13], s[10:11]
	s_xor_b64 s[20:21], exec, s[12:13]
	s_cbranch_execz .LBB150_163
; %bb.158:
	s_mov_b32 s10, 0x5c800000
	v_cmp_nlt_f32_e64 s[10:11], |v16|, s10
                                        ; implicit-def: $vgpr17
	s_and_saveexec_b64 s[12:13], s[10:11]
	s_xor_b64 s[22:23], exec, s[12:13]
	s_cbranch_execz .LBB150_160
; %bb.159:
	s_mov_b32 s10, 0x800000
	v_cmp_lt_f32_e64 s[10:11], |v16|, s10
	v_cndmask_b32_e64 v17, 0, 32, s[10:11]
	v_ldexp_f32 v17, |v16|, v17
	v_log_f32_e32 v17, v17
	s_mov_b32 s12, 0x3f317217
	s_mov_b32 s13, 0x7f800000
	v_mul_f32_e32 v19, 0x3f317217, v17
	v_fma_f32 v20, v17, s12, -v19
	v_fmac_f32_e32 v20, 0x3377d1cf, v17
	v_add_f32_e32 v19, v19, v20
	v_cmp_lt_f32_e64 s[12:13], |v17|, s13
	v_cndmask_b32_e64 v17, v17, v19, s[12:13]
	v_mov_b32_e32 v19, 0x41b17218
	v_cndmask_b32_e64 v19, 0, v19, s[10:11]
	v_sub_f32_e32 v17, v17, v19
	v_fma_f32 v17, |v16|, v17, -|v16|
.LBB150_160:
	s_andn2_saveexec_b64 s[22:23], s[22:23]
	s_cbranch_execz .LBB150_162
; %bb.161:
	v_rcp_f32_e64 v19, |v16|
	v_mov_b32_e32 v17, 0x3a5b3dd2
	v_mov_b32_e32 v20, 0xba1c065c
	v_mov_b32_e32 v21, 0x3a500cfd
	v_mul_f32_e32 v22, v19, v19
	v_fmac_f32_e32 v17, 0xbad5c4e8, v22
	v_fmac_f32_e32 v20, v22, v17
	s_mov_b32 s10, 0x800000
	v_fmac_f32_e32 v21, v22, v20
	v_mov_b32_e32 v17, 0xbb360b61
	v_cmp_lt_f32_e64 s[10:11], |v16|, s10
	v_fmac_f32_e32 v17, v22, v21
	v_cndmask_b32_e64 v21, 0, 32, s[10:11]
	v_ldexp_f32 v21, |v16|, v21
	v_log_f32_e32 v21, v21
	v_mov_b32_e32 v20, 0x3daaaaab
	v_fmac_f32_e32 v20, v22, v17
	v_mov_b32_e32 v17, 0x3ed67f1d
	v_fmac_f32_e32 v17, v19, v20
	s_mov_b32 s12, 0x3f317217
	v_mul_f32_e32 v20, 0x3f317217, v21
	v_fma_f32 v22, v21, s12, -v20
	v_fmac_f32_e32 v22, 0x3377d1cf, v21
	s_mov_b32 s12, 0x7f800000
	v_add_f32_e32 v20, v20, v22
	v_cmp_lt_f32_e64 s[12:13], |v21|, s12
	v_cndmask_b32_e64 v20, v21, v20, s[12:13]
	v_mov_b32_e32 v21, 0x41b17218
	v_cndmask_b32_e64 v21, 0, v21, s[10:11]
	v_sub_f32_e32 v20, v20, v21
	v_add_f32_e64 v19, |v16|, -0.5
	v_add_f32_e32 v20, -1.0, v20
	v_fmac_f32_e32 v17, v19, v20
.LBB150_162:
	s_or_b64 exec, exec, s[22:23]
.LBB150_163:
	s_andn2_saveexec_b64 s[20:21], s[20:21]
	s_cbranch_execz .LBB150_165
; %bb.164:
	v_cvt_i32_f32_e32 v17, v18
	v_mov_b32_e32 v19, 0x3af135b4
	v_mov_b32_e32 v20, 0x3cda40e4
	;; [unrolled: 1-line block ×3, first 2 shown]
	v_cvt_f32_i32_e32 v22, v17
	v_mov_b32_e32 v23, 0x3ea6cc7a
	v_mov_b32_e32 v24, 0x3e5c245a
	v_cmp_lt_i32_e64 s[10:11], 2, v17
	v_sub_f32_e64 v22, |v16|, v22
	v_fmac_f32_e32 v19, 0x3805ff67, v22
	v_fmac_f32_e32 v20, v22, v19
	;; [unrolled: 1-line block ×3, first 2 shown]
	v_mov_b32_e32 v20, 0x3a4beed6
	v_fmac_f32_e32 v23, v22, v21
	v_fmac_f32_e32 v20, 0x36f5d7bd, v22
	v_mov_b32_e32 v21, 0x3c98bf54
	v_fmac_f32_e32 v21, v22, v20
	v_mov_b32_e32 v20, 0x3e300f6e
	;; [unrolled: 2-line block ×4, first 2 shown]
	v_fmac_f32_e32 v20, v22, v21
	v_add_f32_e32 v21, 2.0, v22
	v_mov_b32_e32 v25, 0xbd9e233f
	v_fmac_f32_e32 v24, v22, v23
	v_add_f32_e32 v23, 0x40400000, v22
	v_cndmask_b32_e64 v21, 1.0, v21, s[10:11]
	v_cmp_lt_i32_e64 s[10:11], 3, v17
	v_fmac_f32_e32 v25, v22, v24
	v_add_f32_e32 v24, 4.0, v22
	v_cndmask_b32_e64 v23, 1.0, v23, s[10:11]
	v_cmp_lt_i32_e64 s[10:11], 4, v17
	v_mul_f32_e32 v19, v22, v25
	v_add_f32_e32 v25, 0x40a00000, v22
	v_mul_f32_e32 v21, v21, v23
	v_cndmask_b32_e64 v23, 1.0, v24, s[10:11]
	v_cmp_lt_i32_e64 s[10:11], 5, v17
	v_add_f32_e32 v26, 0x40c00000, v22
	v_mul_f32_e32 v21, v23, v21
	v_cndmask_b32_e64 v23, 1.0, v25, s[10:11]
	v_cmp_lt_i32_e64 s[10:11], 6, v17
	v_mul_f32_e32 v21, v23, v21
	v_cndmask_b32_e64 v17, 1.0, v26, s[10:11]
	v_mul_f32_e32 v17, v17, v21
	s_mov_b32 s10, 0x800000
	v_cmp_gt_f32_e64 s[10:11], s10, v17
	v_cndmask_b32_e64 v21, 0, 32, s[10:11]
	v_fma_f32 v20, v22, v20, 1.0
	v_ldexp_f32 v17, v17, v21
	v_rcp_f32_e32 v20, v20
	v_log_f32_e32 v17, v17
	s_mov_b32 s12, 0x3f317217
	v_mul_f32_e32 v19, v19, v20
	v_mul_f32_e32 v20, 0x3f317217, v17
	v_fma_f32 v21, v17, s12, -v20
	v_fmac_f32_e32 v21, 0x3377d1cf, v17
	s_mov_b32 s12, 0x7f800000
	v_add_f32_e32 v20, v20, v21
	v_cmp_lt_f32_e64 s[12:13], |v17|, s12
	v_cndmask_b32_e64 v17, v17, v20, s[12:13]
	v_mov_b32_e32 v20, 0x41b17218
	v_cndmask_b32_e64 v20, 0, v20, s[10:11]
	v_fmac_f32_e32 v19, 0.5, v22
	v_sub_f32_e32 v17, v17, v20
	v_add_f32_e32 v17, v17, v19
.LBB150_165:
	s_or_b64 exec, exec, s[20:21]
.LBB150_166:
	s_andn2_saveexec_b64 s[16:17], s[16:17]
	s_cbranch_execz .LBB150_184
; %bb.167:
	s_mov_b32 s10, 0x3f666666
	v_cmp_le_f32_e64 s[10:11], |v16|, s10
                                        ; implicit-def: $vgpr17
                                        ; implicit-def: $vgpr20
                                        ; implicit-def: $vgpr19
	s_and_saveexec_b64 s[12:13], s[10:11]
	s_xor_b64 s[20:21], exec, s[12:13]
	s_cbranch_execz .LBB150_169
; %bb.168:
	s_mov_b32 s10, 0x800000
	v_cmp_lt_f32_e64 s[10:11], |v16|, s10
	v_cndmask_b32_e64 v17, 0, 32, s[10:11]
	v_ldexp_f32 v17, |v16|, v17
	v_log_f32_e32 v17, v17
	s_mov_b32 s12, 0x3f317217
	s_mov_b32 s13, 0x7f800000
	v_mul_f32_e32 v19, 0x3f317217, v17
	v_fma_f32 v20, v17, s12, -v19
	v_fmac_f32_e32 v20, 0x3377d1cf, v17
	v_add_f32_e32 v19, v19, v20
	v_cmp_lt_f32_e64 s[12:13], |v17|, s13
	v_cndmask_b32_e64 v17, v17, v19, s[12:13]
	v_mov_b32_e32 v19, 0x41b17218
	v_cndmask_b32_e64 v19, 0, v19, s[10:11]
	s_mov_b32 s10, 0x3f3b4a23
	s_mov_b32 s11, 0xbeec5b0c
	v_sub_f32_e32 v17, v17, v19
	v_sub_f32_e64 v19, 1.0, |v16|
	v_add_f32_e64 v20, |v16|, s11
	v_cmp_lt_f32_e64 s[10:11], |v16|, s10
	v_cndmask_b32_e64 v19, v19, v20, s[10:11]
	v_cndmask_b32_e64 v20, 0, 1, s[10:11]
	s_mov_b32 s10, 0x3e6d3309
	v_cmp_lt_f32_e64 s[10:11], |v16|, s10
	v_xor_b32_e32 v17, 0x80000000, v17
	v_cndmask_b32_e64 v19, v19, |v16|, s[10:11]
	v_cndmask_b32_e64 v20, v20, 2, s[10:11]
.LBB150_169:
	s_andn2_saveexec_b64 s[12:13], s[20:21]
	s_cbranch_execz .LBB150_171
; %bb.170:
	s_mov_b32 s10, 0x3fdda512
	s_mov_b32 s11, 0xbfbb16c3
	v_sub_f32_e64 v17, 2.0, |v16|
	v_add_f32_e64 v19, |v16|, s11
	v_cmp_lt_f32_e64 s[10:11], |v16|, s10
	v_cndmask_b32_e64 v19, v17, v19, s[10:11]
	v_cndmask_b32_e64 v17, v17, 1.0, s[10:11]
	v_cvt_i32_f32_e32 v17, v17
	s_mov_b32 s10, 0x3f9d70a4
	v_add_f32_e64 v20, |v16|, -1.0
	v_cmp_lt_f32_e64 s[10:11], |v16|, s10
	v_cndmask_b32_e64 v19, v19, v20, s[10:11]
	v_cndmask_b32_e64 v20, v17, 2, s[10:11]
	v_mov_b32_e32 v17, 0
.LBB150_171:
	s_or_b64 exec, exec, s[12:13]
	v_cmp_lt_i32_e64 s[10:11], 0, v20
	s_and_saveexec_b64 s[12:13], s[10:11]
	s_xor_b64 s[12:13], exec, s[12:13]
	s_cbranch_execz .LBB150_179
; %bb.172:
	v_cmp_lt_i32_e64 s[10:11], 1, v20
	s_and_saveexec_b64 s[20:21], s[10:11]
	s_xor_b64 s[20:21], exec, s[20:21]
	s_cbranch_execz .LBB150_176
; %bb.173:
	v_cmp_eq_u32_e64 s[10:11], 2, v20
	s_and_saveexec_b64 s[22:23], s[10:11]
	s_cbranch_execz .LBB150_175
; %bb.174:
	v_mov_b32_e32 v20, 0x3e6a7578
	v_fmac_f32_e32 v20, 0x3c5b3c5e, v19
	v_mov_b32_e32 v21, 0x3f7a4bb2
	v_fmac_f32_e32 v21, v19, v20
	;; [unrolled: 2-line block ×8, first 2 shown]
	v_fma_f32 v20, v19, v22, 1.0
	v_rcp_f32_e32 v20, v20
	v_mov_b32_e32 v22, 0xbd9e233f
	v_fmac_f32_e32 v22, v19, v21
	v_mul_f32_e32 v21, v19, v22
	v_mul_f32_e32 v20, v21, v20
	v_fmac_f32_e32 v20, -0.5, v19
	v_add_f32_e32 v17, v17, v20
.LBB150_175:
	s_or_b64 exec, exec, s[22:23]
                                        ; implicit-def: $vgpr19
.LBB150_176:
	s_andn2_saveexec_b64 s[10:11], s[20:21]
	s_cbranch_execz .LBB150_178
; %bb.177:
	v_mul_f32_e32 v20, v19, v19
	v_mul_f32_e32 v21, v19, v20
	v_mov_b32_e32 v22, 0xbab7f476
	v_fmac_f32_e32 v22, 0x39a57b6b, v21
	v_mov_b32_e32 v23, 0x3bc7e707
	v_fmac_f32_e32 v23, v21, v22
	;; [unrolled: 2-line block ×12, first 2 shown]
	v_fmac_f32_e32 v24, v19, v25
	s_mov_b32 s20, 0xa2863e55
	v_fma_f32 v19, v21, -v24, s20
	v_fma_f32 v19, v20, v23, -v19
	v_add_f32_e32 v19, 0xbdf8cdce, v19
	v_add_f32_e32 v17, v17, v19
.LBB150_178:
	s_or_b64 exec, exec, s[10:11]
                                        ; implicit-def: $vgpr20
                                        ; implicit-def: $vgpr19
.LBB150_179:
	s_andn2_saveexec_b64 s[12:13], s[12:13]
	s_cbranch_execz .LBB150_183
; %bb.180:
	v_cmp_eq_u32_e64 s[10:11], 0, v20
	s_and_saveexec_b64 s[20:21], s[10:11]
	s_cbranch_execz .LBB150_182
; %bb.181:
	v_mul_f32_e32 v20, v19, v19
	v_mov_b32_e32 v21, 0x39679767
	v_fmac_f32_e32 v21, 0x37d383a2, v20
	v_mov_b32_e32 v22, 0x3a9c54a1
	v_fmac_f32_e32 v22, v20, v21
	;; [unrolled: 2-line block ×10, first 2 shown]
	v_mul_f32_e32 v20, v20, v22
	v_fmac_f32_e32 v20, v19, v21
	v_fmac_f32_e32 v20, -0.5, v19
	v_add_f32_e32 v17, v17, v20
.LBB150_182:
	s_or_b64 exec, exec, s[20:21]
.LBB150_183:
	s_or_b64 exec, exec, s[12:13]
.LBB150_184:
	s_or_b64 exec, exec, s[16:17]
.LBB150_185:
	s_andn2_saveexec_b64 s[14:15], s[14:15]
	s_cbranch_execz .LBB150_187
; %bb.186:
	s_mov_b32 s10, 0x3e8a8991
	v_mov_b32_e32 v17, 0xbecd26ab
	v_fma_f32 v17, |v16|, s10, v17
	s_mov_b32 s10, 0x3f528d33
	v_fma_f32 v17, |v16|, v17, s10
	s_mov_b32 s10, 0x800000
	v_cmp_lt_f32_e64 s[10:11], |v16|, s10
	v_cndmask_b32_e64 v19, 0, 32, s[10:11]
	v_ldexp_f32 v19, |v16|, v19
	v_log_f32_e32 v19, v19
	s_mov_b32 s12, 0xbf13c468
	v_fma_f32 v17, |v16|, v17, s12
	s_mov_b32 s12, 0x3f317217
	v_mul_f32_e32 v20, 0x3f317217, v19
	v_fma_f32 v21, v19, s12, -v20
	v_fmac_f32_e32 v21, 0x3377d1cf, v19
	s_mov_b32 s12, 0x7f800000
	v_add_f32_e32 v20, v20, v21
	v_cmp_lt_f32_e64 s[12:13], |v19|, s12
	v_cndmask_b32_e64 v19, v19, v20, s[12:13]
	v_mov_b32_e32 v20, 0x41b17218
	v_cndmask_b32_e64 v20, 0, v20, s[10:11]
	v_sub_f32_e32 v19, v19, v20
	v_fma_f32 v17, |v16|, v17, -v19
.LBB150_187:
	s_or_b64 exec, exec, s[14:15]
	v_cmp_le_f16_e64 s[10:11], 0, v5
	v_cmp_nle_f16_e64 s[12:13], 0, v5
	s_and_saveexec_b64 s[14:15], s[12:13]
	s_xor_b64 s[16:17], exec, s[14:15]
	s_cbranch_execz .LBB150_191
; %bb.188:
	s_mov_b32 s12, 0x4b000000
	s_mov_b32 s14, 0x35000000
	v_cmp_lt_f32_e64 s[12:13], |v16|, s12
	v_cmp_gt_f32_e64 s[14:15], |v16|, s14
	s_and_b64 s[12:13], s[12:13], s[14:15]
	s_and_saveexec_b64 s[20:21], s[12:13]
	s_cbranch_execz .LBB150_190
; %bb.189:
	v_mul_f32_e64 v19, |v16|, 0.5
	v_floor_f32_e32 v20, v19
	v_sub_f32_e32 v20, v19, v20
	v_min_f32_e32 v20, 0x3f7fffff, v20
	s_mov_b32 s14, 0x7f800000
	v_add_f32_e32 v20, v20, v20
	v_cmp_neq_f32_e64 s[12:13], s14, v19
	v_cndmask_b32_e64 v19, 0, v20, s[12:13]
	v_cmp_gt_f32_e64 s[12:13], |v16|, 1.0
	v_cndmask_b32_e64 v19, |v16|, v19, s[12:13]
	v_add_f32_e32 v20, v19, v19
	v_rndne_f32_e32 v20, v20
	v_fmac_f32_e32 v19, -0.5, v20
	v_mul_f32_e32 v21, v19, v19
	v_mov_b32_e32 v22, 0xbf1f24be
	v_fmac_f32_e32 v22, 0x3e75aa41, v21
	v_mov_b32_e32 v23, 0x40234736
	v_fmac_f32_e32 v23, v21, v22
	;; [unrolled: 2-line block ×3, first 2 shown]
	v_mul_f32_e32 v23, v19, v21
	v_mul_f32_e32 v22, v23, v22
	v_fmac_f32_e32 v22, 0x40490fdb, v19
	v_mov_b32_e32 v19, 0x3e642e9d
	v_cvt_i32_f32_e32 v20, v20
	v_fmac_f32_e32 v19, 0x3d4be544, v21
	v_mov_b32_e32 v23, 0xbfaad1da
	v_fmac_f32_e32 v23, v21, v19
	v_mov_b32_e32 v19, 0x4081e0d3
	;; [unrolled: 2-line block ×3, first 2 shown]
	v_fmac_f32_e32 v23, v21, v19
	v_fma_f32 v19, v21, v23, 1.0
	v_and_b32_e32 v21, 1, v20
	v_lshlrev_b32_e32 v20, 30, v20
	v_cmp_eq_u32_e64 s[12:13], 0, v21
	v_and_b32_e32 v20, 0x80000000, v20
	v_xor_b32_e32 v18, v18, v16
	v_cndmask_b32_e64 v19, v19, v22, s[12:13]
	v_xor_b32_e32 v18, v18, v20
	v_xor_b32_e32 v18, v18, v19
	v_mul_f32_e32 v18, v16, v18
	v_frexp_mant_f32_e64 v19, |v18|
	v_rcp_f32_e32 v19, v19
	v_frexp_exp_i32_f32_e32 v18, v18
	v_sub_u32_e32 v18, 2, v18
	s_mov_b32 s12, 0x800000
	v_mul_f32_e32 v19, 0x3f490fdb, v19
	v_ldexp_f32 v18, v19, v18
	v_cmp_gt_f32_e64 s[12:13], s12, v18
	v_cndmask_b32_e64 v19, 0, 32, s[12:13]
	v_ldexp_f32 v18, v18, v19
	v_log_f32_e32 v18, v18
	s_mov_b32 s15, 0x3f317217
	v_mul_f32_e32 v19, 0x3f317217, v18
	v_fma_f32 v20, v18, s15, -v19
	v_fmac_f32_e32 v20, 0x3377d1cf, v18
	v_add_f32_e32 v19, v19, v20
	v_cmp_lt_f32_e64 s[14:15], |v18|, s14
	v_cndmask_b32_e64 v18, v18, v19, s[14:15]
	v_mov_b32_e32 v19, 0x41b17218
	v_cndmask_b32_e64 v19, 0, v19, s[12:13]
	v_sub_f32_e32 v18, v18, v19
	v_sub_f32_e32 v17, v18, v17
	v_floor_f32_e32 v18, v16
	v_sub_f32_e32 v18, v16, v18
	v_min_f32_e32 v18, 0x3f7fffff, v18
	v_mov_b32_e32 v19, 0x7f800000
	v_cmp_neq_f32_e64 s[12:13], 0, v18
	v_cndmask_b32_e64 v17, v19, v17, s[12:13]
.LBB150_190:
	s_or_b64 exec, exec, s[20:21]
.LBB150_191:
	s_andn2_saveexec_b64 s[16:17], s[16:17]
; %bb.192:
	v_cmp_eq_f16_e64 s[12:13], 1.0, v5
	v_cmp_eq_f16_e64 s[14:15], 2.0, v5
	s_or_b64 s[12:13], s[12:13], s[14:15]
	v_cndmask_b32_e64 v17, v17, 0, s[12:13]
; %bb.193:
	s_or_b64 exec, exec, s[16:17]
	v_lshrrev_b32_e32 v18, 16, v5
	v_cvt_f32_f16_e32 v19, v18
	s_mov_b32 s12, 0x3c800000
                                        ; implicit-def: $vgpr20
	v_and_b32_e32 v21, 0x7fffffff, v19
	v_cmp_nlt_f32_e64 s[12:13], |v19|, s12
	s_and_saveexec_b64 s[14:15], s[12:13]
	s_xor_b64 s[16:17], exec, s[14:15]
	s_cbranch_execz .LBB150_223
; %bb.194:
	v_cmp_nlt_f32_e64 s[12:13], |v19|, 2.0
                                        ; implicit-def: $vgpr20
	s_and_saveexec_b64 s[14:15], s[12:13]
	s_xor_b64 s[20:21], exec, s[14:15]
	s_cbranch_execz .LBB150_204
; %bb.195:
	s_mov_b32 s12, 0x41000000
	v_cmp_nlt_f32_e64 s[12:13], |v19|, s12
                                        ; implicit-def: $vgpr20
	s_and_saveexec_b64 s[14:15], s[12:13]
	s_xor_b64 s[22:23], exec, s[14:15]
	s_cbranch_execz .LBB150_201
; %bb.196:
	s_mov_b32 s12, 0x5c800000
	v_cmp_nlt_f32_e64 s[12:13], |v19|, s12
                                        ; implicit-def: $vgpr20
	s_and_saveexec_b64 s[14:15], s[12:13]
	s_xor_b64 s[30:31], exec, s[14:15]
	s_cbranch_execz .LBB150_198
; %bb.197:
	s_mov_b32 s12, 0x800000
	v_cmp_lt_f32_e64 s[12:13], |v19|, s12
	v_cndmask_b32_e64 v20, 0, 32, s[12:13]
	v_ldexp_f32 v20, |v19|, v20
	v_log_f32_e32 v20, v20
	s_mov_b32 s14, 0x3f317217
	s_mov_b32 s15, 0x7f800000
	v_mul_f32_e32 v22, 0x3f317217, v20
	v_fma_f32 v23, v20, s14, -v22
	v_fmac_f32_e32 v23, 0x3377d1cf, v20
	v_add_f32_e32 v22, v22, v23
	v_cmp_lt_f32_e64 s[14:15], |v20|, s15
	v_cndmask_b32_e64 v20, v20, v22, s[14:15]
	v_mov_b32_e32 v22, 0x41b17218
	v_cndmask_b32_e64 v22, 0, v22, s[12:13]
	v_sub_f32_e32 v20, v20, v22
	v_fma_f32 v20, |v19|, v20, -|v19|
.LBB150_198:
	s_andn2_saveexec_b64 s[30:31], s[30:31]
	s_cbranch_execz .LBB150_200
; %bb.199:
	v_rcp_f32_e64 v22, |v19|
	v_mov_b32_e32 v20, 0x3a5b3dd2
	v_mov_b32_e32 v23, 0xba1c065c
	;; [unrolled: 1-line block ×3, first 2 shown]
	v_mul_f32_e32 v25, v22, v22
	v_fmac_f32_e32 v20, 0xbad5c4e8, v25
	v_fmac_f32_e32 v23, v25, v20
	s_mov_b32 s12, 0x800000
	v_fmac_f32_e32 v24, v25, v23
	v_mov_b32_e32 v20, 0xbb360b61
	v_cmp_lt_f32_e64 s[12:13], |v19|, s12
	v_fmac_f32_e32 v20, v25, v24
	v_cndmask_b32_e64 v24, 0, 32, s[12:13]
	v_ldexp_f32 v24, |v19|, v24
	v_log_f32_e32 v24, v24
	v_mov_b32_e32 v23, 0x3daaaaab
	v_fmac_f32_e32 v23, v25, v20
	v_mov_b32_e32 v20, 0x3ed67f1d
	v_fmac_f32_e32 v20, v22, v23
	s_mov_b32 s14, 0x3f317217
	v_mul_f32_e32 v23, 0x3f317217, v24
	v_fma_f32 v25, v24, s14, -v23
	v_fmac_f32_e32 v25, 0x3377d1cf, v24
	s_mov_b32 s14, 0x7f800000
	v_add_f32_e32 v23, v23, v25
	v_cmp_lt_f32_e64 s[14:15], |v24|, s14
	v_cndmask_b32_e64 v23, v24, v23, s[14:15]
	v_mov_b32_e32 v24, 0x41b17218
	v_cndmask_b32_e64 v24, 0, v24, s[12:13]
	v_sub_f32_e32 v23, v23, v24
	v_add_f32_e64 v22, |v19|, -0.5
	v_add_f32_e32 v23, -1.0, v23
	v_fmac_f32_e32 v20, v22, v23
.LBB150_200:
	s_or_b64 exec, exec, s[30:31]
.LBB150_201:
	s_andn2_saveexec_b64 s[22:23], s[22:23]
	s_cbranch_execz .LBB150_203
; %bb.202:
	v_cvt_i32_f32_e32 v20, v21
	v_mov_b32_e32 v22, 0x3af135b4
	v_mov_b32_e32 v23, 0x3cda40e4
	;; [unrolled: 1-line block ×3, first 2 shown]
	v_cvt_f32_i32_e32 v25, v20
	v_mov_b32_e32 v26, 0x3ea6cc7a
	v_mov_b32_e32 v27, 0x3e5c245a
	v_cmp_lt_i32_e64 s[12:13], 2, v20
	v_sub_f32_e64 v25, |v19|, v25
	v_fmac_f32_e32 v22, 0x3805ff67, v25
	v_fmac_f32_e32 v23, v25, v22
	;; [unrolled: 1-line block ×3, first 2 shown]
	v_mov_b32_e32 v23, 0x3a4beed6
	v_fmac_f32_e32 v26, v25, v24
	v_fmac_f32_e32 v23, 0x36f5d7bd, v25
	v_mov_b32_e32 v24, 0x3c98bf54
	v_fmac_f32_e32 v24, v25, v23
	v_mov_b32_e32 v23, 0x3e300f6e
	;; [unrolled: 2-line block ×4, first 2 shown]
	v_fmac_f32_e32 v23, v25, v24
	v_add_f32_e32 v24, 2.0, v25
	v_mov_b32_e32 v28, 0xbd9e233f
	v_fmac_f32_e32 v27, v25, v26
	v_add_f32_e32 v26, 0x40400000, v25
	v_cndmask_b32_e64 v24, 1.0, v24, s[12:13]
	v_cmp_lt_i32_e64 s[12:13], 3, v20
	v_fmac_f32_e32 v28, v25, v27
	v_add_f32_e32 v27, 4.0, v25
	v_cndmask_b32_e64 v26, 1.0, v26, s[12:13]
	v_cmp_lt_i32_e64 s[12:13], 4, v20
	v_mul_f32_e32 v22, v25, v28
	v_add_f32_e32 v28, 0x40a00000, v25
	v_mul_f32_e32 v24, v24, v26
	v_cndmask_b32_e64 v26, 1.0, v27, s[12:13]
	v_cmp_lt_i32_e64 s[12:13], 5, v20
	v_add_f32_e32 v29, 0x40c00000, v25
	v_mul_f32_e32 v24, v26, v24
	v_cndmask_b32_e64 v26, 1.0, v28, s[12:13]
	v_cmp_lt_i32_e64 s[12:13], 6, v20
	v_mul_f32_e32 v24, v26, v24
	v_cndmask_b32_e64 v20, 1.0, v29, s[12:13]
	v_mul_f32_e32 v20, v20, v24
	s_mov_b32 s12, 0x800000
	v_cmp_gt_f32_e64 s[12:13], s12, v20
	v_cndmask_b32_e64 v24, 0, 32, s[12:13]
	v_fma_f32 v23, v25, v23, 1.0
	v_ldexp_f32 v20, v20, v24
	v_rcp_f32_e32 v23, v23
	v_log_f32_e32 v20, v20
	s_mov_b32 s14, 0x3f317217
	v_mul_f32_e32 v22, v22, v23
	v_mul_f32_e32 v23, 0x3f317217, v20
	v_fma_f32 v24, v20, s14, -v23
	v_fmac_f32_e32 v24, 0x3377d1cf, v20
	s_mov_b32 s14, 0x7f800000
	v_add_f32_e32 v23, v23, v24
	v_cmp_lt_f32_e64 s[14:15], |v20|, s14
	v_cndmask_b32_e64 v20, v20, v23, s[14:15]
	v_mov_b32_e32 v23, 0x41b17218
	v_cndmask_b32_e64 v23, 0, v23, s[12:13]
	v_fmac_f32_e32 v22, 0.5, v25
	v_sub_f32_e32 v20, v20, v23
	v_add_f32_e32 v20, v20, v22
.LBB150_203:
	s_or_b64 exec, exec, s[22:23]
.LBB150_204:
	s_andn2_saveexec_b64 s[20:21], s[20:21]
	s_cbranch_execz .LBB150_222
; %bb.205:
	s_mov_b32 s12, 0x3f666666
	v_cmp_le_f32_e64 s[12:13], |v19|, s12
                                        ; implicit-def: $vgpr20
                                        ; implicit-def: $vgpr23
                                        ; implicit-def: $vgpr22
	s_and_saveexec_b64 s[14:15], s[12:13]
	s_xor_b64 s[22:23], exec, s[14:15]
	s_cbranch_execz .LBB150_207
; %bb.206:
	s_mov_b32 s12, 0x800000
	v_cmp_lt_f32_e64 s[12:13], |v19|, s12
	v_cndmask_b32_e64 v20, 0, 32, s[12:13]
	v_ldexp_f32 v20, |v19|, v20
	v_log_f32_e32 v20, v20
	s_mov_b32 s14, 0x3f317217
	s_mov_b32 s15, 0x7f800000
	v_mul_f32_e32 v22, 0x3f317217, v20
	v_fma_f32 v23, v20, s14, -v22
	v_fmac_f32_e32 v23, 0x3377d1cf, v20
	v_add_f32_e32 v22, v22, v23
	v_cmp_lt_f32_e64 s[14:15], |v20|, s15
	v_cndmask_b32_e64 v20, v20, v22, s[14:15]
	v_mov_b32_e32 v22, 0x41b17218
	v_cndmask_b32_e64 v22, 0, v22, s[12:13]
	s_mov_b32 s12, 0x3f3b4a23
	s_mov_b32 s13, 0xbeec5b0c
	v_sub_f32_e32 v20, v20, v22
	v_sub_f32_e64 v22, 1.0, |v19|
	v_add_f32_e64 v23, |v19|, s13
	v_cmp_lt_f32_e64 s[12:13], |v19|, s12
	v_cndmask_b32_e64 v22, v22, v23, s[12:13]
	v_cndmask_b32_e64 v23, 0, 1, s[12:13]
	s_mov_b32 s12, 0x3e6d3309
	v_cmp_lt_f32_e64 s[12:13], |v19|, s12
	v_xor_b32_e32 v20, 0x80000000, v20
	v_cndmask_b32_e64 v22, v22, |v19|, s[12:13]
	v_cndmask_b32_e64 v23, v23, 2, s[12:13]
.LBB150_207:
	s_andn2_saveexec_b64 s[14:15], s[22:23]
	s_cbranch_execz .LBB150_209
; %bb.208:
	s_mov_b32 s12, 0x3fdda512
	s_mov_b32 s13, 0xbfbb16c3
	v_sub_f32_e64 v20, 2.0, |v19|
	v_add_f32_e64 v22, |v19|, s13
	v_cmp_lt_f32_e64 s[12:13], |v19|, s12
	v_cndmask_b32_e64 v22, v20, v22, s[12:13]
	v_cndmask_b32_e64 v20, v20, 1.0, s[12:13]
	v_cvt_i32_f32_e32 v20, v20
	s_mov_b32 s12, 0x3f9d70a4
	v_add_f32_e64 v23, |v19|, -1.0
	v_cmp_lt_f32_e64 s[12:13], |v19|, s12
	v_cndmask_b32_e64 v22, v22, v23, s[12:13]
	v_cndmask_b32_e64 v23, v20, 2, s[12:13]
	v_mov_b32_e32 v20, 0
.LBB150_209:
	s_or_b64 exec, exec, s[14:15]
	v_cmp_lt_i32_e64 s[12:13], 0, v23
	s_and_saveexec_b64 s[14:15], s[12:13]
	s_xor_b64 s[14:15], exec, s[14:15]
	s_cbranch_execz .LBB150_217
; %bb.210:
	v_cmp_lt_i32_e64 s[12:13], 1, v23
	s_and_saveexec_b64 s[22:23], s[12:13]
	s_xor_b64 s[22:23], exec, s[22:23]
	s_cbranch_execz .LBB150_214
; %bb.211:
	v_cmp_eq_u32_e64 s[12:13], 2, v23
	s_and_saveexec_b64 s[30:31], s[12:13]
	s_cbranch_execz .LBB150_213
; %bb.212:
	v_mov_b32_e32 v23, 0x3e6a7578
	v_fmac_f32_e32 v23, 0x3c5b3c5e, v22
	v_mov_b32_e32 v24, 0x3f7a4bb2
	v_fmac_f32_e32 v24, v22, v23
	;; [unrolled: 2-line block ×8, first 2 shown]
	v_fma_f32 v23, v22, v25, 1.0
	v_rcp_f32_e32 v23, v23
	v_mov_b32_e32 v25, 0xbd9e233f
	v_fmac_f32_e32 v25, v22, v24
	v_mul_f32_e32 v24, v22, v25
	v_mul_f32_e32 v23, v24, v23
	v_fmac_f32_e32 v23, -0.5, v22
	v_add_f32_e32 v20, v20, v23
.LBB150_213:
	s_or_b64 exec, exec, s[30:31]
                                        ; implicit-def: $vgpr22
.LBB150_214:
	s_andn2_saveexec_b64 s[12:13], s[22:23]
	s_cbranch_execz .LBB150_216
; %bb.215:
	v_mul_f32_e32 v23, v22, v22
	v_mul_f32_e32 v24, v22, v23
	v_mov_b32_e32 v25, 0xbab7f476
	v_fmac_f32_e32 v25, 0x39a57b6b, v24
	v_mov_b32_e32 v26, 0x3bc7e707
	v_fmac_f32_e32 v26, v24, v25
	;; [unrolled: 2-line block ×12, first 2 shown]
	v_fmac_f32_e32 v27, v22, v28
	s_mov_b32 s22, 0xa2863e55
	v_fma_f32 v22, v24, -v27, s22
	v_fma_f32 v22, v23, v26, -v22
	v_add_f32_e32 v22, 0xbdf8cdce, v22
	v_add_f32_e32 v20, v20, v22
.LBB150_216:
	s_or_b64 exec, exec, s[12:13]
                                        ; implicit-def: $vgpr23
                                        ; implicit-def: $vgpr22
.LBB150_217:
	s_andn2_saveexec_b64 s[14:15], s[14:15]
	s_cbranch_execz .LBB150_221
; %bb.218:
	v_cmp_eq_u32_e64 s[12:13], 0, v23
	s_and_saveexec_b64 s[22:23], s[12:13]
	s_cbranch_execz .LBB150_220
; %bb.219:
	v_mul_f32_e32 v23, v22, v22
	v_mov_b32_e32 v24, 0x39679767
	v_fmac_f32_e32 v24, 0x37d383a2, v23
	v_mov_b32_e32 v25, 0x3a9c54a1
	v_fmac_f32_e32 v25, v23, v24
	;; [unrolled: 2-line block ×10, first 2 shown]
	v_mul_f32_e32 v23, v23, v25
	v_fmac_f32_e32 v23, v22, v24
	v_fmac_f32_e32 v23, -0.5, v22
	v_add_f32_e32 v20, v20, v23
.LBB150_220:
	s_or_b64 exec, exec, s[22:23]
.LBB150_221:
	s_or_b64 exec, exec, s[14:15]
.LBB150_222:
	s_or_b64 exec, exec, s[20:21]
.LBB150_223:
	s_andn2_saveexec_b64 s[16:17], s[16:17]
	s_cbranch_execz .LBB150_225
; %bb.224:
	s_mov_b32 s12, 0x3e8a8991
	v_mov_b32_e32 v20, 0xbecd26ab
	v_fma_f32 v20, |v19|, s12, v20
	s_mov_b32 s12, 0x3f528d33
	v_fma_f32 v20, |v19|, v20, s12
	s_mov_b32 s12, 0x800000
	v_cmp_lt_f32_e64 s[12:13], |v19|, s12
	v_cndmask_b32_e64 v22, 0, 32, s[12:13]
	v_ldexp_f32 v22, |v19|, v22
	v_log_f32_e32 v22, v22
	s_mov_b32 s14, 0xbf13c468
	v_fma_f32 v20, |v19|, v20, s14
	s_mov_b32 s14, 0x3f317217
	v_mul_f32_e32 v23, 0x3f317217, v22
	v_fma_f32 v24, v22, s14, -v23
	v_fmac_f32_e32 v24, 0x3377d1cf, v22
	s_mov_b32 s14, 0x7f800000
	v_add_f32_e32 v23, v23, v24
	v_cmp_lt_f32_e64 s[14:15], |v22|, s14
	v_cndmask_b32_e64 v22, v22, v23, s[14:15]
	v_mov_b32_e32 v23, 0x41b17218
	v_cndmask_b32_e64 v23, 0, v23, s[12:13]
	v_sub_f32_e32 v22, v22, v23
	v_fma_f32 v20, |v19|, v20, -v22
.LBB150_225:
	s_or_b64 exec, exec, s[16:17]
	v_cmp_le_f16_e64 s[12:13], 0, v18
	v_cmp_nle_f16_e64 s[14:15], 0, v18
	s_and_saveexec_b64 s[16:17], s[14:15]
	s_xor_b64 s[20:21], exec, s[16:17]
	s_cbranch_execz .LBB150_229
; %bb.226:
	s_mov_b32 s14, 0x4b000000
	s_mov_b32 s16, 0x35000000
	v_cmp_lt_f32_e64 s[14:15], |v19|, s14
	v_cmp_gt_f32_e64 s[16:17], |v19|, s16
	s_and_b64 s[14:15], s[14:15], s[16:17]
	s_and_saveexec_b64 s[22:23], s[14:15]
	s_cbranch_execz .LBB150_228
; %bb.227:
	v_mul_f32_e64 v22, |v19|, 0.5
	v_floor_f32_e32 v23, v22
	v_sub_f32_e32 v23, v22, v23
	v_min_f32_e32 v23, 0x3f7fffff, v23
	s_mov_b32 s16, 0x7f800000
	v_add_f32_e32 v23, v23, v23
	v_cmp_neq_f32_e64 s[14:15], s16, v22
	v_cndmask_b32_e64 v22, 0, v23, s[14:15]
	v_cmp_gt_f32_e64 s[14:15], |v19|, 1.0
	v_cndmask_b32_e64 v22, |v19|, v22, s[14:15]
	v_add_f32_e32 v23, v22, v22
	v_rndne_f32_e32 v23, v23
	v_fmac_f32_e32 v22, -0.5, v23
	v_mul_f32_e32 v24, v22, v22
	v_mov_b32_e32 v25, 0xbf1f24be
	v_fmac_f32_e32 v25, 0x3e75aa41, v24
	v_mov_b32_e32 v26, 0x40234736
	v_fmac_f32_e32 v26, v24, v25
	;; [unrolled: 2-line block ×3, first 2 shown]
	v_mul_f32_e32 v26, v22, v24
	v_mul_f32_e32 v25, v26, v25
	v_fmac_f32_e32 v25, 0x40490fdb, v22
	v_mov_b32_e32 v22, 0x3e642e9d
	v_cvt_i32_f32_e32 v23, v23
	v_fmac_f32_e32 v22, 0x3d4be544, v24
	v_mov_b32_e32 v26, 0xbfaad1da
	v_fmac_f32_e32 v26, v24, v22
	v_mov_b32_e32 v22, 0x4081e0d3
	;; [unrolled: 2-line block ×3, first 2 shown]
	v_fmac_f32_e32 v26, v24, v22
	v_fma_f32 v22, v24, v26, 1.0
	v_and_b32_e32 v24, 1, v23
	v_lshlrev_b32_e32 v23, 30, v23
	v_cmp_eq_u32_e64 s[14:15], 0, v24
	v_and_b32_e32 v23, 0x80000000, v23
	v_xor_b32_e32 v21, v21, v19
	v_cndmask_b32_e64 v22, v22, v25, s[14:15]
	v_xor_b32_e32 v21, v21, v23
	v_xor_b32_e32 v21, v21, v22
	v_mul_f32_e32 v21, v19, v21
	v_frexp_mant_f32_e64 v22, |v21|
	v_rcp_f32_e32 v22, v22
	v_frexp_exp_i32_f32_e32 v21, v21
	v_sub_u32_e32 v21, 2, v21
	s_mov_b32 s14, 0x800000
	v_mul_f32_e32 v22, 0x3f490fdb, v22
	v_ldexp_f32 v21, v22, v21
	v_cmp_gt_f32_e64 s[14:15], s14, v21
	v_cndmask_b32_e64 v22, 0, 32, s[14:15]
	v_ldexp_f32 v21, v21, v22
	v_log_f32_e32 v21, v21
	s_mov_b32 s17, 0x3f317217
	v_mul_f32_e32 v22, 0x3f317217, v21
	v_fma_f32 v23, v21, s17, -v22
	v_fmac_f32_e32 v23, 0x3377d1cf, v21
	v_add_f32_e32 v22, v22, v23
	v_cmp_lt_f32_e64 s[16:17], |v21|, s16
	v_cndmask_b32_e64 v21, v21, v22, s[16:17]
	v_mov_b32_e32 v22, 0x41b17218
	v_cndmask_b32_e64 v22, 0, v22, s[14:15]
	v_sub_f32_e32 v21, v21, v22
	v_sub_f32_e32 v20, v21, v20
	v_floor_f32_e32 v21, v19
	v_sub_f32_e32 v21, v19, v21
	v_min_f32_e32 v21, 0x3f7fffff, v21
	v_mov_b32_e32 v22, 0x7f800000
	v_cmp_neq_f32_e64 s[14:15], 0, v21
	v_cndmask_b32_e64 v20, v22, v20, s[14:15]
.LBB150_228:
	s_or_b64 exec, exec, s[22:23]
.LBB150_229:
	s_andn2_saveexec_b64 s[20:21], s[20:21]
; %bb.230:
	v_cmp_eq_f16_e64 s[14:15], 1.0, v18
	v_cmp_eq_f16_e64 s[16:17], 2.0, v18
	s_or_b64 s[14:15], s[14:15], s[16:17]
	v_cndmask_b32_e64 v20, v20, 0, s[14:15]
; %bb.231:
	s_or_b64 exec, exec, s[20:21]
	s_waitcnt vmcnt(0)
	v_cvt_f32_f16_e32 v21, v6
	s_mov_b32 s14, 0x3c800000
                                        ; implicit-def: $vgpr22
	v_and_b32_e32 v23, 0x7fffffff, v21
	v_cmp_nlt_f32_e64 s[14:15], |v21|, s14
	s_and_saveexec_b64 s[16:17], s[14:15]
	s_xor_b64 s[20:21], exec, s[16:17]
	s_cbranch_execz .LBB150_261
; %bb.232:
	v_cmp_nlt_f32_e64 s[14:15], |v21|, 2.0
                                        ; implicit-def: $vgpr22
	s_and_saveexec_b64 s[16:17], s[14:15]
	s_xor_b64 s[22:23], exec, s[16:17]
	s_cbranch_execz .LBB150_242
; %bb.233:
	s_mov_b32 s14, 0x41000000
	v_cmp_nlt_f32_e64 s[14:15], |v21|, s14
                                        ; implicit-def: $vgpr22
	s_and_saveexec_b64 s[16:17], s[14:15]
	s_xor_b64 s[30:31], exec, s[16:17]
	s_cbranch_execz .LBB150_239
; %bb.234:
	s_mov_b32 s14, 0x5c800000
	v_cmp_nlt_f32_e64 s[14:15], |v21|, s14
                                        ; implicit-def: $vgpr22
	s_and_saveexec_b64 s[16:17], s[14:15]
	s_xor_b64 s[34:35], exec, s[16:17]
	s_cbranch_execz .LBB150_236
; %bb.235:
	s_mov_b32 s14, 0x800000
	v_cmp_lt_f32_e64 s[14:15], |v21|, s14
	v_cndmask_b32_e64 v22, 0, 32, s[14:15]
	v_ldexp_f32 v22, |v21|, v22
	v_log_f32_e32 v22, v22
	s_mov_b32 s16, 0x3f317217
	s_mov_b32 s17, 0x7f800000
	v_mul_f32_e32 v24, 0x3f317217, v22
	v_fma_f32 v25, v22, s16, -v24
	v_fmac_f32_e32 v25, 0x3377d1cf, v22
	v_add_f32_e32 v24, v24, v25
	v_cmp_lt_f32_e64 s[16:17], |v22|, s17
	v_cndmask_b32_e64 v22, v22, v24, s[16:17]
	v_mov_b32_e32 v24, 0x41b17218
	v_cndmask_b32_e64 v24, 0, v24, s[14:15]
	v_sub_f32_e32 v22, v22, v24
	v_fma_f32 v22, |v21|, v22, -|v21|
.LBB150_236:
	s_andn2_saveexec_b64 s[34:35], s[34:35]
	s_cbranch_execz .LBB150_238
; %bb.237:
	v_rcp_f32_e64 v24, |v21|
	v_mov_b32_e32 v22, 0x3a5b3dd2
	v_mov_b32_e32 v25, 0xba1c065c
	;; [unrolled: 1-line block ×3, first 2 shown]
	v_mul_f32_e32 v27, v24, v24
	v_fmac_f32_e32 v22, 0xbad5c4e8, v27
	v_fmac_f32_e32 v25, v27, v22
	s_mov_b32 s14, 0x800000
	v_fmac_f32_e32 v26, v27, v25
	v_mov_b32_e32 v22, 0xbb360b61
	v_cmp_lt_f32_e64 s[14:15], |v21|, s14
	v_fmac_f32_e32 v22, v27, v26
	v_cndmask_b32_e64 v26, 0, 32, s[14:15]
	v_ldexp_f32 v26, |v21|, v26
	v_log_f32_e32 v26, v26
	v_mov_b32_e32 v25, 0x3daaaaab
	v_fmac_f32_e32 v25, v27, v22
	v_mov_b32_e32 v22, 0x3ed67f1d
	v_fmac_f32_e32 v22, v24, v25
	s_mov_b32 s16, 0x3f317217
	v_mul_f32_e32 v25, 0x3f317217, v26
	v_fma_f32 v27, v26, s16, -v25
	v_fmac_f32_e32 v27, 0x3377d1cf, v26
	s_mov_b32 s16, 0x7f800000
	v_add_f32_e32 v25, v25, v27
	v_cmp_lt_f32_e64 s[16:17], |v26|, s16
	v_cndmask_b32_e64 v25, v26, v25, s[16:17]
	v_mov_b32_e32 v26, 0x41b17218
	v_cndmask_b32_e64 v26, 0, v26, s[14:15]
	v_sub_f32_e32 v25, v25, v26
	v_add_f32_e64 v24, |v21|, -0.5
	v_add_f32_e32 v25, -1.0, v25
	v_fmac_f32_e32 v22, v24, v25
.LBB150_238:
	s_or_b64 exec, exec, s[34:35]
.LBB150_239:
	s_andn2_saveexec_b64 s[30:31], s[30:31]
	s_cbranch_execz .LBB150_241
; %bb.240:
	v_cvt_i32_f32_e32 v22, v23
	v_mov_b32_e32 v24, 0x3af135b4
	v_mov_b32_e32 v25, 0x3cda40e4
	v_mov_b32_e32 v26, 0x3e15dce6
	v_cvt_f32_i32_e32 v27, v22
	v_mov_b32_e32 v28, 0x3ea6cc7a
	v_mov_b32_e32 v29, 0x3e5c245a
	v_cmp_lt_i32_e64 s[14:15], 2, v22
	v_sub_f32_e64 v27, |v21|, v27
	v_fmac_f32_e32 v24, 0x3805ff67, v27
	v_fmac_f32_e32 v25, v27, v24
	;; [unrolled: 1-line block ×3, first 2 shown]
	v_mov_b32_e32 v25, 0x3a4beed6
	v_fmac_f32_e32 v28, v27, v26
	v_fmac_f32_e32 v25, 0x36f5d7bd, v27
	v_mov_b32_e32 v26, 0x3c98bf54
	v_fmac_f32_e32 v26, v27, v25
	v_mov_b32_e32 v25, 0x3e300f6e
	;; [unrolled: 2-line block ×4, first 2 shown]
	v_fmac_f32_e32 v25, v27, v26
	v_add_f32_e32 v26, 2.0, v27
	v_mov_b32_e32 v30, 0xbd9e233f
	v_fmac_f32_e32 v29, v27, v28
	v_add_f32_e32 v28, 0x40400000, v27
	v_cndmask_b32_e64 v26, 1.0, v26, s[14:15]
	v_cmp_lt_i32_e64 s[14:15], 3, v22
	v_fmac_f32_e32 v30, v27, v29
	v_add_f32_e32 v29, 4.0, v27
	v_cndmask_b32_e64 v28, 1.0, v28, s[14:15]
	v_cmp_lt_i32_e64 s[14:15], 4, v22
	v_mul_f32_e32 v24, v27, v30
	v_add_f32_e32 v30, 0x40a00000, v27
	v_mul_f32_e32 v26, v26, v28
	v_cndmask_b32_e64 v28, 1.0, v29, s[14:15]
	v_cmp_lt_i32_e64 s[14:15], 5, v22
	v_add_f32_e32 v31, 0x40c00000, v27
	v_mul_f32_e32 v26, v28, v26
	v_cndmask_b32_e64 v28, 1.0, v30, s[14:15]
	v_cmp_lt_i32_e64 s[14:15], 6, v22
	v_mul_f32_e32 v26, v28, v26
	v_cndmask_b32_e64 v22, 1.0, v31, s[14:15]
	v_mul_f32_e32 v22, v22, v26
	s_mov_b32 s14, 0x800000
	v_cmp_gt_f32_e64 s[14:15], s14, v22
	v_cndmask_b32_e64 v26, 0, 32, s[14:15]
	v_fma_f32 v25, v27, v25, 1.0
	v_ldexp_f32 v22, v22, v26
	v_rcp_f32_e32 v25, v25
	v_log_f32_e32 v22, v22
	s_mov_b32 s16, 0x3f317217
	v_mul_f32_e32 v24, v24, v25
	v_mul_f32_e32 v25, 0x3f317217, v22
	v_fma_f32 v26, v22, s16, -v25
	v_fmac_f32_e32 v26, 0x3377d1cf, v22
	s_mov_b32 s16, 0x7f800000
	v_add_f32_e32 v25, v25, v26
	v_cmp_lt_f32_e64 s[16:17], |v22|, s16
	v_cndmask_b32_e64 v22, v22, v25, s[16:17]
	v_mov_b32_e32 v25, 0x41b17218
	v_cndmask_b32_e64 v25, 0, v25, s[14:15]
	v_fmac_f32_e32 v24, 0.5, v27
	v_sub_f32_e32 v22, v22, v25
	v_add_f32_e32 v22, v22, v24
.LBB150_241:
	s_or_b64 exec, exec, s[30:31]
.LBB150_242:
	s_andn2_saveexec_b64 s[22:23], s[22:23]
	s_cbranch_execz .LBB150_260
; %bb.243:
	s_mov_b32 s14, 0x3f666666
	v_cmp_le_f32_e64 s[14:15], |v21|, s14
                                        ; implicit-def: $vgpr22
                                        ; implicit-def: $vgpr25
                                        ; implicit-def: $vgpr24
	s_and_saveexec_b64 s[16:17], s[14:15]
	s_xor_b64 s[30:31], exec, s[16:17]
	s_cbranch_execz .LBB150_245
; %bb.244:
	s_mov_b32 s14, 0x800000
	v_cmp_lt_f32_e64 s[14:15], |v21|, s14
	v_cndmask_b32_e64 v22, 0, 32, s[14:15]
	v_ldexp_f32 v22, |v21|, v22
	v_log_f32_e32 v22, v22
	s_mov_b32 s16, 0x3f317217
	s_mov_b32 s17, 0x7f800000
	v_mul_f32_e32 v24, 0x3f317217, v22
	v_fma_f32 v25, v22, s16, -v24
	v_fmac_f32_e32 v25, 0x3377d1cf, v22
	v_add_f32_e32 v24, v24, v25
	v_cmp_lt_f32_e64 s[16:17], |v22|, s17
	v_cndmask_b32_e64 v22, v22, v24, s[16:17]
	v_mov_b32_e32 v24, 0x41b17218
	v_cndmask_b32_e64 v24, 0, v24, s[14:15]
	s_mov_b32 s14, 0x3f3b4a23
	s_mov_b32 s15, 0xbeec5b0c
	v_sub_f32_e32 v22, v22, v24
	v_sub_f32_e64 v24, 1.0, |v21|
	v_add_f32_e64 v25, |v21|, s15
	v_cmp_lt_f32_e64 s[14:15], |v21|, s14
	v_cndmask_b32_e64 v24, v24, v25, s[14:15]
	v_cndmask_b32_e64 v25, 0, 1, s[14:15]
	s_mov_b32 s14, 0x3e6d3309
	v_cmp_lt_f32_e64 s[14:15], |v21|, s14
	v_xor_b32_e32 v22, 0x80000000, v22
	v_cndmask_b32_e64 v24, v24, |v21|, s[14:15]
	v_cndmask_b32_e64 v25, v25, 2, s[14:15]
.LBB150_245:
	s_andn2_saveexec_b64 s[16:17], s[30:31]
	s_cbranch_execz .LBB150_247
; %bb.246:
	s_mov_b32 s14, 0x3fdda512
	s_mov_b32 s15, 0xbfbb16c3
	v_sub_f32_e64 v22, 2.0, |v21|
	v_add_f32_e64 v24, |v21|, s15
	v_cmp_lt_f32_e64 s[14:15], |v21|, s14
	v_cndmask_b32_e64 v24, v22, v24, s[14:15]
	v_cndmask_b32_e64 v22, v22, 1.0, s[14:15]
	v_cvt_i32_f32_e32 v22, v22
	s_mov_b32 s14, 0x3f9d70a4
	v_add_f32_e64 v25, |v21|, -1.0
	v_cmp_lt_f32_e64 s[14:15], |v21|, s14
	v_cndmask_b32_e64 v24, v24, v25, s[14:15]
	v_cndmask_b32_e64 v25, v22, 2, s[14:15]
	v_mov_b32_e32 v22, 0
.LBB150_247:
	s_or_b64 exec, exec, s[16:17]
	v_cmp_lt_i32_e64 s[14:15], 0, v25
	s_and_saveexec_b64 s[16:17], s[14:15]
	s_xor_b64 s[16:17], exec, s[16:17]
	s_cbranch_execz .LBB150_255
; %bb.248:
	v_cmp_lt_i32_e64 s[14:15], 1, v25
	s_and_saveexec_b64 s[30:31], s[14:15]
	s_xor_b64 s[30:31], exec, s[30:31]
	s_cbranch_execz .LBB150_252
; %bb.249:
	v_cmp_eq_u32_e64 s[14:15], 2, v25
	s_and_saveexec_b64 s[34:35], s[14:15]
	s_cbranch_execz .LBB150_251
; %bb.250:
	v_mov_b32_e32 v25, 0x3e6a7578
	v_fmac_f32_e32 v25, 0x3c5b3c5e, v24
	v_mov_b32_e32 v26, 0x3f7a4bb2
	v_fmac_f32_e32 v26, v24, v25
	;; [unrolled: 2-line block ×8, first 2 shown]
	v_fma_f32 v25, v24, v27, 1.0
	v_rcp_f32_e32 v25, v25
	v_mov_b32_e32 v27, 0xbd9e233f
	v_fmac_f32_e32 v27, v24, v26
	v_mul_f32_e32 v26, v24, v27
	v_mul_f32_e32 v25, v26, v25
	v_fmac_f32_e32 v25, -0.5, v24
	v_add_f32_e32 v22, v22, v25
.LBB150_251:
	s_or_b64 exec, exec, s[34:35]
                                        ; implicit-def: $vgpr24
.LBB150_252:
	s_andn2_saveexec_b64 s[14:15], s[30:31]
	s_cbranch_execz .LBB150_254
; %bb.253:
	v_mul_f32_e32 v25, v24, v24
	v_mul_f32_e32 v26, v24, v25
	v_mov_b32_e32 v27, 0xbab7f476
	v_fmac_f32_e32 v27, 0x39a57b6b, v26
	v_mov_b32_e32 v28, 0x3bc7e707
	v_fmac_f32_e32 v28, v26, v27
	;; [unrolled: 2-line block ×12, first 2 shown]
	v_fmac_f32_e32 v29, v24, v30
	s_mov_b32 s30, 0xa2863e55
	v_fma_f32 v24, v26, -v29, s30
	v_fma_f32 v24, v25, v28, -v24
	v_add_f32_e32 v24, 0xbdf8cdce, v24
	v_add_f32_e32 v22, v22, v24
.LBB150_254:
	s_or_b64 exec, exec, s[14:15]
                                        ; implicit-def: $vgpr25
                                        ; implicit-def: $vgpr24
.LBB150_255:
	s_andn2_saveexec_b64 s[16:17], s[16:17]
	s_cbranch_execz .LBB150_259
; %bb.256:
	v_cmp_eq_u32_e64 s[14:15], 0, v25
	s_and_saveexec_b64 s[30:31], s[14:15]
	s_cbranch_execz .LBB150_258
; %bb.257:
	v_mul_f32_e32 v25, v24, v24
	v_mov_b32_e32 v26, 0x39679767
	v_fmac_f32_e32 v26, 0x37d383a2, v25
	v_mov_b32_e32 v27, 0x3a9c54a1
	v_fmac_f32_e32 v27, v25, v26
	;; [unrolled: 2-line block ×10, first 2 shown]
	v_mul_f32_e32 v25, v25, v27
	v_fmac_f32_e32 v25, v24, v26
	v_fmac_f32_e32 v25, -0.5, v24
	v_add_f32_e32 v22, v22, v25
.LBB150_258:
	s_or_b64 exec, exec, s[30:31]
.LBB150_259:
	s_or_b64 exec, exec, s[16:17]
.LBB150_260:
	s_or_b64 exec, exec, s[22:23]
.LBB150_261:
	s_andn2_saveexec_b64 s[20:21], s[20:21]
	s_cbranch_execz .LBB150_263
; %bb.262:
	s_mov_b32 s14, 0x3e8a8991
	v_mov_b32_e32 v22, 0xbecd26ab
	v_fma_f32 v22, |v21|, s14, v22
	s_mov_b32 s14, 0x3f528d33
	v_fma_f32 v22, |v21|, v22, s14
	s_mov_b32 s14, 0x800000
	v_cmp_lt_f32_e64 s[14:15], |v21|, s14
	v_cndmask_b32_e64 v24, 0, 32, s[14:15]
	v_ldexp_f32 v24, |v21|, v24
	v_log_f32_e32 v24, v24
	s_mov_b32 s16, 0xbf13c468
	v_fma_f32 v22, |v21|, v22, s16
	s_mov_b32 s16, 0x3f317217
	v_mul_f32_e32 v25, 0x3f317217, v24
	v_fma_f32 v26, v24, s16, -v25
	v_fmac_f32_e32 v26, 0x3377d1cf, v24
	s_mov_b32 s16, 0x7f800000
	v_add_f32_e32 v25, v25, v26
	v_cmp_lt_f32_e64 s[16:17], |v24|, s16
	v_cndmask_b32_e64 v24, v24, v25, s[16:17]
	v_mov_b32_e32 v25, 0x41b17218
	v_cndmask_b32_e64 v25, 0, v25, s[14:15]
	v_sub_f32_e32 v24, v24, v25
	v_fma_f32 v22, |v21|, v22, -v24
.LBB150_263:
	s_or_b64 exec, exec, s[20:21]
	v_cmp_le_f16_e64 s[14:15], 0, v6
	v_cmp_nle_f16_e64 s[16:17], 0, v6
	s_and_saveexec_b64 s[20:21], s[16:17]
	s_xor_b64 s[22:23], exec, s[20:21]
	s_cbranch_execz .LBB150_267
; %bb.264:
	s_mov_b32 s16, 0x4b000000
	s_mov_b32 s20, 0x35000000
	v_cmp_lt_f32_e64 s[16:17], |v21|, s16
	v_cmp_gt_f32_e64 s[20:21], |v21|, s20
	s_and_b64 s[16:17], s[16:17], s[20:21]
	s_and_saveexec_b64 s[30:31], s[16:17]
	s_cbranch_execz .LBB150_266
; %bb.265:
	v_mul_f32_e64 v24, |v21|, 0.5
	v_floor_f32_e32 v25, v24
	v_sub_f32_e32 v25, v24, v25
	v_min_f32_e32 v25, 0x3f7fffff, v25
	s_mov_b32 s20, 0x7f800000
	v_add_f32_e32 v25, v25, v25
	v_cmp_neq_f32_e64 s[16:17], s20, v24
	v_cndmask_b32_e64 v24, 0, v25, s[16:17]
	v_cmp_gt_f32_e64 s[16:17], |v21|, 1.0
	v_cndmask_b32_e64 v24, |v21|, v24, s[16:17]
	v_add_f32_e32 v25, v24, v24
	v_rndne_f32_e32 v25, v25
	v_fmac_f32_e32 v24, -0.5, v25
	v_mul_f32_e32 v26, v24, v24
	v_mov_b32_e32 v27, 0xbf1f24be
	v_fmac_f32_e32 v27, 0x3e75aa41, v26
	v_mov_b32_e32 v28, 0x40234736
	v_fmac_f32_e32 v28, v26, v27
	;; [unrolled: 2-line block ×3, first 2 shown]
	v_mul_f32_e32 v28, v24, v26
	v_mul_f32_e32 v27, v28, v27
	v_fmac_f32_e32 v27, 0x40490fdb, v24
	v_mov_b32_e32 v24, 0x3e642e9d
	v_cvt_i32_f32_e32 v25, v25
	v_fmac_f32_e32 v24, 0x3d4be544, v26
	v_mov_b32_e32 v28, 0xbfaad1da
	v_fmac_f32_e32 v28, v26, v24
	v_mov_b32_e32 v24, 0x4081e0d3
	v_fmac_f32_e32 v24, v26, v28
	v_mov_b32_e32 v28, 0xc09de9e6
	v_fmac_f32_e32 v28, v26, v24
	v_fma_f32 v24, v26, v28, 1.0
	v_and_b32_e32 v26, 1, v25
	v_lshlrev_b32_e32 v25, 30, v25
	v_cmp_eq_u32_e64 s[16:17], 0, v26
	v_and_b32_e32 v25, 0x80000000, v25
	v_xor_b32_e32 v23, v23, v21
	v_cndmask_b32_e64 v24, v24, v27, s[16:17]
	v_xor_b32_e32 v23, v23, v25
	v_xor_b32_e32 v23, v23, v24
	v_mul_f32_e32 v23, v21, v23
	v_frexp_mant_f32_e64 v24, |v23|
	v_rcp_f32_e32 v24, v24
	v_frexp_exp_i32_f32_e32 v23, v23
	v_sub_u32_e32 v23, 2, v23
	s_mov_b32 s16, 0x800000
	v_mul_f32_e32 v24, 0x3f490fdb, v24
	v_ldexp_f32 v23, v24, v23
	v_cmp_gt_f32_e64 s[16:17], s16, v23
	v_cndmask_b32_e64 v24, 0, 32, s[16:17]
	v_ldexp_f32 v23, v23, v24
	v_log_f32_e32 v23, v23
	s_mov_b32 s21, 0x3f317217
	v_mul_f32_e32 v24, 0x3f317217, v23
	v_fma_f32 v25, v23, s21, -v24
	v_fmac_f32_e32 v25, 0x3377d1cf, v23
	v_add_f32_e32 v24, v24, v25
	v_cmp_lt_f32_e64 s[20:21], |v23|, s20
	v_cndmask_b32_e64 v23, v23, v24, s[20:21]
	v_mov_b32_e32 v24, 0x41b17218
	v_cndmask_b32_e64 v24, 0, v24, s[16:17]
	v_sub_f32_e32 v23, v23, v24
	v_sub_f32_e32 v22, v23, v22
	v_floor_f32_e32 v23, v21
	v_sub_f32_e32 v23, v21, v23
	v_min_f32_e32 v23, 0x3f7fffff, v23
	v_mov_b32_e32 v24, 0x7f800000
	v_cmp_neq_f32_e64 s[16:17], 0, v23
	v_cndmask_b32_e64 v22, v24, v22, s[16:17]
.LBB150_266:
	s_or_b64 exec, exec, s[30:31]
.LBB150_267:
	s_andn2_saveexec_b64 s[22:23], s[22:23]
; %bb.268:
	v_cmp_eq_f16_e64 s[16:17], 1.0, v6
	v_cmp_eq_f16_e64 s[20:21], 2.0, v6
	s_or_b64 s[16:17], s[16:17], s[20:21]
	v_cndmask_b32_e64 v22, v22, 0, s[16:17]
; %bb.269:
	s_or_b64 exec, exec, s[22:23]
	v_lshrrev_b32_e32 v23, 16, v6
	v_cvt_f32_f16_e32 v24, v23
	s_mov_b32 s16, 0x3c800000
                                        ; implicit-def: $vgpr26
	v_and_b32_e32 v25, 0x7fffffff, v24
	v_cmp_nlt_f32_e64 s[16:17], |v24|, s16
	s_and_saveexec_b64 s[20:21], s[16:17]
	s_xor_b64 s[22:23], exec, s[20:21]
	s_cbranch_execz .LBB150_299
; %bb.270:
	v_cmp_nlt_f32_e64 s[16:17], |v24|, 2.0
                                        ; implicit-def: $vgpr26
	s_and_saveexec_b64 s[20:21], s[16:17]
	s_xor_b64 s[30:31], exec, s[20:21]
	s_cbranch_execz .LBB150_280
; %bb.271:
	s_mov_b32 s16, 0x41000000
	v_cmp_nlt_f32_e64 s[16:17], |v24|, s16
                                        ; implicit-def: $vgpr26
	s_and_saveexec_b64 s[20:21], s[16:17]
	s_xor_b64 s[34:35], exec, s[20:21]
	s_cbranch_execz .LBB150_277
; %bb.272:
	s_mov_b32 s16, 0x5c800000
	v_cmp_nlt_f32_e64 s[16:17], |v24|, s16
                                        ; implicit-def: $vgpr26
	s_and_saveexec_b64 s[20:21], s[16:17]
	s_xor_b64 s[36:37], exec, s[20:21]
	s_cbranch_execz .LBB150_274
; %bb.273:
	s_mov_b32 s16, 0x800000
	v_cmp_lt_f32_e64 s[16:17], |v24|, s16
	v_cndmask_b32_e64 v26, 0, 32, s[16:17]
	v_ldexp_f32 v26, |v24|, v26
	v_log_f32_e32 v26, v26
	s_mov_b32 s20, 0x3f317217
	s_mov_b32 s21, 0x7f800000
	v_mul_f32_e32 v27, 0x3f317217, v26
	v_fma_f32 v28, v26, s20, -v27
	v_fmac_f32_e32 v28, 0x3377d1cf, v26
	v_add_f32_e32 v27, v27, v28
	v_cmp_lt_f32_e64 s[20:21], |v26|, s21
	v_cndmask_b32_e64 v26, v26, v27, s[20:21]
	v_mov_b32_e32 v27, 0x41b17218
	v_cndmask_b32_e64 v27, 0, v27, s[16:17]
	v_sub_f32_e32 v26, v26, v27
	v_fma_f32 v26, |v24|, v26, -|v24|
.LBB150_274:
	s_andn2_saveexec_b64 s[36:37], s[36:37]
	s_cbranch_execz .LBB150_276
; %bb.275:
	v_rcp_f32_e64 v27, |v24|
	v_mov_b32_e32 v26, 0x3a5b3dd2
	v_mov_b32_e32 v28, 0xba1c065c
	;; [unrolled: 1-line block ×3, first 2 shown]
	v_mul_f32_e32 v30, v27, v27
	v_fmac_f32_e32 v26, 0xbad5c4e8, v30
	v_fmac_f32_e32 v28, v30, v26
	s_mov_b32 s16, 0x800000
	v_fmac_f32_e32 v29, v30, v28
	v_mov_b32_e32 v26, 0xbb360b61
	v_cmp_lt_f32_e64 s[16:17], |v24|, s16
	v_fmac_f32_e32 v26, v30, v29
	v_cndmask_b32_e64 v29, 0, 32, s[16:17]
	v_ldexp_f32 v29, |v24|, v29
	v_log_f32_e32 v29, v29
	v_mov_b32_e32 v28, 0x3daaaaab
	v_fmac_f32_e32 v28, v30, v26
	v_mov_b32_e32 v26, 0x3ed67f1d
	v_fmac_f32_e32 v26, v27, v28
	s_mov_b32 s20, 0x3f317217
	v_mul_f32_e32 v28, 0x3f317217, v29
	v_fma_f32 v30, v29, s20, -v28
	v_fmac_f32_e32 v30, 0x3377d1cf, v29
	s_mov_b32 s20, 0x7f800000
	v_add_f32_e32 v28, v28, v30
	v_cmp_lt_f32_e64 s[20:21], |v29|, s20
	v_cndmask_b32_e64 v28, v29, v28, s[20:21]
	v_mov_b32_e32 v29, 0x41b17218
	v_cndmask_b32_e64 v29, 0, v29, s[16:17]
	v_sub_f32_e32 v28, v28, v29
	v_add_f32_e64 v27, |v24|, -0.5
	v_add_f32_e32 v28, -1.0, v28
	v_fmac_f32_e32 v26, v27, v28
.LBB150_276:
	s_or_b64 exec, exec, s[36:37]
.LBB150_277:
	s_andn2_saveexec_b64 s[34:35], s[34:35]
	s_cbranch_execz .LBB150_279
; %bb.278:
	v_cvt_i32_f32_e32 v26, v25
	v_mov_b32_e32 v27, 0x3af135b4
	v_mov_b32_e32 v28, 0x3cda40e4
	;; [unrolled: 1-line block ×3, first 2 shown]
	v_cvt_f32_i32_e32 v30, v26
	v_mov_b32_e32 v31, 0x3ea6cc7a
	v_mov_b32_e32 v32, 0x3e5c245a
	v_cmp_lt_i32_e64 s[16:17], 2, v26
	v_sub_f32_e64 v30, |v24|, v30
	v_fmac_f32_e32 v27, 0x3805ff67, v30
	v_fmac_f32_e32 v28, v30, v27
	;; [unrolled: 1-line block ×3, first 2 shown]
	v_mov_b32_e32 v28, 0x3a4beed6
	v_fmac_f32_e32 v31, v30, v29
	v_fmac_f32_e32 v28, 0x36f5d7bd, v30
	v_mov_b32_e32 v29, 0x3c98bf54
	v_fmac_f32_e32 v29, v30, v28
	v_mov_b32_e32 v28, 0x3e300f6e
	;; [unrolled: 2-line block ×4, first 2 shown]
	v_fmac_f32_e32 v28, v30, v29
	v_add_f32_e32 v29, 2.0, v30
	v_mov_b32_e32 v33, 0xbd9e233f
	v_fmac_f32_e32 v32, v30, v31
	v_add_f32_e32 v31, 0x40400000, v30
	v_cndmask_b32_e64 v29, 1.0, v29, s[16:17]
	v_cmp_lt_i32_e64 s[16:17], 3, v26
	v_fmac_f32_e32 v33, v30, v32
	v_add_f32_e32 v32, 4.0, v30
	v_cndmask_b32_e64 v31, 1.0, v31, s[16:17]
	v_cmp_lt_i32_e64 s[16:17], 4, v26
	v_mul_f32_e32 v27, v30, v33
	v_add_f32_e32 v33, 0x40a00000, v30
	v_mul_f32_e32 v29, v29, v31
	v_cndmask_b32_e64 v31, 1.0, v32, s[16:17]
	v_cmp_lt_i32_e64 s[16:17], 5, v26
	v_add_f32_e32 v34, 0x40c00000, v30
	v_mul_f32_e32 v29, v31, v29
	v_cndmask_b32_e64 v31, 1.0, v33, s[16:17]
	v_cmp_lt_i32_e64 s[16:17], 6, v26
	v_mul_f32_e32 v29, v31, v29
	v_cndmask_b32_e64 v26, 1.0, v34, s[16:17]
	v_mul_f32_e32 v26, v26, v29
	s_mov_b32 s16, 0x800000
	v_cmp_gt_f32_e64 s[16:17], s16, v26
	v_cndmask_b32_e64 v29, 0, 32, s[16:17]
	v_fma_f32 v28, v30, v28, 1.0
	v_ldexp_f32 v26, v26, v29
	v_rcp_f32_e32 v28, v28
	v_log_f32_e32 v26, v26
	s_mov_b32 s20, 0x3f317217
	v_mul_f32_e32 v27, v27, v28
	v_mul_f32_e32 v28, 0x3f317217, v26
	v_fma_f32 v29, v26, s20, -v28
	v_fmac_f32_e32 v29, 0x3377d1cf, v26
	s_mov_b32 s20, 0x7f800000
	v_add_f32_e32 v28, v28, v29
	v_cmp_lt_f32_e64 s[20:21], |v26|, s20
	v_cndmask_b32_e64 v26, v26, v28, s[20:21]
	v_mov_b32_e32 v28, 0x41b17218
	v_cndmask_b32_e64 v28, 0, v28, s[16:17]
	v_fmac_f32_e32 v27, 0.5, v30
	v_sub_f32_e32 v26, v26, v28
	v_add_f32_e32 v26, v26, v27
.LBB150_279:
	s_or_b64 exec, exec, s[34:35]
.LBB150_280:
	s_andn2_saveexec_b64 s[30:31], s[30:31]
	s_cbranch_execz .LBB150_298
; %bb.281:
	s_mov_b32 s16, 0x3f666666
	v_cmp_le_f32_e64 s[16:17], |v24|, s16
                                        ; implicit-def: $vgpr26
                                        ; implicit-def: $vgpr28
                                        ; implicit-def: $vgpr27
	s_and_saveexec_b64 s[20:21], s[16:17]
	s_xor_b64 s[34:35], exec, s[20:21]
	s_cbranch_execz .LBB150_283
; %bb.282:
	s_mov_b32 s16, 0x800000
	v_cmp_lt_f32_e64 s[16:17], |v24|, s16
	v_cndmask_b32_e64 v26, 0, 32, s[16:17]
	v_ldexp_f32 v26, |v24|, v26
	v_log_f32_e32 v26, v26
	s_mov_b32 s20, 0x3f317217
	s_mov_b32 s21, 0x7f800000
	v_mul_f32_e32 v27, 0x3f317217, v26
	v_fma_f32 v28, v26, s20, -v27
	v_fmac_f32_e32 v28, 0x3377d1cf, v26
	v_add_f32_e32 v27, v27, v28
	v_cmp_lt_f32_e64 s[20:21], |v26|, s21
	v_cndmask_b32_e64 v26, v26, v27, s[20:21]
	v_mov_b32_e32 v27, 0x41b17218
	v_cndmask_b32_e64 v27, 0, v27, s[16:17]
	s_mov_b32 s16, 0x3f3b4a23
	s_mov_b32 s17, 0xbeec5b0c
	v_sub_f32_e32 v26, v26, v27
	v_sub_f32_e64 v27, 1.0, |v24|
	v_add_f32_e64 v28, |v24|, s17
	v_cmp_lt_f32_e64 s[16:17], |v24|, s16
	v_cndmask_b32_e64 v27, v27, v28, s[16:17]
	v_cndmask_b32_e64 v28, 0, 1, s[16:17]
	s_mov_b32 s16, 0x3e6d3309
	v_cmp_lt_f32_e64 s[16:17], |v24|, s16
	v_xor_b32_e32 v26, 0x80000000, v26
	v_cndmask_b32_e64 v27, v27, |v24|, s[16:17]
	v_cndmask_b32_e64 v28, v28, 2, s[16:17]
.LBB150_283:
	s_andn2_saveexec_b64 s[20:21], s[34:35]
	s_cbranch_execz .LBB150_285
; %bb.284:
	s_mov_b32 s16, 0x3fdda512
	s_mov_b32 s17, 0xbfbb16c3
	v_sub_f32_e64 v26, 2.0, |v24|
	v_add_f32_e64 v27, |v24|, s17
	v_cmp_lt_f32_e64 s[16:17], |v24|, s16
	v_cndmask_b32_e64 v27, v26, v27, s[16:17]
	v_cndmask_b32_e64 v26, v26, 1.0, s[16:17]
	v_cvt_i32_f32_e32 v26, v26
	s_mov_b32 s16, 0x3f9d70a4
	v_add_f32_e64 v28, |v24|, -1.0
	v_cmp_lt_f32_e64 s[16:17], |v24|, s16
	v_cndmask_b32_e64 v27, v27, v28, s[16:17]
	v_cndmask_b32_e64 v28, v26, 2, s[16:17]
	v_mov_b32_e32 v26, 0
.LBB150_285:
	s_or_b64 exec, exec, s[20:21]
	v_cmp_lt_i32_e64 s[16:17], 0, v28
	s_and_saveexec_b64 s[20:21], s[16:17]
	s_xor_b64 s[20:21], exec, s[20:21]
	s_cbranch_execz .LBB150_293
; %bb.286:
	v_cmp_lt_i32_e64 s[16:17], 1, v28
	s_and_saveexec_b64 s[34:35], s[16:17]
	s_xor_b64 s[34:35], exec, s[34:35]
	s_cbranch_execz .LBB150_290
; %bb.287:
	v_cmp_eq_u32_e64 s[16:17], 2, v28
	s_and_saveexec_b64 s[36:37], s[16:17]
	s_cbranch_execz .LBB150_289
; %bb.288:
	v_mov_b32_e32 v28, 0x3e6a7578
	v_fmac_f32_e32 v28, 0x3c5b3c5e, v27
	v_mov_b32_e32 v29, 0x3f7a4bb2
	v_fmac_f32_e32 v29, v27, v28
	;; [unrolled: 2-line block ×8, first 2 shown]
	v_fma_f32 v28, v27, v30, 1.0
	v_rcp_f32_e32 v28, v28
	v_mov_b32_e32 v30, 0xbd9e233f
	v_fmac_f32_e32 v30, v27, v29
	v_mul_f32_e32 v29, v27, v30
	v_mul_f32_e32 v28, v29, v28
	v_fmac_f32_e32 v28, -0.5, v27
	v_add_f32_e32 v26, v26, v28
.LBB150_289:
	s_or_b64 exec, exec, s[36:37]
                                        ; implicit-def: $vgpr27
.LBB150_290:
	s_andn2_saveexec_b64 s[16:17], s[34:35]
	s_cbranch_execz .LBB150_292
; %bb.291:
	v_mul_f32_e32 v28, v27, v27
	v_mul_f32_e32 v29, v27, v28
	v_mov_b32_e32 v30, 0xbab7f476
	v_fmac_f32_e32 v30, 0x39a57b6b, v29
	v_mov_b32_e32 v31, 0x3bc7e707
	v_fmac_f32_e32 v31, v29, v30
	;; [unrolled: 2-line block ×12, first 2 shown]
	v_fmac_f32_e32 v32, v27, v33
	s_mov_b32 s33, 0xa2863e55
	v_fma_f32 v27, v29, -v32, s33
	v_fma_f32 v27, v28, v31, -v27
	v_add_f32_e32 v27, 0xbdf8cdce, v27
	v_add_f32_e32 v26, v26, v27
.LBB150_292:
	s_or_b64 exec, exec, s[16:17]
                                        ; implicit-def: $vgpr28
                                        ; implicit-def: $vgpr27
.LBB150_293:
	s_andn2_saveexec_b64 s[20:21], s[20:21]
	s_cbranch_execz .LBB150_297
; %bb.294:
	v_cmp_eq_u32_e64 s[16:17], 0, v28
	s_and_saveexec_b64 s[34:35], s[16:17]
	s_cbranch_execz .LBB150_296
; %bb.295:
	v_mul_f32_e32 v28, v27, v27
	v_mov_b32_e32 v29, 0x39679767
	v_fmac_f32_e32 v29, 0x37d383a2, v28
	v_mov_b32_e32 v30, 0x3a9c54a1
	v_fmac_f32_e32 v30, v28, v29
	;; [unrolled: 2-line block ×10, first 2 shown]
	v_mul_f32_e32 v28, v28, v30
	v_fmac_f32_e32 v28, v27, v29
	v_fmac_f32_e32 v28, -0.5, v27
	v_add_f32_e32 v26, v26, v28
.LBB150_296:
	s_or_b64 exec, exec, s[34:35]
.LBB150_297:
	s_or_b64 exec, exec, s[20:21]
.LBB150_298:
	s_or_b64 exec, exec, s[30:31]
.LBB150_299:
	s_andn2_saveexec_b64 s[22:23], s[22:23]
	s_cbranch_execz .LBB150_301
; %bb.300:
	s_mov_b32 s16, 0x3e8a8991
	v_mov_b32_e32 v26, 0xbecd26ab
	v_fma_f32 v26, |v24|, s16, v26
	s_mov_b32 s16, 0x3f528d33
	v_fma_f32 v26, |v24|, v26, s16
	s_mov_b32 s16, 0x800000
	v_cmp_lt_f32_e64 s[16:17], |v24|, s16
	v_cndmask_b32_e64 v27, 0, 32, s[16:17]
	v_ldexp_f32 v27, |v24|, v27
	v_log_f32_e32 v27, v27
	s_mov_b32 s20, 0xbf13c468
	v_fma_f32 v26, |v24|, v26, s20
	s_mov_b32 s20, 0x3f317217
	v_mul_f32_e32 v28, 0x3f317217, v27
	v_fma_f32 v29, v27, s20, -v28
	v_fmac_f32_e32 v29, 0x3377d1cf, v27
	s_mov_b32 s20, 0x7f800000
	v_add_f32_e32 v28, v28, v29
	v_cmp_lt_f32_e64 s[20:21], |v27|, s20
	v_cndmask_b32_e64 v27, v27, v28, s[20:21]
	v_mov_b32_e32 v28, 0x41b17218
	v_cndmask_b32_e64 v28, 0, v28, s[16:17]
	v_sub_f32_e32 v27, v27, v28
	v_fma_f32 v26, |v24|, v26, -v27
.LBB150_301:
	s_or_b64 exec, exec, s[22:23]
	v_cmp_le_f16_e64 s[16:17], 0, v23
	v_cmp_nle_f16_e64 s[20:21], 0, v23
	s_and_saveexec_b64 s[22:23], s[20:21]
	s_xor_b64 s[30:31], exec, s[22:23]
	s_cbranch_execz .LBB150_305
; %bb.302:
	s_mov_b32 s20, 0x4b000000
	s_mov_b32 s22, 0x35000000
	v_cmp_lt_f32_e64 s[20:21], |v24|, s20
	v_cmp_gt_f32_e64 s[22:23], |v24|, s22
	s_and_b64 s[20:21], s[20:21], s[22:23]
	s_and_saveexec_b64 s[34:35], s[20:21]
	s_cbranch_execz .LBB150_304
; %bb.303:
	v_mul_f32_e64 v27, |v24|, 0.5
	v_floor_f32_e32 v28, v27
	v_sub_f32_e32 v28, v27, v28
	v_min_f32_e32 v28, 0x3f7fffff, v28
	s_mov_b32 s22, 0x7f800000
	v_add_f32_e32 v28, v28, v28
	v_cmp_neq_f32_e64 s[20:21], s22, v27
	v_cndmask_b32_e64 v27, 0, v28, s[20:21]
	v_cmp_gt_f32_e64 s[20:21], |v24|, 1.0
	v_cndmask_b32_e64 v27, |v24|, v27, s[20:21]
	v_add_f32_e32 v28, v27, v27
	v_rndne_f32_e32 v28, v28
	v_fmac_f32_e32 v27, -0.5, v28
	v_mul_f32_e32 v29, v27, v27
	v_mov_b32_e32 v30, 0xbf1f24be
	v_fmac_f32_e32 v30, 0x3e75aa41, v29
	v_mov_b32_e32 v31, 0x40234736
	v_fmac_f32_e32 v31, v29, v30
	;; [unrolled: 2-line block ×3, first 2 shown]
	v_mul_f32_e32 v31, v27, v29
	v_mul_f32_e32 v30, v31, v30
	v_fmac_f32_e32 v30, 0x40490fdb, v27
	v_mov_b32_e32 v27, 0x3e642e9d
	v_cvt_i32_f32_e32 v28, v28
	v_fmac_f32_e32 v27, 0x3d4be544, v29
	v_mov_b32_e32 v31, 0xbfaad1da
	v_fmac_f32_e32 v31, v29, v27
	v_mov_b32_e32 v27, 0x4081e0d3
	;; [unrolled: 2-line block ×3, first 2 shown]
	v_fmac_f32_e32 v31, v29, v27
	v_fma_f32 v27, v29, v31, 1.0
	v_and_b32_e32 v29, 1, v28
	v_lshlrev_b32_e32 v28, 30, v28
	v_cmp_eq_u32_e64 s[20:21], 0, v29
	v_and_b32_e32 v28, 0x80000000, v28
	v_xor_b32_e32 v25, v25, v24
	v_cndmask_b32_e64 v27, v27, v30, s[20:21]
	v_xor_b32_e32 v25, v25, v28
	v_xor_b32_e32 v25, v25, v27
	v_mul_f32_e32 v25, v24, v25
	v_frexp_mant_f32_e64 v27, |v25|
	v_rcp_f32_e32 v27, v27
	v_frexp_exp_i32_f32_e32 v25, v25
	v_sub_u32_e32 v25, 2, v25
	s_mov_b32 s20, 0x800000
	v_mul_f32_e32 v27, 0x3f490fdb, v27
	v_ldexp_f32 v25, v27, v25
	v_cmp_gt_f32_e64 s[20:21], s20, v25
	v_cndmask_b32_e64 v27, 0, 32, s[20:21]
	v_ldexp_f32 v25, v25, v27
	v_log_f32_e32 v25, v25
	s_mov_b32 s23, 0x3f317217
	v_mul_f32_e32 v27, 0x3f317217, v25
	v_fma_f32 v28, v25, s23, -v27
	v_fmac_f32_e32 v28, 0x3377d1cf, v25
	v_add_f32_e32 v27, v27, v28
	v_cmp_lt_f32_e64 s[22:23], |v25|, s22
	v_cndmask_b32_e64 v25, v25, v27, s[22:23]
	v_mov_b32_e32 v27, 0x41b17218
	v_cndmask_b32_e64 v27, 0, v27, s[20:21]
	v_sub_f32_e32 v25, v25, v27
	v_sub_f32_e32 v25, v25, v26
	v_floor_f32_e32 v26, v24
	v_sub_f32_e32 v26, v24, v26
	v_min_f32_e32 v26, 0x3f7fffff, v26
	v_mov_b32_e32 v27, 0x7f800000
	v_cmp_neq_f32_e64 s[20:21], 0, v26
	v_cndmask_b32_e64 v26, v27, v25, s[20:21]
.LBB150_304:
	s_or_b64 exec, exec, s[34:35]
.LBB150_305:
	s_andn2_saveexec_b64 s[30:31], s[30:31]
; %bb.306:
	v_cmp_eq_f16_e64 s[20:21], 1.0, v23
	v_cmp_eq_f16_e64 s[22:23], 2.0, v23
	s_or_b64 s[20:21], s[20:21], s[22:23]
	v_cndmask_b32_e64 v26, v26, 0, s[20:21]
; %bb.307:
	s_or_b64 exec, exec, s[30:31]
	v_cvt_f16_f32_e32 v22, v22
	s_mov_b32 s22, 0x4b000000
	v_cmp_lt_f32_e64 s[20:21], |v21|, s22
	v_mov_b32_e32 v25, 0x264
	v_mov_b32_e32 v27, 0x7c00
	s_or_b64 s[14:15], s[14:15], s[20:21]
	v_cndmask_b32_e64 v22, v27, v22, s[14:15]
	v_cmp_class_f32_e64 s[14:15], v21, v25
	v_cvt_f16_f32_e32 v20, v20
	v_cndmask_b32_e64 v21, v22, v27, s[14:15]
	v_cmp_u_f16_e64 s[14:15], v6, v6
	v_cndmask_b32_e64 v6, v21, v6, s[14:15]
	v_cmp_lt_f32_e64 s[14:15], |v19|, s22
	s_or_b64 s[12:13], s[12:13], s[14:15]
	v_cndmask_b32_e64 v20, v27, v20, s[12:13]
	v_cmp_class_f32_e64 s[12:13], v19, v25
	v_cvt_f16_f32_e32 v17, v17
	v_cndmask_b32_e64 v19, v20, v27, s[12:13]
	v_cmp_u_f16_e64 s[12:13], v18, v18
	v_cndmask_b32_e64 v18, v19, v18, s[12:13]
	v_cmp_lt_f32_e64 s[12:13], |v16|, s22
	;; [unrolled: 8-line block ×6, first 2 shown]
	s_or_b64 vcc, vcc, s[4:5]
	v_cndmask_b32_e32 v7, v27, v7, vcc
	v_cmp_class_f32_e32 vcc, v3, v25
	v_cndmask_b32_e32 v3, v7, v27, vcc
	v_cvt_f16_f32_e32 v7, v26
	v_cmp_u_f16_e32 vcc, v2, v2
	v_cmp_lt_f32_e64 s[4:5], |v24|, s22
	v_cndmask_b32_e32 v2, v3, v2, vcc
	s_or_b64 vcc, s[16:17], s[4:5]
	s_add_u32 s4, s24, s28
	s_mov_b32 s8, 0x5040100
	v_cndmask_b32_e32 v3, v27, v7, vcc
	v_cmp_class_f32_e32 vcc, v24, v25
	s_addc_u32 s5, s25, s29
	v_perm_b32 v2, v8, v2, s8
	v_cndmask_b32_e32 v3, v3, v27, vcc
	v_cmp_u_f16_e32 vcc, v23, v23
	global_store_dword v1, v2, s[4:5]
	v_perm_b32 v2, v13, v4, s8
	v_cndmask_b32_e32 v3, v3, v23, vcc
	global_store_dword v1, v2, s[4:5] offset:1024
	v_perm_b32 v2, v18, v5, s8
	global_store_dword v1, v2, s[4:5] offset:2048
	v_perm_b32 v2, v3, v6, s8
	global_store_dword v1, v2, s[4:5] offset:3072
	s_branch .LBB150_2
.LBB150_308:
	s_getpc_b64 s[4:5]
	s_add_u32 s4, s4, _ZN2at6native25elementwise_kernel_helperILb0EZZZNS0_18lgamma_kernel_cudaERNS_18TensorIteratorBaseEENKUlvE_clEvENKUlvE1_clEvEUlN3c104HalfEE_NS0_6memory8policies11unroll_baseILi256ESt5arrayIPcLm2EE23TrivialOffsetCalculatorILi1EjESG_NS9_15LoadWithoutCastENS9_16StoreWithoutCastELi8ELi1EEEEEvT0_T1_@rel32@lo+4
	s_addc_u32 s5, s5, _ZN2at6native25elementwise_kernel_helperILb0EZZZNS0_18lgamma_kernel_cudaERNS_18TensorIteratorBaseEENKUlvE_clEvENKUlvE1_clEvEUlN3c104HalfEE_NS0_6memory8policies11unroll_baseILi256ESt5arrayIPcLm2EE23TrivialOffsetCalculatorILi1EjESG_NS9_15LoadWithoutCastENS9_16StoreWithoutCastELi8ELi1EEEEEvT0_T1_@rel32@hi+12
	s_mov_b32 s12, s6
	v_mov_b32_e32 v31, v0
	v_mov_b32_e32 v0, s24
	;; [unrolled: 1-line block ×6, first 2 shown]
	s_swappc_b64 s[30:31], s[4:5]
	s_endpgm
	.section	.rodata,"a",@progbits
	.p2align	6, 0x0
	.amdhsa_kernel _ZN2at6native29vectorized_elementwise_kernelILi2EZZZNS0_18lgamma_kernel_cudaERNS_18TensorIteratorBaseEENKUlvE_clEvENKUlvE1_clEvEUlN3c104HalfEE_St5arrayIPcLm2EEEEviT0_T1_
		.amdhsa_group_segment_fixed_size 0
		.amdhsa_private_segment_fixed_size 0
		.amdhsa_kernarg_size 24
		.amdhsa_user_sgpr_count 6
		.amdhsa_user_sgpr_private_segment_buffer 1
		.amdhsa_user_sgpr_dispatch_ptr 0
		.amdhsa_user_sgpr_queue_ptr 0
		.amdhsa_user_sgpr_kernarg_segment_ptr 1
		.amdhsa_user_sgpr_dispatch_id 0
		.amdhsa_user_sgpr_flat_scratch_init 0
		.amdhsa_user_sgpr_private_segment_size 0
		.amdhsa_uses_dynamic_stack 0
		.amdhsa_system_sgpr_private_segment_wavefront_offset 0
		.amdhsa_system_sgpr_workgroup_id_x 1
		.amdhsa_system_sgpr_workgroup_id_y 0
		.amdhsa_system_sgpr_workgroup_id_z 0
		.amdhsa_system_sgpr_workgroup_info 0
		.amdhsa_system_vgpr_workitem_id 0
		.amdhsa_next_free_vgpr 35
		.amdhsa_next_free_sgpr 38
		.amdhsa_reserve_vcc 1
		.amdhsa_reserve_flat_scratch 0
		.amdhsa_float_round_mode_32 0
		.amdhsa_float_round_mode_16_64 0
		.amdhsa_float_denorm_mode_32 3
		.amdhsa_float_denorm_mode_16_64 3
		.amdhsa_dx10_clamp 1
		.amdhsa_ieee_mode 1
		.amdhsa_fp16_overflow 0
		.amdhsa_exception_fp_ieee_invalid_op 0
		.amdhsa_exception_fp_denorm_src 0
		.amdhsa_exception_fp_ieee_div_zero 0
		.amdhsa_exception_fp_ieee_overflow 0
		.amdhsa_exception_fp_ieee_underflow 0
		.amdhsa_exception_fp_ieee_inexact 0
		.amdhsa_exception_int_div_zero 0
	.end_amdhsa_kernel
	.section	.text._ZN2at6native29vectorized_elementwise_kernelILi2EZZZNS0_18lgamma_kernel_cudaERNS_18TensorIteratorBaseEENKUlvE_clEvENKUlvE1_clEvEUlN3c104HalfEE_St5arrayIPcLm2EEEEviT0_T1_,"axG",@progbits,_ZN2at6native29vectorized_elementwise_kernelILi2EZZZNS0_18lgamma_kernel_cudaERNS_18TensorIteratorBaseEENKUlvE_clEvENKUlvE1_clEvEUlN3c104HalfEE_St5arrayIPcLm2EEEEviT0_T1_,comdat
.Lfunc_end150:
	.size	_ZN2at6native29vectorized_elementwise_kernelILi2EZZZNS0_18lgamma_kernel_cudaERNS_18TensorIteratorBaseEENKUlvE_clEvENKUlvE1_clEvEUlN3c104HalfEE_St5arrayIPcLm2EEEEviT0_T1_, .Lfunc_end150-_ZN2at6native29vectorized_elementwise_kernelILi2EZZZNS0_18lgamma_kernel_cudaERNS_18TensorIteratorBaseEENKUlvE_clEvENKUlvE1_clEvEUlN3c104HalfEE_St5arrayIPcLm2EEEEviT0_T1_
                                        ; -- End function
	.set _ZN2at6native29vectorized_elementwise_kernelILi2EZZZNS0_18lgamma_kernel_cudaERNS_18TensorIteratorBaseEENKUlvE_clEvENKUlvE1_clEvEUlN3c104HalfEE_St5arrayIPcLm2EEEEviT0_T1_.num_vgpr, max(35, .L_ZN2at6native25elementwise_kernel_helperILb0EZZZNS0_18lgamma_kernel_cudaERNS_18TensorIteratorBaseEENKUlvE_clEvENKUlvE1_clEvEUlN3c104HalfEE_NS0_6memory8policies11unroll_baseILi256ESt5arrayIPcLm2EE23TrivialOffsetCalculatorILi1EjESG_NS9_15LoadWithoutCastENS9_16StoreWithoutCastELi8ELi1EEEEEvT0_T1_.num_vgpr)
	.set _ZN2at6native29vectorized_elementwise_kernelILi2EZZZNS0_18lgamma_kernel_cudaERNS_18TensorIteratorBaseEENKUlvE_clEvENKUlvE1_clEvEUlN3c104HalfEE_St5arrayIPcLm2EEEEviT0_T1_.num_agpr, max(0, .L_ZN2at6native25elementwise_kernel_helperILb0EZZZNS0_18lgamma_kernel_cudaERNS_18TensorIteratorBaseEENKUlvE_clEvENKUlvE1_clEvEUlN3c104HalfEE_NS0_6memory8policies11unroll_baseILi256ESt5arrayIPcLm2EE23TrivialOffsetCalculatorILi1EjESG_NS9_15LoadWithoutCastENS9_16StoreWithoutCastELi8ELi1EEEEEvT0_T1_.num_agpr)
	.set _ZN2at6native29vectorized_elementwise_kernelILi2EZZZNS0_18lgamma_kernel_cudaERNS_18TensorIteratorBaseEENKUlvE_clEvENKUlvE1_clEvEUlN3c104HalfEE_St5arrayIPcLm2EEEEviT0_T1_.numbered_sgpr, max(38, .L_ZN2at6native25elementwise_kernel_helperILb0EZZZNS0_18lgamma_kernel_cudaERNS_18TensorIteratorBaseEENKUlvE_clEvENKUlvE1_clEvEUlN3c104HalfEE_NS0_6memory8policies11unroll_baseILi256ESt5arrayIPcLm2EE23TrivialOffsetCalculatorILi1EjESG_NS9_15LoadWithoutCastENS9_16StoreWithoutCastELi8ELi1EEEEEvT0_T1_.numbered_sgpr)
	.set _ZN2at6native29vectorized_elementwise_kernelILi2EZZZNS0_18lgamma_kernel_cudaERNS_18TensorIteratorBaseEENKUlvE_clEvENKUlvE1_clEvEUlN3c104HalfEE_St5arrayIPcLm2EEEEviT0_T1_.num_named_barrier, max(0, .L_ZN2at6native25elementwise_kernel_helperILb0EZZZNS0_18lgamma_kernel_cudaERNS_18TensorIteratorBaseEENKUlvE_clEvENKUlvE1_clEvEUlN3c104HalfEE_NS0_6memory8policies11unroll_baseILi256ESt5arrayIPcLm2EE23TrivialOffsetCalculatorILi1EjESG_NS9_15LoadWithoutCastENS9_16StoreWithoutCastELi8ELi1EEEEEvT0_T1_.num_named_barrier)
	.set _ZN2at6native29vectorized_elementwise_kernelILi2EZZZNS0_18lgamma_kernel_cudaERNS_18TensorIteratorBaseEENKUlvE_clEvENKUlvE1_clEvEUlN3c104HalfEE_St5arrayIPcLm2EEEEviT0_T1_.private_seg_size, 0+max(.L_ZN2at6native25elementwise_kernel_helperILb0EZZZNS0_18lgamma_kernel_cudaERNS_18TensorIteratorBaseEENKUlvE_clEvENKUlvE1_clEvEUlN3c104HalfEE_NS0_6memory8policies11unroll_baseILi256ESt5arrayIPcLm2EE23TrivialOffsetCalculatorILi1EjESG_NS9_15LoadWithoutCastENS9_16StoreWithoutCastELi8ELi1EEEEEvT0_T1_.private_seg_size)
	.set _ZN2at6native29vectorized_elementwise_kernelILi2EZZZNS0_18lgamma_kernel_cudaERNS_18TensorIteratorBaseEENKUlvE_clEvENKUlvE1_clEvEUlN3c104HalfEE_St5arrayIPcLm2EEEEviT0_T1_.uses_vcc, or(1, .L_ZN2at6native25elementwise_kernel_helperILb0EZZZNS0_18lgamma_kernel_cudaERNS_18TensorIteratorBaseEENKUlvE_clEvENKUlvE1_clEvEUlN3c104HalfEE_NS0_6memory8policies11unroll_baseILi256ESt5arrayIPcLm2EE23TrivialOffsetCalculatorILi1EjESG_NS9_15LoadWithoutCastENS9_16StoreWithoutCastELi8ELi1EEEEEvT0_T1_.uses_vcc)
	.set _ZN2at6native29vectorized_elementwise_kernelILi2EZZZNS0_18lgamma_kernel_cudaERNS_18TensorIteratorBaseEENKUlvE_clEvENKUlvE1_clEvEUlN3c104HalfEE_St5arrayIPcLm2EEEEviT0_T1_.uses_flat_scratch, or(0, .L_ZN2at6native25elementwise_kernel_helperILb0EZZZNS0_18lgamma_kernel_cudaERNS_18TensorIteratorBaseEENKUlvE_clEvENKUlvE1_clEvEUlN3c104HalfEE_NS0_6memory8policies11unroll_baseILi256ESt5arrayIPcLm2EE23TrivialOffsetCalculatorILi1EjESG_NS9_15LoadWithoutCastENS9_16StoreWithoutCastELi8ELi1EEEEEvT0_T1_.uses_flat_scratch)
	.set _ZN2at6native29vectorized_elementwise_kernelILi2EZZZNS0_18lgamma_kernel_cudaERNS_18TensorIteratorBaseEENKUlvE_clEvENKUlvE1_clEvEUlN3c104HalfEE_St5arrayIPcLm2EEEEviT0_T1_.has_dyn_sized_stack, or(0, .L_ZN2at6native25elementwise_kernel_helperILb0EZZZNS0_18lgamma_kernel_cudaERNS_18TensorIteratorBaseEENKUlvE_clEvENKUlvE1_clEvEUlN3c104HalfEE_NS0_6memory8policies11unroll_baseILi256ESt5arrayIPcLm2EE23TrivialOffsetCalculatorILi1EjESG_NS9_15LoadWithoutCastENS9_16StoreWithoutCastELi8ELi1EEEEEvT0_T1_.has_dyn_sized_stack)
	.set _ZN2at6native29vectorized_elementwise_kernelILi2EZZZNS0_18lgamma_kernel_cudaERNS_18TensorIteratorBaseEENKUlvE_clEvENKUlvE1_clEvEUlN3c104HalfEE_St5arrayIPcLm2EEEEviT0_T1_.has_recursion, or(0, .L_ZN2at6native25elementwise_kernel_helperILb0EZZZNS0_18lgamma_kernel_cudaERNS_18TensorIteratorBaseEENKUlvE_clEvENKUlvE1_clEvEUlN3c104HalfEE_NS0_6memory8policies11unroll_baseILi256ESt5arrayIPcLm2EE23TrivialOffsetCalculatorILi1EjESG_NS9_15LoadWithoutCastENS9_16StoreWithoutCastELi8ELi1EEEEEvT0_T1_.has_recursion)
	.set _ZN2at6native29vectorized_elementwise_kernelILi2EZZZNS0_18lgamma_kernel_cudaERNS_18TensorIteratorBaseEENKUlvE_clEvENKUlvE1_clEvEUlN3c104HalfEE_St5arrayIPcLm2EEEEviT0_T1_.has_indirect_call, or(0, .L_ZN2at6native25elementwise_kernel_helperILb0EZZZNS0_18lgamma_kernel_cudaERNS_18TensorIteratorBaseEENKUlvE_clEvENKUlvE1_clEvEUlN3c104HalfEE_NS0_6memory8policies11unroll_baseILi256ESt5arrayIPcLm2EE23TrivialOffsetCalculatorILi1EjESG_NS9_15LoadWithoutCastENS9_16StoreWithoutCastELi8ELi1EEEEEvT0_T1_.has_indirect_call)
	.section	.AMDGPU.csdata,"",@progbits
; Kernel info:
; codeLenInByte = 21616
; TotalNumSgprs: 42
; NumVgprs: 35
; ScratchSize: 0
; MemoryBound: 0
; FloatMode: 240
; IeeeMode: 1
; LDSByteSize: 0 bytes/workgroup (compile time only)
; SGPRBlocks: 5
; VGPRBlocks: 8
; NumSGPRsForWavesPerEU: 42
; NumVGPRsForWavesPerEU: 35
; Occupancy: 7
; WaveLimiterHint : 1
; COMPUTE_PGM_RSRC2:SCRATCH_EN: 0
; COMPUTE_PGM_RSRC2:USER_SGPR: 6
; COMPUTE_PGM_RSRC2:TRAP_HANDLER: 0
; COMPUTE_PGM_RSRC2:TGID_X_EN: 1
; COMPUTE_PGM_RSRC2:TGID_Y_EN: 0
; COMPUTE_PGM_RSRC2:TGID_Z_EN: 0
; COMPUTE_PGM_RSRC2:TIDIG_COMP_CNT: 0
	.section	.text._ZN2at6native27unrolled_elementwise_kernelIZZZNS0_18lgamma_kernel_cudaERNS_18TensorIteratorBaseEENKUlvE_clEvENKUlvE1_clEvEUlN3c104HalfEE_St5arrayIPcLm2EELi4E23TrivialOffsetCalculatorILi1EjESD_NS0_6memory15LoadWithoutCastENSE_16StoreWithoutCastEEEviT_T0_T2_T3_T4_T5_,"axG",@progbits,_ZN2at6native27unrolled_elementwise_kernelIZZZNS0_18lgamma_kernel_cudaERNS_18TensorIteratorBaseEENKUlvE_clEvENKUlvE1_clEvEUlN3c104HalfEE_St5arrayIPcLm2EELi4E23TrivialOffsetCalculatorILi1EjESD_NS0_6memory15LoadWithoutCastENSE_16StoreWithoutCastEEEviT_T0_T2_T3_T4_T5_,comdat
	.globl	_ZN2at6native27unrolled_elementwise_kernelIZZZNS0_18lgamma_kernel_cudaERNS_18TensorIteratorBaseEENKUlvE_clEvENKUlvE1_clEvEUlN3c104HalfEE_St5arrayIPcLm2EELi4E23TrivialOffsetCalculatorILi1EjESD_NS0_6memory15LoadWithoutCastENSE_16StoreWithoutCastEEEviT_T0_T2_T3_T4_T5_ ; -- Begin function _ZN2at6native27unrolled_elementwise_kernelIZZZNS0_18lgamma_kernel_cudaERNS_18TensorIteratorBaseEENKUlvE_clEvENKUlvE1_clEvEUlN3c104HalfEE_St5arrayIPcLm2EELi4E23TrivialOffsetCalculatorILi1EjESD_NS0_6memory15LoadWithoutCastENSE_16StoreWithoutCastEEEviT_T0_T2_T3_T4_T5_
	.p2align	8
	.type	_ZN2at6native27unrolled_elementwise_kernelIZZZNS0_18lgamma_kernel_cudaERNS_18TensorIteratorBaseEENKUlvE_clEvENKUlvE1_clEvEUlN3c104HalfEE_St5arrayIPcLm2EELi4E23TrivialOffsetCalculatorILi1EjESD_NS0_6memory15LoadWithoutCastENSE_16StoreWithoutCastEEEviT_T0_T2_T3_T4_T5_,@function
_ZN2at6native27unrolled_elementwise_kernelIZZZNS0_18lgamma_kernel_cudaERNS_18TensorIteratorBaseEENKUlvE_clEvENKUlvE1_clEvEUlN3c104HalfEE_St5arrayIPcLm2EELi4E23TrivialOffsetCalculatorILi1EjESD_NS0_6memory15LoadWithoutCastENSE_16StoreWithoutCastEEEviT_T0_T2_T3_T4_T5_: ; @_ZN2at6native27unrolled_elementwise_kernelIZZZNS0_18lgamma_kernel_cudaERNS_18TensorIteratorBaseEENKUlvE_clEvENKUlvE1_clEvEUlN3c104HalfEE_St5arrayIPcLm2EELi4E23TrivialOffsetCalculatorILi1EjESD_NS0_6memory15LoadWithoutCastENSE_16StoreWithoutCastEEEviT_T0_T2_T3_T4_T5_
; %bb.0:
	s_load_dword s0, s[4:5], 0x0
	s_load_dwordx4 s[8:11], s[4:5], 0x8
	s_lshl_b32 s16, s6, 10
	v_mov_b32_e32 v6, 0
	v_or_b32_e32 v1, s16, v0
	s_waitcnt lgkmcnt(0)
	s_sub_i32 s17, s0, s16
	v_cmp_gt_i32_e32 vcc, s17, v0
	v_mov_b32_e32 v5, 0
	v_mov_b32_e32 v3, v0
	s_and_saveexec_b64 s[2:3], vcc
	s_cbranch_execz .LBB151_2
; %bb.1:
	v_mov_b32_e32 v2, 0
	v_lshlrev_b64 v[2:3], 1, v[1:2]
	v_mov_b32_e32 v4, s11
	v_add_co_u32_e64 v2, s[0:1], s10, v2
	v_addc_co_u32_e64 v3, s[0:1], v4, v3, s[0:1]
	global_load_ushort v5, v[2:3], off
	v_or_b32_e32 v3, 0x100, v0
.LBB151_2:
	s_or_b64 exec, exec, s[2:3]
	v_cmp_gt_i32_e64 s[0:1], s17, v3
	s_and_saveexec_b64 s[2:3], s[0:1]
	s_cbranch_execz .LBB151_4
; %bb.3:
	v_add_u32_e32 v6, s16, v3
	v_mov_b32_e32 v7, 0
	v_lshlrev_b64 v[6:7], 1, v[6:7]
	v_mov_b32_e32 v2, s11
	v_add_co_u32_e64 v6, s[0:1], s10, v6
	v_addc_co_u32_e64 v7, s[0:1], v2, v7, s[0:1]
	global_load_ushort v6, v[6:7], off
	v_add_u32_e32 v3, 0x100, v3
.LBB151_4:
	s_or_b64 exec, exec, s[2:3]
	v_cmp_gt_i32_e64 s[0:1], s17, v3
	v_mov_b32_e32 v2, 0
	v_mov_b32_e32 v4, 0
	s_and_saveexec_b64 s[2:3], s[0:1]
	s_cbranch_execnz .LBB151_7
; %bb.5:
	s_or_b64 exec, exec, s[2:3]
	v_cmp_gt_i32_e64 s[0:1], s17, v3
	s_and_saveexec_b64 s[2:3], s[0:1]
	s_cbranch_execnz .LBB151_8
.LBB151_6:
	s_or_b64 exec, exec, s[2:3]
                                        ; implicit-def: $vgpr3
	s_and_saveexec_b64 s[6:7], vcc
	s_cbranch_execnz .LBB151_9
	s_branch .LBB151_48
.LBB151_7:
	v_add_u32_e32 v7, s16, v3
	v_mov_b32_e32 v8, 0
	v_lshlrev_b64 v[7:8], 1, v[7:8]
	v_mov_b32_e32 v4, s11
	v_add_co_u32_e64 v7, s[0:1], s10, v7
	v_addc_co_u32_e64 v8, s[0:1], v4, v8, s[0:1]
	global_load_ushort v4, v[7:8], off
	v_add_u32_e32 v3, 0x100, v3
	s_or_b64 exec, exec, s[2:3]
	v_cmp_gt_i32_e64 s[0:1], s17, v3
	s_and_saveexec_b64 s[2:3], s[0:1]
	s_cbranch_execz .LBB151_6
.LBB151_8:
	v_add_u32_e32 v2, s16, v3
	v_mov_b32_e32 v3, 0
	v_lshlrev_b64 v[2:3], 1, v[2:3]
	v_mov_b32_e32 v7, s11
	v_add_co_u32_e64 v2, s[0:1], s10, v2
	v_addc_co_u32_e64 v3, s[0:1], v7, v3, s[0:1]
	global_load_ushort v2, v[2:3], off
	s_or_b64 exec, exec, s[2:3]
                                        ; implicit-def: $vgpr3
	s_and_saveexec_b64 s[6:7], vcc
	s_cbranch_execz .LBB151_48
.LBB151_9:
	s_waitcnt vmcnt(0)
	v_cvt_f32_f16_e32 v3, v5
	s_mov_b32 s0, 0x3c800000
                                        ; implicit-def: $vgpr8
	v_and_b32_e32 v7, 0x7fffffff, v3
	v_cmp_nlt_f32_e64 s[0:1], |v3|, s0
	s_and_saveexec_b64 s[2:3], s[0:1]
	s_xor_b64 s[4:5], exec, s[2:3]
	s_cbranch_execz .LBB151_39
; %bb.10:
	v_cmp_nlt_f32_e64 s[0:1], |v3|, 2.0
                                        ; implicit-def: $vgpr8
	s_and_saveexec_b64 s[2:3], s[0:1]
	s_xor_b64 s[10:11], exec, s[2:3]
	s_cbranch_execz .LBB151_20
; %bb.11:
	s_mov_b32 s0, 0x41000000
	v_cmp_nlt_f32_e64 s[0:1], |v3|, s0
                                        ; implicit-def: $vgpr8
	s_and_saveexec_b64 s[2:3], s[0:1]
	s_xor_b64 s[12:13], exec, s[2:3]
	s_cbranch_execz .LBB151_17
; %bb.12:
	s_mov_b32 s0, 0x5c800000
	v_cmp_nlt_f32_e64 s[0:1], |v3|, s0
                                        ; implicit-def: $vgpr8
	s_and_saveexec_b64 s[2:3], s[0:1]
	s_xor_b64 s[14:15], exec, s[2:3]
	s_cbranch_execz .LBB151_14
; %bb.13:
	s_mov_b32 s0, 0x800000
	v_cmp_lt_f32_e64 s[0:1], |v3|, s0
	v_cndmask_b32_e64 v8, 0, 32, s[0:1]
	v_ldexp_f32 v8, |v3|, v8
	v_log_f32_e32 v8, v8
	s_mov_b32 s2, 0x3f317217
	s_mov_b32 s3, 0x7f800000
	v_mul_f32_e32 v9, 0x3f317217, v8
	v_fma_f32 v10, v8, s2, -v9
	v_fmac_f32_e32 v10, 0x3377d1cf, v8
	v_add_f32_e32 v9, v9, v10
	v_cmp_lt_f32_e64 s[2:3], |v8|, s3
	v_cndmask_b32_e64 v8, v8, v9, s[2:3]
	v_mov_b32_e32 v9, 0x41b17218
	v_cndmask_b32_e64 v9, 0, v9, s[0:1]
	v_sub_f32_e32 v8, v8, v9
	v_fma_f32 v8, |v3|, v8, -|v3|
.LBB151_14:
	s_andn2_saveexec_b64 s[14:15], s[14:15]
	s_cbranch_execz .LBB151_16
; %bb.15:
	v_rcp_f32_e64 v9, |v3|
	v_mov_b32_e32 v8, 0x3a5b3dd2
	v_mov_b32_e32 v10, 0xba1c065c
	v_mov_b32_e32 v11, 0x3a500cfd
	v_mul_f32_e32 v12, v9, v9
	v_fmac_f32_e32 v8, 0xbad5c4e8, v12
	v_fmac_f32_e32 v10, v12, v8
	s_mov_b32 s0, 0x800000
	v_fmac_f32_e32 v11, v12, v10
	v_mov_b32_e32 v8, 0xbb360b61
	v_cmp_lt_f32_e64 s[0:1], |v3|, s0
	v_fmac_f32_e32 v8, v12, v11
	v_cndmask_b32_e64 v11, 0, 32, s[0:1]
	v_ldexp_f32 v11, |v3|, v11
	v_log_f32_e32 v11, v11
	v_mov_b32_e32 v10, 0x3daaaaab
	v_fmac_f32_e32 v10, v12, v8
	v_mov_b32_e32 v8, 0x3ed67f1d
	v_fmac_f32_e32 v8, v9, v10
	s_mov_b32 s2, 0x3f317217
	v_mul_f32_e32 v10, 0x3f317217, v11
	v_fma_f32 v12, v11, s2, -v10
	v_fmac_f32_e32 v12, 0x3377d1cf, v11
	s_mov_b32 s2, 0x7f800000
	v_add_f32_e32 v10, v10, v12
	v_cmp_lt_f32_e64 s[2:3], |v11|, s2
	v_cndmask_b32_e64 v10, v11, v10, s[2:3]
	v_mov_b32_e32 v11, 0x41b17218
	v_cndmask_b32_e64 v11, 0, v11, s[0:1]
	v_sub_f32_e32 v10, v10, v11
	v_add_f32_e64 v9, |v3|, -0.5
	v_add_f32_e32 v10, -1.0, v10
	v_fmac_f32_e32 v8, v9, v10
.LBB151_16:
	s_or_b64 exec, exec, s[14:15]
.LBB151_17:
	s_andn2_saveexec_b64 s[12:13], s[12:13]
	s_cbranch_execz .LBB151_19
; %bb.18:
	v_cvt_i32_f32_e32 v8, v7
	v_mov_b32_e32 v9, 0x3af135b4
	v_mov_b32_e32 v10, 0x3cda40e4
	v_mov_b32_e32 v11, 0x3e15dce6
	v_cvt_f32_i32_e32 v12, v8
	v_mov_b32_e32 v13, 0x3ea6cc7a
	v_mov_b32_e32 v14, 0x3e5c245a
	v_cmp_lt_i32_e64 s[0:1], 2, v8
	v_sub_f32_e64 v12, |v3|, v12
	v_fmac_f32_e32 v9, 0x3805ff67, v12
	v_fmac_f32_e32 v10, v12, v9
	;; [unrolled: 1-line block ×3, first 2 shown]
	v_mov_b32_e32 v10, 0x3a4beed6
	v_fmac_f32_e32 v13, v12, v11
	v_fmac_f32_e32 v10, 0x36f5d7bd, v12
	v_mov_b32_e32 v11, 0x3c98bf54
	v_fmac_f32_e32 v11, v12, v10
	v_mov_b32_e32 v10, 0x3e300f6e
	;; [unrolled: 2-line block ×4, first 2 shown]
	v_fmac_f32_e32 v10, v12, v11
	v_add_f32_e32 v11, 2.0, v12
	v_mov_b32_e32 v15, 0xbd9e233f
	v_fmac_f32_e32 v14, v12, v13
	v_add_f32_e32 v13, 0x40400000, v12
	v_cndmask_b32_e64 v11, 1.0, v11, s[0:1]
	v_cmp_lt_i32_e64 s[0:1], 3, v8
	v_fmac_f32_e32 v15, v12, v14
	v_add_f32_e32 v14, 4.0, v12
	v_cndmask_b32_e64 v13, 1.0, v13, s[0:1]
	v_cmp_lt_i32_e64 s[0:1], 4, v8
	v_mul_f32_e32 v9, v12, v15
	v_add_f32_e32 v15, 0x40a00000, v12
	v_mul_f32_e32 v11, v11, v13
	v_cndmask_b32_e64 v13, 1.0, v14, s[0:1]
	v_cmp_lt_i32_e64 s[0:1], 5, v8
	v_add_f32_e32 v16, 0x40c00000, v12
	v_mul_f32_e32 v11, v13, v11
	v_cndmask_b32_e64 v13, 1.0, v15, s[0:1]
	v_cmp_lt_i32_e64 s[0:1], 6, v8
	v_mul_f32_e32 v11, v13, v11
	v_cndmask_b32_e64 v8, 1.0, v16, s[0:1]
	v_mul_f32_e32 v8, v8, v11
	s_mov_b32 s0, 0x800000
	v_cmp_gt_f32_e64 s[0:1], s0, v8
	v_cndmask_b32_e64 v11, 0, 32, s[0:1]
	v_fma_f32 v10, v12, v10, 1.0
	v_ldexp_f32 v8, v8, v11
	v_rcp_f32_e32 v10, v10
	v_log_f32_e32 v8, v8
	s_mov_b32 s2, 0x3f317217
	v_mul_f32_e32 v9, v9, v10
	v_mul_f32_e32 v10, 0x3f317217, v8
	v_fma_f32 v11, v8, s2, -v10
	v_fmac_f32_e32 v11, 0x3377d1cf, v8
	s_mov_b32 s2, 0x7f800000
	v_add_f32_e32 v10, v10, v11
	v_cmp_lt_f32_e64 s[2:3], |v8|, s2
	v_cndmask_b32_e64 v8, v8, v10, s[2:3]
	v_mov_b32_e32 v10, 0x41b17218
	v_cndmask_b32_e64 v10, 0, v10, s[0:1]
	v_fmac_f32_e32 v9, 0.5, v12
	v_sub_f32_e32 v8, v8, v10
	v_add_f32_e32 v8, v8, v9
.LBB151_19:
	s_or_b64 exec, exec, s[12:13]
.LBB151_20:
	s_andn2_saveexec_b64 s[10:11], s[10:11]
	s_cbranch_execz .LBB151_38
; %bb.21:
	s_mov_b32 s0, 0x3f666666
	v_cmp_le_f32_e64 s[0:1], |v3|, s0
                                        ; implicit-def: $vgpr8
                                        ; implicit-def: $vgpr10
                                        ; implicit-def: $vgpr9
	s_and_saveexec_b64 s[2:3], s[0:1]
	s_xor_b64 s[12:13], exec, s[2:3]
	s_cbranch_execz .LBB151_23
; %bb.22:
	s_mov_b32 s0, 0x800000
	v_cmp_lt_f32_e64 s[0:1], |v3|, s0
	v_cndmask_b32_e64 v8, 0, 32, s[0:1]
	v_ldexp_f32 v8, |v3|, v8
	v_log_f32_e32 v8, v8
	s_mov_b32 s2, 0x3f317217
	s_mov_b32 s3, 0x7f800000
	v_mul_f32_e32 v9, 0x3f317217, v8
	v_fma_f32 v10, v8, s2, -v9
	v_fmac_f32_e32 v10, 0x3377d1cf, v8
	v_add_f32_e32 v9, v9, v10
	v_cmp_lt_f32_e64 s[2:3], |v8|, s3
	v_cndmask_b32_e64 v8, v8, v9, s[2:3]
	v_mov_b32_e32 v9, 0x41b17218
	v_cndmask_b32_e64 v9, 0, v9, s[0:1]
	s_mov_b32 s0, 0x3f3b4a23
	s_mov_b32 s1, 0xbeec5b0c
	v_sub_f32_e32 v8, v8, v9
	v_sub_f32_e64 v9, 1.0, |v3|
	v_add_f32_e64 v10, |v3|, s1
	v_cmp_lt_f32_e64 s[0:1], |v3|, s0
	v_cndmask_b32_e64 v9, v9, v10, s[0:1]
	v_cndmask_b32_e64 v10, 0, 1, s[0:1]
	s_mov_b32 s0, 0x3e6d3309
	v_cmp_lt_f32_e64 s[0:1], |v3|, s0
	v_xor_b32_e32 v8, 0x80000000, v8
	v_cndmask_b32_e64 v9, v9, |v3|, s[0:1]
	v_cndmask_b32_e64 v10, v10, 2, s[0:1]
.LBB151_23:
	s_andn2_saveexec_b64 s[2:3], s[12:13]
	s_cbranch_execz .LBB151_25
; %bb.24:
	s_mov_b32 s0, 0x3fdda512
	s_mov_b32 s1, 0xbfbb16c3
	v_sub_f32_e64 v8, 2.0, |v3|
	v_add_f32_e64 v9, |v3|, s1
	v_cmp_lt_f32_e64 s[0:1], |v3|, s0
	v_cndmask_b32_e64 v9, v8, v9, s[0:1]
	v_cndmask_b32_e64 v8, v8, 1.0, s[0:1]
	v_cvt_i32_f32_e32 v8, v8
	s_mov_b32 s0, 0x3f9d70a4
	v_add_f32_e64 v10, |v3|, -1.0
	v_cmp_lt_f32_e64 s[0:1], |v3|, s0
	v_cndmask_b32_e64 v9, v9, v10, s[0:1]
	v_cndmask_b32_e64 v10, v8, 2, s[0:1]
	v_mov_b32_e32 v8, 0
.LBB151_25:
	s_or_b64 exec, exec, s[2:3]
	v_cmp_lt_i32_e64 s[0:1], 0, v10
	s_and_saveexec_b64 s[2:3], s[0:1]
	s_xor_b64 s[2:3], exec, s[2:3]
	s_cbranch_execz .LBB151_33
; %bb.26:
	v_cmp_lt_i32_e64 s[0:1], 1, v10
	s_and_saveexec_b64 s[12:13], s[0:1]
	s_xor_b64 s[12:13], exec, s[12:13]
	s_cbranch_execz .LBB151_30
; %bb.27:
	v_cmp_eq_u32_e64 s[0:1], 2, v10
	s_and_saveexec_b64 s[14:15], s[0:1]
	s_cbranch_execz .LBB151_29
; %bb.28:
	v_mov_b32_e32 v10, 0x3e6a7578
	v_fmac_f32_e32 v10, 0x3c5b3c5e, v9
	v_mov_b32_e32 v11, 0x3f7a4bb2
	v_fmac_f32_e32 v11, v9, v10
	v_mov_b32_e32 v10, 0x3fba3ae7
	v_fmac_f32_e32 v10, v9, v11
	v_mov_b32_e32 v11, 0x3f2200f4
	v_fmac_f32_e32 v11, v9, v10
	v_mov_b32_e32 v10, 0x3dd572af
	v_fmac_f32_e32 v10, 0x3b52d5db, v9
	v_mov_b32_e32 v12, 0x3f44efdf
	v_fmac_f32_e32 v12, v9, v10
	v_mov_b32_e32 v10, 0x4008392d
	v_fmac_f32_e32 v10, v9, v12
	v_mov_b32_e32 v12, 0x401d2ebe
	v_fmac_f32_e32 v12, v9, v10
	v_fma_f32 v10, v9, v12, 1.0
	v_rcp_f32_e32 v10, v10
	v_mov_b32_e32 v12, 0xbd9e233f
	v_fmac_f32_e32 v12, v9, v11
	v_mul_f32_e32 v11, v9, v12
	v_mul_f32_e32 v10, v11, v10
	v_fmac_f32_e32 v10, -0.5, v9
	v_add_f32_e32 v8, v8, v10
.LBB151_29:
	s_or_b64 exec, exec, s[14:15]
                                        ; implicit-def: $vgpr9
.LBB151_30:
	s_andn2_saveexec_b64 s[0:1], s[12:13]
	s_cbranch_execz .LBB151_32
; %bb.31:
	v_mul_f32_e32 v10, v9, v9
	v_mul_f32_e32 v11, v9, v10
	v_mov_b32_e32 v12, 0xbab7f476
	v_fmac_f32_e32 v12, 0x39a57b6b, v11
	v_mov_b32_e32 v13, 0x3bc7e707
	v_fmac_f32_e32 v13, v11, v12
	;; [unrolled: 2-line block ×12, first 2 shown]
	v_fmac_f32_e32 v14, v9, v15
	s_mov_b32 s12, 0xa2863e55
	v_fma_f32 v9, v11, -v14, s12
	v_fma_f32 v9, v10, v13, -v9
	v_add_f32_e32 v9, 0xbdf8cdce, v9
	v_add_f32_e32 v8, v8, v9
.LBB151_32:
	s_or_b64 exec, exec, s[0:1]
                                        ; implicit-def: $vgpr10
                                        ; implicit-def: $vgpr9
.LBB151_33:
	s_andn2_saveexec_b64 s[2:3], s[2:3]
	s_cbranch_execz .LBB151_37
; %bb.34:
	v_cmp_eq_u32_e64 s[0:1], 0, v10
	s_and_saveexec_b64 s[12:13], s[0:1]
	s_cbranch_execz .LBB151_36
; %bb.35:
	v_mul_f32_e32 v10, v9, v9
	v_mov_b32_e32 v11, 0x39679767
	v_fmac_f32_e32 v11, 0x37d383a2, v10
	v_mov_b32_e32 v12, 0x3a9c54a1
	v_fmac_f32_e32 v12, v10, v11
	;; [unrolled: 2-line block ×10, first 2 shown]
	v_mul_f32_e32 v10, v10, v12
	v_fmac_f32_e32 v10, v9, v11
	v_fmac_f32_e32 v10, -0.5, v9
	v_add_f32_e32 v8, v8, v10
.LBB151_36:
	s_or_b64 exec, exec, s[12:13]
.LBB151_37:
	s_or_b64 exec, exec, s[2:3]
.LBB151_38:
	s_or_b64 exec, exec, s[10:11]
.LBB151_39:
	s_andn2_saveexec_b64 s[4:5], s[4:5]
	s_cbranch_execz .LBB151_41
; %bb.40:
	s_mov_b32 s0, 0x3e8a8991
	v_mov_b32_e32 v8, 0xbecd26ab
	v_fma_f32 v8, |v3|, s0, v8
	s_mov_b32 s0, 0x3f528d33
	v_fma_f32 v8, |v3|, v8, s0
	s_mov_b32 s0, 0x800000
	v_cmp_lt_f32_e64 s[0:1], |v3|, s0
	v_cndmask_b32_e64 v9, 0, 32, s[0:1]
	v_ldexp_f32 v9, |v3|, v9
	v_log_f32_e32 v9, v9
	s_mov_b32 s2, 0xbf13c468
	v_fma_f32 v8, |v3|, v8, s2
	s_mov_b32 s2, 0x3f317217
	v_mul_f32_e32 v10, 0x3f317217, v9
	v_fma_f32 v11, v9, s2, -v10
	v_fmac_f32_e32 v11, 0x3377d1cf, v9
	s_mov_b32 s2, 0x7f800000
	v_add_f32_e32 v10, v10, v11
	v_cmp_lt_f32_e64 s[2:3], |v9|, s2
	v_cndmask_b32_e64 v9, v9, v10, s[2:3]
	v_mov_b32_e32 v10, 0x41b17218
	v_cndmask_b32_e64 v10, 0, v10, s[0:1]
	v_sub_f32_e32 v9, v9, v10
	v_fma_f32 v8, |v3|, v8, -v9
.LBB151_41:
	s_or_b64 exec, exec, s[4:5]
	v_cmp_le_f16_e64 s[0:1], 0, v5
	v_cmp_nle_f16_e64 s[2:3], 0, v5
	s_and_saveexec_b64 s[4:5], s[2:3]
	s_xor_b64 s[10:11], exec, s[4:5]
	s_cbranch_execz .LBB151_45
; %bb.42:
	s_mov_b32 s2, 0x4b000000
	s_mov_b32 s4, 0x35000000
	v_cmp_lt_f32_e64 s[2:3], |v3|, s2
	v_cmp_gt_f32_e64 s[4:5], |v3|, s4
	s_and_b64 s[2:3], s[2:3], s[4:5]
	s_and_saveexec_b64 s[12:13], s[2:3]
	s_cbranch_execz .LBB151_44
; %bb.43:
	v_mul_f32_e64 v9, |v3|, 0.5
	v_floor_f32_e32 v10, v9
	v_sub_f32_e32 v10, v9, v10
	v_min_f32_e32 v10, 0x3f7fffff, v10
	s_mov_b32 s4, 0x7f800000
	v_add_f32_e32 v10, v10, v10
	v_cmp_neq_f32_e64 s[2:3], s4, v9
	v_cndmask_b32_e64 v9, 0, v10, s[2:3]
	v_cmp_gt_f32_e64 s[2:3], |v3|, 1.0
	v_cndmask_b32_e64 v9, |v3|, v9, s[2:3]
	v_add_f32_e32 v10, v9, v9
	v_rndne_f32_e32 v10, v10
	v_fmac_f32_e32 v9, -0.5, v10
	v_mul_f32_e32 v11, v9, v9
	v_mov_b32_e32 v12, 0xbf1f24be
	v_fmac_f32_e32 v12, 0x3e75aa41, v11
	v_mov_b32_e32 v13, 0x40234736
	v_fmac_f32_e32 v13, v11, v12
	;; [unrolled: 2-line block ×3, first 2 shown]
	v_mul_f32_e32 v13, v9, v11
	v_mul_f32_e32 v12, v13, v12
	v_fmac_f32_e32 v12, 0x40490fdb, v9
	v_mov_b32_e32 v9, 0x3e642e9d
	v_cvt_i32_f32_e32 v10, v10
	v_fmac_f32_e32 v9, 0x3d4be544, v11
	v_mov_b32_e32 v13, 0xbfaad1da
	v_fmac_f32_e32 v13, v11, v9
	v_mov_b32_e32 v9, 0x4081e0d3
	;; [unrolled: 2-line block ×3, first 2 shown]
	v_fmac_f32_e32 v13, v11, v9
	v_fma_f32 v9, v11, v13, 1.0
	v_and_b32_e32 v11, 1, v10
	v_lshlrev_b32_e32 v10, 30, v10
	v_cmp_eq_u32_e64 s[2:3], 0, v11
	v_and_b32_e32 v10, 0x80000000, v10
	v_xor_b32_e32 v7, v7, v3
	v_cndmask_b32_e64 v9, v9, v12, s[2:3]
	v_xor_b32_e32 v7, v7, v10
	v_xor_b32_e32 v7, v7, v9
	v_mul_f32_e32 v7, v3, v7
	v_frexp_mant_f32_e64 v9, |v7|
	v_rcp_f32_e32 v9, v9
	v_frexp_exp_i32_f32_e32 v7, v7
	v_sub_u32_e32 v7, 2, v7
	s_mov_b32 s2, 0x800000
	v_mul_f32_e32 v9, 0x3f490fdb, v9
	v_ldexp_f32 v7, v9, v7
	v_cmp_gt_f32_e64 s[2:3], s2, v7
	v_cndmask_b32_e64 v9, 0, 32, s[2:3]
	v_ldexp_f32 v7, v7, v9
	v_log_f32_e32 v7, v7
	s_mov_b32 s5, 0x3f317217
	v_mul_f32_e32 v9, 0x3f317217, v7
	v_fma_f32 v10, v7, s5, -v9
	v_fmac_f32_e32 v10, 0x3377d1cf, v7
	v_add_f32_e32 v9, v9, v10
	v_cmp_lt_f32_e64 s[4:5], |v7|, s4
	v_cndmask_b32_e64 v7, v7, v9, s[4:5]
	v_mov_b32_e32 v9, 0x41b17218
	v_cndmask_b32_e64 v9, 0, v9, s[2:3]
	v_sub_f32_e32 v7, v7, v9
	v_sub_f32_e32 v7, v7, v8
	v_floor_f32_e32 v8, v3
	v_sub_f32_e32 v8, v3, v8
	v_min_f32_e32 v8, 0x3f7fffff, v8
	v_mov_b32_e32 v9, 0x7f800000
	v_cmp_neq_f32_e64 s[2:3], 0, v8
	v_cndmask_b32_e64 v8, v9, v7, s[2:3]
.LBB151_44:
	s_or_b64 exec, exec, s[12:13]
.LBB151_45:
	s_andn2_saveexec_b64 s[10:11], s[10:11]
; %bb.46:
	v_cmp_eq_f16_e64 s[2:3], 1.0, v5
	v_cmp_eq_f16_e64 s[4:5], 2.0, v5
	s_or_b64 s[2:3], s[2:3], s[4:5]
	v_cndmask_b32_e64 v8, v8, 0, s[2:3]
; %bb.47:
	s_or_b64 exec, exec, s[10:11]
	v_cvt_f16_f32_e32 v8, v8
	s_mov_b32 s2, 0x4b000000
	v_cmp_lt_f32_e64 s[2:3], |v3|, s2
	v_mov_b32_e32 v7, 0x264
	v_mov_b32_e32 v9, 0x7c00
	s_or_b64 s[0:1], s[0:1], s[2:3]
	v_cndmask_b32_e64 v8, v9, v8, s[0:1]
	v_cmp_class_f32_e64 s[0:1], v3, v7
	v_cndmask_b32_e64 v3, v8, v9, s[0:1]
	v_cmp_u_f16_e64 s[0:1], v5, v5
	v_cndmask_b32_e64 v3, v3, v5, s[0:1]
.LBB151_48:
	s_or_b64 exec, exec, s[6:7]
	s_waitcnt vmcnt(0)
	v_or_b32_e32 v5, 0x100, v0
	v_cmp_gt_i32_e64 s[0:1], s17, v5
                                        ; implicit-def: $vgpr7
	s_and_saveexec_b64 s[6:7], s[0:1]
	s_cbranch_execz .LBB151_88
; %bb.49:
	v_cvt_f32_f16_e32 v7, v6
	s_mov_b32 s0, 0x3c800000
                                        ; implicit-def: $vgpr9
	v_and_b32_e32 v8, 0x7fffffff, v7
	v_cmp_nlt_f32_e64 s[0:1], |v7|, s0
	s_and_saveexec_b64 s[2:3], s[0:1]
	s_xor_b64 s[4:5], exec, s[2:3]
	s_cbranch_execz .LBB151_79
; %bb.50:
	v_cmp_nlt_f32_e64 s[0:1], |v7|, 2.0
                                        ; implicit-def: $vgpr9
	s_and_saveexec_b64 s[2:3], s[0:1]
	s_xor_b64 s[10:11], exec, s[2:3]
	s_cbranch_execz .LBB151_60
; %bb.51:
	s_mov_b32 s0, 0x41000000
	v_cmp_nlt_f32_e64 s[0:1], |v7|, s0
                                        ; implicit-def: $vgpr9
	s_and_saveexec_b64 s[2:3], s[0:1]
	s_xor_b64 s[12:13], exec, s[2:3]
	s_cbranch_execz .LBB151_57
; %bb.52:
	s_mov_b32 s0, 0x5c800000
	v_cmp_nlt_f32_e64 s[0:1], |v7|, s0
                                        ; implicit-def: $vgpr9
	s_and_saveexec_b64 s[2:3], s[0:1]
	s_xor_b64 s[14:15], exec, s[2:3]
	s_cbranch_execz .LBB151_54
; %bb.53:
	s_mov_b32 s0, 0x800000
	v_cmp_lt_f32_e64 s[0:1], |v7|, s0
	v_cndmask_b32_e64 v9, 0, 32, s[0:1]
	v_ldexp_f32 v9, |v7|, v9
	v_log_f32_e32 v9, v9
	s_mov_b32 s2, 0x3f317217
	s_mov_b32 s3, 0x7f800000
	v_mul_f32_e32 v10, 0x3f317217, v9
	v_fma_f32 v11, v9, s2, -v10
	v_fmac_f32_e32 v11, 0x3377d1cf, v9
	v_add_f32_e32 v10, v10, v11
	v_cmp_lt_f32_e64 s[2:3], |v9|, s3
	v_cndmask_b32_e64 v9, v9, v10, s[2:3]
	v_mov_b32_e32 v10, 0x41b17218
	v_cndmask_b32_e64 v10, 0, v10, s[0:1]
	v_sub_f32_e32 v9, v9, v10
	v_fma_f32 v9, |v7|, v9, -|v7|
.LBB151_54:
	s_andn2_saveexec_b64 s[14:15], s[14:15]
	s_cbranch_execz .LBB151_56
; %bb.55:
	v_rcp_f32_e64 v10, |v7|
	v_mov_b32_e32 v9, 0x3a5b3dd2
	v_mov_b32_e32 v11, 0xba1c065c
	;; [unrolled: 1-line block ×3, first 2 shown]
	v_mul_f32_e32 v13, v10, v10
	v_fmac_f32_e32 v9, 0xbad5c4e8, v13
	v_fmac_f32_e32 v11, v13, v9
	s_mov_b32 s0, 0x800000
	v_fmac_f32_e32 v12, v13, v11
	v_mov_b32_e32 v9, 0xbb360b61
	v_cmp_lt_f32_e64 s[0:1], |v7|, s0
	v_fmac_f32_e32 v9, v13, v12
	v_cndmask_b32_e64 v12, 0, 32, s[0:1]
	v_ldexp_f32 v12, |v7|, v12
	v_log_f32_e32 v12, v12
	v_mov_b32_e32 v11, 0x3daaaaab
	v_fmac_f32_e32 v11, v13, v9
	v_mov_b32_e32 v9, 0x3ed67f1d
	v_fmac_f32_e32 v9, v10, v11
	s_mov_b32 s2, 0x3f317217
	v_mul_f32_e32 v11, 0x3f317217, v12
	v_fma_f32 v13, v12, s2, -v11
	v_fmac_f32_e32 v13, 0x3377d1cf, v12
	s_mov_b32 s2, 0x7f800000
	v_add_f32_e32 v11, v11, v13
	v_cmp_lt_f32_e64 s[2:3], |v12|, s2
	v_cndmask_b32_e64 v11, v12, v11, s[2:3]
	v_mov_b32_e32 v12, 0x41b17218
	v_cndmask_b32_e64 v12, 0, v12, s[0:1]
	v_sub_f32_e32 v11, v11, v12
	v_add_f32_e64 v10, |v7|, -0.5
	v_add_f32_e32 v11, -1.0, v11
	v_fmac_f32_e32 v9, v10, v11
.LBB151_56:
	s_or_b64 exec, exec, s[14:15]
.LBB151_57:
	s_andn2_saveexec_b64 s[12:13], s[12:13]
	s_cbranch_execz .LBB151_59
; %bb.58:
	v_cvt_i32_f32_e32 v9, v8
	v_mov_b32_e32 v10, 0x3af135b4
	v_mov_b32_e32 v11, 0x3cda40e4
	;; [unrolled: 1-line block ×3, first 2 shown]
	v_cvt_f32_i32_e32 v13, v9
	v_mov_b32_e32 v14, 0x3ea6cc7a
	v_mov_b32_e32 v15, 0x3e5c245a
	v_cmp_lt_i32_e64 s[0:1], 2, v9
	v_sub_f32_e64 v13, |v7|, v13
	v_fmac_f32_e32 v10, 0x3805ff67, v13
	v_fmac_f32_e32 v11, v13, v10
	;; [unrolled: 1-line block ×3, first 2 shown]
	v_mov_b32_e32 v11, 0x3a4beed6
	v_fmac_f32_e32 v14, v13, v12
	v_fmac_f32_e32 v11, 0x36f5d7bd, v13
	v_mov_b32_e32 v12, 0x3c98bf54
	v_fmac_f32_e32 v12, v13, v11
	v_mov_b32_e32 v11, 0x3e300f6e
	;; [unrolled: 2-line block ×4, first 2 shown]
	v_fmac_f32_e32 v11, v13, v12
	v_add_f32_e32 v12, 2.0, v13
	v_mov_b32_e32 v16, 0xbd9e233f
	v_fmac_f32_e32 v15, v13, v14
	v_add_f32_e32 v14, 0x40400000, v13
	v_cndmask_b32_e64 v12, 1.0, v12, s[0:1]
	v_cmp_lt_i32_e64 s[0:1], 3, v9
	v_fmac_f32_e32 v16, v13, v15
	v_add_f32_e32 v15, 4.0, v13
	v_cndmask_b32_e64 v14, 1.0, v14, s[0:1]
	v_cmp_lt_i32_e64 s[0:1], 4, v9
	v_mul_f32_e32 v10, v13, v16
	v_add_f32_e32 v16, 0x40a00000, v13
	v_mul_f32_e32 v12, v12, v14
	v_cndmask_b32_e64 v14, 1.0, v15, s[0:1]
	v_cmp_lt_i32_e64 s[0:1], 5, v9
	v_add_f32_e32 v17, 0x40c00000, v13
	v_mul_f32_e32 v12, v14, v12
	v_cndmask_b32_e64 v14, 1.0, v16, s[0:1]
	v_cmp_lt_i32_e64 s[0:1], 6, v9
	v_mul_f32_e32 v12, v14, v12
	v_cndmask_b32_e64 v9, 1.0, v17, s[0:1]
	v_mul_f32_e32 v9, v9, v12
	s_mov_b32 s0, 0x800000
	v_cmp_gt_f32_e64 s[0:1], s0, v9
	v_cndmask_b32_e64 v12, 0, 32, s[0:1]
	v_fma_f32 v11, v13, v11, 1.0
	v_ldexp_f32 v9, v9, v12
	v_rcp_f32_e32 v11, v11
	v_log_f32_e32 v9, v9
	s_mov_b32 s2, 0x3f317217
	v_mul_f32_e32 v10, v10, v11
	v_mul_f32_e32 v11, 0x3f317217, v9
	v_fma_f32 v12, v9, s2, -v11
	v_fmac_f32_e32 v12, 0x3377d1cf, v9
	s_mov_b32 s2, 0x7f800000
	v_add_f32_e32 v11, v11, v12
	v_cmp_lt_f32_e64 s[2:3], |v9|, s2
	v_cndmask_b32_e64 v9, v9, v11, s[2:3]
	v_mov_b32_e32 v11, 0x41b17218
	v_cndmask_b32_e64 v11, 0, v11, s[0:1]
	v_fmac_f32_e32 v10, 0.5, v13
	v_sub_f32_e32 v9, v9, v11
	v_add_f32_e32 v9, v9, v10
.LBB151_59:
	s_or_b64 exec, exec, s[12:13]
.LBB151_60:
	s_andn2_saveexec_b64 s[10:11], s[10:11]
	s_cbranch_execz .LBB151_78
; %bb.61:
	s_mov_b32 s0, 0x3f666666
	v_cmp_le_f32_e64 s[0:1], |v7|, s0
                                        ; implicit-def: $vgpr9
                                        ; implicit-def: $vgpr11
                                        ; implicit-def: $vgpr10
	s_and_saveexec_b64 s[2:3], s[0:1]
	s_xor_b64 s[12:13], exec, s[2:3]
	s_cbranch_execz .LBB151_63
; %bb.62:
	s_mov_b32 s0, 0x800000
	v_cmp_lt_f32_e64 s[0:1], |v7|, s0
	v_cndmask_b32_e64 v9, 0, 32, s[0:1]
	v_ldexp_f32 v9, |v7|, v9
	v_log_f32_e32 v9, v9
	s_mov_b32 s2, 0x3f317217
	s_mov_b32 s3, 0x7f800000
	v_mul_f32_e32 v10, 0x3f317217, v9
	v_fma_f32 v11, v9, s2, -v10
	v_fmac_f32_e32 v11, 0x3377d1cf, v9
	v_add_f32_e32 v10, v10, v11
	v_cmp_lt_f32_e64 s[2:3], |v9|, s3
	v_cndmask_b32_e64 v9, v9, v10, s[2:3]
	v_mov_b32_e32 v10, 0x41b17218
	v_cndmask_b32_e64 v10, 0, v10, s[0:1]
	s_mov_b32 s0, 0x3f3b4a23
	s_mov_b32 s1, 0xbeec5b0c
	v_sub_f32_e32 v9, v9, v10
	v_sub_f32_e64 v10, 1.0, |v7|
	v_add_f32_e64 v11, |v7|, s1
	v_cmp_lt_f32_e64 s[0:1], |v7|, s0
	v_cndmask_b32_e64 v10, v10, v11, s[0:1]
	v_cndmask_b32_e64 v11, 0, 1, s[0:1]
	s_mov_b32 s0, 0x3e6d3309
	v_cmp_lt_f32_e64 s[0:1], |v7|, s0
	v_xor_b32_e32 v9, 0x80000000, v9
	v_cndmask_b32_e64 v10, v10, |v7|, s[0:1]
	v_cndmask_b32_e64 v11, v11, 2, s[0:1]
.LBB151_63:
	s_andn2_saveexec_b64 s[2:3], s[12:13]
	s_cbranch_execz .LBB151_65
; %bb.64:
	s_mov_b32 s0, 0x3fdda512
	s_mov_b32 s1, 0xbfbb16c3
	v_sub_f32_e64 v9, 2.0, |v7|
	v_add_f32_e64 v10, |v7|, s1
	v_cmp_lt_f32_e64 s[0:1], |v7|, s0
	v_cndmask_b32_e64 v10, v9, v10, s[0:1]
	v_cndmask_b32_e64 v9, v9, 1.0, s[0:1]
	v_cvt_i32_f32_e32 v9, v9
	s_mov_b32 s0, 0x3f9d70a4
	v_add_f32_e64 v11, |v7|, -1.0
	v_cmp_lt_f32_e64 s[0:1], |v7|, s0
	v_cndmask_b32_e64 v10, v10, v11, s[0:1]
	v_cndmask_b32_e64 v11, v9, 2, s[0:1]
	v_mov_b32_e32 v9, 0
.LBB151_65:
	s_or_b64 exec, exec, s[2:3]
	v_cmp_lt_i32_e64 s[0:1], 0, v11
	s_and_saveexec_b64 s[2:3], s[0:1]
	s_xor_b64 s[2:3], exec, s[2:3]
	s_cbranch_execz .LBB151_73
; %bb.66:
	v_cmp_lt_i32_e64 s[0:1], 1, v11
	s_and_saveexec_b64 s[12:13], s[0:1]
	s_xor_b64 s[12:13], exec, s[12:13]
	s_cbranch_execz .LBB151_70
; %bb.67:
	v_cmp_eq_u32_e64 s[0:1], 2, v11
	s_and_saveexec_b64 s[14:15], s[0:1]
	s_cbranch_execz .LBB151_69
; %bb.68:
	v_mov_b32_e32 v11, 0x3e6a7578
	v_fmac_f32_e32 v11, 0x3c5b3c5e, v10
	v_mov_b32_e32 v12, 0x3f7a4bb2
	v_fmac_f32_e32 v12, v10, v11
	;; [unrolled: 2-line block ×8, first 2 shown]
	v_fma_f32 v11, v10, v13, 1.0
	v_rcp_f32_e32 v11, v11
	v_mov_b32_e32 v13, 0xbd9e233f
	v_fmac_f32_e32 v13, v10, v12
	v_mul_f32_e32 v12, v10, v13
	v_mul_f32_e32 v11, v12, v11
	v_fmac_f32_e32 v11, -0.5, v10
	v_add_f32_e32 v9, v9, v11
.LBB151_69:
	s_or_b64 exec, exec, s[14:15]
                                        ; implicit-def: $vgpr10
.LBB151_70:
	s_andn2_saveexec_b64 s[0:1], s[12:13]
	s_cbranch_execz .LBB151_72
; %bb.71:
	v_mul_f32_e32 v11, v10, v10
	v_mul_f32_e32 v12, v10, v11
	v_mov_b32_e32 v13, 0xbab7f476
	v_fmac_f32_e32 v13, 0x39a57b6b, v12
	v_mov_b32_e32 v14, 0x3bc7e707
	v_fmac_f32_e32 v14, v12, v13
	;; [unrolled: 2-line block ×12, first 2 shown]
	v_fmac_f32_e32 v15, v10, v16
	s_mov_b32 s12, 0xa2863e55
	v_fma_f32 v10, v12, -v15, s12
	v_fma_f32 v10, v11, v14, -v10
	v_add_f32_e32 v10, 0xbdf8cdce, v10
	v_add_f32_e32 v9, v9, v10
.LBB151_72:
	s_or_b64 exec, exec, s[0:1]
                                        ; implicit-def: $vgpr11
                                        ; implicit-def: $vgpr10
.LBB151_73:
	s_andn2_saveexec_b64 s[2:3], s[2:3]
	s_cbranch_execz .LBB151_77
; %bb.74:
	v_cmp_eq_u32_e64 s[0:1], 0, v11
	s_and_saveexec_b64 s[12:13], s[0:1]
	s_cbranch_execz .LBB151_76
; %bb.75:
	v_mul_f32_e32 v11, v10, v10
	v_mov_b32_e32 v12, 0x39679767
	v_fmac_f32_e32 v12, 0x37d383a2, v11
	v_mov_b32_e32 v13, 0x3a9c54a1
	v_fmac_f32_e32 v13, v11, v12
	;; [unrolled: 2-line block ×10, first 2 shown]
	v_mul_f32_e32 v11, v11, v13
	v_fmac_f32_e32 v11, v10, v12
	v_fmac_f32_e32 v11, -0.5, v10
	v_add_f32_e32 v9, v9, v11
.LBB151_76:
	s_or_b64 exec, exec, s[12:13]
.LBB151_77:
	s_or_b64 exec, exec, s[2:3]
.LBB151_78:
	s_or_b64 exec, exec, s[10:11]
.LBB151_79:
	s_andn2_saveexec_b64 s[4:5], s[4:5]
	s_cbranch_execz .LBB151_81
; %bb.80:
	s_mov_b32 s0, 0x3e8a8991
	v_mov_b32_e32 v9, 0xbecd26ab
	v_fma_f32 v9, |v7|, s0, v9
	s_mov_b32 s0, 0x3f528d33
	v_fma_f32 v9, |v7|, v9, s0
	s_mov_b32 s0, 0x800000
	v_cmp_lt_f32_e64 s[0:1], |v7|, s0
	v_cndmask_b32_e64 v10, 0, 32, s[0:1]
	v_ldexp_f32 v10, |v7|, v10
	v_log_f32_e32 v10, v10
	s_mov_b32 s2, 0xbf13c468
	v_fma_f32 v9, |v7|, v9, s2
	s_mov_b32 s2, 0x3f317217
	v_mul_f32_e32 v11, 0x3f317217, v10
	v_fma_f32 v12, v10, s2, -v11
	v_fmac_f32_e32 v12, 0x3377d1cf, v10
	s_mov_b32 s2, 0x7f800000
	v_add_f32_e32 v11, v11, v12
	v_cmp_lt_f32_e64 s[2:3], |v10|, s2
	v_cndmask_b32_e64 v10, v10, v11, s[2:3]
	v_mov_b32_e32 v11, 0x41b17218
	v_cndmask_b32_e64 v11, 0, v11, s[0:1]
	v_sub_f32_e32 v10, v10, v11
	v_fma_f32 v9, |v7|, v9, -v10
.LBB151_81:
	s_or_b64 exec, exec, s[4:5]
	v_cmp_le_f16_e64 s[0:1], 0, v6
	v_cmp_nle_f16_e64 s[2:3], 0, v6
	s_and_saveexec_b64 s[4:5], s[2:3]
	s_xor_b64 s[10:11], exec, s[4:5]
	s_cbranch_execz .LBB151_85
; %bb.82:
	s_mov_b32 s2, 0x4b000000
	s_mov_b32 s4, 0x35000000
	v_cmp_lt_f32_e64 s[2:3], |v7|, s2
	v_cmp_gt_f32_e64 s[4:5], |v7|, s4
	s_and_b64 s[2:3], s[2:3], s[4:5]
	s_and_saveexec_b64 s[12:13], s[2:3]
	s_cbranch_execz .LBB151_84
; %bb.83:
	v_mul_f32_e64 v10, |v7|, 0.5
	v_floor_f32_e32 v11, v10
	v_sub_f32_e32 v11, v10, v11
	v_min_f32_e32 v11, 0x3f7fffff, v11
	s_mov_b32 s4, 0x7f800000
	v_add_f32_e32 v11, v11, v11
	v_cmp_neq_f32_e64 s[2:3], s4, v10
	v_cndmask_b32_e64 v10, 0, v11, s[2:3]
	v_cmp_gt_f32_e64 s[2:3], |v7|, 1.0
	v_cndmask_b32_e64 v10, |v7|, v10, s[2:3]
	v_add_f32_e32 v11, v10, v10
	v_rndne_f32_e32 v11, v11
	v_fmac_f32_e32 v10, -0.5, v11
	v_mul_f32_e32 v12, v10, v10
	v_mov_b32_e32 v13, 0xbf1f24be
	v_fmac_f32_e32 v13, 0x3e75aa41, v12
	v_mov_b32_e32 v14, 0x40234736
	v_fmac_f32_e32 v14, v12, v13
	;; [unrolled: 2-line block ×3, first 2 shown]
	v_mul_f32_e32 v14, v10, v12
	v_mul_f32_e32 v13, v14, v13
	v_fmac_f32_e32 v13, 0x40490fdb, v10
	v_mov_b32_e32 v10, 0x3e642e9d
	v_cvt_i32_f32_e32 v11, v11
	v_fmac_f32_e32 v10, 0x3d4be544, v12
	v_mov_b32_e32 v14, 0xbfaad1da
	v_fmac_f32_e32 v14, v12, v10
	v_mov_b32_e32 v10, 0x4081e0d3
	v_fmac_f32_e32 v10, v12, v14
	v_mov_b32_e32 v14, 0xc09de9e6
	v_fmac_f32_e32 v14, v12, v10
	v_fma_f32 v10, v12, v14, 1.0
	v_and_b32_e32 v12, 1, v11
	v_lshlrev_b32_e32 v11, 30, v11
	v_cmp_eq_u32_e64 s[2:3], 0, v12
	v_and_b32_e32 v11, 0x80000000, v11
	v_xor_b32_e32 v8, v8, v7
	v_cndmask_b32_e64 v10, v10, v13, s[2:3]
	v_xor_b32_e32 v8, v8, v11
	v_xor_b32_e32 v8, v8, v10
	v_mul_f32_e32 v8, v7, v8
	v_frexp_mant_f32_e64 v10, |v8|
	v_rcp_f32_e32 v10, v10
	v_frexp_exp_i32_f32_e32 v8, v8
	v_sub_u32_e32 v8, 2, v8
	s_mov_b32 s2, 0x800000
	v_mul_f32_e32 v10, 0x3f490fdb, v10
	v_ldexp_f32 v8, v10, v8
	v_cmp_gt_f32_e64 s[2:3], s2, v8
	v_cndmask_b32_e64 v10, 0, 32, s[2:3]
	v_ldexp_f32 v8, v8, v10
	v_log_f32_e32 v8, v8
	s_mov_b32 s5, 0x3f317217
	v_mul_f32_e32 v10, 0x3f317217, v8
	v_fma_f32 v11, v8, s5, -v10
	v_fmac_f32_e32 v11, 0x3377d1cf, v8
	v_add_f32_e32 v10, v10, v11
	v_cmp_lt_f32_e64 s[4:5], |v8|, s4
	v_cndmask_b32_e64 v8, v8, v10, s[4:5]
	v_mov_b32_e32 v10, 0x41b17218
	v_cndmask_b32_e64 v10, 0, v10, s[2:3]
	v_sub_f32_e32 v8, v8, v10
	v_sub_f32_e32 v8, v8, v9
	v_floor_f32_e32 v9, v7
	v_sub_f32_e32 v9, v7, v9
	v_min_f32_e32 v9, 0x3f7fffff, v9
	v_mov_b32_e32 v10, 0x7f800000
	v_cmp_neq_f32_e64 s[2:3], 0, v9
	v_cndmask_b32_e64 v9, v10, v8, s[2:3]
.LBB151_84:
	s_or_b64 exec, exec, s[12:13]
.LBB151_85:
	s_andn2_saveexec_b64 s[10:11], s[10:11]
; %bb.86:
	v_cmp_eq_f16_e64 s[2:3], 1.0, v6
	v_cmp_eq_f16_e64 s[4:5], 2.0, v6
	s_or_b64 s[2:3], s[2:3], s[4:5]
	v_cndmask_b32_e64 v9, v9, 0, s[2:3]
; %bb.87:
	s_or_b64 exec, exec, s[10:11]
	v_cvt_f16_f32_e32 v9, v9
	s_mov_b32 s2, 0x4b000000
	v_cmp_lt_f32_e64 s[2:3], |v7|, s2
	v_mov_b32_e32 v8, 0x264
	v_mov_b32_e32 v10, 0x7c00
	s_or_b64 s[0:1], s[0:1], s[2:3]
	v_cndmask_b32_e64 v9, v10, v9, s[0:1]
	v_cmp_class_f32_e64 s[0:1], v7, v8
	v_cndmask_b32_e64 v7, v9, v10, s[0:1]
	v_cmp_u_f16_e64 s[0:1], v6, v6
	v_cndmask_b32_e64 v7, v7, v6, s[0:1]
.LBB151_88:
	s_or_b64 exec, exec, s[6:7]
	v_or_b32_e32 v6, 0x200, v0
	v_cmp_gt_i32_e64 s[0:1], s17, v6
                                        ; implicit-def: $vgpr6
	s_and_saveexec_b64 s[6:7], s[0:1]
	s_cbranch_execz .LBB151_128
; %bb.89:
	v_cvt_f32_f16_e32 v6, v4
	s_mov_b32 s0, 0x3c800000
                                        ; implicit-def: $vgpr9
	v_and_b32_e32 v8, 0x7fffffff, v6
	v_cmp_nlt_f32_e64 s[0:1], |v6|, s0
	s_and_saveexec_b64 s[2:3], s[0:1]
	s_xor_b64 s[4:5], exec, s[2:3]
	s_cbranch_execz .LBB151_119
; %bb.90:
	v_cmp_nlt_f32_e64 s[0:1], |v6|, 2.0
                                        ; implicit-def: $vgpr9
	s_and_saveexec_b64 s[2:3], s[0:1]
	s_xor_b64 s[10:11], exec, s[2:3]
	s_cbranch_execz .LBB151_100
; %bb.91:
	s_mov_b32 s0, 0x41000000
	v_cmp_nlt_f32_e64 s[0:1], |v6|, s0
                                        ; implicit-def: $vgpr9
	s_and_saveexec_b64 s[2:3], s[0:1]
	s_xor_b64 s[12:13], exec, s[2:3]
	s_cbranch_execz .LBB151_97
; %bb.92:
	s_mov_b32 s0, 0x5c800000
	v_cmp_nlt_f32_e64 s[0:1], |v6|, s0
                                        ; implicit-def: $vgpr9
	s_and_saveexec_b64 s[2:3], s[0:1]
	s_xor_b64 s[14:15], exec, s[2:3]
	s_cbranch_execz .LBB151_94
; %bb.93:
	s_mov_b32 s0, 0x800000
	v_cmp_lt_f32_e64 s[0:1], |v6|, s0
	v_cndmask_b32_e64 v9, 0, 32, s[0:1]
	v_ldexp_f32 v9, |v6|, v9
	v_log_f32_e32 v9, v9
	s_mov_b32 s2, 0x3f317217
	s_mov_b32 s3, 0x7f800000
	v_mul_f32_e32 v10, 0x3f317217, v9
	v_fma_f32 v11, v9, s2, -v10
	v_fmac_f32_e32 v11, 0x3377d1cf, v9
	v_add_f32_e32 v10, v10, v11
	v_cmp_lt_f32_e64 s[2:3], |v9|, s3
	v_cndmask_b32_e64 v9, v9, v10, s[2:3]
	v_mov_b32_e32 v10, 0x41b17218
	v_cndmask_b32_e64 v10, 0, v10, s[0:1]
	v_sub_f32_e32 v9, v9, v10
	v_fma_f32 v9, |v6|, v9, -|v6|
.LBB151_94:
	s_andn2_saveexec_b64 s[14:15], s[14:15]
	s_cbranch_execz .LBB151_96
; %bb.95:
	v_rcp_f32_e64 v10, |v6|
	v_mov_b32_e32 v9, 0x3a5b3dd2
	v_mov_b32_e32 v11, 0xba1c065c
	;; [unrolled: 1-line block ×3, first 2 shown]
	v_mul_f32_e32 v13, v10, v10
	v_fmac_f32_e32 v9, 0xbad5c4e8, v13
	v_fmac_f32_e32 v11, v13, v9
	s_mov_b32 s0, 0x800000
	v_fmac_f32_e32 v12, v13, v11
	v_mov_b32_e32 v9, 0xbb360b61
	v_cmp_lt_f32_e64 s[0:1], |v6|, s0
	v_fmac_f32_e32 v9, v13, v12
	v_cndmask_b32_e64 v12, 0, 32, s[0:1]
	v_ldexp_f32 v12, |v6|, v12
	v_log_f32_e32 v12, v12
	v_mov_b32_e32 v11, 0x3daaaaab
	v_fmac_f32_e32 v11, v13, v9
	v_mov_b32_e32 v9, 0x3ed67f1d
	v_fmac_f32_e32 v9, v10, v11
	s_mov_b32 s2, 0x3f317217
	v_mul_f32_e32 v11, 0x3f317217, v12
	v_fma_f32 v13, v12, s2, -v11
	v_fmac_f32_e32 v13, 0x3377d1cf, v12
	s_mov_b32 s2, 0x7f800000
	v_add_f32_e32 v11, v11, v13
	v_cmp_lt_f32_e64 s[2:3], |v12|, s2
	v_cndmask_b32_e64 v11, v12, v11, s[2:3]
	v_mov_b32_e32 v12, 0x41b17218
	v_cndmask_b32_e64 v12, 0, v12, s[0:1]
	v_sub_f32_e32 v11, v11, v12
	v_add_f32_e64 v10, |v6|, -0.5
	v_add_f32_e32 v11, -1.0, v11
	v_fmac_f32_e32 v9, v10, v11
.LBB151_96:
	s_or_b64 exec, exec, s[14:15]
.LBB151_97:
	s_andn2_saveexec_b64 s[12:13], s[12:13]
	s_cbranch_execz .LBB151_99
; %bb.98:
	v_cvt_i32_f32_e32 v9, v8
	v_mov_b32_e32 v10, 0x3af135b4
	v_mov_b32_e32 v11, 0x3cda40e4
	;; [unrolled: 1-line block ×3, first 2 shown]
	v_cvt_f32_i32_e32 v13, v9
	v_mov_b32_e32 v14, 0x3ea6cc7a
	v_mov_b32_e32 v15, 0x3e5c245a
	v_cmp_lt_i32_e64 s[0:1], 2, v9
	v_sub_f32_e64 v13, |v6|, v13
	v_fmac_f32_e32 v10, 0x3805ff67, v13
	v_fmac_f32_e32 v11, v13, v10
	;; [unrolled: 1-line block ×3, first 2 shown]
	v_mov_b32_e32 v11, 0x3a4beed6
	v_fmac_f32_e32 v14, v13, v12
	v_fmac_f32_e32 v11, 0x36f5d7bd, v13
	v_mov_b32_e32 v12, 0x3c98bf54
	v_fmac_f32_e32 v12, v13, v11
	v_mov_b32_e32 v11, 0x3e300f6e
	;; [unrolled: 2-line block ×4, first 2 shown]
	v_fmac_f32_e32 v11, v13, v12
	v_add_f32_e32 v12, 2.0, v13
	v_mov_b32_e32 v16, 0xbd9e233f
	v_fmac_f32_e32 v15, v13, v14
	v_add_f32_e32 v14, 0x40400000, v13
	v_cndmask_b32_e64 v12, 1.0, v12, s[0:1]
	v_cmp_lt_i32_e64 s[0:1], 3, v9
	v_fmac_f32_e32 v16, v13, v15
	v_add_f32_e32 v15, 4.0, v13
	v_cndmask_b32_e64 v14, 1.0, v14, s[0:1]
	v_cmp_lt_i32_e64 s[0:1], 4, v9
	v_mul_f32_e32 v10, v13, v16
	v_add_f32_e32 v16, 0x40a00000, v13
	v_mul_f32_e32 v12, v12, v14
	v_cndmask_b32_e64 v14, 1.0, v15, s[0:1]
	v_cmp_lt_i32_e64 s[0:1], 5, v9
	v_add_f32_e32 v17, 0x40c00000, v13
	v_mul_f32_e32 v12, v14, v12
	v_cndmask_b32_e64 v14, 1.0, v16, s[0:1]
	v_cmp_lt_i32_e64 s[0:1], 6, v9
	v_mul_f32_e32 v12, v14, v12
	v_cndmask_b32_e64 v9, 1.0, v17, s[0:1]
	v_mul_f32_e32 v9, v9, v12
	s_mov_b32 s0, 0x800000
	v_cmp_gt_f32_e64 s[0:1], s0, v9
	v_cndmask_b32_e64 v12, 0, 32, s[0:1]
	v_fma_f32 v11, v13, v11, 1.0
	v_ldexp_f32 v9, v9, v12
	v_rcp_f32_e32 v11, v11
	v_log_f32_e32 v9, v9
	s_mov_b32 s2, 0x3f317217
	v_mul_f32_e32 v10, v10, v11
	v_mul_f32_e32 v11, 0x3f317217, v9
	v_fma_f32 v12, v9, s2, -v11
	v_fmac_f32_e32 v12, 0x3377d1cf, v9
	s_mov_b32 s2, 0x7f800000
	v_add_f32_e32 v11, v11, v12
	v_cmp_lt_f32_e64 s[2:3], |v9|, s2
	v_cndmask_b32_e64 v9, v9, v11, s[2:3]
	v_mov_b32_e32 v11, 0x41b17218
	v_cndmask_b32_e64 v11, 0, v11, s[0:1]
	v_fmac_f32_e32 v10, 0.5, v13
	v_sub_f32_e32 v9, v9, v11
	v_add_f32_e32 v9, v9, v10
.LBB151_99:
	s_or_b64 exec, exec, s[12:13]
.LBB151_100:
	s_andn2_saveexec_b64 s[10:11], s[10:11]
	s_cbranch_execz .LBB151_118
; %bb.101:
	s_mov_b32 s0, 0x3f666666
	v_cmp_le_f32_e64 s[0:1], |v6|, s0
                                        ; implicit-def: $vgpr9
                                        ; implicit-def: $vgpr11
                                        ; implicit-def: $vgpr10
	s_and_saveexec_b64 s[2:3], s[0:1]
	s_xor_b64 s[12:13], exec, s[2:3]
	s_cbranch_execz .LBB151_103
; %bb.102:
	s_mov_b32 s0, 0x800000
	v_cmp_lt_f32_e64 s[0:1], |v6|, s0
	v_cndmask_b32_e64 v9, 0, 32, s[0:1]
	v_ldexp_f32 v9, |v6|, v9
	v_log_f32_e32 v9, v9
	s_mov_b32 s2, 0x3f317217
	s_mov_b32 s3, 0x7f800000
	v_mul_f32_e32 v10, 0x3f317217, v9
	v_fma_f32 v11, v9, s2, -v10
	v_fmac_f32_e32 v11, 0x3377d1cf, v9
	v_add_f32_e32 v10, v10, v11
	v_cmp_lt_f32_e64 s[2:3], |v9|, s3
	v_cndmask_b32_e64 v9, v9, v10, s[2:3]
	v_mov_b32_e32 v10, 0x41b17218
	v_cndmask_b32_e64 v10, 0, v10, s[0:1]
	s_mov_b32 s0, 0x3f3b4a23
	s_mov_b32 s1, 0xbeec5b0c
	v_sub_f32_e32 v9, v9, v10
	v_sub_f32_e64 v10, 1.0, |v6|
	v_add_f32_e64 v11, |v6|, s1
	v_cmp_lt_f32_e64 s[0:1], |v6|, s0
	v_cndmask_b32_e64 v10, v10, v11, s[0:1]
	v_cndmask_b32_e64 v11, 0, 1, s[0:1]
	s_mov_b32 s0, 0x3e6d3309
	v_cmp_lt_f32_e64 s[0:1], |v6|, s0
	v_xor_b32_e32 v9, 0x80000000, v9
	v_cndmask_b32_e64 v10, v10, |v6|, s[0:1]
	v_cndmask_b32_e64 v11, v11, 2, s[0:1]
.LBB151_103:
	s_andn2_saveexec_b64 s[2:3], s[12:13]
	s_cbranch_execz .LBB151_105
; %bb.104:
	s_mov_b32 s0, 0x3fdda512
	s_mov_b32 s1, 0xbfbb16c3
	v_sub_f32_e64 v9, 2.0, |v6|
	v_add_f32_e64 v10, |v6|, s1
	v_cmp_lt_f32_e64 s[0:1], |v6|, s0
	v_cndmask_b32_e64 v10, v9, v10, s[0:1]
	v_cndmask_b32_e64 v9, v9, 1.0, s[0:1]
	v_cvt_i32_f32_e32 v9, v9
	s_mov_b32 s0, 0x3f9d70a4
	v_add_f32_e64 v11, |v6|, -1.0
	v_cmp_lt_f32_e64 s[0:1], |v6|, s0
	v_cndmask_b32_e64 v10, v10, v11, s[0:1]
	v_cndmask_b32_e64 v11, v9, 2, s[0:1]
	v_mov_b32_e32 v9, 0
.LBB151_105:
	s_or_b64 exec, exec, s[2:3]
	v_cmp_lt_i32_e64 s[0:1], 0, v11
	s_and_saveexec_b64 s[2:3], s[0:1]
	s_xor_b64 s[2:3], exec, s[2:3]
	s_cbranch_execz .LBB151_113
; %bb.106:
	v_cmp_lt_i32_e64 s[0:1], 1, v11
	s_and_saveexec_b64 s[12:13], s[0:1]
	s_xor_b64 s[12:13], exec, s[12:13]
	s_cbranch_execz .LBB151_110
; %bb.107:
	v_cmp_eq_u32_e64 s[0:1], 2, v11
	s_and_saveexec_b64 s[14:15], s[0:1]
	s_cbranch_execz .LBB151_109
; %bb.108:
	v_mov_b32_e32 v11, 0x3e6a7578
	v_fmac_f32_e32 v11, 0x3c5b3c5e, v10
	v_mov_b32_e32 v12, 0x3f7a4bb2
	v_fmac_f32_e32 v12, v10, v11
	;; [unrolled: 2-line block ×8, first 2 shown]
	v_fma_f32 v11, v10, v13, 1.0
	v_rcp_f32_e32 v11, v11
	v_mov_b32_e32 v13, 0xbd9e233f
	v_fmac_f32_e32 v13, v10, v12
	v_mul_f32_e32 v12, v10, v13
	v_mul_f32_e32 v11, v12, v11
	v_fmac_f32_e32 v11, -0.5, v10
	v_add_f32_e32 v9, v9, v11
.LBB151_109:
	s_or_b64 exec, exec, s[14:15]
                                        ; implicit-def: $vgpr10
.LBB151_110:
	s_andn2_saveexec_b64 s[0:1], s[12:13]
	s_cbranch_execz .LBB151_112
; %bb.111:
	v_mul_f32_e32 v11, v10, v10
	v_mul_f32_e32 v12, v10, v11
	v_mov_b32_e32 v13, 0xbab7f476
	v_fmac_f32_e32 v13, 0x39a57b6b, v12
	v_mov_b32_e32 v14, 0x3bc7e707
	v_fmac_f32_e32 v14, v12, v13
	;; [unrolled: 2-line block ×12, first 2 shown]
	v_fmac_f32_e32 v15, v10, v16
	s_mov_b32 s12, 0xa2863e55
	v_fma_f32 v10, v12, -v15, s12
	v_fma_f32 v10, v11, v14, -v10
	v_add_f32_e32 v10, 0xbdf8cdce, v10
	v_add_f32_e32 v9, v9, v10
.LBB151_112:
	s_or_b64 exec, exec, s[0:1]
                                        ; implicit-def: $vgpr11
                                        ; implicit-def: $vgpr10
.LBB151_113:
	s_andn2_saveexec_b64 s[2:3], s[2:3]
	s_cbranch_execz .LBB151_117
; %bb.114:
	v_cmp_eq_u32_e64 s[0:1], 0, v11
	s_and_saveexec_b64 s[12:13], s[0:1]
	s_cbranch_execz .LBB151_116
; %bb.115:
	v_mul_f32_e32 v11, v10, v10
	v_mov_b32_e32 v12, 0x39679767
	v_fmac_f32_e32 v12, 0x37d383a2, v11
	v_mov_b32_e32 v13, 0x3a9c54a1
	v_fmac_f32_e32 v13, v11, v12
	;; [unrolled: 2-line block ×10, first 2 shown]
	v_mul_f32_e32 v11, v11, v13
	v_fmac_f32_e32 v11, v10, v12
	v_fmac_f32_e32 v11, -0.5, v10
	v_add_f32_e32 v9, v9, v11
.LBB151_116:
	s_or_b64 exec, exec, s[12:13]
.LBB151_117:
	s_or_b64 exec, exec, s[2:3]
.LBB151_118:
	s_or_b64 exec, exec, s[10:11]
.LBB151_119:
	s_andn2_saveexec_b64 s[4:5], s[4:5]
	s_cbranch_execz .LBB151_121
; %bb.120:
	s_mov_b32 s0, 0x3e8a8991
	v_mov_b32_e32 v9, 0xbecd26ab
	v_fma_f32 v9, |v6|, s0, v9
	s_mov_b32 s0, 0x3f528d33
	v_fma_f32 v9, |v6|, v9, s0
	s_mov_b32 s0, 0x800000
	v_cmp_lt_f32_e64 s[0:1], |v6|, s0
	v_cndmask_b32_e64 v10, 0, 32, s[0:1]
	v_ldexp_f32 v10, |v6|, v10
	v_log_f32_e32 v10, v10
	s_mov_b32 s2, 0xbf13c468
	v_fma_f32 v9, |v6|, v9, s2
	s_mov_b32 s2, 0x3f317217
	v_mul_f32_e32 v11, 0x3f317217, v10
	v_fma_f32 v12, v10, s2, -v11
	v_fmac_f32_e32 v12, 0x3377d1cf, v10
	s_mov_b32 s2, 0x7f800000
	v_add_f32_e32 v11, v11, v12
	v_cmp_lt_f32_e64 s[2:3], |v10|, s2
	v_cndmask_b32_e64 v10, v10, v11, s[2:3]
	v_mov_b32_e32 v11, 0x41b17218
	v_cndmask_b32_e64 v11, 0, v11, s[0:1]
	v_sub_f32_e32 v10, v10, v11
	v_fma_f32 v9, |v6|, v9, -v10
.LBB151_121:
	s_or_b64 exec, exec, s[4:5]
	v_cmp_le_f16_e64 s[0:1], 0, v4
	v_cmp_nle_f16_e64 s[2:3], 0, v4
	s_and_saveexec_b64 s[4:5], s[2:3]
	s_xor_b64 s[10:11], exec, s[4:5]
	s_cbranch_execz .LBB151_125
; %bb.122:
	s_mov_b32 s2, 0x4b000000
	s_mov_b32 s4, 0x35000000
	v_cmp_lt_f32_e64 s[2:3], |v6|, s2
	v_cmp_gt_f32_e64 s[4:5], |v6|, s4
	s_and_b64 s[2:3], s[2:3], s[4:5]
	s_and_saveexec_b64 s[12:13], s[2:3]
	s_cbranch_execz .LBB151_124
; %bb.123:
	v_mul_f32_e64 v10, |v6|, 0.5
	v_floor_f32_e32 v11, v10
	v_sub_f32_e32 v11, v10, v11
	v_min_f32_e32 v11, 0x3f7fffff, v11
	s_mov_b32 s4, 0x7f800000
	v_add_f32_e32 v11, v11, v11
	v_cmp_neq_f32_e64 s[2:3], s4, v10
	v_cndmask_b32_e64 v10, 0, v11, s[2:3]
	v_cmp_gt_f32_e64 s[2:3], |v6|, 1.0
	v_cndmask_b32_e64 v10, |v6|, v10, s[2:3]
	v_add_f32_e32 v11, v10, v10
	v_rndne_f32_e32 v11, v11
	v_fmac_f32_e32 v10, -0.5, v11
	v_mul_f32_e32 v12, v10, v10
	v_mov_b32_e32 v13, 0xbf1f24be
	v_fmac_f32_e32 v13, 0x3e75aa41, v12
	v_mov_b32_e32 v14, 0x40234736
	v_fmac_f32_e32 v14, v12, v13
	v_mov_b32_e32 v13, 0xc0a55e0e
	v_fmac_f32_e32 v13, v12, v14
	v_mul_f32_e32 v14, v10, v12
	v_mul_f32_e32 v13, v14, v13
	v_fmac_f32_e32 v13, 0x40490fdb, v10
	v_mov_b32_e32 v10, 0x3e642e9d
	v_cvt_i32_f32_e32 v11, v11
	v_fmac_f32_e32 v10, 0x3d4be544, v12
	v_mov_b32_e32 v14, 0xbfaad1da
	v_fmac_f32_e32 v14, v12, v10
	v_mov_b32_e32 v10, 0x4081e0d3
	;; [unrolled: 2-line block ×3, first 2 shown]
	v_fmac_f32_e32 v14, v12, v10
	v_fma_f32 v10, v12, v14, 1.0
	v_and_b32_e32 v12, 1, v11
	v_lshlrev_b32_e32 v11, 30, v11
	v_cmp_eq_u32_e64 s[2:3], 0, v12
	v_and_b32_e32 v11, 0x80000000, v11
	v_xor_b32_e32 v8, v8, v6
	v_cndmask_b32_e64 v10, v10, v13, s[2:3]
	v_xor_b32_e32 v8, v8, v11
	v_xor_b32_e32 v8, v8, v10
	v_mul_f32_e32 v8, v6, v8
	v_frexp_mant_f32_e64 v10, |v8|
	v_rcp_f32_e32 v10, v10
	v_frexp_exp_i32_f32_e32 v8, v8
	v_sub_u32_e32 v8, 2, v8
	s_mov_b32 s2, 0x800000
	v_mul_f32_e32 v10, 0x3f490fdb, v10
	v_ldexp_f32 v8, v10, v8
	v_cmp_gt_f32_e64 s[2:3], s2, v8
	v_cndmask_b32_e64 v10, 0, 32, s[2:3]
	v_ldexp_f32 v8, v8, v10
	v_log_f32_e32 v8, v8
	s_mov_b32 s5, 0x3f317217
	v_mul_f32_e32 v10, 0x3f317217, v8
	v_fma_f32 v11, v8, s5, -v10
	v_fmac_f32_e32 v11, 0x3377d1cf, v8
	v_add_f32_e32 v10, v10, v11
	v_cmp_lt_f32_e64 s[4:5], |v8|, s4
	v_cndmask_b32_e64 v8, v8, v10, s[4:5]
	v_mov_b32_e32 v10, 0x41b17218
	v_cndmask_b32_e64 v10, 0, v10, s[2:3]
	v_sub_f32_e32 v8, v8, v10
	v_sub_f32_e32 v8, v8, v9
	v_floor_f32_e32 v9, v6
	v_sub_f32_e32 v9, v6, v9
	v_min_f32_e32 v9, 0x3f7fffff, v9
	v_mov_b32_e32 v10, 0x7f800000
	v_cmp_neq_f32_e64 s[2:3], 0, v9
	v_cndmask_b32_e64 v9, v10, v8, s[2:3]
.LBB151_124:
	s_or_b64 exec, exec, s[12:13]
.LBB151_125:
	s_andn2_saveexec_b64 s[10:11], s[10:11]
; %bb.126:
	v_cmp_eq_f16_e64 s[2:3], 1.0, v4
	v_cmp_eq_f16_e64 s[4:5], 2.0, v4
	s_or_b64 s[2:3], s[2:3], s[4:5]
	v_cndmask_b32_e64 v9, v9, 0, s[2:3]
; %bb.127:
	s_or_b64 exec, exec, s[10:11]
	v_cvt_f16_f32_e32 v9, v9
	s_mov_b32 s2, 0x4b000000
	v_cmp_lt_f32_e64 s[2:3], |v6|, s2
	v_mov_b32_e32 v8, 0x264
	v_mov_b32_e32 v10, 0x7c00
	s_or_b64 s[0:1], s[0:1], s[2:3]
	v_cndmask_b32_e64 v9, v10, v9, s[0:1]
	v_cmp_class_f32_e64 s[0:1], v6, v8
	v_cndmask_b32_e64 v6, v9, v10, s[0:1]
	v_cmp_u_f16_e64 s[0:1], v4, v4
	v_cndmask_b32_e64 v6, v6, v4, s[0:1]
.LBB151_128:
	s_or_b64 exec, exec, s[6:7]
	v_or_b32_e32 v4, 0x300, v0
	v_cmp_gt_i32_e64 s[0:1], s17, v4
                                        ; implicit-def: $vgpr4
	s_and_saveexec_b64 s[6:7], s[0:1]
	s_cbranch_execnz .LBB151_134
; %bb.129:
	s_or_b64 exec, exec, s[6:7]
	s_and_saveexec_b64 s[0:1], vcc
	s_xor_b64 s[0:1], exec, s[0:1]
	s_cbranch_execnz .LBB151_173
.LBB151_130:
	s_or_b64 exec, exec, s[0:1]
	v_cmp_gt_i32_e32 vcc, s17, v0
	s_and_saveexec_b64 s[0:1], vcc
	s_cbranch_execnz .LBB151_174
.LBB151_131:
	s_or_b64 exec, exec, s[0:1]
	v_cmp_gt_i32_e32 vcc, s17, v0
	s_and_saveexec_b64 s[0:1], vcc
	s_cbranch_execnz .LBB151_175
.LBB151_132:
	s_or_b64 exec, exec, s[0:1]
	v_cmp_gt_i32_e32 vcc, s17, v0
	s_and_saveexec_b64 s[0:1], vcc
	s_cbranch_execnz .LBB151_176
.LBB151_133:
	s_endpgm
.LBB151_134:
	v_cvt_f32_f16_e32 v4, v2
	s_mov_b32 s0, 0x3c800000
                                        ; implicit-def: $vgpr9
	v_and_b32_e32 v8, 0x7fffffff, v4
	v_cmp_nlt_f32_e64 s[0:1], |v4|, s0
	s_and_saveexec_b64 s[2:3], s[0:1]
	s_xor_b64 s[4:5], exec, s[2:3]
	s_cbranch_execz .LBB151_164
; %bb.135:
	v_cmp_nlt_f32_e64 s[0:1], |v4|, 2.0
                                        ; implicit-def: $vgpr9
	s_and_saveexec_b64 s[2:3], s[0:1]
	s_xor_b64 s[10:11], exec, s[2:3]
	s_cbranch_execz .LBB151_145
; %bb.136:
	s_mov_b32 s0, 0x41000000
	v_cmp_nlt_f32_e64 s[0:1], |v4|, s0
                                        ; implicit-def: $vgpr9
	s_and_saveexec_b64 s[2:3], s[0:1]
	s_xor_b64 s[12:13], exec, s[2:3]
	s_cbranch_execz .LBB151_142
; %bb.137:
	s_mov_b32 s0, 0x5c800000
	v_cmp_nlt_f32_e64 s[0:1], |v4|, s0
                                        ; implicit-def: $vgpr9
	s_and_saveexec_b64 s[2:3], s[0:1]
	s_xor_b64 s[14:15], exec, s[2:3]
	s_cbranch_execz .LBB151_139
; %bb.138:
	s_mov_b32 s0, 0x800000
	v_cmp_lt_f32_e64 s[0:1], |v4|, s0
	v_cndmask_b32_e64 v9, 0, 32, s[0:1]
	v_ldexp_f32 v9, |v4|, v9
	v_log_f32_e32 v9, v9
	s_mov_b32 s2, 0x3f317217
	s_mov_b32 s3, 0x7f800000
	v_mul_f32_e32 v10, 0x3f317217, v9
	v_fma_f32 v11, v9, s2, -v10
	v_fmac_f32_e32 v11, 0x3377d1cf, v9
	v_add_f32_e32 v10, v10, v11
	v_cmp_lt_f32_e64 s[2:3], |v9|, s3
	v_cndmask_b32_e64 v9, v9, v10, s[2:3]
	v_mov_b32_e32 v10, 0x41b17218
	v_cndmask_b32_e64 v10, 0, v10, s[0:1]
	v_sub_f32_e32 v9, v9, v10
	v_fma_f32 v9, |v4|, v9, -|v4|
.LBB151_139:
	s_andn2_saveexec_b64 s[14:15], s[14:15]
	s_cbranch_execz .LBB151_141
; %bb.140:
	v_rcp_f32_e64 v10, |v4|
	v_mov_b32_e32 v9, 0x3a5b3dd2
	v_mov_b32_e32 v11, 0xba1c065c
	;; [unrolled: 1-line block ×3, first 2 shown]
	v_mul_f32_e32 v13, v10, v10
	v_fmac_f32_e32 v9, 0xbad5c4e8, v13
	v_fmac_f32_e32 v11, v13, v9
	s_mov_b32 s0, 0x800000
	v_fmac_f32_e32 v12, v13, v11
	v_mov_b32_e32 v9, 0xbb360b61
	v_cmp_lt_f32_e64 s[0:1], |v4|, s0
	v_fmac_f32_e32 v9, v13, v12
	v_cndmask_b32_e64 v12, 0, 32, s[0:1]
	v_ldexp_f32 v12, |v4|, v12
	v_log_f32_e32 v12, v12
	v_mov_b32_e32 v11, 0x3daaaaab
	v_fmac_f32_e32 v11, v13, v9
	v_mov_b32_e32 v9, 0x3ed67f1d
	v_fmac_f32_e32 v9, v10, v11
	s_mov_b32 s2, 0x3f317217
	v_mul_f32_e32 v11, 0x3f317217, v12
	v_fma_f32 v13, v12, s2, -v11
	v_fmac_f32_e32 v13, 0x3377d1cf, v12
	s_mov_b32 s2, 0x7f800000
	v_add_f32_e32 v11, v11, v13
	v_cmp_lt_f32_e64 s[2:3], |v12|, s2
	v_cndmask_b32_e64 v11, v12, v11, s[2:3]
	v_mov_b32_e32 v12, 0x41b17218
	v_cndmask_b32_e64 v12, 0, v12, s[0:1]
	v_sub_f32_e32 v11, v11, v12
	v_add_f32_e64 v10, |v4|, -0.5
	v_add_f32_e32 v11, -1.0, v11
	v_fmac_f32_e32 v9, v10, v11
.LBB151_141:
	s_or_b64 exec, exec, s[14:15]
.LBB151_142:
	s_andn2_saveexec_b64 s[12:13], s[12:13]
	s_cbranch_execz .LBB151_144
; %bb.143:
	v_cvt_i32_f32_e32 v9, v8
	v_mov_b32_e32 v10, 0x3af135b4
	v_mov_b32_e32 v11, 0x3cda40e4
	;; [unrolled: 1-line block ×3, first 2 shown]
	v_cvt_f32_i32_e32 v13, v9
	v_mov_b32_e32 v14, 0x3ea6cc7a
	v_mov_b32_e32 v15, 0x3e5c245a
	v_cmp_lt_i32_e64 s[0:1], 2, v9
	v_sub_f32_e64 v13, |v4|, v13
	v_fmac_f32_e32 v10, 0x3805ff67, v13
	v_fmac_f32_e32 v11, v13, v10
	;; [unrolled: 1-line block ×3, first 2 shown]
	v_mov_b32_e32 v11, 0x3a4beed6
	v_fmac_f32_e32 v14, v13, v12
	v_fmac_f32_e32 v11, 0x36f5d7bd, v13
	v_mov_b32_e32 v12, 0x3c98bf54
	v_fmac_f32_e32 v12, v13, v11
	v_mov_b32_e32 v11, 0x3e300f6e
	;; [unrolled: 2-line block ×4, first 2 shown]
	v_fmac_f32_e32 v11, v13, v12
	v_add_f32_e32 v12, 2.0, v13
	v_mov_b32_e32 v16, 0xbd9e233f
	v_fmac_f32_e32 v15, v13, v14
	v_add_f32_e32 v14, 0x40400000, v13
	v_cndmask_b32_e64 v12, 1.0, v12, s[0:1]
	v_cmp_lt_i32_e64 s[0:1], 3, v9
	v_fmac_f32_e32 v16, v13, v15
	v_add_f32_e32 v15, 4.0, v13
	v_cndmask_b32_e64 v14, 1.0, v14, s[0:1]
	v_cmp_lt_i32_e64 s[0:1], 4, v9
	v_mul_f32_e32 v10, v13, v16
	v_add_f32_e32 v16, 0x40a00000, v13
	v_mul_f32_e32 v12, v12, v14
	v_cndmask_b32_e64 v14, 1.0, v15, s[0:1]
	v_cmp_lt_i32_e64 s[0:1], 5, v9
	v_add_f32_e32 v17, 0x40c00000, v13
	v_mul_f32_e32 v12, v14, v12
	v_cndmask_b32_e64 v14, 1.0, v16, s[0:1]
	v_cmp_lt_i32_e64 s[0:1], 6, v9
	v_mul_f32_e32 v12, v14, v12
	v_cndmask_b32_e64 v9, 1.0, v17, s[0:1]
	v_mul_f32_e32 v9, v9, v12
	s_mov_b32 s0, 0x800000
	v_cmp_gt_f32_e64 s[0:1], s0, v9
	v_cndmask_b32_e64 v12, 0, 32, s[0:1]
	v_fma_f32 v11, v13, v11, 1.0
	v_ldexp_f32 v9, v9, v12
	v_rcp_f32_e32 v11, v11
	v_log_f32_e32 v9, v9
	s_mov_b32 s2, 0x3f317217
	v_mul_f32_e32 v10, v10, v11
	v_mul_f32_e32 v11, 0x3f317217, v9
	v_fma_f32 v12, v9, s2, -v11
	v_fmac_f32_e32 v12, 0x3377d1cf, v9
	s_mov_b32 s2, 0x7f800000
	v_add_f32_e32 v11, v11, v12
	v_cmp_lt_f32_e64 s[2:3], |v9|, s2
	v_cndmask_b32_e64 v9, v9, v11, s[2:3]
	v_mov_b32_e32 v11, 0x41b17218
	v_cndmask_b32_e64 v11, 0, v11, s[0:1]
	v_fmac_f32_e32 v10, 0.5, v13
	v_sub_f32_e32 v9, v9, v11
	v_add_f32_e32 v9, v9, v10
.LBB151_144:
	s_or_b64 exec, exec, s[12:13]
.LBB151_145:
	s_andn2_saveexec_b64 s[10:11], s[10:11]
	s_cbranch_execz .LBB151_163
; %bb.146:
	s_mov_b32 s0, 0x3f666666
	v_cmp_le_f32_e64 s[0:1], |v4|, s0
                                        ; implicit-def: $vgpr9
                                        ; implicit-def: $vgpr11
                                        ; implicit-def: $vgpr10
	s_and_saveexec_b64 s[2:3], s[0:1]
	s_xor_b64 s[12:13], exec, s[2:3]
	s_cbranch_execz .LBB151_148
; %bb.147:
	s_mov_b32 s0, 0x800000
	v_cmp_lt_f32_e64 s[0:1], |v4|, s0
	v_cndmask_b32_e64 v9, 0, 32, s[0:1]
	v_ldexp_f32 v9, |v4|, v9
	v_log_f32_e32 v9, v9
	s_mov_b32 s2, 0x3f317217
	s_mov_b32 s3, 0x7f800000
	v_mul_f32_e32 v10, 0x3f317217, v9
	v_fma_f32 v11, v9, s2, -v10
	v_fmac_f32_e32 v11, 0x3377d1cf, v9
	v_add_f32_e32 v10, v10, v11
	v_cmp_lt_f32_e64 s[2:3], |v9|, s3
	v_cndmask_b32_e64 v9, v9, v10, s[2:3]
	v_mov_b32_e32 v10, 0x41b17218
	v_cndmask_b32_e64 v10, 0, v10, s[0:1]
	s_mov_b32 s0, 0x3f3b4a23
	s_mov_b32 s1, 0xbeec5b0c
	v_sub_f32_e32 v9, v9, v10
	v_sub_f32_e64 v10, 1.0, |v4|
	v_add_f32_e64 v11, |v4|, s1
	v_cmp_lt_f32_e64 s[0:1], |v4|, s0
	v_cndmask_b32_e64 v10, v10, v11, s[0:1]
	v_cndmask_b32_e64 v11, 0, 1, s[0:1]
	s_mov_b32 s0, 0x3e6d3309
	v_cmp_lt_f32_e64 s[0:1], |v4|, s0
	v_xor_b32_e32 v9, 0x80000000, v9
	v_cndmask_b32_e64 v10, v10, |v4|, s[0:1]
	v_cndmask_b32_e64 v11, v11, 2, s[0:1]
.LBB151_148:
	s_andn2_saveexec_b64 s[2:3], s[12:13]
	s_cbranch_execz .LBB151_150
; %bb.149:
	s_mov_b32 s0, 0x3fdda512
	s_mov_b32 s1, 0xbfbb16c3
	v_sub_f32_e64 v9, 2.0, |v4|
	v_add_f32_e64 v10, |v4|, s1
	v_cmp_lt_f32_e64 s[0:1], |v4|, s0
	v_cndmask_b32_e64 v10, v9, v10, s[0:1]
	v_cndmask_b32_e64 v9, v9, 1.0, s[0:1]
	v_cvt_i32_f32_e32 v9, v9
	s_mov_b32 s0, 0x3f9d70a4
	v_add_f32_e64 v11, |v4|, -1.0
	v_cmp_lt_f32_e64 s[0:1], |v4|, s0
	v_cndmask_b32_e64 v10, v10, v11, s[0:1]
	v_cndmask_b32_e64 v11, v9, 2, s[0:1]
	v_mov_b32_e32 v9, 0
.LBB151_150:
	s_or_b64 exec, exec, s[2:3]
	v_cmp_lt_i32_e64 s[0:1], 0, v11
	s_and_saveexec_b64 s[2:3], s[0:1]
	s_xor_b64 s[2:3], exec, s[2:3]
	s_cbranch_execz .LBB151_158
; %bb.151:
	v_cmp_lt_i32_e64 s[0:1], 1, v11
	s_and_saveexec_b64 s[12:13], s[0:1]
	s_xor_b64 s[12:13], exec, s[12:13]
	s_cbranch_execz .LBB151_155
; %bb.152:
	v_cmp_eq_u32_e64 s[0:1], 2, v11
	s_and_saveexec_b64 s[14:15], s[0:1]
	s_cbranch_execz .LBB151_154
; %bb.153:
	v_mov_b32_e32 v11, 0x3e6a7578
	v_fmac_f32_e32 v11, 0x3c5b3c5e, v10
	v_mov_b32_e32 v12, 0x3f7a4bb2
	v_fmac_f32_e32 v12, v10, v11
	;; [unrolled: 2-line block ×8, first 2 shown]
	v_fma_f32 v11, v10, v13, 1.0
	v_rcp_f32_e32 v11, v11
	v_mov_b32_e32 v13, 0xbd9e233f
	v_fmac_f32_e32 v13, v10, v12
	v_mul_f32_e32 v12, v10, v13
	v_mul_f32_e32 v11, v12, v11
	v_fmac_f32_e32 v11, -0.5, v10
	v_add_f32_e32 v9, v9, v11
.LBB151_154:
	s_or_b64 exec, exec, s[14:15]
                                        ; implicit-def: $vgpr10
.LBB151_155:
	s_andn2_saveexec_b64 s[0:1], s[12:13]
	s_cbranch_execz .LBB151_157
; %bb.156:
	v_mul_f32_e32 v11, v10, v10
	v_mul_f32_e32 v12, v10, v11
	v_mov_b32_e32 v13, 0xbab7f476
	v_fmac_f32_e32 v13, 0x39a57b6b, v12
	v_mov_b32_e32 v14, 0x3bc7e707
	v_fmac_f32_e32 v14, v12, v13
	;; [unrolled: 2-line block ×12, first 2 shown]
	v_fmac_f32_e32 v15, v10, v16
	s_mov_b32 s12, 0xa2863e55
	v_fma_f32 v10, v12, -v15, s12
	v_fma_f32 v10, v11, v14, -v10
	v_add_f32_e32 v10, 0xbdf8cdce, v10
	v_add_f32_e32 v9, v9, v10
.LBB151_157:
	s_or_b64 exec, exec, s[0:1]
                                        ; implicit-def: $vgpr11
                                        ; implicit-def: $vgpr10
.LBB151_158:
	s_andn2_saveexec_b64 s[2:3], s[2:3]
	s_cbranch_execz .LBB151_162
; %bb.159:
	v_cmp_eq_u32_e64 s[0:1], 0, v11
	s_and_saveexec_b64 s[12:13], s[0:1]
	s_cbranch_execz .LBB151_161
; %bb.160:
	v_mul_f32_e32 v11, v10, v10
	v_mov_b32_e32 v12, 0x39679767
	v_fmac_f32_e32 v12, 0x37d383a2, v11
	v_mov_b32_e32 v13, 0x3a9c54a1
	v_fmac_f32_e32 v13, v11, v12
	;; [unrolled: 2-line block ×10, first 2 shown]
	v_mul_f32_e32 v11, v11, v13
	v_fmac_f32_e32 v11, v10, v12
	v_fmac_f32_e32 v11, -0.5, v10
	v_add_f32_e32 v9, v9, v11
.LBB151_161:
	s_or_b64 exec, exec, s[12:13]
.LBB151_162:
	s_or_b64 exec, exec, s[2:3]
.LBB151_163:
	s_or_b64 exec, exec, s[10:11]
.LBB151_164:
	s_andn2_saveexec_b64 s[4:5], s[4:5]
	s_cbranch_execz .LBB151_166
; %bb.165:
	s_mov_b32 s0, 0x3e8a8991
	v_mov_b32_e32 v9, 0xbecd26ab
	v_fma_f32 v9, |v4|, s0, v9
	s_mov_b32 s0, 0x3f528d33
	v_fma_f32 v9, |v4|, v9, s0
	s_mov_b32 s0, 0x800000
	v_cmp_lt_f32_e64 s[0:1], |v4|, s0
	v_cndmask_b32_e64 v10, 0, 32, s[0:1]
	v_ldexp_f32 v10, |v4|, v10
	v_log_f32_e32 v10, v10
	s_mov_b32 s2, 0xbf13c468
	v_fma_f32 v9, |v4|, v9, s2
	s_mov_b32 s2, 0x3f317217
	v_mul_f32_e32 v11, 0x3f317217, v10
	v_fma_f32 v12, v10, s2, -v11
	v_fmac_f32_e32 v12, 0x3377d1cf, v10
	s_mov_b32 s2, 0x7f800000
	v_add_f32_e32 v11, v11, v12
	v_cmp_lt_f32_e64 s[2:3], |v10|, s2
	v_cndmask_b32_e64 v10, v10, v11, s[2:3]
	v_mov_b32_e32 v11, 0x41b17218
	v_cndmask_b32_e64 v11, 0, v11, s[0:1]
	v_sub_f32_e32 v10, v10, v11
	v_fma_f32 v9, |v4|, v9, -v10
.LBB151_166:
	s_or_b64 exec, exec, s[4:5]
	v_cmp_le_f16_e64 s[0:1], 0, v2
	v_cmp_nle_f16_e64 s[2:3], 0, v2
	s_and_saveexec_b64 s[4:5], s[2:3]
	s_xor_b64 s[10:11], exec, s[4:5]
	s_cbranch_execz .LBB151_170
; %bb.167:
	s_mov_b32 s2, 0x4b000000
	s_mov_b32 s4, 0x35000000
	v_cmp_lt_f32_e64 s[2:3], |v4|, s2
	v_cmp_gt_f32_e64 s[4:5], |v4|, s4
	s_and_b64 s[2:3], s[2:3], s[4:5]
	s_and_saveexec_b64 s[12:13], s[2:3]
	s_cbranch_execz .LBB151_169
; %bb.168:
	v_mul_f32_e64 v10, |v4|, 0.5
	v_floor_f32_e32 v11, v10
	v_sub_f32_e32 v11, v10, v11
	v_min_f32_e32 v11, 0x3f7fffff, v11
	s_mov_b32 s4, 0x7f800000
	v_add_f32_e32 v11, v11, v11
	v_cmp_neq_f32_e64 s[2:3], s4, v10
	v_cndmask_b32_e64 v10, 0, v11, s[2:3]
	v_cmp_gt_f32_e64 s[2:3], |v4|, 1.0
	v_cndmask_b32_e64 v10, |v4|, v10, s[2:3]
	v_add_f32_e32 v11, v10, v10
	v_rndne_f32_e32 v11, v11
	v_fmac_f32_e32 v10, -0.5, v11
	v_mul_f32_e32 v12, v10, v10
	v_mov_b32_e32 v13, 0xbf1f24be
	v_fmac_f32_e32 v13, 0x3e75aa41, v12
	v_mov_b32_e32 v14, 0x40234736
	v_fmac_f32_e32 v14, v12, v13
	;; [unrolled: 2-line block ×3, first 2 shown]
	v_mul_f32_e32 v14, v10, v12
	v_mul_f32_e32 v13, v14, v13
	v_fmac_f32_e32 v13, 0x40490fdb, v10
	v_mov_b32_e32 v10, 0x3e642e9d
	v_cvt_i32_f32_e32 v11, v11
	v_fmac_f32_e32 v10, 0x3d4be544, v12
	v_mov_b32_e32 v14, 0xbfaad1da
	v_fmac_f32_e32 v14, v12, v10
	v_mov_b32_e32 v10, 0x4081e0d3
	;; [unrolled: 2-line block ×3, first 2 shown]
	v_fmac_f32_e32 v14, v12, v10
	v_fma_f32 v10, v12, v14, 1.0
	v_and_b32_e32 v12, 1, v11
	v_lshlrev_b32_e32 v11, 30, v11
	v_cmp_eq_u32_e64 s[2:3], 0, v12
	v_and_b32_e32 v11, 0x80000000, v11
	v_xor_b32_e32 v8, v8, v4
	v_cndmask_b32_e64 v10, v10, v13, s[2:3]
	v_xor_b32_e32 v8, v8, v11
	v_xor_b32_e32 v8, v8, v10
	v_mul_f32_e32 v8, v4, v8
	v_frexp_mant_f32_e64 v10, |v8|
	v_rcp_f32_e32 v10, v10
	v_frexp_exp_i32_f32_e32 v8, v8
	v_sub_u32_e32 v8, 2, v8
	s_mov_b32 s2, 0x800000
	v_mul_f32_e32 v10, 0x3f490fdb, v10
	v_ldexp_f32 v8, v10, v8
	v_cmp_gt_f32_e64 s[2:3], s2, v8
	v_cndmask_b32_e64 v10, 0, 32, s[2:3]
	v_ldexp_f32 v8, v8, v10
	v_log_f32_e32 v8, v8
	s_mov_b32 s5, 0x3f317217
	v_mul_f32_e32 v10, 0x3f317217, v8
	v_fma_f32 v11, v8, s5, -v10
	v_fmac_f32_e32 v11, 0x3377d1cf, v8
	v_add_f32_e32 v10, v10, v11
	v_cmp_lt_f32_e64 s[4:5], |v8|, s4
	v_cndmask_b32_e64 v8, v8, v10, s[4:5]
	v_mov_b32_e32 v10, 0x41b17218
	v_cndmask_b32_e64 v10, 0, v10, s[2:3]
	v_sub_f32_e32 v8, v8, v10
	v_sub_f32_e32 v8, v8, v9
	v_floor_f32_e32 v9, v4
	v_sub_f32_e32 v9, v4, v9
	v_min_f32_e32 v9, 0x3f7fffff, v9
	v_mov_b32_e32 v10, 0x7f800000
	v_cmp_neq_f32_e64 s[2:3], 0, v9
	v_cndmask_b32_e64 v9, v10, v8, s[2:3]
.LBB151_169:
	s_or_b64 exec, exec, s[12:13]
.LBB151_170:
	s_andn2_saveexec_b64 s[10:11], s[10:11]
; %bb.171:
	v_cmp_eq_f16_e64 s[2:3], 1.0, v2
	v_cmp_eq_f16_e64 s[4:5], 2.0, v2
	s_or_b64 s[2:3], s[2:3], s[4:5]
	v_cndmask_b32_e64 v9, v9, 0, s[2:3]
; %bb.172:
	s_or_b64 exec, exec, s[10:11]
	v_cvt_f16_f32_e32 v9, v9
	s_mov_b32 s2, 0x4b000000
	v_cmp_lt_f32_e64 s[2:3], |v4|, s2
	v_mov_b32_e32 v8, 0x264
	v_mov_b32_e32 v10, 0x7c00
	s_or_b64 s[0:1], s[0:1], s[2:3]
	v_cndmask_b32_e64 v9, v10, v9, s[0:1]
	v_cmp_class_f32_e64 s[0:1], v4, v8
	v_cndmask_b32_e64 v4, v9, v10, s[0:1]
	v_cmp_u_f16_e64 s[0:1], v2, v2
	v_cndmask_b32_e64 v4, v4, v2, s[0:1]
	s_or_b64 exec, exec, s[6:7]
	s_and_saveexec_b64 s[0:1], vcc
	s_xor_b64 s[0:1], exec, s[0:1]
	s_cbranch_execz .LBB151_130
.LBB151_173:
	v_mov_b32_e32 v2, 0
	v_lshlrev_b64 v[0:1], 1, v[1:2]
	v_mov_b32_e32 v2, s9
	v_add_co_u32_e32 v0, vcc, s8, v0
	v_addc_co_u32_e32 v1, vcc, v2, v1, vcc
	global_store_short v[0:1], v3, off
	v_mov_b32_e32 v0, v5
	s_or_b64 exec, exec, s[0:1]
	v_cmp_gt_i32_e32 vcc, s17, v0
	s_and_saveexec_b64 s[0:1], vcc
	s_cbranch_execz .LBB151_131
.LBB151_174:
	v_add_u32_e32 v2, 0x100, v0
	v_add_u32_e32 v0, s16, v0
	v_mov_b32_e32 v1, 0
	v_lshlrev_b64 v[0:1], 1, v[0:1]
	v_mov_b32_e32 v3, s9
	v_add_co_u32_e32 v0, vcc, s8, v0
	v_addc_co_u32_e32 v1, vcc, v3, v1, vcc
	global_store_short v[0:1], v7, off
	v_mov_b32_e32 v0, v2
	s_or_b64 exec, exec, s[0:1]
	v_cmp_gt_i32_e32 vcc, s17, v0
	s_and_saveexec_b64 s[0:1], vcc
	s_cbranch_execz .LBB151_132
.LBB151_175:
	v_add_u32_e32 v2, 0x100, v0
	v_add_u32_e32 v0, s16, v0
	v_mov_b32_e32 v1, 0
	v_lshlrev_b64 v[0:1], 1, v[0:1]
	v_mov_b32_e32 v3, s9
	v_add_co_u32_e32 v0, vcc, s8, v0
	v_addc_co_u32_e32 v1, vcc, v3, v1, vcc
	global_store_short v[0:1], v6, off
	v_mov_b32_e32 v0, v2
	s_or_b64 exec, exec, s[0:1]
	v_cmp_gt_i32_e32 vcc, s17, v0
	s_and_saveexec_b64 s[0:1], vcc
	s_cbranch_execz .LBB151_133
.LBB151_176:
	v_add_u32_e32 v0, s16, v0
	v_mov_b32_e32 v1, 0
	v_lshlrev_b64 v[0:1], 1, v[0:1]
	v_mov_b32_e32 v2, s9
	v_add_co_u32_e32 v0, vcc, s8, v0
	v_addc_co_u32_e32 v1, vcc, v2, v1, vcc
	global_store_short v[0:1], v4, off
	s_endpgm
	.section	.rodata,"a",@progbits
	.p2align	6, 0x0
	.amdhsa_kernel _ZN2at6native27unrolled_elementwise_kernelIZZZNS0_18lgamma_kernel_cudaERNS_18TensorIteratorBaseEENKUlvE_clEvENKUlvE1_clEvEUlN3c104HalfEE_St5arrayIPcLm2EELi4E23TrivialOffsetCalculatorILi1EjESD_NS0_6memory15LoadWithoutCastENSE_16StoreWithoutCastEEEviT_T0_T2_T3_T4_T5_
		.amdhsa_group_segment_fixed_size 0
		.amdhsa_private_segment_fixed_size 0
		.amdhsa_kernarg_size 28
		.amdhsa_user_sgpr_count 6
		.amdhsa_user_sgpr_private_segment_buffer 1
		.amdhsa_user_sgpr_dispatch_ptr 0
		.amdhsa_user_sgpr_queue_ptr 0
		.amdhsa_user_sgpr_kernarg_segment_ptr 1
		.amdhsa_user_sgpr_dispatch_id 0
		.amdhsa_user_sgpr_flat_scratch_init 0
		.amdhsa_user_sgpr_private_segment_size 0
		.amdhsa_uses_dynamic_stack 0
		.amdhsa_system_sgpr_private_segment_wavefront_offset 0
		.amdhsa_system_sgpr_workgroup_id_x 1
		.amdhsa_system_sgpr_workgroup_id_y 0
		.amdhsa_system_sgpr_workgroup_id_z 0
		.amdhsa_system_sgpr_workgroup_info 0
		.amdhsa_system_vgpr_workitem_id 0
		.amdhsa_next_free_vgpr 18
		.amdhsa_next_free_sgpr 18
		.amdhsa_reserve_vcc 1
		.amdhsa_reserve_flat_scratch 0
		.amdhsa_float_round_mode_32 0
		.amdhsa_float_round_mode_16_64 0
		.amdhsa_float_denorm_mode_32 3
		.amdhsa_float_denorm_mode_16_64 3
		.amdhsa_dx10_clamp 1
		.amdhsa_ieee_mode 1
		.amdhsa_fp16_overflow 0
		.amdhsa_exception_fp_ieee_invalid_op 0
		.amdhsa_exception_fp_denorm_src 0
		.amdhsa_exception_fp_ieee_div_zero 0
		.amdhsa_exception_fp_ieee_overflow 0
		.amdhsa_exception_fp_ieee_underflow 0
		.amdhsa_exception_fp_ieee_inexact 0
		.amdhsa_exception_int_div_zero 0
	.end_amdhsa_kernel
	.section	.text._ZN2at6native27unrolled_elementwise_kernelIZZZNS0_18lgamma_kernel_cudaERNS_18TensorIteratorBaseEENKUlvE_clEvENKUlvE1_clEvEUlN3c104HalfEE_St5arrayIPcLm2EELi4E23TrivialOffsetCalculatorILi1EjESD_NS0_6memory15LoadWithoutCastENSE_16StoreWithoutCastEEEviT_T0_T2_T3_T4_T5_,"axG",@progbits,_ZN2at6native27unrolled_elementwise_kernelIZZZNS0_18lgamma_kernel_cudaERNS_18TensorIteratorBaseEENKUlvE_clEvENKUlvE1_clEvEUlN3c104HalfEE_St5arrayIPcLm2EELi4E23TrivialOffsetCalculatorILi1EjESD_NS0_6memory15LoadWithoutCastENSE_16StoreWithoutCastEEEviT_T0_T2_T3_T4_T5_,comdat
.Lfunc_end151:
	.size	_ZN2at6native27unrolled_elementwise_kernelIZZZNS0_18lgamma_kernel_cudaERNS_18TensorIteratorBaseEENKUlvE_clEvENKUlvE1_clEvEUlN3c104HalfEE_St5arrayIPcLm2EELi4E23TrivialOffsetCalculatorILi1EjESD_NS0_6memory15LoadWithoutCastENSE_16StoreWithoutCastEEEviT_T0_T2_T3_T4_T5_, .Lfunc_end151-_ZN2at6native27unrolled_elementwise_kernelIZZZNS0_18lgamma_kernel_cudaERNS_18TensorIteratorBaseEENKUlvE_clEvENKUlvE1_clEvEUlN3c104HalfEE_St5arrayIPcLm2EELi4E23TrivialOffsetCalculatorILi1EjESD_NS0_6memory15LoadWithoutCastENSE_16StoreWithoutCastEEEviT_T0_T2_T3_T4_T5_
                                        ; -- End function
	.set _ZN2at6native27unrolled_elementwise_kernelIZZZNS0_18lgamma_kernel_cudaERNS_18TensorIteratorBaseEENKUlvE_clEvENKUlvE1_clEvEUlN3c104HalfEE_St5arrayIPcLm2EELi4E23TrivialOffsetCalculatorILi1EjESD_NS0_6memory15LoadWithoutCastENSE_16StoreWithoutCastEEEviT_T0_T2_T3_T4_T5_.num_vgpr, 18
	.set _ZN2at6native27unrolled_elementwise_kernelIZZZNS0_18lgamma_kernel_cudaERNS_18TensorIteratorBaseEENKUlvE_clEvENKUlvE1_clEvEUlN3c104HalfEE_St5arrayIPcLm2EELi4E23TrivialOffsetCalculatorILi1EjESD_NS0_6memory15LoadWithoutCastENSE_16StoreWithoutCastEEEviT_T0_T2_T3_T4_T5_.num_agpr, 0
	.set _ZN2at6native27unrolled_elementwise_kernelIZZZNS0_18lgamma_kernel_cudaERNS_18TensorIteratorBaseEENKUlvE_clEvENKUlvE1_clEvEUlN3c104HalfEE_St5arrayIPcLm2EELi4E23TrivialOffsetCalculatorILi1EjESD_NS0_6memory15LoadWithoutCastENSE_16StoreWithoutCastEEEviT_T0_T2_T3_T4_T5_.numbered_sgpr, 18
	.set _ZN2at6native27unrolled_elementwise_kernelIZZZNS0_18lgamma_kernel_cudaERNS_18TensorIteratorBaseEENKUlvE_clEvENKUlvE1_clEvEUlN3c104HalfEE_St5arrayIPcLm2EELi4E23TrivialOffsetCalculatorILi1EjESD_NS0_6memory15LoadWithoutCastENSE_16StoreWithoutCastEEEviT_T0_T2_T3_T4_T5_.num_named_barrier, 0
	.set _ZN2at6native27unrolled_elementwise_kernelIZZZNS0_18lgamma_kernel_cudaERNS_18TensorIteratorBaseEENKUlvE_clEvENKUlvE1_clEvEUlN3c104HalfEE_St5arrayIPcLm2EELi4E23TrivialOffsetCalculatorILi1EjESD_NS0_6memory15LoadWithoutCastENSE_16StoreWithoutCastEEEviT_T0_T2_T3_T4_T5_.private_seg_size, 0
	.set _ZN2at6native27unrolled_elementwise_kernelIZZZNS0_18lgamma_kernel_cudaERNS_18TensorIteratorBaseEENKUlvE_clEvENKUlvE1_clEvEUlN3c104HalfEE_St5arrayIPcLm2EELi4E23TrivialOffsetCalculatorILi1EjESD_NS0_6memory15LoadWithoutCastENSE_16StoreWithoutCastEEEviT_T0_T2_T3_T4_T5_.uses_vcc, 1
	.set _ZN2at6native27unrolled_elementwise_kernelIZZZNS0_18lgamma_kernel_cudaERNS_18TensorIteratorBaseEENKUlvE_clEvENKUlvE1_clEvEUlN3c104HalfEE_St5arrayIPcLm2EELi4E23TrivialOffsetCalculatorILi1EjESD_NS0_6memory15LoadWithoutCastENSE_16StoreWithoutCastEEEviT_T0_T2_T3_T4_T5_.uses_flat_scratch, 0
	.set _ZN2at6native27unrolled_elementwise_kernelIZZZNS0_18lgamma_kernel_cudaERNS_18TensorIteratorBaseEENKUlvE_clEvENKUlvE1_clEvEUlN3c104HalfEE_St5arrayIPcLm2EELi4E23TrivialOffsetCalculatorILi1EjESD_NS0_6memory15LoadWithoutCastENSE_16StoreWithoutCastEEEviT_T0_T2_T3_T4_T5_.has_dyn_sized_stack, 0
	.set _ZN2at6native27unrolled_elementwise_kernelIZZZNS0_18lgamma_kernel_cudaERNS_18TensorIteratorBaseEENKUlvE_clEvENKUlvE1_clEvEUlN3c104HalfEE_St5arrayIPcLm2EELi4E23TrivialOffsetCalculatorILi1EjESD_NS0_6memory15LoadWithoutCastENSE_16StoreWithoutCastEEEviT_T0_T2_T3_T4_T5_.has_recursion, 0
	.set _ZN2at6native27unrolled_elementwise_kernelIZZZNS0_18lgamma_kernel_cudaERNS_18TensorIteratorBaseEENKUlvE_clEvENKUlvE1_clEvEUlN3c104HalfEE_St5arrayIPcLm2EELi4E23TrivialOffsetCalculatorILi1EjESD_NS0_6memory15LoadWithoutCastENSE_16StoreWithoutCastEEEviT_T0_T2_T3_T4_T5_.has_indirect_call, 0
	.section	.AMDGPU.csdata,"",@progbits
; Kernel info:
; codeLenInByte = 11580
; TotalNumSgprs: 22
; NumVgprs: 18
; ScratchSize: 0
; MemoryBound: 0
; FloatMode: 240
; IeeeMode: 1
; LDSByteSize: 0 bytes/workgroup (compile time only)
; SGPRBlocks: 2
; VGPRBlocks: 4
; NumSGPRsForWavesPerEU: 22
; NumVGPRsForWavesPerEU: 18
; Occupancy: 10
; WaveLimiterHint : 0
; COMPUTE_PGM_RSRC2:SCRATCH_EN: 0
; COMPUTE_PGM_RSRC2:USER_SGPR: 6
; COMPUTE_PGM_RSRC2:TRAP_HANDLER: 0
; COMPUTE_PGM_RSRC2:TGID_X_EN: 1
; COMPUTE_PGM_RSRC2:TGID_Y_EN: 0
; COMPUTE_PGM_RSRC2:TGID_Z_EN: 0
; COMPUTE_PGM_RSRC2:TIDIG_COMP_CNT: 0
	.section	.text._ZN2at6native32elementwise_kernel_manual_unrollILi128ELi8EZNS0_22gpu_kernel_impl_nocastIZZZNS0_18lgamma_kernel_cudaERNS_18TensorIteratorBaseEENKUlvE_clEvENKUlvE1_clEvEUlN3c104HalfEE_EEvS4_RKT_EUlibE_EEviT1_,"axG",@progbits,_ZN2at6native32elementwise_kernel_manual_unrollILi128ELi8EZNS0_22gpu_kernel_impl_nocastIZZZNS0_18lgamma_kernel_cudaERNS_18TensorIteratorBaseEENKUlvE_clEvENKUlvE1_clEvEUlN3c104HalfEE_EEvS4_RKT_EUlibE_EEviT1_,comdat
	.globl	_ZN2at6native32elementwise_kernel_manual_unrollILi128ELi8EZNS0_22gpu_kernel_impl_nocastIZZZNS0_18lgamma_kernel_cudaERNS_18TensorIteratorBaseEENKUlvE_clEvENKUlvE1_clEvEUlN3c104HalfEE_EEvS4_RKT_EUlibE_EEviT1_ ; -- Begin function _ZN2at6native32elementwise_kernel_manual_unrollILi128ELi8EZNS0_22gpu_kernel_impl_nocastIZZZNS0_18lgamma_kernel_cudaERNS_18TensorIteratorBaseEENKUlvE_clEvENKUlvE1_clEvEUlN3c104HalfEE_EEvS4_RKT_EUlibE_EEviT1_
	.p2align	8
	.type	_ZN2at6native32elementwise_kernel_manual_unrollILi128ELi8EZNS0_22gpu_kernel_impl_nocastIZZZNS0_18lgamma_kernel_cudaERNS_18TensorIteratorBaseEENKUlvE_clEvENKUlvE1_clEvEUlN3c104HalfEE_EEvS4_RKT_EUlibE_EEviT1_,@function
_ZN2at6native32elementwise_kernel_manual_unrollILi128ELi8EZNS0_22gpu_kernel_impl_nocastIZZZNS0_18lgamma_kernel_cudaERNS_18TensorIteratorBaseEENKUlvE_clEvENKUlvE1_clEvEUlN3c104HalfEE_EEvS4_RKT_EUlibE_EEviT1_: ; @_ZN2at6native32elementwise_kernel_manual_unrollILi128ELi8EZNS0_22gpu_kernel_impl_nocastIZZZNS0_18lgamma_kernel_cudaERNS_18TensorIteratorBaseEENKUlvE_clEvENKUlvE1_clEvEUlN3c104HalfEE_EEvS4_RKT_EUlibE_EEviT1_
; %bb.0:
	s_load_dword s55, s[4:5], 0x0
	s_load_dword s33, s[4:5], 0x8
	s_add_u32 s34, s4, 8
	s_addc_u32 s35, s5, 0
	v_lshl_or_b32 v7, s6, 10, v0
	v_or_b32_e32 v25, 0x380, v7
	s_waitcnt lgkmcnt(0)
	s_add_i32 s54, s33, -1
	s_cmp_gt_u32 s54, 1
	v_cmp_le_i32_e32 vcc, s55, v25
	s_cselect_b64 s[36:37], -1, 0
	s_and_saveexec_b64 s[0:1], vcc
	s_xor_b64 s[38:39], exec, s[0:1]
	s_cbranch_execz .LBB152_7
; %bb.1:
	s_load_dwordx4 s[24:27], s[34:35], 0x4
	s_load_dwordx2 s[40:41], s[34:35], 0x14
	s_load_dwordx4 s[20:23], s[34:35], 0xc4
	s_load_dwordx4 s[16:19], s[34:35], 0x148
	s_cmp_lg_u32 s33, 0
	s_cselect_b64 s[46:47], -1, 0
	s_add_u32 s44, s34, 0xc4
	s_addc_u32 s45, s35, 0
	s_min_u32 s56, s54, 15
	s_cmp_gt_u32 s33, 1
	s_cselect_b64 s[42:43], -1, 0
	v_cmp_gt_i32_e32 vcc, s55, v7
	s_and_saveexec_b64 s[48:49], vcc
	s_cbranch_execz .LBB152_14
; %bb.2:
	s_andn2_b64 vcc, exec, s[36:37]
	s_cbranch_vccnz .LBB152_21
; %bb.3:
	s_andn2_b64 vcc, exec, s[46:47]
	s_cbranch_vccnz .LBB152_433
; %bb.4:
	s_add_i32 s58, s56, 1
	s_cmp_eq_u32 s54, 2
	s_cbranch_scc1 .LBB152_435
; %bb.5:
	s_and_b32 s57, s58, 28
	v_mov_b32_e32 v2, 0
	s_mov_b32 s59, 0
	s_mov_b64 s[50:51], s[34:35]
	s_mov_b64 s[52:53], s[44:45]
	v_mov_b32_e32 v0, 0
	v_mov_b32_e32 v1, v7
.LBB152_6:                              ; =>This Inner Loop Header: Depth=1
	s_load_dwordx8 s[8:15], s[50:51], 0x4
	s_load_dwordx4 s[28:31], s[50:51], 0x24
	s_load_dwordx8 s[0:7], s[52:53], 0x0
	s_add_u32 s50, s50, 48
	s_addc_u32 s51, s51, 0
	s_waitcnt lgkmcnt(0)
	v_mul_hi_u32 v3, s9, v1
	s_add_i32 s59, s59, 4
	s_add_u32 s52, s52, 32
	s_addc_u32 s53, s53, 0
	v_add_u32_e32 v3, v1, v3
	v_lshrrev_b32_e32 v3, s10, v3
	v_mul_lo_u32 v4, v3, s8
	v_mul_hi_u32 v5, s12, v3
	s_cmp_lg_u32 s57, s59
	v_sub_u32_e32 v1, v1, v4
	v_add_u32_e32 v4, v3, v5
	v_mul_lo_u32 v5, v1, s0
	v_mul_lo_u32 v6, v1, s1
	v_lshrrev_b32_e32 v1, s13, v4
	v_mul_lo_u32 v4, v1, s11
	v_mul_hi_u32 v8, s15, v1
	v_sub_u32_e32 v3, v3, v4
	v_add_u32_e32 v4, v1, v8
	v_lshrrev_b32_e32 v4, s28, v4
	v_mul_hi_u32 v9, s30, v4
	v_mul_lo_u32 v10, v4, s14
	v_mul_lo_u32 v8, v3, s2
	;; [unrolled: 1-line block ×3, first 2 shown]
	v_sub_u32_e32 v10, v1, v10
	v_add_u32_e32 v1, v4, v9
	v_lshrrev_b32_e32 v1, s31, v1
	v_mul_lo_u32 v9, v1, s29
	v_mul_lo_u32 v11, v10, s4
	;; [unrolled: 1-line block ×3, first 2 shown]
	v_add3_u32 v0, v5, v0, v8
	v_sub_u32_e32 v4, v4, v9
	v_mul_lo_u32 v9, v4, s6
	v_mul_lo_u32 v4, v4, s7
	v_add3_u32 v2, v6, v2, v3
	v_add3_u32 v0, v11, v0, v9
	;; [unrolled: 1-line block ×3, first 2 shown]
	s_cbranch_scc1 .LBB152_6
	s_branch .LBB152_436
.LBB152_7:
	s_andn2_saveexec_b64 s[0:1], s[38:39]
	s_cbranch_execz .LBB152_753
.LBB152_8:
	v_cndmask_b32_e64 v0, 0, 1, s[36:37]
	v_cmp_ne_u32_e64 s[0:1], 1, v0
	s_andn2_b64 vcc, exec, s[36:37]
	s_cbranch_vccnz .LBB152_20
; %bb.9:
	s_cmp_lg_u32 s33, 0
	s_waitcnt lgkmcnt(0)
	s_mov_b32 s26, 0
	s_cbranch_scc0 .LBB152_23
; %bb.10:
	s_min_u32 s27, s54, 15
	s_add_i32 s27, s27, 1
	s_cmp_eq_u32 s54, 2
	s_cbranch_scc1 .LBB152_24
; %bb.11:
	s_and_b32 s26, s27, 28
	s_add_u32 s2, s34, 0xc4
	s_addc_u32 s3, s35, 0
	v_mov_b32_e32 v23, 0
	s_mov_b32 s28, 0
	s_mov_b64 s[24:25], s[34:35]
	v_mov_b32_e32 v0, 0
	v_mov_b32_e32 v1, v7
.LBB152_12:                             ; =>This Inner Loop Header: Depth=1
	s_load_dwordx8 s[12:19], s[24:25], 0x4
	s_load_dwordx4 s[20:23], s[24:25], 0x24
	s_load_dwordx8 s[4:11], s[2:3], 0x0
	s_add_u32 s24, s24, 48
	s_addc_u32 s25, s25, 0
	s_waitcnt lgkmcnt(0)
	v_mul_hi_u32 v2, s13, v1
	s_add_i32 s28, s28, 4
	s_add_u32 s2, s2, 32
	s_addc_u32 s3, s3, 0
	v_add_u32_e32 v2, v1, v2
	v_lshrrev_b32_e32 v2, s14, v2
	v_mul_lo_u32 v3, v2, s12
	v_mul_hi_u32 v4, s16, v2
	s_cmp_lg_u32 s26, s28
	v_sub_u32_e32 v1, v1, v3
	v_add_u32_e32 v3, v2, v4
	v_mul_lo_u32 v4, v1, s4
	v_mul_lo_u32 v5, v1, s5
	v_lshrrev_b32_e32 v1, s17, v3
	v_mul_lo_u32 v3, v1, s15
	v_mul_hi_u32 v6, s19, v1
	v_sub_u32_e32 v2, v2, v3
	v_add_u32_e32 v3, v1, v6
	v_lshrrev_b32_e32 v3, s20, v3
	v_mul_hi_u32 v8, s22, v3
	v_mul_lo_u32 v9, v3, s18
	v_mul_lo_u32 v6, v2, s6
	;; [unrolled: 1-line block ×3, first 2 shown]
	v_sub_u32_e32 v9, v1, v9
	v_add_u32_e32 v1, v3, v8
	v_lshrrev_b32_e32 v1, s23, v1
	v_mul_lo_u32 v8, v1, s21
	v_mul_lo_u32 v10, v9, s8
	;; [unrolled: 1-line block ×3, first 2 shown]
	v_add3_u32 v0, v4, v0, v6
	v_sub_u32_e32 v3, v3, v8
	v_mul_lo_u32 v8, v3, s10
	v_mul_lo_u32 v3, v3, s11
	v_add3_u32 v2, v5, v23, v2
	v_add3_u32 v0, v10, v0, v8
	;; [unrolled: 1-line block ×3, first 2 shown]
	s_cbranch_scc1 .LBB152_12
; %bb.13:
	s_and_b32 s6, s27, 3
	s_cmp_eq_u32 s6, 0
	s_cbranch_scc0 .LBB152_25
	s_branch .LBB152_27
.LBB152_14:
	s_or_b64 exec, exec, s[48:49]
	v_cmp_gt_i32_e32 vcc, s55, v7
	s_and_saveexec_b64 s[48:49], vcc
	s_cbranch_execz .LBB152_481
.LBB152_15:
	s_andn2_b64 vcc, exec, s[36:37]
	s_cbranch_vccnz .LBB152_22
; %bb.16:
	s_andn2_b64 vcc, exec, s[46:47]
	s_cbranch_vccnz .LBB152_434
; %bb.17:
	s_add_i32 s58, s56, 1
	s_cmp_eq_u32 s54, 2
	s_cbranch_scc1 .LBB152_489
; %bb.18:
	s_and_b32 s57, s58, 28
	v_mov_b32_e32 v2, 0
	s_mov_b32 s59, 0
	s_mov_b64 s[50:51], s[34:35]
	s_mov_b64 s[52:53], s[44:45]
	v_mov_b32_e32 v0, 0
	v_mov_b32_e32 v1, v7
.LBB152_19:                             ; =>This Inner Loop Header: Depth=1
	s_load_dwordx8 s[8:15], s[50:51], 0x4
	s_load_dwordx4 s[28:31], s[50:51], 0x24
	s_load_dwordx8 s[0:7], s[52:53], 0x0
	s_add_u32 s50, s50, 48
	s_addc_u32 s51, s51, 0
	s_waitcnt lgkmcnt(0)
	v_mul_hi_u32 v3, s9, v1
	s_add_i32 s59, s59, 4
	s_add_u32 s52, s52, 32
	s_addc_u32 s53, s53, 0
	v_add_u32_e32 v3, v1, v3
	v_lshrrev_b32_e32 v3, s10, v3
	v_mul_lo_u32 v4, v3, s8
	v_mul_hi_u32 v5, s12, v3
	s_cmp_eq_u32 s57, s59
	v_sub_u32_e32 v1, v1, v4
	v_add_u32_e32 v4, v3, v5
	v_mul_lo_u32 v5, v1, s0
	v_mul_lo_u32 v6, v1, s1
	v_lshrrev_b32_e32 v1, s13, v4
	v_mul_lo_u32 v4, v1, s11
	v_mul_hi_u32 v8, s15, v1
	v_sub_u32_e32 v3, v3, v4
	v_add_u32_e32 v4, v1, v8
	v_lshrrev_b32_e32 v4, s28, v4
	v_mul_hi_u32 v9, s30, v4
	v_mul_lo_u32 v10, v4, s14
	v_mul_lo_u32 v8, v3, s2
	;; [unrolled: 1-line block ×3, first 2 shown]
	v_sub_u32_e32 v10, v1, v10
	v_add_u32_e32 v1, v4, v9
	v_lshrrev_b32_e32 v1, s31, v1
	v_mul_lo_u32 v9, v1, s29
	v_mul_lo_u32 v11, v10, s4
	;; [unrolled: 1-line block ×3, first 2 shown]
	v_add3_u32 v0, v5, v0, v8
	v_sub_u32_e32 v4, v4, v9
	v_mul_lo_u32 v9, v4, s6
	v_mul_lo_u32 v4, v4, s7
	v_add3_u32 v2, v6, v2, v3
	v_add3_u32 v0, v11, v0, v9
	;; [unrolled: 1-line block ×3, first 2 shown]
	s_cbranch_scc0 .LBB152_19
	s_branch .LBB152_490
.LBB152_20:
                                        ; implicit-def: $vgpr0
                                        ; implicit-def: $vgpr23
	s_branch .LBB152_28
.LBB152_21:
                                        ; implicit-def: $vgpr0
                                        ; implicit-def: $vgpr2
	s_branch .LBB152_440
.LBB152_22:
                                        ; implicit-def: $vgpr0
                                        ; implicit-def: $vgpr2
	s_branch .LBB152_494
.LBB152_23:
	v_mov_b32_e32 v0, 0
	v_mov_b32_e32 v23, 0
	s_branch .LBB152_27
.LBB152_24:
	v_mov_b32_e32 v0, 0
	v_mov_b32_e32 v23, 0
	;; [unrolled: 1-line block ×3, first 2 shown]
	s_and_b32 s6, s27, 3
	s_cmp_eq_u32 s6, 0
	s_cbranch_scc1 .LBB152_27
.LBB152_25:
	s_lshl_b32 s2, s26, 3
	s_add_u32 s2, s34, s2
	s_addc_u32 s3, s35, 0
	s_add_u32 s2, s2, 0xc4
	s_addc_u32 s3, s3, 0
	s_mul_i32 s4, s26, 12
	s_add_u32 s4, s34, s4
	s_addc_u32 s5, s35, 0
.LBB152_26:                             ; =>This Inner Loop Header: Depth=1
	s_load_dwordx2 s[8:9], s[4:5], 0x4
	s_load_dword s7, s[4:5], 0xc
	s_load_dwordx2 s[10:11], s[2:3], 0x0
	s_add_u32 s4, s4, 12
	s_addc_u32 s5, s5, 0
	s_waitcnt lgkmcnt(0)
	v_mul_hi_u32 v2, s9, v1
	s_add_u32 s2, s2, 8
	s_addc_u32 s3, s3, 0
	s_add_i32 s6, s6, -1
	v_add_u32_e32 v2, v1, v2
	v_lshrrev_b32_e32 v2, s7, v2
	v_mul_lo_u32 v3, v2, s8
	s_cmp_lg_u32 s6, 0
	v_sub_u32_e32 v3, v1, v3
	v_mad_u64_u32 v[0:1], s[8:9], v3, s10, v[0:1]
	v_mad_u64_u32 v[23:24], s[8:9], v3, s11, v[23:24]
	v_mov_b32_e32 v1, v2
	s_cbranch_scc1 .LBB152_26
.LBB152_27:
	s_cbranch_execnz .LBB152_30
.LBB152_28:
	s_load_dwordx4 s[4:7], s[34:35], 0x4
	s_load_dwordx2 s[2:3], s[34:35], 0xc4
	s_cmp_lt_u32 s33, 2
	s_waitcnt lgkmcnt(0)
	v_mul_hi_u32 v0, s5, v7
	v_add_u32_e32 v0, v7, v0
	v_lshrrev_b32_e32 v1, s6, v0
	v_mul_lo_u32 v0, v1, s4
	v_sub_u32_e32 v2, v7, v0
	v_mul_lo_u32 v0, v2, s2
	v_mul_lo_u32 v23, v2, s3
	s_cbranch_scc1 .LBB152_30
; %bb.29:
	s_load_dwordx4 s[4:7], s[34:35], 0x10
	s_load_dwordx2 s[2:3], s[34:35], 0xcc
	s_waitcnt lgkmcnt(0)
	v_mul_hi_u32 v2, s5, v1
	v_add_u32_e32 v2, v1, v2
	v_lshrrev_b32_e32 v2, s6, v2
	v_mul_lo_u32 v2, v2, s4
	v_sub_u32_e32 v2, v1, v2
	v_mad_u64_u32 v[0:1], s[4:5], v2, s2, v[0:1]
	v_mad_u64_u32 v[23:24], s[2:3], v2, s3, v[23:24]
.LBB152_30:
	s_and_b64 vcc, exec, s[0:1]
	v_add_u32_e32 v3, 0x80, v7
	s_cbranch_vccnz .LBB152_36
; %bb.31:
	s_cmp_lg_u32 s33, 0
	s_waitcnt lgkmcnt(0)
	s_mov_b32 s26, 0
	s_cbranch_scc0 .LBB152_37
; %bb.32:
	s_min_u32 s27, s54, 15
	s_add_i32 s27, s27, 1
	s_cmp_eq_u32 s54, 2
	s_cbranch_scc1 .LBB152_38
; %bb.33:
	s_and_b32 s26, s27, 28
	s_add_u32 s2, s34, 0xc4
	s_addc_u32 s3, s35, 0
	v_mov_b32_e32 v21, 0
	s_mov_b32 s28, 0
	s_mov_b64 s[24:25], s[34:35]
	v_mov_b32_e32 v1, 0
	v_mov_b32_e32 v2, v3
.LBB152_34:                             ; =>This Inner Loop Header: Depth=1
	s_load_dwordx8 s[12:19], s[24:25], 0x4
	s_load_dwordx4 s[20:23], s[24:25], 0x24
	s_load_dwordx8 s[4:11], s[2:3], 0x0
	s_add_u32 s24, s24, 48
	s_addc_u32 s25, s25, 0
	s_waitcnt lgkmcnt(0)
	v_mul_hi_u32 v4, s13, v2
	s_add_i32 s28, s28, 4
	s_add_u32 s2, s2, 32
	s_addc_u32 s3, s3, 0
	v_add_u32_e32 v4, v2, v4
	v_lshrrev_b32_e32 v4, s14, v4
	v_mul_lo_u32 v5, v4, s12
	v_mul_hi_u32 v6, s16, v4
	s_cmp_lg_u32 s26, s28
	v_sub_u32_e32 v2, v2, v5
	v_add_u32_e32 v5, v4, v6
	v_mul_lo_u32 v6, v2, s4
	v_mul_lo_u32 v8, v2, s5
	v_lshrrev_b32_e32 v2, s17, v5
	v_mul_lo_u32 v5, v2, s15
	v_mul_hi_u32 v9, s19, v2
	v_sub_u32_e32 v4, v4, v5
	v_add_u32_e32 v5, v2, v9
	v_lshrrev_b32_e32 v5, s20, v5
	v_mul_hi_u32 v10, s22, v5
	v_mul_lo_u32 v11, v5, s18
	v_mul_lo_u32 v9, v4, s6
	;; [unrolled: 1-line block ×3, first 2 shown]
	v_sub_u32_e32 v11, v2, v11
	v_add_u32_e32 v2, v5, v10
	v_lshrrev_b32_e32 v2, s23, v2
	v_mul_lo_u32 v10, v2, s21
	v_mul_lo_u32 v12, v11, s8
	;; [unrolled: 1-line block ×3, first 2 shown]
	v_add3_u32 v1, v6, v1, v9
	v_sub_u32_e32 v5, v5, v10
	v_mul_lo_u32 v10, v5, s10
	v_mul_lo_u32 v5, v5, s11
	v_add3_u32 v4, v8, v21, v4
	v_add3_u32 v1, v12, v1, v10
	;; [unrolled: 1-line block ×3, first 2 shown]
	s_cbranch_scc1 .LBB152_34
; %bb.35:
	s_and_b32 s6, s27, 3
	s_cmp_eq_u32 s6, 0
	s_cbranch_scc0 .LBB152_39
	s_branch .LBB152_41
.LBB152_36:
                                        ; implicit-def: $vgpr1
                                        ; implicit-def: $vgpr21
	s_branch .LBB152_42
.LBB152_37:
	v_mov_b32_e32 v1, 0
	v_mov_b32_e32 v21, 0
	s_branch .LBB152_41
.LBB152_38:
	v_mov_b32_e32 v1, 0
	v_mov_b32_e32 v21, 0
	v_mov_b32_e32 v2, v3
	s_and_b32 s6, s27, 3
	s_cmp_eq_u32 s6, 0
	s_cbranch_scc1 .LBB152_41
.LBB152_39:
	s_lshl_b32 s2, s26, 3
	s_add_u32 s2, s34, s2
	s_addc_u32 s3, s35, 0
	s_add_u32 s2, s2, 0xc4
	s_addc_u32 s3, s3, 0
	s_mul_i32 s4, s26, 12
	s_add_u32 s4, s34, s4
	s_addc_u32 s5, s35, 0
.LBB152_40:                             ; =>This Inner Loop Header: Depth=1
	s_load_dwordx2 s[8:9], s[4:5], 0x4
	s_load_dword s7, s[4:5], 0xc
	s_load_dwordx2 s[10:11], s[2:3], 0x0
	s_add_u32 s4, s4, 12
	s_addc_u32 s5, s5, 0
	s_waitcnt lgkmcnt(0)
	v_mul_hi_u32 v4, s9, v2
	s_add_u32 s2, s2, 8
	s_addc_u32 s3, s3, 0
	s_add_i32 s6, s6, -1
	v_add_u32_e32 v4, v2, v4
	v_lshrrev_b32_e32 v4, s7, v4
	v_mul_lo_u32 v5, v4, s8
	s_cmp_lg_u32 s6, 0
	v_sub_u32_e32 v5, v2, v5
	v_mad_u64_u32 v[1:2], s[8:9], v5, s10, v[1:2]
	v_mad_u64_u32 v[21:22], s[8:9], v5, s11, v[21:22]
	v_mov_b32_e32 v2, v4
	s_cbranch_scc1 .LBB152_40
.LBB152_41:
	s_cbranch_execnz .LBB152_44
.LBB152_42:
	s_load_dwordx4 s[4:7], s[34:35], 0x4
	s_load_dwordx2 s[2:3], s[34:35], 0xc4
	s_cmp_lt_u32 s33, 2
	s_waitcnt lgkmcnt(0)
	v_mul_hi_u32 v1, s5, v3
	v_add_u32_e32 v1, v3, v1
	v_lshrrev_b32_e32 v2, s6, v1
	v_mul_lo_u32 v1, v2, s4
	v_sub_u32_e32 v3, v3, v1
	v_mul_lo_u32 v1, v3, s2
	v_mul_lo_u32 v21, v3, s3
	s_cbranch_scc1 .LBB152_44
; %bb.43:
	s_load_dwordx4 s[4:7], s[34:35], 0x10
	s_load_dwordx2 s[2:3], s[34:35], 0xcc
	s_waitcnt lgkmcnt(0)
	v_mul_hi_u32 v3, s5, v2
	v_add_u32_e32 v3, v2, v3
	v_lshrrev_b32_e32 v3, s6, v3
	v_mul_lo_u32 v3, v3, s4
	v_sub_u32_e32 v3, v2, v3
	v_mad_u64_u32 v[1:2], s[4:5], v3, s2, v[1:2]
	v_mad_u64_u32 v[21:22], s[2:3], v3, s3, v[21:22]
.LBB152_44:
	s_and_b64 vcc, exec, s[0:1]
	v_add_u32_e32 v4, 0x100, v7
	s_cbranch_vccnz .LBB152_50
; %bb.45:
	s_cmp_lg_u32 s33, 0
	s_waitcnt lgkmcnt(0)
	s_mov_b32 s26, 0
	s_cbranch_scc0 .LBB152_51
; %bb.46:
	s_min_u32 s27, s54, 15
	s_add_i32 s27, s27, 1
	s_cmp_eq_u32 s54, 2
	s_cbranch_scc1 .LBB152_52
; %bb.47:
	s_and_b32 s26, s27, 28
	s_add_u32 s2, s34, 0xc4
	s_addc_u32 s3, s35, 0
	v_mov_b32_e32 v19, 0
	s_mov_b32 s28, 0
	s_mov_b64 s[24:25], s[34:35]
	v_mov_b32_e32 v2, 0
	v_mov_b32_e32 v3, v4
.LBB152_48:                             ; =>This Inner Loop Header: Depth=1
	s_load_dwordx8 s[12:19], s[24:25], 0x4
	s_load_dwordx4 s[20:23], s[24:25], 0x24
	s_load_dwordx8 s[4:11], s[2:3], 0x0
	s_add_u32 s24, s24, 48
	s_addc_u32 s25, s25, 0
	s_waitcnt lgkmcnt(0)
	v_mul_hi_u32 v5, s13, v3
	s_add_i32 s28, s28, 4
	s_add_u32 s2, s2, 32
	s_addc_u32 s3, s3, 0
	v_add_u32_e32 v5, v3, v5
	v_lshrrev_b32_e32 v5, s14, v5
	v_mul_lo_u32 v6, v5, s12
	v_mul_hi_u32 v8, s16, v5
	s_cmp_lg_u32 s26, s28
	v_sub_u32_e32 v3, v3, v6
	v_add_u32_e32 v6, v5, v8
	v_mul_lo_u32 v8, v3, s4
	v_mul_lo_u32 v9, v3, s5
	v_lshrrev_b32_e32 v3, s17, v6
	v_mul_lo_u32 v6, v3, s15
	v_mul_hi_u32 v10, s19, v3
	v_sub_u32_e32 v5, v5, v6
	v_add_u32_e32 v6, v3, v10
	v_lshrrev_b32_e32 v6, s20, v6
	v_mul_hi_u32 v11, s22, v6
	v_mul_lo_u32 v12, v6, s18
	v_mul_lo_u32 v10, v5, s6
	;; [unrolled: 1-line block ×3, first 2 shown]
	v_sub_u32_e32 v12, v3, v12
	v_add_u32_e32 v3, v6, v11
	v_lshrrev_b32_e32 v3, s23, v3
	v_mul_lo_u32 v11, v3, s21
	v_mul_lo_u32 v13, v12, s8
	;; [unrolled: 1-line block ×3, first 2 shown]
	v_add3_u32 v2, v8, v2, v10
	v_sub_u32_e32 v6, v6, v11
	v_mul_lo_u32 v11, v6, s10
	v_mul_lo_u32 v6, v6, s11
	v_add3_u32 v5, v9, v19, v5
	v_add3_u32 v2, v13, v2, v11
	v_add3_u32 v19, v12, v5, v6
	s_cbranch_scc1 .LBB152_48
; %bb.49:
	s_and_b32 s6, s27, 3
	s_cmp_eq_u32 s6, 0
	s_cbranch_scc0 .LBB152_53
	s_branch .LBB152_55
.LBB152_50:
                                        ; implicit-def: $vgpr2
                                        ; implicit-def: $vgpr19
	s_branch .LBB152_56
.LBB152_51:
	v_mov_b32_e32 v2, 0
	v_mov_b32_e32 v19, 0
	s_branch .LBB152_55
.LBB152_52:
	v_mov_b32_e32 v2, 0
	v_mov_b32_e32 v19, 0
	;; [unrolled: 1-line block ×3, first 2 shown]
	s_and_b32 s6, s27, 3
	s_cmp_eq_u32 s6, 0
	s_cbranch_scc1 .LBB152_55
.LBB152_53:
	s_lshl_b32 s2, s26, 3
	s_add_u32 s2, s34, s2
	s_addc_u32 s3, s35, 0
	s_add_u32 s2, s2, 0xc4
	s_addc_u32 s3, s3, 0
	s_mul_i32 s4, s26, 12
	s_add_u32 s4, s34, s4
	s_addc_u32 s5, s35, 0
.LBB152_54:                             ; =>This Inner Loop Header: Depth=1
	s_load_dwordx2 s[8:9], s[4:5], 0x4
	s_load_dword s7, s[4:5], 0xc
	s_load_dwordx2 s[10:11], s[2:3], 0x0
	s_add_u32 s4, s4, 12
	s_addc_u32 s5, s5, 0
	s_waitcnt lgkmcnt(0)
	v_mul_hi_u32 v5, s9, v3
	s_add_u32 s2, s2, 8
	s_addc_u32 s3, s3, 0
	s_add_i32 s6, s6, -1
	v_add_u32_e32 v5, v3, v5
	v_lshrrev_b32_e32 v5, s7, v5
	v_mul_lo_u32 v6, v5, s8
	s_cmp_lg_u32 s6, 0
	v_sub_u32_e32 v6, v3, v6
	v_mad_u64_u32 v[2:3], s[8:9], v6, s10, v[2:3]
	v_mad_u64_u32 v[19:20], s[8:9], v6, s11, v[19:20]
	v_mov_b32_e32 v3, v5
	s_cbranch_scc1 .LBB152_54
.LBB152_55:
	s_cbranch_execnz .LBB152_58
.LBB152_56:
	s_load_dwordx4 s[4:7], s[34:35], 0x4
	s_load_dwordx2 s[2:3], s[34:35], 0xc4
	s_cmp_lt_u32 s33, 2
	s_waitcnt lgkmcnt(0)
	v_mul_hi_u32 v2, s5, v4
	v_add_u32_e32 v2, v4, v2
	v_lshrrev_b32_e32 v3, s6, v2
	v_mul_lo_u32 v2, v3, s4
	v_sub_u32_e32 v4, v4, v2
	v_mul_lo_u32 v2, v4, s2
	v_mul_lo_u32 v19, v4, s3
	s_cbranch_scc1 .LBB152_58
; %bb.57:
	s_load_dwordx4 s[4:7], s[34:35], 0x10
	s_load_dwordx2 s[2:3], s[34:35], 0xcc
	s_waitcnt lgkmcnt(0)
	v_mul_hi_u32 v4, s5, v3
	v_add_u32_e32 v4, v3, v4
	v_lshrrev_b32_e32 v4, s6, v4
	v_mul_lo_u32 v4, v4, s4
	v_sub_u32_e32 v4, v3, v4
	v_mad_u64_u32 v[2:3], s[4:5], v4, s2, v[2:3]
	v_mad_u64_u32 v[19:20], s[2:3], v4, s3, v[19:20]
.LBB152_58:
	s_and_b64 vcc, exec, s[0:1]
	v_add_u32_e32 v5, 0x180, v7
	s_cbranch_vccnz .LBB152_64
; %bb.59:
	s_cmp_lg_u32 s33, 0
	s_waitcnt lgkmcnt(0)
	s_mov_b32 s26, 0
	s_cbranch_scc0 .LBB152_65
; %bb.60:
	s_min_u32 s27, s54, 15
	s_add_i32 s27, s27, 1
	s_cmp_eq_u32 s54, 2
	s_cbranch_scc1 .LBB152_66
; %bb.61:
	s_and_b32 s26, s27, 28
	s_add_u32 s2, s34, 0xc4
	s_addc_u32 s3, s35, 0
	v_mov_b32_e32 v17, 0
	s_mov_b32 s28, 0
	s_mov_b64 s[24:25], s[34:35]
	v_mov_b32_e32 v3, 0
	v_mov_b32_e32 v4, v5
.LBB152_62:                             ; =>This Inner Loop Header: Depth=1
	s_load_dwordx8 s[12:19], s[24:25], 0x4
	s_load_dwordx4 s[20:23], s[24:25], 0x24
	s_load_dwordx8 s[4:11], s[2:3], 0x0
	s_add_u32 s24, s24, 48
	s_addc_u32 s25, s25, 0
	s_waitcnt lgkmcnt(0)
	v_mul_hi_u32 v6, s13, v4
	s_add_i32 s28, s28, 4
	s_add_u32 s2, s2, 32
	s_addc_u32 s3, s3, 0
	v_add_u32_e32 v6, v4, v6
	v_lshrrev_b32_e32 v6, s14, v6
	v_mul_lo_u32 v8, v6, s12
	v_mul_hi_u32 v9, s16, v6
	s_cmp_lg_u32 s26, s28
	v_sub_u32_e32 v4, v4, v8
	v_add_u32_e32 v8, v6, v9
	v_mul_lo_u32 v9, v4, s4
	v_mul_lo_u32 v10, v4, s5
	v_lshrrev_b32_e32 v4, s17, v8
	v_mul_lo_u32 v8, v4, s15
	v_mul_hi_u32 v11, s19, v4
	v_sub_u32_e32 v6, v6, v8
	v_add_u32_e32 v8, v4, v11
	v_lshrrev_b32_e32 v8, s20, v8
	v_mul_hi_u32 v12, s22, v8
	v_mul_lo_u32 v13, v8, s18
	v_mul_lo_u32 v11, v6, s6
	;; [unrolled: 1-line block ×3, first 2 shown]
	v_sub_u32_e32 v13, v4, v13
	v_add_u32_e32 v4, v8, v12
	v_lshrrev_b32_e32 v4, s23, v4
	v_mul_lo_u32 v12, v4, s21
	v_mul_lo_u32 v14, v13, s8
	;; [unrolled: 1-line block ×3, first 2 shown]
	v_add3_u32 v3, v9, v3, v11
	v_sub_u32_e32 v8, v8, v12
	v_mul_lo_u32 v12, v8, s10
	v_mul_lo_u32 v8, v8, s11
	v_add3_u32 v6, v10, v17, v6
	v_add3_u32 v3, v14, v3, v12
	;; [unrolled: 1-line block ×3, first 2 shown]
	s_cbranch_scc1 .LBB152_62
; %bb.63:
	s_and_b32 s6, s27, 3
	s_cmp_eq_u32 s6, 0
	s_cbranch_scc0 .LBB152_67
	s_branch .LBB152_69
.LBB152_64:
                                        ; implicit-def: $vgpr3
                                        ; implicit-def: $vgpr17
	s_branch .LBB152_70
.LBB152_65:
	v_mov_b32_e32 v3, 0
	v_mov_b32_e32 v17, 0
	s_branch .LBB152_69
.LBB152_66:
	v_mov_b32_e32 v3, 0
	v_mov_b32_e32 v17, 0
	;; [unrolled: 1-line block ×3, first 2 shown]
	s_and_b32 s6, s27, 3
	s_cmp_eq_u32 s6, 0
	s_cbranch_scc1 .LBB152_69
.LBB152_67:
	s_lshl_b32 s2, s26, 3
	s_add_u32 s2, s34, s2
	s_addc_u32 s3, s35, 0
	s_add_u32 s2, s2, 0xc4
	s_addc_u32 s3, s3, 0
	s_mul_i32 s4, s26, 12
	s_add_u32 s4, s34, s4
	s_addc_u32 s5, s35, 0
.LBB152_68:                             ; =>This Inner Loop Header: Depth=1
	s_load_dwordx2 s[8:9], s[4:5], 0x4
	s_load_dword s7, s[4:5], 0xc
	s_load_dwordx2 s[10:11], s[2:3], 0x0
	s_add_u32 s4, s4, 12
	s_addc_u32 s5, s5, 0
	s_waitcnt lgkmcnt(0)
	v_mul_hi_u32 v6, s9, v4
	s_add_u32 s2, s2, 8
	s_addc_u32 s3, s3, 0
	s_add_i32 s6, s6, -1
	v_add_u32_e32 v6, v4, v6
	v_lshrrev_b32_e32 v6, s7, v6
	v_mul_lo_u32 v8, v6, s8
	s_cmp_lg_u32 s6, 0
	v_sub_u32_e32 v8, v4, v8
	v_mad_u64_u32 v[3:4], s[8:9], v8, s10, v[3:4]
	v_mad_u64_u32 v[17:18], s[8:9], v8, s11, v[17:18]
	v_mov_b32_e32 v4, v6
	s_cbranch_scc1 .LBB152_68
.LBB152_69:
	s_cbranch_execnz .LBB152_72
.LBB152_70:
	s_load_dwordx4 s[4:7], s[34:35], 0x4
	s_load_dwordx2 s[2:3], s[34:35], 0xc4
	s_cmp_lt_u32 s33, 2
	s_waitcnt lgkmcnt(0)
	v_mul_hi_u32 v3, s5, v5
	v_add_u32_e32 v3, v5, v3
	v_lshrrev_b32_e32 v4, s6, v3
	v_mul_lo_u32 v3, v4, s4
	v_sub_u32_e32 v5, v5, v3
	v_mul_lo_u32 v3, v5, s2
	v_mul_lo_u32 v17, v5, s3
	s_cbranch_scc1 .LBB152_72
; %bb.71:
	s_load_dwordx4 s[4:7], s[34:35], 0x10
	s_load_dwordx2 s[2:3], s[34:35], 0xcc
	s_waitcnt lgkmcnt(0)
	v_mul_hi_u32 v5, s5, v4
	v_add_u32_e32 v5, v4, v5
	v_lshrrev_b32_e32 v5, s6, v5
	v_mul_lo_u32 v5, v5, s4
	v_sub_u32_e32 v5, v4, v5
	v_mad_u64_u32 v[3:4], s[4:5], v5, s2, v[3:4]
	v_mad_u64_u32 v[17:18], s[2:3], v5, s3, v[17:18]
.LBB152_72:
	s_and_b64 vcc, exec, s[0:1]
	v_add_u32_e32 v6, 0x200, v7
	s_cbranch_vccnz .LBB152_78
; %bb.73:
	s_cmp_lg_u32 s33, 0
	s_waitcnt lgkmcnt(0)
	s_mov_b32 s26, 0
	s_cbranch_scc0 .LBB152_79
; %bb.74:
	s_min_u32 s27, s54, 15
	s_add_i32 s27, s27, 1
	s_cmp_eq_u32 s54, 2
	s_cbranch_scc1 .LBB152_80
; %bb.75:
	s_and_b32 s26, s27, 28
	s_add_u32 s2, s34, 0xc4
	s_addc_u32 s3, s35, 0
	v_mov_b32_e32 v15, 0
	s_mov_b32 s28, 0
	s_mov_b64 s[24:25], s[34:35]
	v_mov_b32_e32 v4, 0
	v_mov_b32_e32 v5, v6
.LBB152_76:                             ; =>This Inner Loop Header: Depth=1
	s_load_dwordx8 s[12:19], s[24:25], 0x4
	s_load_dwordx4 s[20:23], s[24:25], 0x24
	s_load_dwordx8 s[4:11], s[2:3], 0x0
	s_add_u32 s24, s24, 48
	s_addc_u32 s25, s25, 0
	s_waitcnt lgkmcnt(0)
	v_mul_hi_u32 v8, s13, v5
	s_add_i32 s28, s28, 4
	s_add_u32 s2, s2, 32
	s_addc_u32 s3, s3, 0
	v_add_u32_e32 v8, v5, v8
	v_lshrrev_b32_e32 v8, s14, v8
	v_mul_lo_u32 v9, v8, s12
	v_mul_hi_u32 v10, s16, v8
	s_cmp_lg_u32 s26, s28
	v_sub_u32_e32 v5, v5, v9
	v_add_u32_e32 v9, v8, v10
	v_mul_lo_u32 v10, v5, s4
	v_mul_lo_u32 v11, v5, s5
	v_lshrrev_b32_e32 v5, s17, v9
	v_mul_lo_u32 v9, v5, s15
	v_mul_hi_u32 v12, s19, v5
	v_sub_u32_e32 v8, v8, v9
	v_add_u32_e32 v9, v5, v12
	v_lshrrev_b32_e32 v9, s20, v9
	v_mul_hi_u32 v13, s22, v9
	v_mul_lo_u32 v14, v9, s18
	v_mul_lo_u32 v12, v8, s6
	;; [unrolled: 1-line block ×3, first 2 shown]
	v_sub_u32_e32 v14, v5, v14
	v_add_u32_e32 v5, v9, v13
	v_lshrrev_b32_e32 v5, s23, v5
	v_mul_lo_u32 v13, v5, s21
	v_mul_lo_u32 v16, v14, s8
	;; [unrolled: 1-line block ×3, first 2 shown]
	v_add3_u32 v4, v10, v4, v12
	v_sub_u32_e32 v9, v9, v13
	v_mul_lo_u32 v13, v9, s10
	v_mul_lo_u32 v9, v9, s11
	v_add3_u32 v8, v11, v15, v8
	v_add3_u32 v4, v16, v4, v13
	;; [unrolled: 1-line block ×3, first 2 shown]
	s_cbranch_scc1 .LBB152_76
; %bb.77:
	s_and_b32 s6, s27, 3
	s_cmp_eq_u32 s6, 0
	s_cbranch_scc0 .LBB152_81
	s_branch .LBB152_83
.LBB152_78:
                                        ; implicit-def: $vgpr4
                                        ; implicit-def: $vgpr15
	s_branch .LBB152_84
.LBB152_79:
	v_mov_b32_e32 v4, 0
	v_mov_b32_e32 v15, 0
	s_branch .LBB152_83
.LBB152_80:
	v_mov_b32_e32 v4, 0
	v_mov_b32_e32 v15, 0
	v_mov_b32_e32 v5, v6
	s_and_b32 s6, s27, 3
	s_cmp_eq_u32 s6, 0
	s_cbranch_scc1 .LBB152_83
.LBB152_81:
	s_lshl_b32 s2, s26, 3
	s_add_u32 s2, s34, s2
	s_addc_u32 s3, s35, 0
	s_add_u32 s2, s2, 0xc4
	s_addc_u32 s3, s3, 0
	s_mul_i32 s4, s26, 12
	s_add_u32 s4, s34, s4
	s_addc_u32 s5, s35, 0
.LBB152_82:                             ; =>This Inner Loop Header: Depth=1
	s_load_dwordx2 s[8:9], s[4:5], 0x4
	s_load_dword s7, s[4:5], 0xc
	s_load_dwordx2 s[10:11], s[2:3], 0x0
	s_add_u32 s4, s4, 12
	s_addc_u32 s5, s5, 0
	s_waitcnt lgkmcnt(0)
	v_mul_hi_u32 v8, s9, v5
	s_add_u32 s2, s2, 8
	s_addc_u32 s3, s3, 0
	s_add_i32 s6, s6, -1
	v_add_u32_e32 v8, v5, v8
	v_lshrrev_b32_e32 v8, s7, v8
	v_mul_lo_u32 v9, v8, s8
	s_cmp_lg_u32 s6, 0
	v_sub_u32_e32 v9, v5, v9
	v_mad_u64_u32 v[4:5], s[8:9], v9, s10, v[4:5]
	v_mad_u64_u32 v[15:16], s[8:9], v9, s11, v[15:16]
	v_mov_b32_e32 v5, v8
	s_cbranch_scc1 .LBB152_82
.LBB152_83:
	s_cbranch_execnz .LBB152_86
.LBB152_84:
	s_load_dwordx4 s[4:7], s[34:35], 0x4
	s_load_dwordx2 s[2:3], s[34:35], 0xc4
	s_cmp_lt_u32 s33, 2
	s_waitcnt lgkmcnt(0)
	v_mul_hi_u32 v4, s5, v6
	v_add_u32_e32 v4, v6, v4
	v_lshrrev_b32_e32 v5, s6, v4
	v_mul_lo_u32 v4, v5, s4
	v_sub_u32_e32 v6, v6, v4
	v_mul_lo_u32 v4, v6, s2
	v_mul_lo_u32 v15, v6, s3
	s_cbranch_scc1 .LBB152_86
; %bb.85:
	s_load_dwordx4 s[4:7], s[34:35], 0x10
	s_load_dwordx2 s[2:3], s[34:35], 0xcc
	s_waitcnt lgkmcnt(0)
	v_mul_hi_u32 v6, s5, v5
	v_add_u32_e32 v6, v5, v6
	v_lshrrev_b32_e32 v6, s6, v6
	v_mul_lo_u32 v6, v6, s4
	v_sub_u32_e32 v6, v5, v6
	v_mad_u64_u32 v[4:5], s[4:5], v6, s2, v[4:5]
	v_mad_u64_u32 v[15:16], s[2:3], v6, s3, v[15:16]
.LBB152_86:
	s_and_b64 vcc, exec, s[0:1]
	v_add_u32_e32 v8, 0x280, v7
	s_cbranch_vccnz .LBB152_92
; %bb.87:
	s_cmp_lg_u32 s33, 0
	s_waitcnt lgkmcnt(0)
	s_mov_b32 s26, 0
	s_cbranch_scc0 .LBB152_93
; %bb.88:
	s_min_u32 s27, s54, 15
	s_add_i32 s27, s27, 1
	s_cmp_eq_u32 s54, 2
	s_cbranch_scc1 .LBB152_94
; %bb.89:
	s_and_b32 s26, s27, 28
	s_add_u32 s2, s34, 0xc4
	s_addc_u32 s3, s35, 0
	v_mov_b32_e32 v13, 0
	s_mov_b32 s28, 0
	s_mov_b64 s[24:25], s[34:35]
	v_mov_b32_e32 v5, 0
	v_mov_b32_e32 v6, v8
.LBB152_90:                             ; =>This Inner Loop Header: Depth=1
	s_load_dwordx8 s[12:19], s[24:25], 0x4
	s_load_dwordx4 s[20:23], s[24:25], 0x24
	s_load_dwordx8 s[4:11], s[2:3], 0x0
	s_add_u32 s24, s24, 48
	s_addc_u32 s25, s25, 0
	s_waitcnt lgkmcnt(0)
	v_mul_hi_u32 v9, s13, v6
	s_add_i32 s28, s28, 4
	s_add_u32 s2, s2, 32
	s_addc_u32 s3, s3, 0
	v_add_u32_e32 v9, v6, v9
	v_lshrrev_b32_e32 v9, s14, v9
	v_mul_lo_u32 v10, v9, s12
	v_mul_hi_u32 v11, s16, v9
	s_cmp_lg_u32 s26, s28
	v_sub_u32_e32 v6, v6, v10
	v_add_u32_e32 v10, v9, v11
	v_mul_lo_u32 v11, v6, s4
	v_mul_lo_u32 v12, v6, s5
	v_lshrrev_b32_e32 v6, s17, v10
	v_mul_lo_u32 v10, v6, s15
	v_mul_hi_u32 v14, s19, v6
	v_sub_u32_e32 v9, v9, v10
	v_add_u32_e32 v10, v6, v14
	v_lshrrev_b32_e32 v10, s20, v10
	v_mul_hi_u32 v16, s22, v10
	v_mul_lo_u32 v18, v10, s18
	v_mul_lo_u32 v14, v9, s6
	;; [unrolled: 1-line block ×3, first 2 shown]
	v_sub_u32_e32 v18, v6, v18
	v_add_u32_e32 v6, v10, v16
	v_lshrrev_b32_e32 v6, s23, v6
	v_mul_lo_u32 v16, v6, s21
	v_mul_lo_u32 v20, v18, s8
	;; [unrolled: 1-line block ×3, first 2 shown]
	v_add3_u32 v5, v11, v5, v14
	v_sub_u32_e32 v10, v10, v16
	v_mul_lo_u32 v16, v10, s10
	v_mul_lo_u32 v10, v10, s11
	v_add3_u32 v9, v12, v13, v9
	v_add3_u32 v5, v20, v5, v16
	;; [unrolled: 1-line block ×3, first 2 shown]
	s_cbranch_scc1 .LBB152_90
; %bb.91:
	s_and_b32 s6, s27, 3
	s_cmp_eq_u32 s6, 0
	s_cbranch_scc0 .LBB152_95
	s_branch .LBB152_97
.LBB152_92:
                                        ; implicit-def: $vgpr5
                                        ; implicit-def: $vgpr13
	s_branch .LBB152_98
.LBB152_93:
	v_mov_b32_e32 v5, 0
	v_mov_b32_e32 v13, 0
	s_branch .LBB152_97
.LBB152_94:
	v_mov_b32_e32 v5, 0
	v_mov_b32_e32 v13, 0
	;; [unrolled: 1-line block ×3, first 2 shown]
	s_and_b32 s6, s27, 3
	s_cmp_eq_u32 s6, 0
	s_cbranch_scc1 .LBB152_97
.LBB152_95:
	s_lshl_b32 s2, s26, 3
	s_add_u32 s2, s34, s2
	s_addc_u32 s3, s35, 0
	s_add_u32 s2, s2, 0xc4
	s_addc_u32 s3, s3, 0
	s_mul_i32 s4, s26, 12
	s_add_u32 s4, s34, s4
	s_addc_u32 s5, s35, 0
.LBB152_96:                             ; =>This Inner Loop Header: Depth=1
	s_load_dwordx2 s[8:9], s[4:5], 0x4
	s_load_dword s7, s[4:5], 0xc
	s_load_dwordx2 s[10:11], s[2:3], 0x0
	s_add_u32 s4, s4, 12
	s_addc_u32 s5, s5, 0
	s_waitcnt lgkmcnt(0)
	v_mul_hi_u32 v9, s9, v6
	s_add_u32 s2, s2, 8
	s_addc_u32 s3, s3, 0
	s_add_i32 s6, s6, -1
	v_add_u32_e32 v9, v6, v9
	v_lshrrev_b32_e32 v9, s7, v9
	v_mul_lo_u32 v10, v9, s8
	s_cmp_lg_u32 s6, 0
	v_sub_u32_e32 v10, v6, v10
	v_mad_u64_u32 v[5:6], s[8:9], v10, s10, v[5:6]
	v_mad_u64_u32 v[13:14], s[8:9], v10, s11, v[13:14]
	v_mov_b32_e32 v6, v9
	s_cbranch_scc1 .LBB152_96
.LBB152_97:
	s_cbranch_execnz .LBB152_100
.LBB152_98:
	s_load_dwordx4 s[4:7], s[34:35], 0x4
	s_load_dwordx2 s[2:3], s[34:35], 0xc4
	s_cmp_lt_u32 s33, 2
	s_waitcnt lgkmcnt(0)
	v_mul_hi_u32 v5, s5, v8
	v_add_u32_e32 v5, v8, v5
	v_lshrrev_b32_e32 v6, s6, v5
	v_mul_lo_u32 v5, v6, s4
	v_sub_u32_e32 v8, v8, v5
	v_mul_lo_u32 v5, v8, s2
	v_mul_lo_u32 v13, v8, s3
	s_cbranch_scc1 .LBB152_100
; %bb.99:
	s_load_dwordx4 s[4:7], s[34:35], 0x10
	s_load_dwordx2 s[2:3], s[34:35], 0xcc
	s_waitcnt lgkmcnt(0)
	v_mul_hi_u32 v8, s5, v6
	v_add_u32_e32 v8, v6, v8
	v_lshrrev_b32_e32 v8, s6, v8
	v_mul_lo_u32 v8, v8, s4
	v_sub_u32_e32 v8, v6, v8
	v_mad_u64_u32 v[5:6], s[4:5], v8, s2, v[5:6]
	v_mad_u64_u32 v[13:14], s[2:3], v8, s3, v[13:14]
.LBB152_100:
	s_and_b64 vcc, exec, s[0:1]
	v_add_u32_e32 v8, 0x300, v7
	s_cbranch_vccnz .LBB152_106
; %bb.101:
	s_cmp_lg_u32 s33, 0
	s_waitcnt lgkmcnt(0)
	s_mov_b32 s26, 0
	s_cbranch_scc0 .LBB152_107
; %bb.102:
	s_min_u32 s27, s54, 15
	s_add_i32 s27, s27, 1
	s_cmp_eq_u32 s54, 2
	s_cbranch_scc1 .LBB152_108
; %bb.103:
	s_and_b32 s26, s27, 28
	s_add_u32 s2, s34, 0xc4
	s_addc_u32 s3, s35, 0
	v_mov_b32_e32 v11, 0
	s_mov_b32 s28, 0
	s_mov_b64 s[24:25], s[34:35]
	v_mov_b32_e32 v6, 0
	v_mov_b32_e32 v7, v8
.LBB152_104:                            ; =>This Inner Loop Header: Depth=1
	s_load_dwordx8 s[12:19], s[24:25], 0x4
	s_load_dwordx4 s[20:23], s[24:25], 0x24
	s_load_dwordx8 s[4:11], s[2:3], 0x0
	s_add_u32 s24, s24, 48
	s_addc_u32 s25, s25, 0
	s_waitcnt lgkmcnt(0)
	v_mul_hi_u32 v9, s13, v7
	s_add_i32 s28, s28, 4
	s_add_u32 s2, s2, 32
	s_addc_u32 s3, s3, 0
	v_add_u32_e32 v9, v7, v9
	v_lshrrev_b32_e32 v9, s14, v9
	v_mul_lo_u32 v10, v9, s12
	v_mul_hi_u32 v12, s16, v9
	s_cmp_lg_u32 s26, s28
	v_sub_u32_e32 v7, v7, v10
	v_add_u32_e32 v10, v9, v12
	v_mul_lo_u32 v12, v7, s4
	v_mul_lo_u32 v14, v7, s5
	v_lshrrev_b32_e32 v7, s17, v10
	v_mul_lo_u32 v10, v7, s15
	v_mul_hi_u32 v16, s19, v7
	v_sub_u32_e32 v9, v9, v10
	v_add_u32_e32 v10, v7, v16
	v_lshrrev_b32_e32 v10, s20, v10
	v_mul_hi_u32 v18, s22, v10
	v_mul_lo_u32 v20, v10, s18
	v_mul_lo_u32 v16, v9, s6
	;; [unrolled: 1-line block ×3, first 2 shown]
	v_sub_u32_e32 v20, v7, v20
	v_add_u32_e32 v7, v10, v18
	v_lshrrev_b32_e32 v7, s23, v7
	v_mul_lo_u32 v18, v7, s21
	v_mul_lo_u32 v22, v20, s8
	;; [unrolled: 1-line block ×3, first 2 shown]
	v_add3_u32 v6, v12, v6, v16
	v_sub_u32_e32 v10, v10, v18
	v_mul_lo_u32 v18, v10, s10
	v_mul_lo_u32 v10, v10, s11
	v_add3_u32 v9, v14, v11, v9
	v_add3_u32 v6, v22, v6, v18
	;; [unrolled: 1-line block ×3, first 2 shown]
	s_cbranch_scc1 .LBB152_104
; %bb.105:
	s_and_b32 s6, s27, 3
	s_cmp_eq_u32 s6, 0
	s_cbranch_scc0 .LBB152_109
	s_branch .LBB152_111
.LBB152_106:
                                        ; implicit-def: $vgpr6
                                        ; implicit-def: $vgpr11
	s_branch .LBB152_112
.LBB152_107:
	v_mov_b32_e32 v6, 0
	v_mov_b32_e32 v11, 0
	s_branch .LBB152_111
.LBB152_108:
	v_mov_b32_e32 v6, 0
	v_mov_b32_e32 v11, 0
	;; [unrolled: 1-line block ×3, first 2 shown]
	s_and_b32 s6, s27, 3
	s_cmp_eq_u32 s6, 0
	s_cbranch_scc1 .LBB152_111
.LBB152_109:
	s_lshl_b32 s2, s26, 3
	s_add_u32 s2, s34, s2
	s_addc_u32 s3, s35, 0
	s_add_u32 s2, s2, 0xc4
	s_addc_u32 s3, s3, 0
	s_mul_i32 s4, s26, 12
	s_add_u32 s4, s34, s4
	s_addc_u32 s5, s35, 0
.LBB152_110:                            ; =>This Inner Loop Header: Depth=1
	s_load_dwordx2 s[8:9], s[4:5], 0x4
	s_load_dword s7, s[4:5], 0xc
	s_load_dwordx2 s[10:11], s[2:3], 0x0
	s_add_u32 s4, s4, 12
	s_addc_u32 s5, s5, 0
	s_waitcnt lgkmcnt(0)
	v_mul_hi_u32 v9, s9, v7
	s_add_u32 s2, s2, 8
	s_addc_u32 s3, s3, 0
	s_add_i32 s6, s6, -1
	v_add_u32_e32 v9, v7, v9
	v_lshrrev_b32_e32 v9, s7, v9
	v_mul_lo_u32 v10, v9, s8
	s_cmp_lg_u32 s6, 0
	v_sub_u32_e32 v10, v7, v10
	v_mad_u64_u32 v[6:7], s[8:9], v10, s10, v[6:7]
	v_mad_u64_u32 v[11:12], s[8:9], v10, s11, v[11:12]
	v_mov_b32_e32 v7, v9
	s_cbranch_scc1 .LBB152_110
.LBB152_111:
	s_cbranch_execnz .LBB152_114
.LBB152_112:
	s_load_dwordx4 s[4:7], s[34:35], 0x4
	s_load_dwordx2 s[2:3], s[34:35], 0xc4
	s_cmp_lt_u32 s33, 2
	s_waitcnt lgkmcnt(0)
	v_mul_hi_u32 v6, s5, v8
	v_add_u32_e32 v6, v8, v6
	v_lshrrev_b32_e32 v7, s6, v6
	v_mul_lo_u32 v6, v7, s4
	v_sub_u32_e32 v8, v8, v6
	v_mul_lo_u32 v6, v8, s2
	v_mul_lo_u32 v11, v8, s3
	s_cbranch_scc1 .LBB152_114
; %bb.113:
	s_load_dwordx4 s[4:7], s[34:35], 0x10
	s_load_dwordx2 s[2:3], s[34:35], 0xcc
	s_waitcnt lgkmcnt(0)
	v_mul_hi_u32 v8, s5, v7
	v_add_u32_e32 v8, v7, v8
	v_lshrrev_b32_e32 v8, s6, v8
	v_mul_lo_u32 v8, v8, s4
	v_sub_u32_e32 v8, v7, v8
	v_mad_u64_u32 v[6:7], s[4:5], v8, s2, v[6:7]
	v_mad_u64_u32 v[11:12], s[2:3], v8, s3, v[11:12]
.LBB152_114:
	s_and_b64 vcc, exec, s[0:1]
	s_cbranch_vccnz .LBB152_120
; %bb.115:
	s_cmp_lg_u32 s33, 0
	s_waitcnt lgkmcnt(0)
	s_mov_b32 s24, 0
	s_cbranch_scc0 .LBB152_121
; %bb.116:
	s_min_u32 s25, s54, 15
	s_add_i32 s25, s25, 1
	s_cmp_eq_u32 s54, 2
	s_cbranch_scc1 .LBB152_122
; %bb.117:
	s_and_b32 s24, s25, 28
	s_add_u32 s20, s34, 0xc4
	s_addc_u32 s21, s35, 0
	v_mov_b32_e32 v9, 0
	s_mov_b32 s26, 0
	s_mov_b64 s[22:23], s[34:35]
	v_mov_b32_e32 v7, 0
	v_mov_b32_e32 v8, v25
.LBB152_118:                            ; =>This Inner Loop Header: Depth=1
	s_load_dwordx8 s[8:15], s[22:23], 0x4
	s_load_dwordx4 s[16:19], s[22:23], 0x24
	s_load_dwordx8 s[0:7], s[20:21], 0x0
	s_add_u32 s22, s22, 48
	s_addc_u32 s23, s23, 0
	s_waitcnt lgkmcnt(0)
	v_mul_hi_u32 v10, s9, v8
	s_add_i32 s26, s26, 4
	s_add_u32 s20, s20, 32
	s_addc_u32 s21, s21, 0
	v_add_u32_e32 v10, v8, v10
	v_lshrrev_b32_e32 v10, s10, v10
	v_mul_lo_u32 v12, v10, s8
	v_mul_hi_u32 v14, s12, v10
	s_cmp_lg_u32 s24, s26
	v_sub_u32_e32 v8, v8, v12
	v_add_u32_e32 v12, v10, v14
	v_mul_lo_u32 v14, v8, s0
	v_mul_lo_u32 v16, v8, s1
	v_lshrrev_b32_e32 v8, s13, v12
	v_mul_lo_u32 v12, v8, s11
	v_mul_hi_u32 v18, s15, v8
	v_sub_u32_e32 v10, v10, v12
	v_add_u32_e32 v12, v8, v18
	v_lshrrev_b32_e32 v12, s16, v12
	v_mul_hi_u32 v20, s18, v12
	v_mul_lo_u32 v22, v12, s14
	v_mul_lo_u32 v18, v10, s2
	;; [unrolled: 1-line block ×3, first 2 shown]
	v_sub_u32_e32 v22, v8, v22
	v_add_u32_e32 v8, v12, v20
	v_lshrrev_b32_e32 v8, s19, v8
	v_mul_lo_u32 v20, v8, s17
	v_mul_lo_u32 v24, v22, s4
	;; [unrolled: 1-line block ×3, first 2 shown]
	v_add3_u32 v7, v14, v7, v18
	v_sub_u32_e32 v12, v12, v20
	v_mul_lo_u32 v20, v12, s6
	v_mul_lo_u32 v12, v12, s7
	v_add3_u32 v9, v16, v9, v10
	v_add3_u32 v7, v24, v7, v20
	;; [unrolled: 1-line block ×3, first 2 shown]
	s_cbranch_scc1 .LBB152_118
; %bb.119:
	s_and_b32 s4, s25, 3
	s_cmp_eq_u32 s4, 0
	s_cbranch_scc0 .LBB152_123
	s_branch .LBB152_125
.LBB152_120:
                                        ; implicit-def: $vgpr7
                                        ; implicit-def: $vgpr9
	s_branch .LBB152_126
.LBB152_121:
	v_mov_b32_e32 v7, 0
	v_mov_b32_e32 v9, 0
	s_branch .LBB152_125
.LBB152_122:
	v_mov_b32_e32 v7, 0
	v_mov_b32_e32 v9, 0
	v_mov_b32_e32 v8, v25
	s_and_b32 s4, s25, 3
	s_cmp_eq_u32 s4, 0
	s_cbranch_scc1 .LBB152_125
.LBB152_123:
	s_lshl_b32 s0, s24, 3
	s_add_u32 s0, s34, s0
	s_addc_u32 s1, s35, 0
	s_add_u32 s0, s0, 0xc4
	s_addc_u32 s1, s1, 0
	s_mul_i32 s2, s24, 12
	s_add_u32 s2, s34, s2
	s_addc_u32 s3, s35, 0
.LBB152_124:                            ; =>This Inner Loop Header: Depth=1
	s_load_dwordx2 s[6:7], s[2:3], 0x4
	s_load_dword s5, s[2:3], 0xc
	s_load_dwordx2 s[8:9], s[0:1], 0x0
	s_add_u32 s2, s2, 12
	s_addc_u32 s3, s3, 0
	s_waitcnt lgkmcnt(0)
	v_mul_hi_u32 v10, s7, v8
	s_add_u32 s0, s0, 8
	s_addc_u32 s1, s1, 0
	s_add_i32 s4, s4, -1
	v_add_u32_e32 v10, v8, v10
	v_lshrrev_b32_e32 v12, s5, v10
	v_mul_lo_u32 v10, v12, s6
	s_cmp_lg_u32 s4, 0
	v_sub_u32_e32 v10, v8, v10
	v_mad_u64_u32 v[7:8], s[6:7], v10, s8, v[7:8]
	v_mad_u64_u32 v[9:10], s[6:7], v10, s9, v[9:10]
	v_mov_b32_e32 v8, v12
	s_cbranch_scc1 .LBB152_124
.LBB152_125:
	s_cbranch_execnz .LBB152_128
.LBB152_126:
	s_load_dwordx4 s[0:3], s[34:35], 0x4
	s_load_dwordx2 s[4:5], s[34:35], 0xc4
	s_cmp_lt_u32 s33, 2
	s_waitcnt lgkmcnt(0)
	v_mul_hi_u32 v7, s1, v25
	v_add_u32_e32 v7, v25, v7
	v_lshrrev_b32_e32 v8, s2, v7
	v_mul_lo_u32 v7, v8, s0
	v_sub_u32_e32 v9, v25, v7
	v_mul_lo_u32 v7, v9, s4
	v_mul_lo_u32 v9, v9, s5
	s_cbranch_scc1 .LBB152_128
; %bb.127:
	s_load_dwordx4 s[0:3], s[34:35], 0x10
	s_load_dwordx2 s[4:5], s[34:35], 0xcc
	s_waitcnt lgkmcnt(0)
	v_mul_hi_u32 v10, s1, v8
	v_add_u32_e32 v10, v8, v10
	v_lshrrev_b32_e32 v10, s2, v10
	v_mul_lo_u32 v10, v10, s0
	v_sub_u32_e32 v10, v8, v10
	v_mad_u64_u32 v[7:8], s[0:1], v10, s4, v[7:8]
	v_mad_u64_u32 v[9:10], s[0:1], v10, s5, v[9:10]
.LBB152_128:
	s_waitcnt lgkmcnt(0)
	s_load_dwordx4 s[20:23], s[34:35], 0x148
	s_mov_b32 s0, 0x3c800000
                                        ; implicit-def: $vgpr12
	s_waitcnt lgkmcnt(0)
	global_load_ushort v8, v23, s[22:23]
	s_waitcnt vmcnt(0)
	v_cvt_f32_f16_e32 v10, v8
	v_and_b32_e32 v14, 0x7fffffff, v10
	v_cmp_nlt_f32_e64 s[0:1], |v10|, s0
	s_and_saveexec_b64 s[2:3], s[0:1]
	s_xor_b64 s[2:3], exec, s[2:3]
	s_cbranch_execz .LBB152_158
; %bb.129:
	v_cmp_nlt_f32_e64 s[0:1], |v10|, 2.0
                                        ; implicit-def: $vgpr12
	s_and_saveexec_b64 s[4:5], s[0:1]
	s_xor_b64 s[4:5], exec, s[4:5]
	s_cbranch_execz .LBB152_139
; %bb.130:
	s_mov_b32 s0, 0x41000000
	v_cmp_nlt_f32_e64 s[0:1], |v10|, s0
                                        ; implicit-def: $vgpr12
	s_and_saveexec_b64 s[6:7], s[0:1]
	s_xor_b64 s[6:7], exec, s[6:7]
	s_cbranch_execz .LBB152_136
; %bb.131:
	s_mov_b32 s0, 0x5c800000
	v_cmp_nlt_f32_e64 s[0:1], |v10|, s0
                                        ; implicit-def: $vgpr12
	s_and_saveexec_b64 s[8:9], s[0:1]
	s_xor_b64 s[8:9], exec, s[8:9]
	s_cbranch_execz .LBB152_133
; %bb.132:
	s_mov_b32 s0, 0x800000
	v_cmp_lt_f32_e64 vcc, |v10|, s0
	v_cndmask_b32_e64 v12, 0, 32, vcc
	v_ldexp_f32 v12, |v10|, v12
	v_log_f32_e32 v12, v12
	s_mov_b32 s0, 0x3f317217
	s_mov_b32 s1, 0x7f800000
	v_mul_f32_e32 v16, 0x3f317217, v12
	v_fma_f32 v18, v12, s0, -v16
	v_fmac_f32_e32 v18, 0x3377d1cf, v12
	v_add_f32_e32 v16, v16, v18
	v_cmp_lt_f32_e64 s[0:1], |v12|, s1
	v_cndmask_b32_e64 v12, v12, v16, s[0:1]
	v_mov_b32_e32 v16, 0x41b17218
	v_cndmask_b32_e32 v16, 0, v16, vcc
	v_sub_f32_e32 v12, v12, v16
	v_fma_f32 v12, |v10|, v12, -|v10|
.LBB152_133:
	s_andn2_saveexec_b64 s[8:9], s[8:9]
	s_cbranch_execz .LBB152_135
; %bb.134:
	v_rcp_f32_e64 v16, |v10|
	v_mov_b32_e32 v12, 0x3a5b3dd2
	v_mov_b32_e32 v18, 0xba1c065c
	v_mov_b32_e32 v20, 0x3a500cfd
	v_mul_f32_e32 v22, v16, v16
	v_fmac_f32_e32 v12, 0xbad5c4e8, v22
	v_fmac_f32_e32 v18, v22, v12
	s_mov_b32 s0, 0x800000
	v_fmac_f32_e32 v20, v22, v18
	v_mov_b32_e32 v12, 0xbb360b61
	v_cmp_lt_f32_e64 vcc, |v10|, s0
	v_fmac_f32_e32 v12, v22, v20
	v_cndmask_b32_e64 v20, 0, 32, vcc
	v_ldexp_f32 v20, |v10|, v20
	v_log_f32_e32 v20, v20
	v_mov_b32_e32 v18, 0x3daaaaab
	v_fmac_f32_e32 v18, v22, v12
	v_mov_b32_e32 v12, 0x3ed67f1d
	v_fmac_f32_e32 v12, v16, v18
	s_mov_b32 s0, 0x3f317217
	v_mul_f32_e32 v18, 0x3f317217, v20
	v_fma_f32 v22, v20, s0, -v18
	v_fmac_f32_e32 v22, 0x3377d1cf, v20
	s_mov_b32 s0, 0x7f800000
	v_add_f32_e32 v18, v18, v22
	v_cmp_lt_f32_e64 s[0:1], |v20|, s0
	v_cndmask_b32_e64 v18, v20, v18, s[0:1]
	v_mov_b32_e32 v20, 0x41b17218
	v_cndmask_b32_e32 v20, 0, v20, vcc
	v_sub_f32_e32 v18, v18, v20
	v_add_f32_e64 v16, |v10|, -0.5
	v_add_f32_e32 v18, -1.0, v18
	v_fmac_f32_e32 v12, v16, v18
.LBB152_135:
	s_or_b64 exec, exec, s[8:9]
.LBB152_136:
	s_andn2_saveexec_b64 s[6:7], s[6:7]
	s_cbranch_execz .LBB152_138
; %bb.137:
	v_cvt_i32_f32_e32 v12, v14
	v_mov_b32_e32 v16, 0x3af135b4
	v_mov_b32_e32 v18, 0x3cda40e4
	v_mov_b32_e32 v20, 0x3e15dce6
	v_cvt_f32_i32_e32 v22, v12
	v_mov_b32_e32 v23, 0x3ea6cc7a
	v_mov_b32_e32 v24, 0x3e5c245a
	v_cmp_lt_i32_e32 vcc, 2, v12
	v_sub_f32_e64 v22, |v10|, v22
	v_fmac_f32_e32 v16, 0x3805ff67, v22
	v_fmac_f32_e32 v18, v22, v16
	;; [unrolled: 1-line block ×3, first 2 shown]
	v_mov_b32_e32 v18, 0x3a4beed6
	v_fmac_f32_e32 v23, v22, v20
	v_fmac_f32_e32 v18, 0x36f5d7bd, v22
	v_mov_b32_e32 v20, 0x3c98bf54
	v_fmac_f32_e32 v20, v22, v18
	v_mov_b32_e32 v18, 0x3e300f6e
	;; [unrolled: 2-line block ×4, first 2 shown]
	v_fmac_f32_e32 v18, v22, v20
	v_add_f32_e32 v20, 2.0, v22
	v_mov_b32_e32 v25, 0xbd9e233f
	v_fmac_f32_e32 v24, v22, v23
	v_add_f32_e32 v23, 0x40400000, v22
	v_cndmask_b32_e32 v20, 1.0, v20, vcc
	v_cmp_lt_i32_e32 vcc, 3, v12
	v_fmac_f32_e32 v25, v22, v24
	v_add_f32_e32 v24, 4.0, v22
	v_cndmask_b32_e32 v23, 1.0, v23, vcc
	v_cmp_lt_i32_e32 vcc, 4, v12
	v_mul_f32_e32 v16, v22, v25
	v_add_f32_e32 v25, 0x40a00000, v22
	v_mul_f32_e32 v20, v20, v23
	v_cndmask_b32_e32 v23, 1.0, v24, vcc
	v_cmp_lt_i32_e32 vcc, 5, v12
	v_add_f32_e32 v26, 0x40c00000, v22
	v_mul_f32_e32 v20, v23, v20
	v_cndmask_b32_e32 v23, 1.0, v25, vcc
	v_cmp_lt_i32_e32 vcc, 6, v12
	v_mul_f32_e32 v20, v23, v20
	v_cndmask_b32_e32 v12, 1.0, v26, vcc
	v_mul_f32_e32 v12, v12, v20
	s_mov_b32 s0, 0x800000
	v_cmp_gt_f32_e32 vcc, s0, v12
	v_cndmask_b32_e64 v20, 0, 32, vcc
	v_fma_f32 v18, v22, v18, 1.0
	v_ldexp_f32 v12, v12, v20
	v_rcp_f32_e32 v18, v18
	v_log_f32_e32 v12, v12
	s_mov_b32 s0, 0x3f317217
	v_mul_f32_e32 v16, v16, v18
	v_mul_f32_e32 v18, 0x3f317217, v12
	v_fma_f32 v20, v12, s0, -v18
	v_fmac_f32_e32 v20, 0x3377d1cf, v12
	s_mov_b32 s0, 0x7f800000
	v_add_f32_e32 v18, v18, v20
	v_cmp_lt_f32_e64 s[0:1], |v12|, s0
	v_cndmask_b32_e64 v12, v12, v18, s[0:1]
	v_mov_b32_e32 v18, 0x41b17218
	v_cndmask_b32_e32 v18, 0, v18, vcc
	v_fmac_f32_e32 v16, 0.5, v22
	v_sub_f32_e32 v12, v12, v18
	v_add_f32_e32 v12, v12, v16
.LBB152_138:
	s_or_b64 exec, exec, s[6:7]
.LBB152_139:
	s_andn2_saveexec_b64 s[4:5], s[4:5]
	s_cbranch_execz .LBB152_157
; %bb.140:
	s_mov_b32 s0, 0x3f666666
	v_cmp_le_f32_e64 s[0:1], |v10|, s0
                                        ; implicit-def: $vgpr12
                                        ; implicit-def: $vgpr18
                                        ; implicit-def: $vgpr16
	s_and_saveexec_b64 s[6:7], s[0:1]
	s_xor_b64 s[6:7], exec, s[6:7]
	s_cbranch_execz .LBB152_142
; %bb.141:
	s_mov_b32 s0, 0x800000
	v_cmp_lt_f32_e64 vcc, |v10|, s0
	v_cndmask_b32_e64 v12, 0, 32, vcc
	v_ldexp_f32 v12, |v10|, v12
	v_log_f32_e32 v12, v12
	s_mov_b32 s0, 0x3f317217
	s_mov_b32 s1, 0x7f800000
	v_mul_f32_e32 v16, 0x3f317217, v12
	v_fma_f32 v18, v12, s0, -v16
	v_fmac_f32_e32 v18, 0x3377d1cf, v12
	v_add_f32_e32 v16, v16, v18
	v_cmp_lt_f32_e64 s[0:1], |v12|, s1
	v_cndmask_b32_e64 v12, v12, v16, s[0:1]
	v_mov_b32_e32 v16, 0x41b17218
	v_cndmask_b32_e32 v16, 0, v16, vcc
	s_mov_b32 s0, 0x3f3b4a23
	s_mov_b32 s1, 0xbeec5b0c
	v_sub_f32_e32 v12, v12, v16
	v_sub_f32_e64 v16, 1.0, |v10|
	v_add_f32_e64 v18, |v10|, s1
	v_cmp_lt_f32_e64 vcc, |v10|, s0
	s_mov_b32 s0, 0x3e6d3309
	v_cndmask_b32_e32 v16, v16, v18, vcc
	v_cndmask_b32_e64 v18, 0, 1, vcc
	v_cmp_lt_f32_e64 s[0:1], |v10|, s0
	v_xor_b32_e32 v12, 0x80000000, v12
	v_cndmask_b32_e64 v16, v16, |v10|, s[0:1]
	v_cndmask_b32_e64 v18, v18, 2, s[0:1]
.LBB152_142:
	s_andn2_saveexec_b64 s[0:1], s[6:7]
	s_cbranch_execz .LBB152_144
; %bb.143:
	s_mov_b32 s6, 0x3fdda512
	s_mov_b32 s7, 0xbfbb16c3
	v_sub_f32_e64 v12, 2.0, |v10|
	v_add_f32_e64 v16, |v10|, s7
	v_cmp_lt_f32_e64 vcc, |v10|, s6
	v_cndmask_b32_e32 v16, v12, v16, vcc
	v_cndmask_b32_e64 v12, v12, 1.0, vcc
	v_cvt_i32_f32_e32 v12, v12
	s_mov_b32 s6, 0x3f9d70a4
	v_add_f32_e64 v18, |v10|, -1.0
	v_cmp_lt_f32_e64 vcc, |v10|, s6
	v_cndmask_b32_e32 v16, v16, v18, vcc
	v_cndmask_b32_e64 v18, v12, 2, vcc
	v_mov_b32_e32 v12, 0
.LBB152_144:
	s_or_b64 exec, exec, s[0:1]
	v_cmp_lt_i32_e32 vcc, 0, v18
	s_and_saveexec_b64 s[0:1], vcc
	s_xor_b64 s[0:1], exec, s[0:1]
	s_cbranch_execz .LBB152_152
; %bb.145:
	v_cmp_lt_i32_e32 vcc, 1, v18
	s_and_saveexec_b64 s[6:7], vcc
	s_xor_b64 s[6:7], exec, s[6:7]
	s_cbranch_execz .LBB152_149
; %bb.146:
	v_cmp_eq_u32_e32 vcc, 2, v18
	s_and_saveexec_b64 s[8:9], vcc
	s_cbranch_execz .LBB152_148
; %bb.147:
	v_mov_b32_e32 v18, 0x3e6a7578
	v_fmac_f32_e32 v18, 0x3c5b3c5e, v16
	v_mov_b32_e32 v20, 0x3f7a4bb2
	v_fmac_f32_e32 v20, v16, v18
	;; [unrolled: 2-line block ×8, first 2 shown]
	v_fma_f32 v18, v16, v22, 1.0
	v_rcp_f32_e32 v18, v18
	v_mov_b32_e32 v22, 0xbd9e233f
	v_fmac_f32_e32 v22, v16, v20
	v_mul_f32_e32 v20, v16, v22
	v_mul_f32_e32 v18, v20, v18
	v_fmac_f32_e32 v18, -0.5, v16
	v_add_f32_e32 v12, v12, v18
.LBB152_148:
	s_or_b64 exec, exec, s[8:9]
                                        ; implicit-def: $vgpr16
.LBB152_149:
	s_andn2_saveexec_b64 s[6:7], s[6:7]
	s_cbranch_execz .LBB152_151
; %bb.150:
	v_mul_f32_e32 v18, v16, v16
	v_mul_f32_e32 v20, v16, v18
	v_mov_b32_e32 v22, 0xbab7f476
	v_fmac_f32_e32 v22, 0x39a57b6b, v20
	v_mov_b32_e32 v23, 0x3bc7e707
	v_fmac_f32_e32 v23, v20, v22
	;; [unrolled: 2-line block ×12, first 2 shown]
	v_fmac_f32_e32 v24, v16, v25
	s_mov_b32 s8, 0xa2863e55
	v_fma_f32 v16, v20, -v24, s8
	v_fma_f32 v16, v18, v23, -v16
	v_add_f32_e32 v16, 0xbdf8cdce, v16
	v_add_f32_e32 v12, v12, v16
.LBB152_151:
	s_or_b64 exec, exec, s[6:7]
                                        ; implicit-def: $vgpr18
                                        ; implicit-def: $vgpr16
.LBB152_152:
	s_andn2_saveexec_b64 s[0:1], s[0:1]
	s_cbranch_execz .LBB152_156
; %bb.153:
	v_cmp_eq_u32_e32 vcc, 0, v18
	s_and_saveexec_b64 s[6:7], vcc
	s_cbranch_execz .LBB152_155
; %bb.154:
	v_mul_f32_e32 v18, v16, v16
	v_mov_b32_e32 v20, 0x39679767
	v_fmac_f32_e32 v20, 0x37d383a2, v18
	v_mov_b32_e32 v22, 0x3a9c54a1
	v_fmac_f32_e32 v22, v18, v20
	;; [unrolled: 2-line block ×10, first 2 shown]
	v_mul_f32_e32 v18, v18, v22
	v_fmac_f32_e32 v18, v16, v20
	v_fmac_f32_e32 v18, -0.5, v16
	v_add_f32_e32 v12, v12, v18
.LBB152_155:
	s_or_b64 exec, exec, s[6:7]
.LBB152_156:
	s_or_b64 exec, exec, s[0:1]
.LBB152_157:
	s_or_b64 exec, exec, s[4:5]
.LBB152_158:
	s_andn2_saveexec_b64 s[2:3], s[2:3]
	s_cbranch_execz .LBB152_160
; %bb.159:
	s_mov_b32 s0, 0x3e8a8991
	v_mov_b32_e32 v12, 0xbecd26ab
	v_fma_f32 v12, |v10|, s0, v12
	s_mov_b32 s0, 0x3f528d33
	v_fma_f32 v12, |v10|, v12, s0
	s_mov_b32 s0, 0x800000
	v_cmp_lt_f32_e64 vcc, |v10|, s0
	v_cndmask_b32_e64 v16, 0, 32, vcc
	v_ldexp_f32 v16, |v10|, v16
	v_log_f32_e32 v16, v16
	s_mov_b32 s0, 0xbf13c468
	v_fma_f32 v12, |v10|, v12, s0
	s_mov_b32 s0, 0x3f317217
	v_mul_f32_e32 v18, 0x3f317217, v16
	v_fma_f32 v20, v16, s0, -v18
	v_fmac_f32_e32 v20, 0x3377d1cf, v16
	s_mov_b32 s0, 0x7f800000
	v_add_f32_e32 v18, v18, v20
	v_cmp_lt_f32_e64 s[0:1], |v16|, s0
	v_cndmask_b32_e64 v16, v16, v18, s[0:1]
	v_mov_b32_e32 v18, 0x41b17218
	v_cndmask_b32_e32 v18, 0, v18, vcc
	v_sub_f32_e32 v16, v16, v18
	v_fma_f32 v12, |v10|, v12, -v16
.LBB152_160:
	s_or_b64 exec, exec, s[2:3]
	v_cmp_le_f16_e32 vcc, 0, v8
	v_cmp_nle_f16_e64 s[0:1], 0, v8
	s_and_saveexec_b64 s[2:3], s[0:1]
	s_xor_b64 s[4:5], exec, s[2:3]
	s_cbranch_execz .LBB152_164
; %bb.161:
	s_mov_b32 s0, 0x4b000000
	s_mov_b32 s2, 0x35000000
	v_cmp_lt_f32_e64 s[0:1], |v10|, s0
	v_cmp_gt_f32_e64 s[2:3], |v10|, s2
	s_and_b64 s[0:1], s[0:1], s[2:3]
	s_and_saveexec_b64 s[6:7], s[0:1]
	s_cbranch_execz .LBB152_163
; %bb.162:
	v_mul_f32_e64 v16, |v10|, 0.5
	v_floor_f32_e32 v18, v16
	v_sub_f32_e32 v18, v16, v18
	v_min_f32_e32 v18, 0x3f7fffff, v18
	s_mov_b32 s2, 0x7f800000
	v_add_f32_e32 v18, v18, v18
	v_cmp_neq_f32_e64 s[0:1], s2, v16
	v_cndmask_b32_e64 v16, 0, v18, s[0:1]
	v_cmp_gt_f32_e64 s[0:1], |v10|, 1.0
	v_cndmask_b32_e64 v16, |v10|, v16, s[0:1]
	v_add_f32_e32 v18, v16, v16
	v_rndne_f32_e32 v18, v18
	v_fmac_f32_e32 v16, -0.5, v18
	v_mul_f32_e32 v20, v16, v16
	v_mov_b32_e32 v22, 0xbf1f24be
	v_fmac_f32_e32 v22, 0x3e75aa41, v20
	v_mov_b32_e32 v23, 0x40234736
	v_fmac_f32_e32 v23, v20, v22
	;; [unrolled: 2-line block ×3, first 2 shown]
	v_mul_f32_e32 v23, v16, v20
	v_mul_f32_e32 v22, v23, v22
	v_fmac_f32_e32 v22, 0x40490fdb, v16
	v_mov_b32_e32 v16, 0x3e642e9d
	v_cvt_i32_f32_e32 v18, v18
	v_fmac_f32_e32 v16, 0x3d4be544, v20
	v_mov_b32_e32 v23, 0xbfaad1da
	v_fmac_f32_e32 v23, v20, v16
	v_mov_b32_e32 v16, 0x4081e0d3
	;; [unrolled: 2-line block ×3, first 2 shown]
	v_fmac_f32_e32 v23, v20, v16
	v_fma_f32 v16, v20, v23, 1.0
	v_and_b32_e32 v20, 1, v18
	v_lshlrev_b32_e32 v18, 30, v18
	v_cmp_eq_u32_e64 s[0:1], 0, v20
	v_and_b32_e32 v18, 0x80000000, v18
	v_xor_b32_e32 v14, v14, v10
	v_cndmask_b32_e64 v16, v16, v22, s[0:1]
	v_xor_b32_e32 v14, v14, v18
	v_xor_b32_e32 v14, v14, v16
	v_mul_f32_e32 v14, v10, v14
	v_frexp_mant_f32_e64 v16, |v14|
	v_rcp_f32_e32 v16, v16
	v_frexp_exp_i32_f32_e32 v14, v14
	v_sub_u32_e32 v14, 2, v14
	s_mov_b32 s0, 0x800000
	v_mul_f32_e32 v16, 0x3f490fdb, v16
	v_ldexp_f32 v14, v16, v14
	v_cmp_gt_f32_e64 s[0:1], s0, v14
	v_cndmask_b32_e64 v16, 0, 32, s[0:1]
	v_ldexp_f32 v14, v14, v16
	v_log_f32_e32 v14, v14
	s_mov_b32 s3, 0x3f317217
	v_mul_f32_e32 v16, 0x3f317217, v14
	v_fma_f32 v18, v14, s3, -v16
	v_fmac_f32_e32 v18, 0x3377d1cf, v14
	v_add_f32_e32 v16, v16, v18
	v_cmp_lt_f32_e64 s[2:3], |v14|, s2
	v_cndmask_b32_e64 v14, v14, v16, s[2:3]
	v_mov_b32_e32 v16, 0x41b17218
	v_cndmask_b32_e64 v16, 0, v16, s[0:1]
	v_sub_f32_e32 v14, v14, v16
	v_sub_f32_e32 v12, v14, v12
	v_floor_f32_e32 v14, v10
	v_sub_f32_e32 v14, v10, v14
	v_min_f32_e32 v14, 0x3f7fffff, v14
	v_mov_b32_e32 v16, 0x7f800000
	v_cmp_neq_f32_e64 s[0:1], 0, v14
	v_cndmask_b32_e64 v12, v16, v12, s[0:1]
.LBB152_163:
	s_or_b64 exec, exec, s[6:7]
.LBB152_164:
	s_andn2_saveexec_b64 s[4:5], s[4:5]
; %bb.165:
	v_cmp_eq_f16_e64 s[0:1], 1.0, v8
	v_cmp_eq_f16_e64 s[2:3], 2.0, v8
	s_or_b64 s[0:1], s[0:1], s[2:3]
	v_cndmask_b32_e64 v12, v12, 0, s[0:1]
; %bb.166:
	s_or_b64 exec, exec, s[4:5]
	global_load_ushort v14, v21, s[22:23]
	s_mov_b32 s0, 0x3c800000
                                        ; implicit-def: $vgpr18
	s_waitcnt vmcnt(0)
	v_cvt_f32_f16_e32 v16, v14
	v_and_b32_e32 v20, 0x7fffffff, v16
	v_cmp_nlt_f32_e64 s[0:1], |v16|, s0
	s_and_saveexec_b64 s[2:3], s[0:1]
	s_xor_b64 s[4:5], exec, s[2:3]
	s_cbranch_execz .LBB152_196
; %bb.167:
	v_cmp_nlt_f32_e64 s[0:1], |v16|, 2.0
                                        ; implicit-def: $vgpr18
	s_and_saveexec_b64 s[2:3], s[0:1]
	s_xor_b64 s[6:7], exec, s[2:3]
	s_cbranch_execz .LBB152_177
; %bb.168:
	s_mov_b32 s0, 0x41000000
	v_cmp_nlt_f32_e64 s[0:1], |v16|, s0
                                        ; implicit-def: $vgpr18
	s_and_saveexec_b64 s[2:3], s[0:1]
	s_xor_b64 s[8:9], exec, s[2:3]
	s_cbranch_execz .LBB152_174
; %bb.169:
	s_mov_b32 s0, 0x5c800000
	v_cmp_nlt_f32_e64 s[0:1], |v16|, s0
                                        ; implicit-def: $vgpr18
	s_and_saveexec_b64 s[2:3], s[0:1]
	s_xor_b64 s[10:11], exec, s[2:3]
	s_cbranch_execz .LBB152_171
; %bb.170:
	s_mov_b32 s0, 0x800000
	v_cmp_lt_f32_e64 s[0:1], |v16|, s0
	v_cndmask_b32_e64 v18, 0, 32, s[0:1]
	v_ldexp_f32 v18, |v16|, v18
	v_log_f32_e32 v18, v18
	s_mov_b32 s2, 0x3f317217
	s_mov_b32 s3, 0x7f800000
	v_mul_f32_e32 v21, 0x3f317217, v18
	v_fma_f32 v22, v18, s2, -v21
	v_fmac_f32_e32 v22, 0x3377d1cf, v18
	v_add_f32_e32 v21, v21, v22
	v_cmp_lt_f32_e64 s[2:3], |v18|, s3
	v_cndmask_b32_e64 v18, v18, v21, s[2:3]
	v_mov_b32_e32 v21, 0x41b17218
	v_cndmask_b32_e64 v21, 0, v21, s[0:1]
	v_sub_f32_e32 v18, v18, v21
	v_fma_f32 v18, |v16|, v18, -|v16|
.LBB152_171:
	s_andn2_saveexec_b64 s[10:11], s[10:11]
	s_cbranch_execz .LBB152_173
; %bb.172:
	v_rcp_f32_e64 v21, |v16|
	v_mov_b32_e32 v18, 0x3a5b3dd2
	v_mov_b32_e32 v22, 0xba1c065c
	;; [unrolled: 1-line block ×3, first 2 shown]
	v_mul_f32_e32 v24, v21, v21
	v_fmac_f32_e32 v18, 0xbad5c4e8, v24
	v_fmac_f32_e32 v22, v24, v18
	s_mov_b32 s0, 0x800000
	v_fmac_f32_e32 v23, v24, v22
	v_mov_b32_e32 v18, 0xbb360b61
	v_cmp_lt_f32_e64 s[0:1], |v16|, s0
	v_fmac_f32_e32 v18, v24, v23
	v_cndmask_b32_e64 v23, 0, 32, s[0:1]
	v_ldexp_f32 v23, |v16|, v23
	v_log_f32_e32 v23, v23
	v_mov_b32_e32 v22, 0x3daaaaab
	v_fmac_f32_e32 v22, v24, v18
	v_mov_b32_e32 v18, 0x3ed67f1d
	v_fmac_f32_e32 v18, v21, v22
	s_mov_b32 s2, 0x3f317217
	v_mul_f32_e32 v22, 0x3f317217, v23
	v_fma_f32 v24, v23, s2, -v22
	v_fmac_f32_e32 v24, 0x3377d1cf, v23
	s_mov_b32 s2, 0x7f800000
	v_add_f32_e32 v22, v22, v24
	v_cmp_lt_f32_e64 s[2:3], |v23|, s2
	v_cndmask_b32_e64 v22, v23, v22, s[2:3]
	v_mov_b32_e32 v23, 0x41b17218
	v_cndmask_b32_e64 v23, 0, v23, s[0:1]
	v_sub_f32_e32 v22, v22, v23
	v_add_f32_e64 v21, |v16|, -0.5
	v_add_f32_e32 v22, -1.0, v22
	v_fmac_f32_e32 v18, v21, v22
.LBB152_173:
	s_or_b64 exec, exec, s[10:11]
.LBB152_174:
	s_andn2_saveexec_b64 s[8:9], s[8:9]
	s_cbranch_execz .LBB152_176
; %bb.175:
	v_cvt_i32_f32_e32 v18, v20
	v_mov_b32_e32 v21, 0x3af135b4
	v_mov_b32_e32 v22, 0x3cda40e4
	;; [unrolled: 1-line block ×3, first 2 shown]
	v_cvt_f32_i32_e32 v24, v18
	v_mov_b32_e32 v25, 0x3ea6cc7a
	v_mov_b32_e32 v26, 0x3e5c245a
	v_cmp_lt_i32_e64 s[0:1], 2, v18
	v_sub_f32_e64 v24, |v16|, v24
	v_fmac_f32_e32 v21, 0x3805ff67, v24
	v_fmac_f32_e32 v22, v24, v21
	;; [unrolled: 1-line block ×3, first 2 shown]
	v_mov_b32_e32 v22, 0x3a4beed6
	v_fmac_f32_e32 v25, v24, v23
	v_fmac_f32_e32 v22, 0x36f5d7bd, v24
	v_mov_b32_e32 v23, 0x3c98bf54
	v_fmac_f32_e32 v23, v24, v22
	v_mov_b32_e32 v22, 0x3e300f6e
	v_fmac_f32_e32 v22, v24, v23
	v_mov_b32_e32 v23, 0x3f38d0c5
	v_fmac_f32_e32 v23, v24, v22
	v_mov_b32_e32 v22, 0x3fb22d3b
	v_fmac_f32_e32 v22, v24, v23
	v_add_f32_e32 v23, 2.0, v24
	v_mov_b32_e32 v27, 0xbd9e233f
	v_fmac_f32_e32 v26, v24, v25
	v_add_f32_e32 v25, 0x40400000, v24
	v_cndmask_b32_e64 v23, 1.0, v23, s[0:1]
	v_cmp_lt_i32_e64 s[0:1], 3, v18
	v_fmac_f32_e32 v27, v24, v26
	v_add_f32_e32 v26, 4.0, v24
	v_cndmask_b32_e64 v25, 1.0, v25, s[0:1]
	v_cmp_lt_i32_e64 s[0:1], 4, v18
	v_mul_f32_e32 v21, v24, v27
	v_add_f32_e32 v27, 0x40a00000, v24
	v_mul_f32_e32 v23, v23, v25
	v_cndmask_b32_e64 v25, 1.0, v26, s[0:1]
	v_cmp_lt_i32_e64 s[0:1], 5, v18
	v_add_f32_e32 v28, 0x40c00000, v24
	v_mul_f32_e32 v23, v25, v23
	v_cndmask_b32_e64 v25, 1.0, v27, s[0:1]
	v_cmp_lt_i32_e64 s[0:1], 6, v18
	v_mul_f32_e32 v23, v25, v23
	v_cndmask_b32_e64 v18, 1.0, v28, s[0:1]
	v_mul_f32_e32 v18, v18, v23
	s_mov_b32 s0, 0x800000
	v_cmp_gt_f32_e64 s[0:1], s0, v18
	v_cndmask_b32_e64 v23, 0, 32, s[0:1]
	v_fma_f32 v22, v24, v22, 1.0
	v_ldexp_f32 v18, v18, v23
	v_rcp_f32_e32 v22, v22
	v_log_f32_e32 v18, v18
	s_mov_b32 s2, 0x3f317217
	v_mul_f32_e32 v21, v21, v22
	v_mul_f32_e32 v22, 0x3f317217, v18
	v_fma_f32 v23, v18, s2, -v22
	v_fmac_f32_e32 v23, 0x3377d1cf, v18
	s_mov_b32 s2, 0x7f800000
	v_add_f32_e32 v22, v22, v23
	v_cmp_lt_f32_e64 s[2:3], |v18|, s2
	v_cndmask_b32_e64 v18, v18, v22, s[2:3]
	v_mov_b32_e32 v22, 0x41b17218
	v_cndmask_b32_e64 v22, 0, v22, s[0:1]
	v_fmac_f32_e32 v21, 0.5, v24
	v_sub_f32_e32 v18, v18, v22
	v_add_f32_e32 v18, v18, v21
.LBB152_176:
	s_or_b64 exec, exec, s[8:9]
.LBB152_177:
	s_andn2_saveexec_b64 s[6:7], s[6:7]
	s_cbranch_execz .LBB152_195
; %bb.178:
	s_mov_b32 s0, 0x3f666666
	v_cmp_le_f32_e64 s[0:1], |v16|, s0
                                        ; implicit-def: $vgpr18
                                        ; implicit-def: $vgpr22
                                        ; implicit-def: $vgpr21
	s_and_saveexec_b64 s[2:3], s[0:1]
	s_xor_b64 s[8:9], exec, s[2:3]
	s_cbranch_execz .LBB152_180
; %bb.179:
	s_mov_b32 s0, 0x800000
	v_cmp_lt_f32_e64 s[0:1], |v16|, s0
	v_cndmask_b32_e64 v18, 0, 32, s[0:1]
	v_ldexp_f32 v18, |v16|, v18
	v_log_f32_e32 v18, v18
	s_mov_b32 s2, 0x3f317217
	s_mov_b32 s3, 0x7f800000
	v_mul_f32_e32 v21, 0x3f317217, v18
	v_fma_f32 v22, v18, s2, -v21
	v_fmac_f32_e32 v22, 0x3377d1cf, v18
	v_add_f32_e32 v21, v21, v22
	v_cmp_lt_f32_e64 s[2:3], |v18|, s3
	v_cndmask_b32_e64 v18, v18, v21, s[2:3]
	v_mov_b32_e32 v21, 0x41b17218
	v_cndmask_b32_e64 v21, 0, v21, s[0:1]
	s_mov_b32 s0, 0x3f3b4a23
	s_mov_b32 s1, 0xbeec5b0c
	v_sub_f32_e32 v18, v18, v21
	v_sub_f32_e64 v21, 1.0, |v16|
	v_add_f32_e64 v22, |v16|, s1
	v_cmp_lt_f32_e64 s[0:1], |v16|, s0
	v_cndmask_b32_e64 v21, v21, v22, s[0:1]
	v_cndmask_b32_e64 v22, 0, 1, s[0:1]
	s_mov_b32 s0, 0x3e6d3309
	v_cmp_lt_f32_e64 s[0:1], |v16|, s0
	v_xor_b32_e32 v18, 0x80000000, v18
	v_cndmask_b32_e64 v21, v21, |v16|, s[0:1]
	v_cndmask_b32_e64 v22, v22, 2, s[0:1]
.LBB152_180:
	s_andn2_saveexec_b64 s[2:3], s[8:9]
	s_cbranch_execz .LBB152_182
; %bb.181:
	s_mov_b32 s0, 0x3fdda512
	s_mov_b32 s1, 0xbfbb16c3
	v_sub_f32_e64 v18, 2.0, |v16|
	v_add_f32_e64 v21, |v16|, s1
	v_cmp_lt_f32_e64 s[0:1], |v16|, s0
	v_cndmask_b32_e64 v21, v18, v21, s[0:1]
	v_cndmask_b32_e64 v18, v18, 1.0, s[0:1]
	v_cvt_i32_f32_e32 v18, v18
	s_mov_b32 s0, 0x3f9d70a4
	v_add_f32_e64 v22, |v16|, -1.0
	v_cmp_lt_f32_e64 s[0:1], |v16|, s0
	v_cndmask_b32_e64 v21, v21, v22, s[0:1]
	v_cndmask_b32_e64 v22, v18, 2, s[0:1]
	v_mov_b32_e32 v18, 0
.LBB152_182:
	s_or_b64 exec, exec, s[2:3]
	v_cmp_lt_i32_e64 s[0:1], 0, v22
	s_and_saveexec_b64 s[2:3], s[0:1]
	s_xor_b64 s[2:3], exec, s[2:3]
	s_cbranch_execz .LBB152_190
; %bb.183:
	v_cmp_lt_i32_e64 s[0:1], 1, v22
	s_and_saveexec_b64 s[8:9], s[0:1]
	s_xor_b64 s[8:9], exec, s[8:9]
	s_cbranch_execz .LBB152_187
; %bb.184:
	v_cmp_eq_u32_e64 s[0:1], 2, v22
	s_and_saveexec_b64 s[10:11], s[0:1]
	s_cbranch_execz .LBB152_186
; %bb.185:
	v_mov_b32_e32 v22, 0x3e6a7578
	v_fmac_f32_e32 v22, 0x3c5b3c5e, v21
	v_mov_b32_e32 v23, 0x3f7a4bb2
	v_fmac_f32_e32 v23, v21, v22
	;; [unrolled: 2-line block ×8, first 2 shown]
	v_fma_f32 v22, v21, v24, 1.0
	v_rcp_f32_e32 v22, v22
	v_mov_b32_e32 v24, 0xbd9e233f
	v_fmac_f32_e32 v24, v21, v23
	v_mul_f32_e32 v23, v21, v24
	v_mul_f32_e32 v22, v23, v22
	v_fmac_f32_e32 v22, -0.5, v21
	v_add_f32_e32 v18, v18, v22
.LBB152_186:
	s_or_b64 exec, exec, s[10:11]
                                        ; implicit-def: $vgpr21
.LBB152_187:
	s_andn2_saveexec_b64 s[0:1], s[8:9]
	s_cbranch_execz .LBB152_189
; %bb.188:
	v_mul_f32_e32 v22, v21, v21
	v_mul_f32_e32 v23, v21, v22
	v_mov_b32_e32 v24, 0xbab7f476
	v_fmac_f32_e32 v24, 0x39a57b6b, v23
	v_mov_b32_e32 v25, 0x3bc7e707
	v_fmac_f32_e32 v25, v23, v24
	;; [unrolled: 2-line block ×12, first 2 shown]
	v_fmac_f32_e32 v26, v21, v27
	s_mov_b32 s8, 0xa2863e55
	v_fma_f32 v21, v23, -v26, s8
	v_fma_f32 v21, v22, v25, -v21
	v_add_f32_e32 v21, 0xbdf8cdce, v21
	v_add_f32_e32 v18, v18, v21
.LBB152_189:
	s_or_b64 exec, exec, s[0:1]
                                        ; implicit-def: $vgpr22
                                        ; implicit-def: $vgpr21
.LBB152_190:
	s_andn2_saveexec_b64 s[2:3], s[2:3]
	s_cbranch_execz .LBB152_194
; %bb.191:
	v_cmp_eq_u32_e64 s[0:1], 0, v22
	s_and_saveexec_b64 s[8:9], s[0:1]
	s_cbranch_execz .LBB152_193
; %bb.192:
	v_mul_f32_e32 v22, v21, v21
	v_mov_b32_e32 v23, 0x39679767
	v_fmac_f32_e32 v23, 0x37d383a2, v22
	v_mov_b32_e32 v24, 0x3a9c54a1
	v_fmac_f32_e32 v24, v22, v23
	;; [unrolled: 2-line block ×10, first 2 shown]
	v_mul_f32_e32 v22, v22, v24
	v_fmac_f32_e32 v22, v21, v23
	v_fmac_f32_e32 v22, -0.5, v21
	v_add_f32_e32 v18, v18, v22
.LBB152_193:
	s_or_b64 exec, exec, s[8:9]
.LBB152_194:
	s_or_b64 exec, exec, s[2:3]
.LBB152_195:
	s_or_b64 exec, exec, s[6:7]
.LBB152_196:
	s_andn2_saveexec_b64 s[4:5], s[4:5]
	s_cbranch_execz .LBB152_198
; %bb.197:
	s_mov_b32 s0, 0x3e8a8991
	v_mov_b32_e32 v18, 0xbecd26ab
	v_fma_f32 v18, |v16|, s0, v18
	s_mov_b32 s0, 0x3f528d33
	v_fma_f32 v18, |v16|, v18, s0
	s_mov_b32 s0, 0x800000
	v_cmp_lt_f32_e64 s[0:1], |v16|, s0
	v_cndmask_b32_e64 v21, 0, 32, s[0:1]
	v_ldexp_f32 v21, |v16|, v21
	v_log_f32_e32 v21, v21
	s_mov_b32 s2, 0xbf13c468
	v_fma_f32 v18, |v16|, v18, s2
	s_mov_b32 s2, 0x3f317217
	v_mul_f32_e32 v22, 0x3f317217, v21
	v_fma_f32 v23, v21, s2, -v22
	v_fmac_f32_e32 v23, 0x3377d1cf, v21
	s_mov_b32 s2, 0x7f800000
	v_add_f32_e32 v22, v22, v23
	v_cmp_lt_f32_e64 s[2:3], |v21|, s2
	v_cndmask_b32_e64 v21, v21, v22, s[2:3]
	v_mov_b32_e32 v22, 0x41b17218
	v_cndmask_b32_e64 v22, 0, v22, s[0:1]
	v_sub_f32_e32 v21, v21, v22
	v_fma_f32 v18, |v16|, v18, -v21
.LBB152_198:
	s_or_b64 exec, exec, s[4:5]
	v_cmp_le_f16_e64 s[0:1], 0, v14
	v_cmp_nle_f16_e64 s[2:3], 0, v14
	s_and_saveexec_b64 s[4:5], s[2:3]
	s_xor_b64 s[6:7], exec, s[4:5]
	s_cbranch_execz .LBB152_202
; %bb.199:
	s_mov_b32 s2, 0x4b000000
	s_mov_b32 s4, 0x35000000
	v_cmp_lt_f32_e64 s[2:3], |v16|, s2
	v_cmp_gt_f32_e64 s[4:5], |v16|, s4
	s_and_b64 s[2:3], s[2:3], s[4:5]
	s_and_saveexec_b64 s[8:9], s[2:3]
	s_cbranch_execz .LBB152_201
; %bb.200:
	v_mul_f32_e64 v21, |v16|, 0.5
	v_floor_f32_e32 v22, v21
	v_sub_f32_e32 v22, v21, v22
	v_min_f32_e32 v22, 0x3f7fffff, v22
	s_mov_b32 s4, 0x7f800000
	v_add_f32_e32 v22, v22, v22
	v_cmp_neq_f32_e64 s[2:3], s4, v21
	v_cndmask_b32_e64 v21, 0, v22, s[2:3]
	v_cmp_gt_f32_e64 s[2:3], |v16|, 1.0
	v_cndmask_b32_e64 v21, |v16|, v21, s[2:3]
	v_add_f32_e32 v22, v21, v21
	v_rndne_f32_e32 v22, v22
	v_fmac_f32_e32 v21, -0.5, v22
	v_mul_f32_e32 v23, v21, v21
	v_mov_b32_e32 v24, 0xbf1f24be
	v_fmac_f32_e32 v24, 0x3e75aa41, v23
	v_mov_b32_e32 v25, 0x40234736
	v_fmac_f32_e32 v25, v23, v24
	;; [unrolled: 2-line block ×3, first 2 shown]
	v_mul_f32_e32 v25, v21, v23
	v_mul_f32_e32 v24, v25, v24
	v_fmac_f32_e32 v24, 0x40490fdb, v21
	v_mov_b32_e32 v21, 0x3e642e9d
	v_cvt_i32_f32_e32 v22, v22
	v_fmac_f32_e32 v21, 0x3d4be544, v23
	v_mov_b32_e32 v25, 0xbfaad1da
	v_fmac_f32_e32 v25, v23, v21
	v_mov_b32_e32 v21, 0x4081e0d3
	;; [unrolled: 2-line block ×3, first 2 shown]
	v_fmac_f32_e32 v25, v23, v21
	v_fma_f32 v21, v23, v25, 1.0
	v_and_b32_e32 v23, 1, v22
	v_lshlrev_b32_e32 v22, 30, v22
	v_cmp_eq_u32_e64 s[2:3], 0, v23
	v_and_b32_e32 v22, 0x80000000, v22
	v_xor_b32_e32 v20, v20, v16
	v_cndmask_b32_e64 v21, v21, v24, s[2:3]
	v_xor_b32_e32 v20, v20, v22
	v_xor_b32_e32 v20, v20, v21
	v_mul_f32_e32 v20, v16, v20
	v_frexp_mant_f32_e64 v21, |v20|
	v_rcp_f32_e32 v21, v21
	v_frexp_exp_i32_f32_e32 v20, v20
	v_sub_u32_e32 v20, 2, v20
	s_mov_b32 s2, 0x800000
	v_mul_f32_e32 v21, 0x3f490fdb, v21
	v_ldexp_f32 v20, v21, v20
	v_cmp_gt_f32_e64 s[2:3], s2, v20
	v_cndmask_b32_e64 v21, 0, 32, s[2:3]
	v_ldexp_f32 v20, v20, v21
	v_log_f32_e32 v20, v20
	s_mov_b32 s5, 0x3f317217
	v_mul_f32_e32 v21, 0x3f317217, v20
	v_fma_f32 v22, v20, s5, -v21
	v_fmac_f32_e32 v22, 0x3377d1cf, v20
	v_add_f32_e32 v21, v21, v22
	v_cmp_lt_f32_e64 s[4:5], |v20|, s4
	v_cndmask_b32_e64 v20, v20, v21, s[4:5]
	v_mov_b32_e32 v21, 0x41b17218
	v_cndmask_b32_e64 v21, 0, v21, s[2:3]
	v_sub_f32_e32 v20, v20, v21
	v_sub_f32_e32 v18, v20, v18
	v_floor_f32_e32 v20, v16
	v_sub_f32_e32 v20, v16, v20
	v_min_f32_e32 v20, 0x3f7fffff, v20
	v_mov_b32_e32 v21, 0x7f800000
	v_cmp_neq_f32_e64 s[2:3], 0, v20
	v_cndmask_b32_e64 v18, v21, v18, s[2:3]
.LBB152_201:
	s_or_b64 exec, exec, s[8:9]
.LBB152_202:
	s_andn2_saveexec_b64 s[6:7], s[6:7]
; %bb.203:
	v_cmp_eq_f16_e64 s[2:3], 1.0, v14
	v_cmp_eq_f16_e64 s[4:5], 2.0, v14
	s_or_b64 s[2:3], s[2:3], s[4:5]
	v_cndmask_b32_e64 v18, v18, 0, s[2:3]
; %bb.204:
	s_or_b64 exec, exec, s[6:7]
	global_load_ushort v19, v19, s[22:23]
	s_mov_b32 s2, 0x3c800000
                                        ; implicit-def: $vgpr21
	s_waitcnt vmcnt(0)
	v_cvt_f32_f16_e32 v20, v19
	v_and_b32_e32 v22, 0x7fffffff, v20
	v_cmp_nlt_f32_e64 s[2:3], |v20|, s2
	s_and_saveexec_b64 s[4:5], s[2:3]
	s_xor_b64 s[6:7], exec, s[4:5]
	s_cbranch_execz .LBB152_234
; %bb.205:
	v_cmp_nlt_f32_e64 s[2:3], |v20|, 2.0
                                        ; implicit-def: $vgpr21
	s_and_saveexec_b64 s[4:5], s[2:3]
	s_xor_b64 s[8:9], exec, s[4:5]
	s_cbranch_execz .LBB152_215
; %bb.206:
	s_mov_b32 s2, 0x41000000
	v_cmp_nlt_f32_e64 s[2:3], |v20|, s2
                                        ; implicit-def: $vgpr21
	s_and_saveexec_b64 s[4:5], s[2:3]
	s_xor_b64 s[10:11], exec, s[4:5]
	s_cbranch_execz .LBB152_212
; %bb.207:
	s_mov_b32 s2, 0x5c800000
	v_cmp_nlt_f32_e64 s[2:3], |v20|, s2
                                        ; implicit-def: $vgpr21
	s_and_saveexec_b64 s[4:5], s[2:3]
	s_xor_b64 s[12:13], exec, s[4:5]
	s_cbranch_execz .LBB152_209
; %bb.208:
	s_mov_b32 s2, 0x800000
	v_cmp_lt_f32_e64 s[2:3], |v20|, s2
	v_cndmask_b32_e64 v21, 0, 32, s[2:3]
	v_ldexp_f32 v21, |v20|, v21
	v_log_f32_e32 v21, v21
	s_mov_b32 s4, 0x3f317217
	s_mov_b32 s5, 0x7f800000
	v_mul_f32_e32 v23, 0x3f317217, v21
	v_fma_f32 v24, v21, s4, -v23
	v_fmac_f32_e32 v24, 0x3377d1cf, v21
	v_add_f32_e32 v23, v23, v24
	v_cmp_lt_f32_e64 s[4:5], |v21|, s5
	v_cndmask_b32_e64 v21, v21, v23, s[4:5]
	v_mov_b32_e32 v23, 0x41b17218
	v_cndmask_b32_e64 v23, 0, v23, s[2:3]
	v_sub_f32_e32 v21, v21, v23
	v_fma_f32 v21, |v20|, v21, -|v20|
.LBB152_209:
	s_andn2_saveexec_b64 s[12:13], s[12:13]
	s_cbranch_execz .LBB152_211
; %bb.210:
	v_rcp_f32_e64 v23, |v20|
	v_mov_b32_e32 v21, 0x3a5b3dd2
	v_mov_b32_e32 v24, 0xba1c065c
	;; [unrolled: 1-line block ×3, first 2 shown]
	v_mul_f32_e32 v26, v23, v23
	v_fmac_f32_e32 v21, 0xbad5c4e8, v26
	v_fmac_f32_e32 v24, v26, v21
	s_mov_b32 s2, 0x800000
	v_fmac_f32_e32 v25, v26, v24
	v_mov_b32_e32 v21, 0xbb360b61
	v_cmp_lt_f32_e64 s[2:3], |v20|, s2
	v_fmac_f32_e32 v21, v26, v25
	v_cndmask_b32_e64 v25, 0, 32, s[2:3]
	v_ldexp_f32 v25, |v20|, v25
	v_log_f32_e32 v25, v25
	v_mov_b32_e32 v24, 0x3daaaaab
	v_fmac_f32_e32 v24, v26, v21
	v_mov_b32_e32 v21, 0x3ed67f1d
	v_fmac_f32_e32 v21, v23, v24
	s_mov_b32 s4, 0x3f317217
	v_mul_f32_e32 v24, 0x3f317217, v25
	v_fma_f32 v26, v25, s4, -v24
	v_fmac_f32_e32 v26, 0x3377d1cf, v25
	s_mov_b32 s4, 0x7f800000
	v_add_f32_e32 v24, v24, v26
	v_cmp_lt_f32_e64 s[4:5], |v25|, s4
	v_cndmask_b32_e64 v24, v25, v24, s[4:5]
	v_mov_b32_e32 v25, 0x41b17218
	v_cndmask_b32_e64 v25, 0, v25, s[2:3]
	v_sub_f32_e32 v24, v24, v25
	v_add_f32_e64 v23, |v20|, -0.5
	v_add_f32_e32 v24, -1.0, v24
	v_fmac_f32_e32 v21, v23, v24
.LBB152_211:
	s_or_b64 exec, exec, s[12:13]
.LBB152_212:
	s_andn2_saveexec_b64 s[10:11], s[10:11]
	s_cbranch_execz .LBB152_214
; %bb.213:
	v_cvt_i32_f32_e32 v21, v22
	v_mov_b32_e32 v23, 0x3af135b4
	v_mov_b32_e32 v24, 0x3cda40e4
	;; [unrolled: 1-line block ×3, first 2 shown]
	v_cvt_f32_i32_e32 v26, v21
	v_mov_b32_e32 v27, 0x3ea6cc7a
	v_mov_b32_e32 v28, 0x3e5c245a
	v_cmp_lt_i32_e64 s[2:3], 2, v21
	v_sub_f32_e64 v26, |v20|, v26
	v_fmac_f32_e32 v23, 0x3805ff67, v26
	v_fmac_f32_e32 v24, v26, v23
	v_fmac_f32_e32 v25, v26, v24
	v_mov_b32_e32 v24, 0x3a4beed6
	v_fmac_f32_e32 v27, v26, v25
	v_fmac_f32_e32 v24, 0x36f5d7bd, v26
	v_mov_b32_e32 v25, 0x3c98bf54
	v_fmac_f32_e32 v25, v26, v24
	v_mov_b32_e32 v24, 0x3e300f6e
	;; [unrolled: 2-line block ×4, first 2 shown]
	v_fmac_f32_e32 v24, v26, v25
	v_add_f32_e32 v25, 2.0, v26
	v_mov_b32_e32 v29, 0xbd9e233f
	v_fmac_f32_e32 v28, v26, v27
	v_add_f32_e32 v27, 0x40400000, v26
	v_cndmask_b32_e64 v25, 1.0, v25, s[2:3]
	v_cmp_lt_i32_e64 s[2:3], 3, v21
	v_fmac_f32_e32 v29, v26, v28
	v_add_f32_e32 v28, 4.0, v26
	v_cndmask_b32_e64 v27, 1.0, v27, s[2:3]
	v_cmp_lt_i32_e64 s[2:3], 4, v21
	v_mul_f32_e32 v23, v26, v29
	v_add_f32_e32 v29, 0x40a00000, v26
	v_mul_f32_e32 v25, v25, v27
	v_cndmask_b32_e64 v27, 1.0, v28, s[2:3]
	v_cmp_lt_i32_e64 s[2:3], 5, v21
	v_add_f32_e32 v30, 0x40c00000, v26
	v_mul_f32_e32 v25, v27, v25
	v_cndmask_b32_e64 v27, 1.0, v29, s[2:3]
	v_cmp_lt_i32_e64 s[2:3], 6, v21
	v_mul_f32_e32 v25, v27, v25
	v_cndmask_b32_e64 v21, 1.0, v30, s[2:3]
	v_mul_f32_e32 v21, v21, v25
	s_mov_b32 s2, 0x800000
	v_cmp_gt_f32_e64 s[2:3], s2, v21
	v_cndmask_b32_e64 v25, 0, 32, s[2:3]
	v_fma_f32 v24, v26, v24, 1.0
	v_ldexp_f32 v21, v21, v25
	v_rcp_f32_e32 v24, v24
	v_log_f32_e32 v21, v21
	s_mov_b32 s4, 0x3f317217
	v_mul_f32_e32 v23, v23, v24
	v_mul_f32_e32 v24, 0x3f317217, v21
	v_fma_f32 v25, v21, s4, -v24
	v_fmac_f32_e32 v25, 0x3377d1cf, v21
	s_mov_b32 s4, 0x7f800000
	v_add_f32_e32 v24, v24, v25
	v_cmp_lt_f32_e64 s[4:5], |v21|, s4
	v_cndmask_b32_e64 v21, v21, v24, s[4:5]
	v_mov_b32_e32 v24, 0x41b17218
	v_cndmask_b32_e64 v24, 0, v24, s[2:3]
	v_fmac_f32_e32 v23, 0.5, v26
	v_sub_f32_e32 v21, v21, v24
	v_add_f32_e32 v21, v21, v23
.LBB152_214:
	s_or_b64 exec, exec, s[10:11]
.LBB152_215:
	s_andn2_saveexec_b64 s[8:9], s[8:9]
	s_cbranch_execz .LBB152_233
; %bb.216:
	s_mov_b32 s2, 0x3f666666
	v_cmp_le_f32_e64 s[2:3], |v20|, s2
                                        ; implicit-def: $vgpr21
                                        ; implicit-def: $vgpr24
                                        ; implicit-def: $vgpr23
	s_and_saveexec_b64 s[4:5], s[2:3]
	s_xor_b64 s[10:11], exec, s[4:5]
	s_cbranch_execz .LBB152_218
; %bb.217:
	s_mov_b32 s2, 0x800000
	v_cmp_lt_f32_e64 s[2:3], |v20|, s2
	v_cndmask_b32_e64 v21, 0, 32, s[2:3]
	v_ldexp_f32 v21, |v20|, v21
	v_log_f32_e32 v21, v21
	s_mov_b32 s4, 0x3f317217
	s_mov_b32 s5, 0x7f800000
	v_mul_f32_e32 v23, 0x3f317217, v21
	v_fma_f32 v24, v21, s4, -v23
	v_fmac_f32_e32 v24, 0x3377d1cf, v21
	v_add_f32_e32 v23, v23, v24
	v_cmp_lt_f32_e64 s[4:5], |v21|, s5
	v_cndmask_b32_e64 v21, v21, v23, s[4:5]
	v_mov_b32_e32 v23, 0x41b17218
	v_cndmask_b32_e64 v23, 0, v23, s[2:3]
	s_mov_b32 s2, 0x3f3b4a23
	s_mov_b32 s3, 0xbeec5b0c
	v_sub_f32_e32 v21, v21, v23
	v_sub_f32_e64 v23, 1.0, |v20|
	v_add_f32_e64 v24, |v20|, s3
	v_cmp_lt_f32_e64 s[2:3], |v20|, s2
	v_cndmask_b32_e64 v23, v23, v24, s[2:3]
	v_cndmask_b32_e64 v24, 0, 1, s[2:3]
	s_mov_b32 s2, 0x3e6d3309
	v_cmp_lt_f32_e64 s[2:3], |v20|, s2
	v_xor_b32_e32 v21, 0x80000000, v21
	v_cndmask_b32_e64 v23, v23, |v20|, s[2:3]
	v_cndmask_b32_e64 v24, v24, 2, s[2:3]
.LBB152_218:
	s_andn2_saveexec_b64 s[4:5], s[10:11]
	s_cbranch_execz .LBB152_220
; %bb.219:
	s_mov_b32 s2, 0x3fdda512
	s_mov_b32 s3, 0xbfbb16c3
	v_sub_f32_e64 v21, 2.0, |v20|
	v_add_f32_e64 v23, |v20|, s3
	v_cmp_lt_f32_e64 s[2:3], |v20|, s2
	v_cndmask_b32_e64 v23, v21, v23, s[2:3]
	v_cndmask_b32_e64 v21, v21, 1.0, s[2:3]
	v_cvt_i32_f32_e32 v21, v21
	s_mov_b32 s2, 0x3f9d70a4
	v_add_f32_e64 v24, |v20|, -1.0
	v_cmp_lt_f32_e64 s[2:3], |v20|, s2
	v_cndmask_b32_e64 v23, v23, v24, s[2:3]
	v_cndmask_b32_e64 v24, v21, 2, s[2:3]
	v_mov_b32_e32 v21, 0
.LBB152_220:
	s_or_b64 exec, exec, s[4:5]
	v_cmp_lt_i32_e64 s[2:3], 0, v24
	s_and_saveexec_b64 s[4:5], s[2:3]
	s_xor_b64 s[4:5], exec, s[4:5]
	s_cbranch_execz .LBB152_228
; %bb.221:
	v_cmp_lt_i32_e64 s[2:3], 1, v24
	s_and_saveexec_b64 s[10:11], s[2:3]
	s_xor_b64 s[10:11], exec, s[10:11]
	s_cbranch_execz .LBB152_225
; %bb.222:
	v_cmp_eq_u32_e64 s[2:3], 2, v24
	s_and_saveexec_b64 s[12:13], s[2:3]
	s_cbranch_execz .LBB152_224
; %bb.223:
	v_mov_b32_e32 v24, 0x3e6a7578
	v_fmac_f32_e32 v24, 0x3c5b3c5e, v23
	v_mov_b32_e32 v25, 0x3f7a4bb2
	v_fmac_f32_e32 v25, v23, v24
	;; [unrolled: 2-line block ×8, first 2 shown]
	v_fma_f32 v24, v23, v26, 1.0
	v_rcp_f32_e32 v24, v24
	v_mov_b32_e32 v26, 0xbd9e233f
	v_fmac_f32_e32 v26, v23, v25
	v_mul_f32_e32 v25, v23, v26
	v_mul_f32_e32 v24, v25, v24
	v_fmac_f32_e32 v24, -0.5, v23
	v_add_f32_e32 v21, v21, v24
.LBB152_224:
	s_or_b64 exec, exec, s[12:13]
                                        ; implicit-def: $vgpr23
.LBB152_225:
	s_andn2_saveexec_b64 s[2:3], s[10:11]
	s_cbranch_execz .LBB152_227
; %bb.226:
	v_mul_f32_e32 v24, v23, v23
	v_mul_f32_e32 v25, v23, v24
	v_mov_b32_e32 v26, 0xbab7f476
	v_fmac_f32_e32 v26, 0x39a57b6b, v25
	v_mov_b32_e32 v27, 0x3bc7e707
	v_fmac_f32_e32 v27, v25, v26
	;; [unrolled: 2-line block ×12, first 2 shown]
	v_fmac_f32_e32 v28, v23, v29
	s_mov_b32 s10, 0xa2863e55
	v_fma_f32 v23, v25, -v28, s10
	v_fma_f32 v23, v24, v27, -v23
	v_add_f32_e32 v23, 0xbdf8cdce, v23
	v_add_f32_e32 v21, v21, v23
.LBB152_227:
	s_or_b64 exec, exec, s[2:3]
                                        ; implicit-def: $vgpr24
                                        ; implicit-def: $vgpr23
.LBB152_228:
	s_andn2_saveexec_b64 s[4:5], s[4:5]
	s_cbranch_execz .LBB152_232
; %bb.229:
	v_cmp_eq_u32_e64 s[2:3], 0, v24
	s_and_saveexec_b64 s[10:11], s[2:3]
	s_cbranch_execz .LBB152_231
; %bb.230:
	v_mul_f32_e32 v24, v23, v23
	v_mov_b32_e32 v25, 0x39679767
	v_fmac_f32_e32 v25, 0x37d383a2, v24
	v_mov_b32_e32 v26, 0x3a9c54a1
	v_fmac_f32_e32 v26, v24, v25
	;; [unrolled: 2-line block ×10, first 2 shown]
	v_mul_f32_e32 v24, v24, v26
	v_fmac_f32_e32 v24, v23, v25
	v_fmac_f32_e32 v24, -0.5, v23
	v_add_f32_e32 v21, v21, v24
.LBB152_231:
	s_or_b64 exec, exec, s[10:11]
.LBB152_232:
	s_or_b64 exec, exec, s[4:5]
.LBB152_233:
	s_or_b64 exec, exec, s[8:9]
.LBB152_234:
	s_andn2_saveexec_b64 s[6:7], s[6:7]
	s_cbranch_execz .LBB152_236
; %bb.235:
	s_mov_b32 s2, 0x3e8a8991
	v_mov_b32_e32 v21, 0xbecd26ab
	v_fma_f32 v21, |v20|, s2, v21
	s_mov_b32 s2, 0x3f528d33
	v_fma_f32 v21, |v20|, v21, s2
	s_mov_b32 s2, 0x800000
	v_cmp_lt_f32_e64 s[2:3], |v20|, s2
	v_cndmask_b32_e64 v23, 0, 32, s[2:3]
	v_ldexp_f32 v23, |v20|, v23
	v_log_f32_e32 v23, v23
	s_mov_b32 s4, 0xbf13c468
	v_fma_f32 v21, |v20|, v21, s4
	s_mov_b32 s4, 0x3f317217
	v_mul_f32_e32 v24, 0x3f317217, v23
	v_fma_f32 v25, v23, s4, -v24
	v_fmac_f32_e32 v25, 0x3377d1cf, v23
	s_mov_b32 s4, 0x7f800000
	v_add_f32_e32 v24, v24, v25
	v_cmp_lt_f32_e64 s[4:5], |v23|, s4
	v_cndmask_b32_e64 v23, v23, v24, s[4:5]
	v_mov_b32_e32 v24, 0x41b17218
	v_cndmask_b32_e64 v24, 0, v24, s[2:3]
	v_sub_f32_e32 v23, v23, v24
	v_fma_f32 v21, |v20|, v21, -v23
.LBB152_236:
	s_or_b64 exec, exec, s[6:7]
	v_cmp_le_f16_e64 s[2:3], 0, v19
	v_cmp_nle_f16_e64 s[4:5], 0, v19
	s_and_saveexec_b64 s[6:7], s[4:5]
	s_xor_b64 s[8:9], exec, s[6:7]
	s_cbranch_execz .LBB152_240
; %bb.237:
	s_mov_b32 s4, 0x4b000000
	s_mov_b32 s6, 0x35000000
	v_cmp_lt_f32_e64 s[4:5], |v20|, s4
	v_cmp_gt_f32_e64 s[6:7], |v20|, s6
	s_and_b64 s[4:5], s[4:5], s[6:7]
	s_and_saveexec_b64 s[10:11], s[4:5]
	s_cbranch_execz .LBB152_239
; %bb.238:
	v_mul_f32_e64 v23, |v20|, 0.5
	v_floor_f32_e32 v24, v23
	v_sub_f32_e32 v24, v23, v24
	v_min_f32_e32 v24, 0x3f7fffff, v24
	s_mov_b32 s6, 0x7f800000
	v_add_f32_e32 v24, v24, v24
	v_cmp_neq_f32_e64 s[4:5], s6, v23
	v_cndmask_b32_e64 v23, 0, v24, s[4:5]
	v_cmp_gt_f32_e64 s[4:5], |v20|, 1.0
	v_cndmask_b32_e64 v23, |v20|, v23, s[4:5]
	v_add_f32_e32 v24, v23, v23
	v_rndne_f32_e32 v24, v24
	v_fmac_f32_e32 v23, -0.5, v24
	v_mul_f32_e32 v25, v23, v23
	v_mov_b32_e32 v26, 0xbf1f24be
	v_fmac_f32_e32 v26, 0x3e75aa41, v25
	v_mov_b32_e32 v27, 0x40234736
	v_fmac_f32_e32 v27, v25, v26
	;; [unrolled: 2-line block ×3, first 2 shown]
	v_mul_f32_e32 v27, v23, v25
	v_mul_f32_e32 v26, v27, v26
	v_fmac_f32_e32 v26, 0x40490fdb, v23
	v_mov_b32_e32 v23, 0x3e642e9d
	v_cvt_i32_f32_e32 v24, v24
	v_fmac_f32_e32 v23, 0x3d4be544, v25
	v_mov_b32_e32 v27, 0xbfaad1da
	v_fmac_f32_e32 v27, v25, v23
	v_mov_b32_e32 v23, 0x4081e0d3
	;; [unrolled: 2-line block ×3, first 2 shown]
	v_fmac_f32_e32 v27, v25, v23
	v_fma_f32 v23, v25, v27, 1.0
	v_and_b32_e32 v25, 1, v24
	v_lshlrev_b32_e32 v24, 30, v24
	v_cmp_eq_u32_e64 s[4:5], 0, v25
	v_and_b32_e32 v24, 0x80000000, v24
	v_xor_b32_e32 v22, v22, v20
	v_cndmask_b32_e64 v23, v23, v26, s[4:5]
	v_xor_b32_e32 v22, v22, v24
	v_xor_b32_e32 v22, v22, v23
	v_mul_f32_e32 v22, v20, v22
	v_frexp_mant_f32_e64 v23, |v22|
	v_rcp_f32_e32 v23, v23
	v_frexp_exp_i32_f32_e32 v22, v22
	v_sub_u32_e32 v22, 2, v22
	s_mov_b32 s4, 0x800000
	v_mul_f32_e32 v23, 0x3f490fdb, v23
	v_ldexp_f32 v22, v23, v22
	v_cmp_gt_f32_e64 s[4:5], s4, v22
	v_cndmask_b32_e64 v23, 0, 32, s[4:5]
	v_ldexp_f32 v22, v22, v23
	v_log_f32_e32 v22, v22
	s_mov_b32 s7, 0x3f317217
	v_mul_f32_e32 v23, 0x3f317217, v22
	v_fma_f32 v24, v22, s7, -v23
	v_fmac_f32_e32 v24, 0x3377d1cf, v22
	v_add_f32_e32 v23, v23, v24
	v_cmp_lt_f32_e64 s[6:7], |v22|, s6
	v_cndmask_b32_e64 v22, v22, v23, s[6:7]
	v_mov_b32_e32 v23, 0x41b17218
	v_cndmask_b32_e64 v23, 0, v23, s[4:5]
	v_sub_f32_e32 v22, v22, v23
	v_sub_f32_e32 v21, v22, v21
	v_floor_f32_e32 v22, v20
	v_sub_f32_e32 v22, v20, v22
	v_min_f32_e32 v22, 0x3f7fffff, v22
	v_mov_b32_e32 v23, 0x7f800000
	v_cmp_neq_f32_e64 s[4:5], 0, v22
	v_cndmask_b32_e64 v21, v23, v21, s[4:5]
.LBB152_239:
	s_or_b64 exec, exec, s[10:11]
.LBB152_240:
	s_andn2_saveexec_b64 s[8:9], s[8:9]
; %bb.241:
	v_cmp_eq_f16_e64 s[4:5], 1.0, v19
	v_cmp_eq_f16_e64 s[6:7], 2.0, v19
	s_or_b64 s[4:5], s[4:5], s[6:7]
	v_cndmask_b32_e64 v21, v21, 0, s[4:5]
; %bb.242:
	s_or_b64 exec, exec, s[8:9]
	global_load_ushort v17, v17, s[22:23]
	s_mov_b32 s4, 0x3c800000
                                        ; implicit-def: $vgpr23
	s_waitcnt vmcnt(0)
	v_cvt_f32_f16_e32 v22, v17
	v_and_b32_e32 v24, 0x7fffffff, v22
	v_cmp_nlt_f32_e64 s[4:5], |v22|, s4
	s_and_saveexec_b64 s[6:7], s[4:5]
	s_xor_b64 s[8:9], exec, s[6:7]
	s_cbranch_execz .LBB152_272
; %bb.243:
	v_cmp_nlt_f32_e64 s[4:5], |v22|, 2.0
                                        ; implicit-def: $vgpr23
	s_and_saveexec_b64 s[6:7], s[4:5]
	s_xor_b64 s[10:11], exec, s[6:7]
	s_cbranch_execz .LBB152_253
; %bb.244:
	s_mov_b32 s4, 0x41000000
	v_cmp_nlt_f32_e64 s[4:5], |v22|, s4
                                        ; implicit-def: $vgpr23
	s_and_saveexec_b64 s[6:7], s[4:5]
	s_xor_b64 s[12:13], exec, s[6:7]
	s_cbranch_execz .LBB152_250
; %bb.245:
	s_mov_b32 s4, 0x5c800000
	v_cmp_nlt_f32_e64 s[4:5], |v22|, s4
                                        ; implicit-def: $vgpr23
	s_and_saveexec_b64 s[6:7], s[4:5]
	s_xor_b64 s[14:15], exec, s[6:7]
	s_cbranch_execz .LBB152_247
; %bb.246:
	s_mov_b32 s4, 0x800000
	v_cmp_lt_f32_e64 s[4:5], |v22|, s4
	v_cndmask_b32_e64 v23, 0, 32, s[4:5]
	v_ldexp_f32 v23, |v22|, v23
	v_log_f32_e32 v23, v23
	s_mov_b32 s6, 0x3f317217
	s_mov_b32 s7, 0x7f800000
	v_mul_f32_e32 v25, 0x3f317217, v23
	v_fma_f32 v26, v23, s6, -v25
	v_fmac_f32_e32 v26, 0x3377d1cf, v23
	v_add_f32_e32 v25, v25, v26
	v_cmp_lt_f32_e64 s[6:7], |v23|, s7
	v_cndmask_b32_e64 v23, v23, v25, s[6:7]
	v_mov_b32_e32 v25, 0x41b17218
	v_cndmask_b32_e64 v25, 0, v25, s[4:5]
	v_sub_f32_e32 v23, v23, v25
	v_fma_f32 v23, |v22|, v23, -|v22|
.LBB152_247:
	s_andn2_saveexec_b64 s[14:15], s[14:15]
	s_cbranch_execz .LBB152_249
; %bb.248:
	v_rcp_f32_e64 v25, |v22|
	v_mov_b32_e32 v23, 0x3a5b3dd2
	v_mov_b32_e32 v26, 0xba1c065c
	;; [unrolled: 1-line block ×3, first 2 shown]
	v_mul_f32_e32 v28, v25, v25
	v_fmac_f32_e32 v23, 0xbad5c4e8, v28
	v_fmac_f32_e32 v26, v28, v23
	s_mov_b32 s4, 0x800000
	v_fmac_f32_e32 v27, v28, v26
	v_mov_b32_e32 v23, 0xbb360b61
	v_cmp_lt_f32_e64 s[4:5], |v22|, s4
	v_fmac_f32_e32 v23, v28, v27
	v_cndmask_b32_e64 v27, 0, 32, s[4:5]
	v_ldexp_f32 v27, |v22|, v27
	v_log_f32_e32 v27, v27
	v_mov_b32_e32 v26, 0x3daaaaab
	v_fmac_f32_e32 v26, v28, v23
	v_mov_b32_e32 v23, 0x3ed67f1d
	v_fmac_f32_e32 v23, v25, v26
	s_mov_b32 s6, 0x3f317217
	v_mul_f32_e32 v26, 0x3f317217, v27
	v_fma_f32 v28, v27, s6, -v26
	v_fmac_f32_e32 v28, 0x3377d1cf, v27
	s_mov_b32 s6, 0x7f800000
	v_add_f32_e32 v26, v26, v28
	v_cmp_lt_f32_e64 s[6:7], |v27|, s6
	v_cndmask_b32_e64 v26, v27, v26, s[6:7]
	v_mov_b32_e32 v27, 0x41b17218
	v_cndmask_b32_e64 v27, 0, v27, s[4:5]
	v_sub_f32_e32 v26, v26, v27
	v_add_f32_e64 v25, |v22|, -0.5
	v_add_f32_e32 v26, -1.0, v26
	v_fmac_f32_e32 v23, v25, v26
.LBB152_249:
	s_or_b64 exec, exec, s[14:15]
.LBB152_250:
	s_andn2_saveexec_b64 s[12:13], s[12:13]
	s_cbranch_execz .LBB152_252
; %bb.251:
	v_cvt_i32_f32_e32 v23, v24
	v_mov_b32_e32 v25, 0x3af135b4
	v_mov_b32_e32 v26, 0x3cda40e4
	;; [unrolled: 1-line block ×3, first 2 shown]
	v_cvt_f32_i32_e32 v28, v23
	v_mov_b32_e32 v29, 0x3ea6cc7a
	v_mov_b32_e32 v30, 0x3e5c245a
	v_cmp_lt_i32_e64 s[4:5], 2, v23
	v_sub_f32_e64 v28, |v22|, v28
	v_fmac_f32_e32 v25, 0x3805ff67, v28
	v_fmac_f32_e32 v26, v28, v25
	v_fmac_f32_e32 v27, v28, v26
	v_mov_b32_e32 v26, 0x3a4beed6
	v_fmac_f32_e32 v29, v28, v27
	v_fmac_f32_e32 v26, 0x36f5d7bd, v28
	v_mov_b32_e32 v27, 0x3c98bf54
	v_fmac_f32_e32 v27, v28, v26
	v_mov_b32_e32 v26, 0x3e300f6e
	v_fmac_f32_e32 v26, v28, v27
	v_mov_b32_e32 v27, 0x3f38d0c5
	v_fmac_f32_e32 v27, v28, v26
	v_mov_b32_e32 v26, 0x3fb22d3b
	v_fmac_f32_e32 v26, v28, v27
	v_add_f32_e32 v27, 2.0, v28
	v_mov_b32_e32 v31, 0xbd9e233f
	v_fmac_f32_e32 v30, v28, v29
	v_add_f32_e32 v29, 0x40400000, v28
	v_cndmask_b32_e64 v27, 1.0, v27, s[4:5]
	v_cmp_lt_i32_e64 s[4:5], 3, v23
	v_fmac_f32_e32 v31, v28, v30
	v_add_f32_e32 v30, 4.0, v28
	v_cndmask_b32_e64 v29, 1.0, v29, s[4:5]
	v_cmp_lt_i32_e64 s[4:5], 4, v23
	v_mul_f32_e32 v25, v28, v31
	v_add_f32_e32 v31, 0x40a00000, v28
	v_mul_f32_e32 v27, v27, v29
	v_cndmask_b32_e64 v29, 1.0, v30, s[4:5]
	v_cmp_lt_i32_e64 s[4:5], 5, v23
	v_add_f32_e32 v32, 0x40c00000, v28
	v_mul_f32_e32 v27, v29, v27
	v_cndmask_b32_e64 v29, 1.0, v31, s[4:5]
	v_cmp_lt_i32_e64 s[4:5], 6, v23
	v_mul_f32_e32 v27, v29, v27
	v_cndmask_b32_e64 v23, 1.0, v32, s[4:5]
	v_mul_f32_e32 v23, v23, v27
	s_mov_b32 s4, 0x800000
	v_cmp_gt_f32_e64 s[4:5], s4, v23
	v_cndmask_b32_e64 v27, 0, 32, s[4:5]
	v_fma_f32 v26, v28, v26, 1.0
	v_ldexp_f32 v23, v23, v27
	v_rcp_f32_e32 v26, v26
	v_log_f32_e32 v23, v23
	s_mov_b32 s6, 0x3f317217
	v_mul_f32_e32 v25, v25, v26
	v_mul_f32_e32 v26, 0x3f317217, v23
	v_fma_f32 v27, v23, s6, -v26
	v_fmac_f32_e32 v27, 0x3377d1cf, v23
	s_mov_b32 s6, 0x7f800000
	v_add_f32_e32 v26, v26, v27
	v_cmp_lt_f32_e64 s[6:7], |v23|, s6
	v_cndmask_b32_e64 v23, v23, v26, s[6:7]
	v_mov_b32_e32 v26, 0x41b17218
	v_cndmask_b32_e64 v26, 0, v26, s[4:5]
	v_fmac_f32_e32 v25, 0.5, v28
	v_sub_f32_e32 v23, v23, v26
	v_add_f32_e32 v23, v23, v25
.LBB152_252:
	s_or_b64 exec, exec, s[12:13]
.LBB152_253:
	s_andn2_saveexec_b64 s[10:11], s[10:11]
	s_cbranch_execz .LBB152_271
; %bb.254:
	s_mov_b32 s4, 0x3f666666
	v_cmp_le_f32_e64 s[4:5], |v22|, s4
                                        ; implicit-def: $vgpr23
                                        ; implicit-def: $vgpr26
                                        ; implicit-def: $vgpr25
	s_and_saveexec_b64 s[6:7], s[4:5]
	s_xor_b64 s[12:13], exec, s[6:7]
	s_cbranch_execz .LBB152_256
; %bb.255:
	s_mov_b32 s4, 0x800000
	v_cmp_lt_f32_e64 s[4:5], |v22|, s4
	v_cndmask_b32_e64 v23, 0, 32, s[4:5]
	v_ldexp_f32 v23, |v22|, v23
	v_log_f32_e32 v23, v23
	s_mov_b32 s6, 0x3f317217
	s_mov_b32 s7, 0x7f800000
	v_mul_f32_e32 v25, 0x3f317217, v23
	v_fma_f32 v26, v23, s6, -v25
	v_fmac_f32_e32 v26, 0x3377d1cf, v23
	v_add_f32_e32 v25, v25, v26
	v_cmp_lt_f32_e64 s[6:7], |v23|, s7
	v_cndmask_b32_e64 v23, v23, v25, s[6:7]
	v_mov_b32_e32 v25, 0x41b17218
	v_cndmask_b32_e64 v25, 0, v25, s[4:5]
	s_mov_b32 s4, 0x3f3b4a23
	s_mov_b32 s5, 0xbeec5b0c
	v_sub_f32_e32 v23, v23, v25
	v_sub_f32_e64 v25, 1.0, |v22|
	v_add_f32_e64 v26, |v22|, s5
	v_cmp_lt_f32_e64 s[4:5], |v22|, s4
	v_cndmask_b32_e64 v25, v25, v26, s[4:5]
	v_cndmask_b32_e64 v26, 0, 1, s[4:5]
	s_mov_b32 s4, 0x3e6d3309
	v_cmp_lt_f32_e64 s[4:5], |v22|, s4
	v_xor_b32_e32 v23, 0x80000000, v23
	v_cndmask_b32_e64 v25, v25, |v22|, s[4:5]
	v_cndmask_b32_e64 v26, v26, 2, s[4:5]
.LBB152_256:
	s_andn2_saveexec_b64 s[6:7], s[12:13]
	s_cbranch_execz .LBB152_258
; %bb.257:
	s_mov_b32 s4, 0x3fdda512
	s_mov_b32 s5, 0xbfbb16c3
	v_sub_f32_e64 v23, 2.0, |v22|
	v_add_f32_e64 v25, |v22|, s5
	v_cmp_lt_f32_e64 s[4:5], |v22|, s4
	v_cndmask_b32_e64 v25, v23, v25, s[4:5]
	v_cndmask_b32_e64 v23, v23, 1.0, s[4:5]
	v_cvt_i32_f32_e32 v23, v23
	s_mov_b32 s4, 0x3f9d70a4
	v_add_f32_e64 v26, |v22|, -1.0
	v_cmp_lt_f32_e64 s[4:5], |v22|, s4
	v_cndmask_b32_e64 v25, v25, v26, s[4:5]
	v_cndmask_b32_e64 v26, v23, 2, s[4:5]
	v_mov_b32_e32 v23, 0
.LBB152_258:
	s_or_b64 exec, exec, s[6:7]
	v_cmp_lt_i32_e64 s[4:5], 0, v26
	s_and_saveexec_b64 s[6:7], s[4:5]
	s_xor_b64 s[6:7], exec, s[6:7]
	s_cbranch_execz .LBB152_266
; %bb.259:
	v_cmp_lt_i32_e64 s[4:5], 1, v26
	s_and_saveexec_b64 s[12:13], s[4:5]
	s_xor_b64 s[12:13], exec, s[12:13]
	s_cbranch_execz .LBB152_263
; %bb.260:
	v_cmp_eq_u32_e64 s[4:5], 2, v26
	s_and_saveexec_b64 s[14:15], s[4:5]
	s_cbranch_execz .LBB152_262
; %bb.261:
	v_mov_b32_e32 v26, 0x3e6a7578
	v_fmac_f32_e32 v26, 0x3c5b3c5e, v25
	v_mov_b32_e32 v27, 0x3f7a4bb2
	v_fmac_f32_e32 v27, v25, v26
	;; [unrolled: 2-line block ×8, first 2 shown]
	v_fma_f32 v26, v25, v28, 1.0
	v_rcp_f32_e32 v26, v26
	v_mov_b32_e32 v28, 0xbd9e233f
	v_fmac_f32_e32 v28, v25, v27
	v_mul_f32_e32 v27, v25, v28
	v_mul_f32_e32 v26, v27, v26
	v_fmac_f32_e32 v26, -0.5, v25
	v_add_f32_e32 v23, v23, v26
.LBB152_262:
	s_or_b64 exec, exec, s[14:15]
                                        ; implicit-def: $vgpr25
.LBB152_263:
	s_andn2_saveexec_b64 s[4:5], s[12:13]
	s_cbranch_execz .LBB152_265
; %bb.264:
	v_mul_f32_e32 v26, v25, v25
	v_mul_f32_e32 v27, v25, v26
	v_mov_b32_e32 v28, 0xbab7f476
	v_fmac_f32_e32 v28, 0x39a57b6b, v27
	v_mov_b32_e32 v29, 0x3bc7e707
	v_fmac_f32_e32 v29, v27, v28
	v_mov_b32_e32 v28, 0xbd064d47
	v_fmac_f32_e32 v28, v27, v29
	v_mov_b32_e32 v29, 0x3ef7b95e
	v_fmac_f32_e32 v29, v27, v28
	v_mov_b32_e32 v28, 0x3a66f867
	v_fmac_f32_e32 v28, 0xb9a3f927, v27
	v_mov_b32_e32 v30, 0xbb7177fe
	v_fmac_f32_e32 v30, v27, v28
	v_mov_b32_e32 v28, 0x3c93373d
	v_fmac_f32_e32 v28, v27, v30
	v_mov_b32_e32 v30, 0xbe17213c
	v_fmac_f32_e32 v30, v27, v28
	v_mov_b32_e32 v28, 0xba0d3085
	v_fmac_f32_e32 v28, 0x39afe9f7, v27
	v_mov_b32_e32 v31, 0x3b141699
	v_fmac_f32_e32 v31, v27, v28
	v_mov_b32_e32 v28, 0xbc28fcfe
	v_fmac_f32_e32 v28, v27, v31
	v_mov_b32_e32 v31, 0x3d845a15
	v_fmac_f32_e32 v31, v27, v28
	v_fmac_f32_e32 v30, v25, v31
	s_mov_b32 s12, 0xa2863e55
	v_fma_f32 v25, v27, -v30, s12
	v_fma_f32 v25, v26, v29, -v25
	v_add_f32_e32 v25, 0xbdf8cdce, v25
	v_add_f32_e32 v23, v23, v25
.LBB152_265:
	s_or_b64 exec, exec, s[4:5]
                                        ; implicit-def: $vgpr26
                                        ; implicit-def: $vgpr25
.LBB152_266:
	s_andn2_saveexec_b64 s[6:7], s[6:7]
	s_cbranch_execz .LBB152_270
; %bb.267:
	v_cmp_eq_u32_e64 s[4:5], 0, v26
	s_and_saveexec_b64 s[12:13], s[4:5]
	s_cbranch_execz .LBB152_269
; %bb.268:
	v_mul_f32_e32 v26, v25, v25
	v_mov_b32_e32 v27, 0x39679767
	v_fmac_f32_e32 v27, 0x37d383a2, v26
	v_mov_b32_e32 v28, 0x3a9c54a1
	v_fmac_f32_e32 v28, v26, v27
	;; [unrolled: 2-line block ×10, first 2 shown]
	v_mul_f32_e32 v26, v26, v28
	v_fmac_f32_e32 v26, v25, v27
	v_fmac_f32_e32 v26, -0.5, v25
	v_add_f32_e32 v23, v23, v26
.LBB152_269:
	s_or_b64 exec, exec, s[12:13]
.LBB152_270:
	s_or_b64 exec, exec, s[6:7]
.LBB152_271:
	s_or_b64 exec, exec, s[10:11]
.LBB152_272:
	s_andn2_saveexec_b64 s[8:9], s[8:9]
	s_cbranch_execz .LBB152_274
; %bb.273:
	s_mov_b32 s4, 0x3e8a8991
	v_mov_b32_e32 v23, 0xbecd26ab
	v_fma_f32 v23, |v22|, s4, v23
	s_mov_b32 s4, 0x3f528d33
	v_fma_f32 v23, |v22|, v23, s4
	s_mov_b32 s4, 0x800000
	v_cmp_lt_f32_e64 s[4:5], |v22|, s4
	v_cndmask_b32_e64 v25, 0, 32, s[4:5]
	v_ldexp_f32 v25, |v22|, v25
	v_log_f32_e32 v25, v25
	s_mov_b32 s6, 0xbf13c468
	v_fma_f32 v23, |v22|, v23, s6
	s_mov_b32 s6, 0x3f317217
	v_mul_f32_e32 v26, 0x3f317217, v25
	v_fma_f32 v27, v25, s6, -v26
	v_fmac_f32_e32 v27, 0x3377d1cf, v25
	s_mov_b32 s6, 0x7f800000
	v_add_f32_e32 v26, v26, v27
	v_cmp_lt_f32_e64 s[6:7], |v25|, s6
	v_cndmask_b32_e64 v25, v25, v26, s[6:7]
	v_mov_b32_e32 v26, 0x41b17218
	v_cndmask_b32_e64 v26, 0, v26, s[4:5]
	v_sub_f32_e32 v25, v25, v26
	v_fma_f32 v23, |v22|, v23, -v25
.LBB152_274:
	s_or_b64 exec, exec, s[8:9]
	v_cmp_le_f16_e64 s[4:5], 0, v17
	v_cmp_nle_f16_e64 s[6:7], 0, v17
	s_and_saveexec_b64 s[8:9], s[6:7]
	s_xor_b64 s[10:11], exec, s[8:9]
	s_cbranch_execz .LBB152_278
; %bb.275:
	s_mov_b32 s6, 0x4b000000
	s_mov_b32 s8, 0x35000000
	v_cmp_lt_f32_e64 s[6:7], |v22|, s6
	v_cmp_gt_f32_e64 s[8:9], |v22|, s8
	s_and_b64 s[6:7], s[6:7], s[8:9]
	s_and_saveexec_b64 s[12:13], s[6:7]
	s_cbranch_execz .LBB152_277
; %bb.276:
	v_mul_f32_e64 v25, |v22|, 0.5
	v_floor_f32_e32 v26, v25
	v_sub_f32_e32 v26, v25, v26
	v_min_f32_e32 v26, 0x3f7fffff, v26
	s_mov_b32 s8, 0x7f800000
	v_add_f32_e32 v26, v26, v26
	v_cmp_neq_f32_e64 s[6:7], s8, v25
	v_cndmask_b32_e64 v25, 0, v26, s[6:7]
	v_cmp_gt_f32_e64 s[6:7], |v22|, 1.0
	v_cndmask_b32_e64 v25, |v22|, v25, s[6:7]
	v_add_f32_e32 v26, v25, v25
	v_rndne_f32_e32 v26, v26
	v_fmac_f32_e32 v25, -0.5, v26
	v_mul_f32_e32 v27, v25, v25
	v_mov_b32_e32 v28, 0xbf1f24be
	v_fmac_f32_e32 v28, 0x3e75aa41, v27
	v_mov_b32_e32 v29, 0x40234736
	v_fmac_f32_e32 v29, v27, v28
	;; [unrolled: 2-line block ×3, first 2 shown]
	v_mul_f32_e32 v29, v25, v27
	v_mul_f32_e32 v28, v29, v28
	v_fmac_f32_e32 v28, 0x40490fdb, v25
	v_mov_b32_e32 v25, 0x3e642e9d
	v_cvt_i32_f32_e32 v26, v26
	v_fmac_f32_e32 v25, 0x3d4be544, v27
	v_mov_b32_e32 v29, 0xbfaad1da
	v_fmac_f32_e32 v29, v27, v25
	v_mov_b32_e32 v25, 0x4081e0d3
	;; [unrolled: 2-line block ×3, first 2 shown]
	v_fmac_f32_e32 v29, v27, v25
	v_fma_f32 v25, v27, v29, 1.0
	v_and_b32_e32 v27, 1, v26
	v_lshlrev_b32_e32 v26, 30, v26
	v_cmp_eq_u32_e64 s[6:7], 0, v27
	v_and_b32_e32 v26, 0x80000000, v26
	v_xor_b32_e32 v24, v24, v22
	v_cndmask_b32_e64 v25, v25, v28, s[6:7]
	v_xor_b32_e32 v24, v24, v26
	v_xor_b32_e32 v24, v24, v25
	v_mul_f32_e32 v24, v22, v24
	v_frexp_mant_f32_e64 v25, |v24|
	v_rcp_f32_e32 v25, v25
	v_frexp_exp_i32_f32_e32 v24, v24
	v_sub_u32_e32 v24, 2, v24
	s_mov_b32 s6, 0x800000
	v_mul_f32_e32 v25, 0x3f490fdb, v25
	v_ldexp_f32 v24, v25, v24
	v_cmp_gt_f32_e64 s[6:7], s6, v24
	v_cndmask_b32_e64 v25, 0, 32, s[6:7]
	v_ldexp_f32 v24, v24, v25
	v_log_f32_e32 v24, v24
	s_mov_b32 s9, 0x3f317217
	v_mul_f32_e32 v25, 0x3f317217, v24
	v_fma_f32 v26, v24, s9, -v25
	v_fmac_f32_e32 v26, 0x3377d1cf, v24
	v_add_f32_e32 v25, v25, v26
	v_cmp_lt_f32_e64 s[8:9], |v24|, s8
	v_cndmask_b32_e64 v24, v24, v25, s[8:9]
	v_mov_b32_e32 v25, 0x41b17218
	v_cndmask_b32_e64 v25, 0, v25, s[6:7]
	v_sub_f32_e32 v24, v24, v25
	v_sub_f32_e32 v23, v24, v23
	v_floor_f32_e32 v24, v22
	v_sub_f32_e32 v24, v22, v24
	v_min_f32_e32 v24, 0x3f7fffff, v24
	v_mov_b32_e32 v25, 0x7f800000
	v_cmp_neq_f32_e64 s[6:7], 0, v24
	v_cndmask_b32_e64 v23, v25, v23, s[6:7]
.LBB152_277:
	s_or_b64 exec, exec, s[12:13]
.LBB152_278:
	s_andn2_saveexec_b64 s[10:11], s[10:11]
; %bb.279:
	v_cmp_eq_f16_e64 s[6:7], 1.0, v17
	v_cmp_eq_f16_e64 s[8:9], 2.0, v17
	s_or_b64 s[6:7], s[6:7], s[8:9]
	v_cndmask_b32_e64 v23, v23, 0, s[6:7]
; %bb.280:
	s_or_b64 exec, exec, s[10:11]
	global_load_ushort v15, v15, s[22:23]
	s_mov_b32 s6, 0x3c800000
                                        ; implicit-def: $vgpr25
	s_waitcnt vmcnt(0)
	v_cvt_f32_f16_e32 v24, v15
	v_and_b32_e32 v26, 0x7fffffff, v24
	v_cmp_nlt_f32_e64 s[6:7], |v24|, s6
	s_and_saveexec_b64 s[8:9], s[6:7]
	s_xor_b64 s[10:11], exec, s[8:9]
	s_cbranch_execz .LBB152_310
; %bb.281:
	v_cmp_nlt_f32_e64 s[6:7], |v24|, 2.0
                                        ; implicit-def: $vgpr25
	s_and_saveexec_b64 s[8:9], s[6:7]
	s_xor_b64 s[12:13], exec, s[8:9]
	s_cbranch_execz .LBB152_291
; %bb.282:
	s_mov_b32 s6, 0x41000000
	v_cmp_nlt_f32_e64 s[6:7], |v24|, s6
                                        ; implicit-def: $vgpr25
	s_and_saveexec_b64 s[8:9], s[6:7]
	s_xor_b64 s[14:15], exec, s[8:9]
	s_cbranch_execz .LBB152_288
; %bb.283:
	s_mov_b32 s6, 0x5c800000
	v_cmp_nlt_f32_e64 s[6:7], |v24|, s6
                                        ; implicit-def: $vgpr25
	s_and_saveexec_b64 s[8:9], s[6:7]
	s_xor_b64 s[16:17], exec, s[8:9]
	s_cbranch_execz .LBB152_285
; %bb.284:
	s_mov_b32 s6, 0x800000
	v_cmp_lt_f32_e64 s[6:7], |v24|, s6
	v_cndmask_b32_e64 v25, 0, 32, s[6:7]
	v_ldexp_f32 v25, |v24|, v25
	v_log_f32_e32 v25, v25
	s_mov_b32 s8, 0x3f317217
	s_mov_b32 s9, 0x7f800000
	v_mul_f32_e32 v27, 0x3f317217, v25
	v_fma_f32 v28, v25, s8, -v27
	v_fmac_f32_e32 v28, 0x3377d1cf, v25
	v_add_f32_e32 v27, v27, v28
	v_cmp_lt_f32_e64 s[8:9], |v25|, s9
	v_cndmask_b32_e64 v25, v25, v27, s[8:9]
	v_mov_b32_e32 v27, 0x41b17218
	v_cndmask_b32_e64 v27, 0, v27, s[6:7]
	v_sub_f32_e32 v25, v25, v27
	v_fma_f32 v25, |v24|, v25, -|v24|
.LBB152_285:
	s_andn2_saveexec_b64 s[16:17], s[16:17]
	s_cbranch_execz .LBB152_287
; %bb.286:
	v_rcp_f32_e64 v27, |v24|
	v_mov_b32_e32 v25, 0x3a5b3dd2
	v_mov_b32_e32 v28, 0xba1c065c
	v_mov_b32_e32 v29, 0x3a500cfd
	v_mul_f32_e32 v30, v27, v27
	v_fmac_f32_e32 v25, 0xbad5c4e8, v30
	v_fmac_f32_e32 v28, v30, v25
	s_mov_b32 s6, 0x800000
	v_fmac_f32_e32 v29, v30, v28
	v_mov_b32_e32 v25, 0xbb360b61
	v_cmp_lt_f32_e64 s[6:7], |v24|, s6
	v_fmac_f32_e32 v25, v30, v29
	v_cndmask_b32_e64 v29, 0, 32, s[6:7]
	v_ldexp_f32 v29, |v24|, v29
	v_log_f32_e32 v29, v29
	v_mov_b32_e32 v28, 0x3daaaaab
	v_fmac_f32_e32 v28, v30, v25
	v_mov_b32_e32 v25, 0x3ed67f1d
	v_fmac_f32_e32 v25, v27, v28
	s_mov_b32 s8, 0x3f317217
	v_mul_f32_e32 v28, 0x3f317217, v29
	v_fma_f32 v30, v29, s8, -v28
	v_fmac_f32_e32 v30, 0x3377d1cf, v29
	s_mov_b32 s8, 0x7f800000
	v_add_f32_e32 v28, v28, v30
	v_cmp_lt_f32_e64 s[8:9], |v29|, s8
	v_cndmask_b32_e64 v28, v29, v28, s[8:9]
	v_mov_b32_e32 v29, 0x41b17218
	v_cndmask_b32_e64 v29, 0, v29, s[6:7]
	v_sub_f32_e32 v28, v28, v29
	v_add_f32_e64 v27, |v24|, -0.5
	v_add_f32_e32 v28, -1.0, v28
	v_fmac_f32_e32 v25, v27, v28
.LBB152_287:
	s_or_b64 exec, exec, s[16:17]
.LBB152_288:
	s_andn2_saveexec_b64 s[14:15], s[14:15]
	s_cbranch_execz .LBB152_290
; %bb.289:
	v_cvt_i32_f32_e32 v25, v26
	v_mov_b32_e32 v27, 0x3af135b4
	v_mov_b32_e32 v28, 0x3cda40e4
	;; [unrolled: 1-line block ×3, first 2 shown]
	v_cvt_f32_i32_e32 v30, v25
	v_mov_b32_e32 v31, 0x3ea6cc7a
	v_mov_b32_e32 v32, 0x3e5c245a
	v_cmp_lt_i32_e64 s[6:7], 2, v25
	v_sub_f32_e64 v30, |v24|, v30
	v_fmac_f32_e32 v27, 0x3805ff67, v30
	v_fmac_f32_e32 v28, v30, v27
	;; [unrolled: 1-line block ×3, first 2 shown]
	v_mov_b32_e32 v28, 0x3a4beed6
	v_fmac_f32_e32 v31, v30, v29
	v_fmac_f32_e32 v28, 0x36f5d7bd, v30
	v_mov_b32_e32 v29, 0x3c98bf54
	v_fmac_f32_e32 v29, v30, v28
	v_mov_b32_e32 v28, 0x3e300f6e
	;; [unrolled: 2-line block ×4, first 2 shown]
	v_fmac_f32_e32 v28, v30, v29
	v_add_f32_e32 v29, 2.0, v30
	v_mov_b32_e32 v33, 0xbd9e233f
	v_fmac_f32_e32 v32, v30, v31
	v_add_f32_e32 v31, 0x40400000, v30
	v_cndmask_b32_e64 v29, 1.0, v29, s[6:7]
	v_cmp_lt_i32_e64 s[6:7], 3, v25
	v_fmac_f32_e32 v33, v30, v32
	v_add_f32_e32 v32, 4.0, v30
	v_cndmask_b32_e64 v31, 1.0, v31, s[6:7]
	v_cmp_lt_i32_e64 s[6:7], 4, v25
	v_mul_f32_e32 v27, v30, v33
	v_add_f32_e32 v33, 0x40a00000, v30
	v_mul_f32_e32 v29, v29, v31
	v_cndmask_b32_e64 v31, 1.0, v32, s[6:7]
	v_cmp_lt_i32_e64 s[6:7], 5, v25
	v_add_f32_e32 v34, 0x40c00000, v30
	v_mul_f32_e32 v29, v31, v29
	v_cndmask_b32_e64 v31, 1.0, v33, s[6:7]
	v_cmp_lt_i32_e64 s[6:7], 6, v25
	v_mul_f32_e32 v29, v31, v29
	v_cndmask_b32_e64 v25, 1.0, v34, s[6:7]
	v_mul_f32_e32 v25, v25, v29
	s_mov_b32 s6, 0x800000
	v_cmp_gt_f32_e64 s[6:7], s6, v25
	v_cndmask_b32_e64 v29, 0, 32, s[6:7]
	v_fma_f32 v28, v30, v28, 1.0
	v_ldexp_f32 v25, v25, v29
	v_rcp_f32_e32 v28, v28
	v_log_f32_e32 v25, v25
	s_mov_b32 s8, 0x3f317217
	v_mul_f32_e32 v27, v27, v28
	v_mul_f32_e32 v28, 0x3f317217, v25
	v_fma_f32 v29, v25, s8, -v28
	v_fmac_f32_e32 v29, 0x3377d1cf, v25
	s_mov_b32 s8, 0x7f800000
	v_add_f32_e32 v28, v28, v29
	v_cmp_lt_f32_e64 s[8:9], |v25|, s8
	v_cndmask_b32_e64 v25, v25, v28, s[8:9]
	v_mov_b32_e32 v28, 0x41b17218
	v_cndmask_b32_e64 v28, 0, v28, s[6:7]
	v_fmac_f32_e32 v27, 0.5, v30
	v_sub_f32_e32 v25, v25, v28
	v_add_f32_e32 v25, v25, v27
.LBB152_290:
	s_or_b64 exec, exec, s[14:15]
.LBB152_291:
	s_andn2_saveexec_b64 s[12:13], s[12:13]
	s_cbranch_execz .LBB152_309
; %bb.292:
	s_mov_b32 s6, 0x3f666666
	v_cmp_le_f32_e64 s[6:7], |v24|, s6
                                        ; implicit-def: $vgpr25
                                        ; implicit-def: $vgpr28
                                        ; implicit-def: $vgpr27
	s_and_saveexec_b64 s[8:9], s[6:7]
	s_xor_b64 s[14:15], exec, s[8:9]
	s_cbranch_execz .LBB152_294
; %bb.293:
	s_mov_b32 s6, 0x800000
	v_cmp_lt_f32_e64 s[6:7], |v24|, s6
	v_cndmask_b32_e64 v25, 0, 32, s[6:7]
	v_ldexp_f32 v25, |v24|, v25
	v_log_f32_e32 v25, v25
	s_mov_b32 s8, 0x3f317217
	s_mov_b32 s9, 0x7f800000
	v_mul_f32_e32 v27, 0x3f317217, v25
	v_fma_f32 v28, v25, s8, -v27
	v_fmac_f32_e32 v28, 0x3377d1cf, v25
	v_add_f32_e32 v27, v27, v28
	v_cmp_lt_f32_e64 s[8:9], |v25|, s9
	v_cndmask_b32_e64 v25, v25, v27, s[8:9]
	v_mov_b32_e32 v27, 0x41b17218
	v_cndmask_b32_e64 v27, 0, v27, s[6:7]
	s_mov_b32 s6, 0x3f3b4a23
	s_mov_b32 s7, 0xbeec5b0c
	v_sub_f32_e32 v25, v25, v27
	v_sub_f32_e64 v27, 1.0, |v24|
	v_add_f32_e64 v28, |v24|, s7
	v_cmp_lt_f32_e64 s[6:7], |v24|, s6
	v_cndmask_b32_e64 v27, v27, v28, s[6:7]
	v_cndmask_b32_e64 v28, 0, 1, s[6:7]
	s_mov_b32 s6, 0x3e6d3309
	v_cmp_lt_f32_e64 s[6:7], |v24|, s6
	v_xor_b32_e32 v25, 0x80000000, v25
	v_cndmask_b32_e64 v27, v27, |v24|, s[6:7]
	v_cndmask_b32_e64 v28, v28, 2, s[6:7]
.LBB152_294:
	s_andn2_saveexec_b64 s[8:9], s[14:15]
	s_cbranch_execz .LBB152_296
; %bb.295:
	s_mov_b32 s6, 0x3fdda512
	s_mov_b32 s7, 0xbfbb16c3
	v_sub_f32_e64 v25, 2.0, |v24|
	v_add_f32_e64 v27, |v24|, s7
	v_cmp_lt_f32_e64 s[6:7], |v24|, s6
	v_cndmask_b32_e64 v27, v25, v27, s[6:7]
	v_cndmask_b32_e64 v25, v25, 1.0, s[6:7]
	v_cvt_i32_f32_e32 v25, v25
	s_mov_b32 s6, 0x3f9d70a4
	v_add_f32_e64 v28, |v24|, -1.0
	v_cmp_lt_f32_e64 s[6:7], |v24|, s6
	v_cndmask_b32_e64 v27, v27, v28, s[6:7]
	v_cndmask_b32_e64 v28, v25, 2, s[6:7]
	v_mov_b32_e32 v25, 0
.LBB152_296:
	s_or_b64 exec, exec, s[8:9]
	v_cmp_lt_i32_e64 s[6:7], 0, v28
	s_and_saveexec_b64 s[8:9], s[6:7]
	s_xor_b64 s[8:9], exec, s[8:9]
	s_cbranch_execz .LBB152_304
; %bb.297:
	v_cmp_lt_i32_e64 s[6:7], 1, v28
	s_and_saveexec_b64 s[14:15], s[6:7]
	s_xor_b64 s[14:15], exec, s[14:15]
	s_cbranch_execz .LBB152_301
; %bb.298:
	v_cmp_eq_u32_e64 s[6:7], 2, v28
	s_and_saveexec_b64 s[16:17], s[6:7]
	s_cbranch_execz .LBB152_300
; %bb.299:
	v_mov_b32_e32 v28, 0x3e6a7578
	v_fmac_f32_e32 v28, 0x3c5b3c5e, v27
	v_mov_b32_e32 v29, 0x3f7a4bb2
	v_fmac_f32_e32 v29, v27, v28
	;; [unrolled: 2-line block ×8, first 2 shown]
	v_fma_f32 v28, v27, v30, 1.0
	v_rcp_f32_e32 v28, v28
	v_mov_b32_e32 v30, 0xbd9e233f
	v_fmac_f32_e32 v30, v27, v29
	v_mul_f32_e32 v29, v27, v30
	v_mul_f32_e32 v28, v29, v28
	v_fmac_f32_e32 v28, -0.5, v27
	v_add_f32_e32 v25, v25, v28
.LBB152_300:
	s_or_b64 exec, exec, s[16:17]
                                        ; implicit-def: $vgpr27
.LBB152_301:
	s_andn2_saveexec_b64 s[6:7], s[14:15]
	s_cbranch_execz .LBB152_303
; %bb.302:
	v_mul_f32_e32 v28, v27, v27
	v_mul_f32_e32 v29, v27, v28
	v_mov_b32_e32 v30, 0xbab7f476
	v_fmac_f32_e32 v30, 0x39a57b6b, v29
	v_mov_b32_e32 v31, 0x3bc7e707
	v_fmac_f32_e32 v31, v29, v30
	;; [unrolled: 2-line block ×12, first 2 shown]
	v_fmac_f32_e32 v32, v27, v33
	s_mov_b32 s14, 0xa2863e55
	v_fma_f32 v27, v29, -v32, s14
	v_fma_f32 v27, v28, v31, -v27
	v_add_f32_e32 v27, 0xbdf8cdce, v27
	v_add_f32_e32 v25, v25, v27
.LBB152_303:
	s_or_b64 exec, exec, s[6:7]
                                        ; implicit-def: $vgpr28
                                        ; implicit-def: $vgpr27
.LBB152_304:
	s_andn2_saveexec_b64 s[8:9], s[8:9]
	s_cbranch_execz .LBB152_308
; %bb.305:
	v_cmp_eq_u32_e64 s[6:7], 0, v28
	s_and_saveexec_b64 s[14:15], s[6:7]
	s_cbranch_execz .LBB152_307
; %bb.306:
	v_mul_f32_e32 v28, v27, v27
	v_mov_b32_e32 v29, 0x39679767
	v_fmac_f32_e32 v29, 0x37d383a2, v28
	v_mov_b32_e32 v30, 0x3a9c54a1
	v_fmac_f32_e32 v30, v28, v29
	;; [unrolled: 2-line block ×10, first 2 shown]
	v_mul_f32_e32 v28, v28, v30
	v_fmac_f32_e32 v28, v27, v29
	v_fmac_f32_e32 v28, -0.5, v27
	v_add_f32_e32 v25, v25, v28
.LBB152_307:
	s_or_b64 exec, exec, s[14:15]
.LBB152_308:
	s_or_b64 exec, exec, s[8:9]
.LBB152_309:
	s_or_b64 exec, exec, s[12:13]
.LBB152_310:
	s_andn2_saveexec_b64 s[10:11], s[10:11]
	s_cbranch_execz .LBB152_312
; %bb.311:
	s_mov_b32 s6, 0x3e8a8991
	v_mov_b32_e32 v25, 0xbecd26ab
	v_fma_f32 v25, |v24|, s6, v25
	s_mov_b32 s6, 0x3f528d33
	v_fma_f32 v25, |v24|, v25, s6
	s_mov_b32 s6, 0x800000
	v_cmp_lt_f32_e64 s[6:7], |v24|, s6
	v_cndmask_b32_e64 v27, 0, 32, s[6:7]
	v_ldexp_f32 v27, |v24|, v27
	v_log_f32_e32 v27, v27
	s_mov_b32 s8, 0xbf13c468
	v_fma_f32 v25, |v24|, v25, s8
	s_mov_b32 s8, 0x3f317217
	v_mul_f32_e32 v28, 0x3f317217, v27
	v_fma_f32 v29, v27, s8, -v28
	v_fmac_f32_e32 v29, 0x3377d1cf, v27
	s_mov_b32 s8, 0x7f800000
	v_add_f32_e32 v28, v28, v29
	v_cmp_lt_f32_e64 s[8:9], |v27|, s8
	v_cndmask_b32_e64 v27, v27, v28, s[8:9]
	v_mov_b32_e32 v28, 0x41b17218
	v_cndmask_b32_e64 v28, 0, v28, s[6:7]
	v_sub_f32_e32 v27, v27, v28
	v_fma_f32 v25, |v24|, v25, -v27
.LBB152_312:
	s_or_b64 exec, exec, s[10:11]
	v_cmp_le_f16_e64 s[6:7], 0, v15
	v_cmp_nle_f16_e64 s[8:9], 0, v15
	s_and_saveexec_b64 s[10:11], s[8:9]
	s_xor_b64 s[12:13], exec, s[10:11]
	s_cbranch_execz .LBB152_316
; %bb.313:
	s_mov_b32 s8, 0x4b000000
	s_mov_b32 s10, 0x35000000
	v_cmp_lt_f32_e64 s[8:9], |v24|, s8
	v_cmp_gt_f32_e64 s[10:11], |v24|, s10
	s_and_b64 s[8:9], s[8:9], s[10:11]
	s_and_saveexec_b64 s[14:15], s[8:9]
	s_cbranch_execz .LBB152_315
; %bb.314:
	v_mul_f32_e64 v27, |v24|, 0.5
	v_floor_f32_e32 v28, v27
	v_sub_f32_e32 v28, v27, v28
	v_min_f32_e32 v28, 0x3f7fffff, v28
	s_mov_b32 s10, 0x7f800000
	v_add_f32_e32 v28, v28, v28
	v_cmp_neq_f32_e64 s[8:9], s10, v27
	v_cndmask_b32_e64 v27, 0, v28, s[8:9]
	v_cmp_gt_f32_e64 s[8:9], |v24|, 1.0
	v_cndmask_b32_e64 v27, |v24|, v27, s[8:9]
	v_add_f32_e32 v28, v27, v27
	v_rndne_f32_e32 v28, v28
	v_fmac_f32_e32 v27, -0.5, v28
	v_mul_f32_e32 v29, v27, v27
	v_mov_b32_e32 v30, 0xbf1f24be
	v_fmac_f32_e32 v30, 0x3e75aa41, v29
	v_mov_b32_e32 v31, 0x40234736
	v_fmac_f32_e32 v31, v29, v30
	;; [unrolled: 2-line block ×3, first 2 shown]
	v_mul_f32_e32 v31, v27, v29
	v_mul_f32_e32 v30, v31, v30
	v_fmac_f32_e32 v30, 0x40490fdb, v27
	v_mov_b32_e32 v27, 0x3e642e9d
	v_cvt_i32_f32_e32 v28, v28
	v_fmac_f32_e32 v27, 0x3d4be544, v29
	v_mov_b32_e32 v31, 0xbfaad1da
	v_fmac_f32_e32 v31, v29, v27
	v_mov_b32_e32 v27, 0x4081e0d3
	;; [unrolled: 2-line block ×3, first 2 shown]
	v_fmac_f32_e32 v31, v29, v27
	v_fma_f32 v27, v29, v31, 1.0
	v_and_b32_e32 v29, 1, v28
	v_lshlrev_b32_e32 v28, 30, v28
	v_cmp_eq_u32_e64 s[8:9], 0, v29
	v_and_b32_e32 v28, 0x80000000, v28
	v_xor_b32_e32 v26, v26, v24
	v_cndmask_b32_e64 v27, v27, v30, s[8:9]
	v_xor_b32_e32 v26, v26, v28
	v_xor_b32_e32 v26, v26, v27
	v_mul_f32_e32 v26, v24, v26
	v_frexp_mant_f32_e64 v27, |v26|
	v_rcp_f32_e32 v27, v27
	v_frexp_exp_i32_f32_e32 v26, v26
	v_sub_u32_e32 v26, 2, v26
	s_mov_b32 s8, 0x800000
	v_mul_f32_e32 v27, 0x3f490fdb, v27
	v_ldexp_f32 v26, v27, v26
	v_cmp_gt_f32_e64 s[8:9], s8, v26
	v_cndmask_b32_e64 v27, 0, 32, s[8:9]
	v_ldexp_f32 v26, v26, v27
	v_log_f32_e32 v26, v26
	s_mov_b32 s11, 0x3f317217
	v_mul_f32_e32 v27, 0x3f317217, v26
	v_fma_f32 v28, v26, s11, -v27
	v_fmac_f32_e32 v28, 0x3377d1cf, v26
	v_add_f32_e32 v27, v27, v28
	v_cmp_lt_f32_e64 s[10:11], |v26|, s10
	v_cndmask_b32_e64 v26, v26, v27, s[10:11]
	v_mov_b32_e32 v27, 0x41b17218
	v_cndmask_b32_e64 v27, 0, v27, s[8:9]
	v_sub_f32_e32 v26, v26, v27
	v_sub_f32_e32 v25, v26, v25
	v_floor_f32_e32 v26, v24
	v_sub_f32_e32 v26, v24, v26
	v_min_f32_e32 v26, 0x3f7fffff, v26
	v_mov_b32_e32 v27, 0x7f800000
	v_cmp_neq_f32_e64 s[8:9], 0, v26
	v_cndmask_b32_e64 v25, v27, v25, s[8:9]
.LBB152_315:
	s_or_b64 exec, exec, s[14:15]
.LBB152_316:
	s_andn2_saveexec_b64 s[12:13], s[12:13]
; %bb.317:
	v_cmp_eq_f16_e64 s[8:9], 1.0, v15
	v_cmp_eq_f16_e64 s[10:11], 2.0, v15
	s_or_b64 s[8:9], s[8:9], s[10:11]
	v_cndmask_b32_e64 v25, v25, 0, s[8:9]
; %bb.318:
	s_or_b64 exec, exec, s[12:13]
	global_load_ushort v13, v13, s[22:23]
	s_mov_b32 s8, 0x3c800000
                                        ; implicit-def: $vgpr27
	s_waitcnt vmcnt(0)
	v_cvt_f32_f16_e32 v26, v13
	v_and_b32_e32 v28, 0x7fffffff, v26
	v_cmp_nlt_f32_e64 s[8:9], |v26|, s8
	s_and_saveexec_b64 s[10:11], s[8:9]
	s_xor_b64 s[12:13], exec, s[10:11]
	s_cbranch_execz .LBB152_348
; %bb.319:
	v_cmp_nlt_f32_e64 s[8:9], |v26|, 2.0
                                        ; implicit-def: $vgpr27
	s_and_saveexec_b64 s[10:11], s[8:9]
	s_xor_b64 s[14:15], exec, s[10:11]
	s_cbranch_execz .LBB152_329
; %bb.320:
	s_mov_b32 s8, 0x41000000
	v_cmp_nlt_f32_e64 s[8:9], |v26|, s8
                                        ; implicit-def: $vgpr27
	s_and_saveexec_b64 s[10:11], s[8:9]
	s_xor_b64 s[16:17], exec, s[10:11]
	s_cbranch_execz .LBB152_326
; %bb.321:
	s_mov_b32 s8, 0x5c800000
	v_cmp_nlt_f32_e64 s[8:9], |v26|, s8
                                        ; implicit-def: $vgpr27
	s_and_saveexec_b64 s[10:11], s[8:9]
	s_xor_b64 s[18:19], exec, s[10:11]
	s_cbranch_execz .LBB152_323
; %bb.322:
	s_mov_b32 s8, 0x800000
	v_cmp_lt_f32_e64 s[8:9], |v26|, s8
	v_cndmask_b32_e64 v27, 0, 32, s[8:9]
	v_ldexp_f32 v27, |v26|, v27
	v_log_f32_e32 v27, v27
	s_mov_b32 s10, 0x3f317217
	s_mov_b32 s11, 0x7f800000
	v_mul_f32_e32 v29, 0x3f317217, v27
	v_fma_f32 v30, v27, s10, -v29
	v_fmac_f32_e32 v30, 0x3377d1cf, v27
	v_add_f32_e32 v29, v29, v30
	v_cmp_lt_f32_e64 s[10:11], |v27|, s11
	v_cndmask_b32_e64 v27, v27, v29, s[10:11]
	v_mov_b32_e32 v29, 0x41b17218
	v_cndmask_b32_e64 v29, 0, v29, s[8:9]
	v_sub_f32_e32 v27, v27, v29
	v_fma_f32 v27, |v26|, v27, -|v26|
.LBB152_323:
	s_andn2_saveexec_b64 s[18:19], s[18:19]
	s_cbranch_execz .LBB152_325
; %bb.324:
	v_rcp_f32_e64 v29, |v26|
	v_mov_b32_e32 v27, 0x3a5b3dd2
	v_mov_b32_e32 v30, 0xba1c065c
	;; [unrolled: 1-line block ×3, first 2 shown]
	v_mul_f32_e32 v32, v29, v29
	v_fmac_f32_e32 v27, 0xbad5c4e8, v32
	v_fmac_f32_e32 v30, v32, v27
	s_mov_b32 s8, 0x800000
	v_fmac_f32_e32 v31, v32, v30
	v_mov_b32_e32 v27, 0xbb360b61
	v_cmp_lt_f32_e64 s[8:9], |v26|, s8
	v_fmac_f32_e32 v27, v32, v31
	v_cndmask_b32_e64 v31, 0, 32, s[8:9]
	v_ldexp_f32 v31, |v26|, v31
	v_log_f32_e32 v31, v31
	v_mov_b32_e32 v30, 0x3daaaaab
	v_fmac_f32_e32 v30, v32, v27
	v_mov_b32_e32 v27, 0x3ed67f1d
	v_fmac_f32_e32 v27, v29, v30
	s_mov_b32 s10, 0x3f317217
	v_mul_f32_e32 v30, 0x3f317217, v31
	v_fma_f32 v32, v31, s10, -v30
	v_fmac_f32_e32 v32, 0x3377d1cf, v31
	s_mov_b32 s10, 0x7f800000
	v_add_f32_e32 v30, v30, v32
	v_cmp_lt_f32_e64 s[10:11], |v31|, s10
	v_cndmask_b32_e64 v30, v31, v30, s[10:11]
	v_mov_b32_e32 v31, 0x41b17218
	v_cndmask_b32_e64 v31, 0, v31, s[8:9]
	v_sub_f32_e32 v30, v30, v31
	v_add_f32_e64 v29, |v26|, -0.5
	v_add_f32_e32 v30, -1.0, v30
	v_fmac_f32_e32 v27, v29, v30
.LBB152_325:
	s_or_b64 exec, exec, s[18:19]
.LBB152_326:
	s_andn2_saveexec_b64 s[16:17], s[16:17]
	s_cbranch_execz .LBB152_328
; %bb.327:
	v_cvt_i32_f32_e32 v27, v28
	v_mov_b32_e32 v29, 0x3af135b4
	v_mov_b32_e32 v30, 0x3cda40e4
	v_mov_b32_e32 v31, 0x3e15dce6
	v_cvt_f32_i32_e32 v32, v27
	v_mov_b32_e32 v33, 0x3ea6cc7a
	v_mov_b32_e32 v34, 0x3e5c245a
	v_cmp_lt_i32_e64 s[8:9], 2, v27
	v_sub_f32_e64 v32, |v26|, v32
	v_fmac_f32_e32 v29, 0x3805ff67, v32
	v_fmac_f32_e32 v30, v32, v29
	;; [unrolled: 1-line block ×3, first 2 shown]
	v_mov_b32_e32 v30, 0x3a4beed6
	v_fmac_f32_e32 v33, v32, v31
	v_fmac_f32_e32 v30, 0x36f5d7bd, v32
	v_mov_b32_e32 v31, 0x3c98bf54
	v_fmac_f32_e32 v31, v32, v30
	v_mov_b32_e32 v30, 0x3e300f6e
	;; [unrolled: 2-line block ×4, first 2 shown]
	v_fmac_f32_e32 v30, v32, v31
	v_add_f32_e32 v31, 2.0, v32
	v_mov_b32_e32 v35, 0xbd9e233f
	v_fmac_f32_e32 v34, v32, v33
	v_add_f32_e32 v33, 0x40400000, v32
	v_cndmask_b32_e64 v31, 1.0, v31, s[8:9]
	v_cmp_lt_i32_e64 s[8:9], 3, v27
	v_fmac_f32_e32 v35, v32, v34
	v_add_f32_e32 v34, 4.0, v32
	v_cndmask_b32_e64 v33, 1.0, v33, s[8:9]
	v_cmp_lt_i32_e64 s[8:9], 4, v27
	v_mul_f32_e32 v29, v32, v35
	v_add_f32_e32 v35, 0x40a00000, v32
	v_mul_f32_e32 v31, v31, v33
	v_cndmask_b32_e64 v33, 1.0, v34, s[8:9]
	v_cmp_lt_i32_e64 s[8:9], 5, v27
	v_add_f32_e32 v36, 0x40c00000, v32
	v_mul_f32_e32 v31, v33, v31
	v_cndmask_b32_e64 v33, 1.0, v35, s[8:9]
	v_cmp_lt_i32_e64 s[8:9], 6, v27
	v_mul_f32_e32 v31, v33, v31
	v_cndmask_b32_e64 v27, 1.0, v36, s[8:9]
	v_mul_f32_e32 v27, v27, v31
	s_mov_b32 s8, 0x800000
	v_cmp_gt_f32_e64 s[8:9], s8, v27
	v_cndmask_b32_e64 v31, 0, 32, s[8:9]
	v_fma_f32 v30, v32, v30, 1.0
	v_ldexp_f32 v27, v27, v31
	v_rcp_f32_e32 v30, v30
	v_log_f32_e32 v27, v27
	s_mov_b32 s10, 0x3f317217
	v_mul_f32_e32 v29, v29, v30
	v_mul_f32_e32 v30, 0x3f317217, v27
	v_fma_f32 v31, v27, s10, -v30
	v_fmac_f32_e32 v31, 0x3377d1cf, v27
	s_mov_b32 s10, 0x7f800000
	v_add_f32_e32 v30, v30, v31
	v_cmp_lt_f32_e64 s[10:11], |v27|, s10
	v_cndmask_b32_e64 v27, v27, v30, s[10:11]
	v_mov_b32_e32 v30, 0x41b17218
	v_cndmask_b32_e64 v30, 0, v30, s[8:9]
	v_fmac_f32_e32 v29, 0.5, v32
	v_sub_f32_e32 v27, v27, v30
	v_add_f32_e32 v27, v27, v29
.LBB152_328:
	s_or_b64 exec, exec, s[16:17]
.LBB152_329:
	s_andn2_saveexec_b64 s[14:15], s[14:15]
	s_cbranch_execz .LBB152_347
; %bb.330:
	s_mov_b32 s8, 0x3f666666
	v_cmp_le_f32_e64 s[8:9], |v26|, s8
                                        ; implicit-def: $vgpr27
                                        ; implicit-def: $vgpr30
                                        ; implicit-def: $vgpr29
	s_and_saveexec_b64 s[10:11], s[8:9]
	s_xor_b64 s[16:17], exec, s[10:11]
	s_cbranch_execz .LBB152_332
; %bb.331:
	s_mov_b32 s8, 0x800000
	v_cmp_lt_f32_e64 s[8:9], |v26|, s8
	v_cndmask_b32_e64 v27, 0, 32, s[8:9]
	v_ldexp_f32 v27, |v26|, v27
	v_log_f32_e32 v27, v27
	s_mov_b32 s10, 0x3f317217
	s_mov_b32 s11, 0x7f800000
	v_mul_f32_e32 v29, 0x3f317217, v27
	v_fma_f32 v30, v27, s10, -v29
	v_fmac_f32_e32 v30, 0x3377d1cf, v27
	v_add_f32_e32 v29, v29, v30
	v_cmp_lt_f32_e64 s[10:11], |v27|, s11
	v_cndmask_b32_e64 v27, v27, v29, s[10:11]
	v_mov_b32_e32 v29, 0x41b17218
	v_cndmask_b32_e64 v29, 0, v29, s[8:9]
	s_mov_b32 s8, 0x3f3b4a23
	s_mov_b32 s9, 0xbeec5b0c
	v_sub_f32_e32 v27, v27, v29
	v_sub_f32_e64 v29, 1.0, |v26|
	v_add_f32_e64 v30, |v26|, s9
	v_cmp_lt_f32_e64 s[8:9], |v26|, s8
	v_cndmask_b32_e64 v29, v29, v30, s[8:9]
	v_cndmask_b32_e64 v30, 0, 1, s[8:9]
	s_mov_b32 s8, 0x3e6d3309
	v_cmp_lt_f32_e64 s[8:9], |v26|, s8
	v_xor_b32_e32 v27, 0x80000000, v27
	v_cndmask_b32_e64 v29, v29, |v26|, s[8:9]
	v_cndmask_b32_e64 v30, v30, 2, s[8:9]
.LBB152_332:
	s_andn2_saveexec_b64 s[10:11], s[16:17]
	s_cbranch_execz .LBB152_334
; %bb.333:
	s_mov_b32 s8, 0x3fdda512
	s_mov_b32 s9, 0xbfbb16c3
	v_sub_f32_e64 v27, 2.0, |v26|
	v_add_f32_e64 v29, |v26|, s9
	v_cmp_lt_f32_e64 s[8:9], |v26|, s8
	v_cndmask_b32_e64 v29, v27, v29, s[8:9]
	v_cndmask_b32_e64 v27, v27, 1.0, s[8:9]
	v_cvt_i32_f32_e32 v27, v27
	s_mov_b32 s8, 0x3f9d70a4
	v_add_f32_e64 v30, |v26|, -1.0
	v_cmp_lt_f32_e64 s[8:9], |v26|, s8
	v_cndmask_b32_e64 v29, v29, v30, s[8:9]
	v_cndmask_b32_e64 v30, v27, 2, s[8:9]
	v_mov_b32_e32 v27, 0
.LBB152_334:
	s_or_b64 exec, exec, s[10:11]
	v_cmp_lt_i32_e64 s[8:9], 0, v30
	s_and_saveexec_b64 s[10:11], s[8:9]
	s_xor_b64 s[10:11], exec, s[10:11]
	s_cbranch_execz .LBB152_342
; %bb.335:
	v_cmp_lt_i32_e64 s[8:9], 1, v30
	s_and_saveexec_b64 s[16:17], s[8:9]
	s_xor_b64 s[16:17], exec, s[16:17]
	s_cbranch_execz .LBB152_339
; %bb.336:
	v_cmp_eq_u32_e64 s[8:9], 2, v30
	s_and_saveexec_b64 s[18:19], s[8:9]
	s_cbranch_execz .LBB152_338
; %bb.337:
	v_mov_b32_e32 v30, 0x3e6a7578
	v_fmac_f32_e32 v30, 0x3c5b3c5e, v29
	v_mov_b32_e32 v31, 0x3f7a4bb2
	v_fmac_f32_e32 v31, v29, v30
	;; [unrolled: 2-line block ×8, first 2 shown]
	v_fma_f32 v30, v29, v32, 1.0
	v_rcp_f32_e32 v30, v30
	v_mov_b32_e32 v32, 0xbd9e233f
	v_fmac_f32_e32 v32, v29, v31
	v_mul_f32_e32 v31, v29, v32
	v_mul_f32_e32 v30, v31, v30
	v_fmac_f32_e32 v30, -0.5, v29
	v_add_f32_e32 v27, v27, v30
.LBB152_338:
	s_or_b64 exec, exec, s[18:19]
                                        ; implicit-def: $vgpr29
.LBB152_339:
	s_andn2_saveexec_b64 s[8:9], s[16:17]
	s_cbranch_execz .LBB152_341
; %bb.340:
	v_mul_f32_e32 v30, v29, v29
	v_mul_f32_e32 v31, v29, v30
	v_mov_b32_e32 v32, 0xbab7f476
	v_fmac_f32_e32 v32, 0x39a57b6b, v31
	v_mov_b32_e32 v33, 0x3bc7e707
	v_fmac_f32_e32 v33, v31, v32
	;; [unrolled: 2-line block ×12, first 2 shown]
	v_fmac_f32_e32 v34, v29, v35
	s_mov_b32 s16, 0xa2863e55
	v_fma_f32 v29, v31, -v34, s16
	v_fma_f32 v29, v30, v33, -v29
	v_add_f32_e32 v29, 0xbdf8cdce, v29
	v_add_f32_e32 v27, v27, v29
.LBB152_341:
	s_or_b64 exec, exec, s[8:9]
                                        ; implicit-def: $vgpr30
                                        ; implicit-def: $vgpr29
.LBB152_342:
	s_andn2_saveexec_b64 s[10:11], s[10:11]
	s_cbranch_execz .LBB152_346
; %bb.343:
	v_cmp_eq_u32_e64 s[8:9], 0, v30
	s_and_saveexec_b64 s[16:17], s[8:9]
	s_cbranch_execz .LBB152_345
; %bb.344:
	v_mul_f32_e32 v30, v29, v29
	v_mov_b32_e32 v31, 0x39679767
	v_fmac_f32_e32 v31, 0x37d383a2, v30
	v_mov_b32_e32 v32, 0x3a9c54a1
	v_fmac_f32_e32 v32, v30, v31
	;; [unrolled: 2-line block ×10, first 2 shown]
	v_mul_f32_e32 v30, v30, v32
	v_fmac_f32_e32 v30, v29, v31
	v_fmac_f32_e32 v30, -0.5, v29
	v_add_f32_e32 v27, v27, v30
.LBB152_345:
	s_or_b64 exec, exec, s[16:17]
.LBB152_346:
	s_or_b64 exec, exec, s[10:11]
.LBB152_347:
	s_or_b64 exec, exec, s[14:15]
.LBB152_348:
	s_andn2_saveexec_b64 s[12:13], s[12:13]
	s_cbranch_execz .LBB152_350
; %bb.349:
	s_mov_b32 s8, 0x3e8a8991
	v_mov_b32_e32 v27, 0xbecd26ab
	v_fma_f32 v27, |v26|, s8, v27
	s_mov_b32 s8, 0x3f528d33
	v_fma_f32 v27, |v26|, v27, s8
	s_mov_b32 s8, 0x800000
	v_cmp_lt_f32_e64 s[8:9], |v26|, s8
	v_cndmask_b32_e64 v29, 0, 32, s[8:9]
	v_ldexp_f32 v29, |v26|, v29
	v_log_f32_e32 v29, v29
	s_mov_b32 s10, 0xbf13c468
	v_fma_f32 v27, |v26|, v27, s10
	s_mov_b32 s10, 0x3f317217
	v_mul_f32_e32 v30, 0x3f317217, v29
	v_fma_f32 v31, v29, s10, -v30
	v_fmac_f32_e32 v31, 0x3377d1cf, v29
	s_mov_b32 s10, 0x7f800000
	v_add_f32_e32 v30, v30, v31
	v_cmp_lt_f32_e64 s[10:11], |v29|, s10
	v_cndmask_b32_e64 v29, v29, v30, s[10:11]
	v_mov_b32_e32 v30, 0x41b17218
	v_cndmask_b32_e64 v30, 0, v30, s[8:9]
	v_sub_f32_e32 v29, v29, v30
	v_fma_f32 v27, |v26|, v27, -v29
.LBB152_350:
	s_or_b64 exec, exec, s[12:13]
	v_cmp_le_f16_e64 s[8:9], 0, v13
	v_cmp_nle_f16_e64 s[10:11], 0, v13
	s_and_saveexec_b64 s[12:13], s[10:11]
	s_xor_b64 s[14:15], exec, s[12:13]
	s_cbranch_execz .LBB152_354
; %bb.351:
	s_mov_b32 s10, 0x4b000000
	s_mov_b32 s12, 0x35000000
	v_cmp_lt_f32_e64 s[10:11], |v26|, s10
	v_cmp_gt_f32_e64 s[12:13], |v26|, s12
	s_and_b64 s[10:11], s[10:11], s[12:13]
	s_and_saveexec_b64 s[16:17], s[10:11]
	s_cbranch_execz .LBB152_353
; %bb.352:
	v_mul_f32_e64 v29, |v26|, 0.5
	v_floor_f32_e32 v30, v29
	v_sub_f32_e32 v30, v29, v30
	v_min_f32_e32 v30, 0x3f7fffff, v30
	s_mov_b32 s12, 0x7f800000
	v_add_f32_e32 v30, v30, v30
	v_cmp_neq_f32_e64 s[10:11], s12, v29
	v_cndmask_b32_e64 v29, 0, v30, s[10:11]
	v_cmp_gt_f32_e64 s[10:11], |v26|, 1.0
	v_cndmask_b32_e64 v29, |v26|, v29, s[10:11]
	v_add_f32_e32 v30, v29, v29
	v_rndne_f32_e32 v30, v30
	v_fmac_f32_e32 v29, -0.5, v30
	v_mul_f32_e32 v31, v29, v29
	v_mov_b32_e32 v32, 0xbf1f24be
	v_fmac_f32_e32 v32, 0x3e75aa41, v31
	v_mov_b32_e32 v33, 0x40234736
	v_fmac_f32_e32 v33, v31, v32
	;; [unrolled: 2-line block ×3, first 2 shown]
	v_mul_f32_e32 v33, v29, v31
	v_mul_f32_e32 v32, v33, v32
	v_fmac_f32_e32 v32, 0x40490fdb, v29
	v_mov_b32_e32 v29, 0x3e642e9d
	v_cvt_i32_f32_e32 v30, v30
	v_fmac_f32_e32 v29, 0x3d4be544, v31
	v_mov_b32_e32 v33, 0xbfaad1da
	v_fmac_f32_e32 v33, v31, v29
	v_mov_b32_e32 v29, 0x4081e0d3
	;; [unrolled: 2-line block ×3, first 2 shown]
	v_fmac_f32_e32 v33, v31, v29
	v_fma_f32 v29, v31, v33, 1.0
	v_and_b32_e32 v31, 1, v30
	v_lshlrev_b32_e32 v30, 30, v30
	v_cmp_eq_u32_e64 s[10:11], 0, v31
	v_and_b32_e32 v30, 0x80000000, v30
	v_xor_b32_e32 v28, v28, v26
	v_cndmask_b32_e64 v29, v29, v32, s[10:11]
	v_xor_b32_e32 v28, v28, v30
	v_xor_b32_e32 v28, v28, v29
	v_mul_f32_e32 v28, v26, v28
	v_frexp_mant_f32_e64 v29, |v28|
	v_rcp_f32_e32 v29, v29
	v_frexp_exp_i32_f32_e32 v28, v28
	v_sub_u32_e32 v28, 2, v28
	s_mov_b32 s10, 0x800000
	v_mul_f32_e32 v29, 0x3f490fdb, v29
	v_ldexp_f32 v28, v29, v28
	v_cmp_gt_f32_e64 s[10:11], s10, v28
	v_cndmask_b32_e64 v29, 0, 32, s[10:11]
	v_ldexp_f32 v28, v28, v29
	v_log_f32_e32 v28, v28
	s_mov_b32 s13, 0x3f317217
	v_mul_f32_e32 v29, 0x3f317217, v28
	v_fma_f32 v30, v28, s13, -v29
	v_fmac_f32_e32 v30, 0x3377d1cf, v28
	v_add_f32_e32 v29, v29, v30
	v_cmp_lt_f32_e64 s[12:13], |v28|, s12
	v_cndmask_b32_e64 v28, v28, v29, s[12:13]
	v_mov_b32_e32 v29, 0x41b17218
	v_cndmask_b32_e64 v29, 0, v29, s[10:11]
	v_sub_f32_e32 v28, v28, v29
	v_sub_f32_e32 v27, v28, v27
	v_floor_f32_e32 v28, v26
	v_sub_f32_e32 v28, v26, v28
	v_min_f32_e32 v28, 0x3f7fffff, v28
	v_mov_b32_e32 v29, 0x7f800000
	v_cmp_neq_f32_e64 s[10:11], 0, v28
	v_cndmask_b32_e64 v27, v29, v27, s[10:11]
.LBB152_353:
	s_or_b64 exec, exec, s[16:17]
.LBB152_354:
	s_andn2_saveexec_b64 s[14:15], s[14:15]
; %bb.355:
	v_cmp_eq_f16_e64 s[10:11], 1.0, v13
	v_cmp_eq_f16_e64 s[12:13], 2.0, v13
	s_or_b64 s[10:11], s[10:11], s[12:13]
	v_cndmask_b32_e64 v27, v27, 0, s[10:11]
; %bb.356:
	s_or_b64 exec, exec, s[14:15]
	global_load_ushort v11, v11, s[22:23]
	s_mov_b32 s10, 0x3c800000
                                        ; implicit-def: $vgpr29
	s_waitcnt vmcnt(0)
	v_cvt_f32_f16_e32 v28, v11
	v_and_b32_e32 v30, 0x7fffffff, v28
	v_cmp_nlt_f32_e64 s[10:11], |v28|, s10
	s_and_saveexec_b64 s[12:13], s[10:11]
	s_xor_b64 s[14:15], exec, s[12:13]
	s_cbranch_execz .LBB152_386
; %bb.357:
	v_cmp_nlt_f32_e64 s[10:11], |v28|, 2.0
                                        ; implicit-def: $vgpr29
	s_and_saveexec_b64 s[12:13], s[10:11]
	s_xor_b64 s[16:17], exec, s[12:13]
	s_cbranch_execz .LBB152_367
; %bb.358:
	s_mov_b32 s10, 0x41000000
	v_cmp_nlt_f32_e64 s[10:11], |v28|, s10
                                        ; implicit-def: $vgpr29
	s_and_saveexec_b64 s[12:13], s[10:11]
	s_xor_b64 s[18:19], exec, s[12:13]
	s_cbranch_execz .LBB152_364
; %bb.359:
	s_mov_b32 s10, 0x5c800000
	v_cmp_nlt_f32_e64 s[10:11], |v28|, s10
                                        ; implicit-def: $vgpr29
	s_and_saveexec_b64 s[12:13], s[10:11]
	s_xor_b64 s[24:25], exec, s[12:13]
	s_cbranch_execz .LBB152_361
; %bb.360:
	s_mov_b32 s10, 0x800000
	v_cmp_lt_f32_e64 s[10:11], |v28|, s10
	v_cndmask_b32_e64 v29, 0, 32, s[10:11]
	v_ldexp_f32 v29, |v28|, v29
	v_log_f32_e32 v29, v29
	s_mov_b32 s12, 0x3f317217
	s_mov_b32 s13, 0x7f800000
	v_mul_f32_e32 v31, 0x3f317217, v29
	v_fma_f32 v32, v29, s12, -v31
	v_fmac_f32_e32 v32, 0x3377d1cf, v29
	v_add_f32_e32 v31, v31, v32
	v_cmp_lt_f32_e64 s[12:13], |v29|, s13
	v_cndmask_b32_e64 v29, v29, v31, s[12:13]
	v_mov_b32_e32 v31, 0x41b17218
	v_cndmask_b32_e64 v31, 0, v31, s[10:11]
	v_sub_f32_e32 v29, v29, v31
	v_fma_f32 v29, |v28|, v29, -|v28|
.LBB152_361:
	s_andn2_saveexec_b64 s[24:25], s[24:25]
	s_cbranch_execz .LBB152_363
; %bb.362:
	v_rcp_f32_e64 v31, |v28|
	v_mov_b32_e32 v29, 0x3a5b3dd2
	v_mov_b32_e32 v32, 0xba1c065c
	v_mov_b32_e32 v33, 0x3a500cfd
	v_mul_f32_e32 v34, v31, v31
	v_fmac_f32_e32 v29, 0xbad5c4e8, v34
	v_fmac_f32_e32 v32, v34, v29
	s_mov_b32 s10, 0x800000
	v_fmac_f32_e32 v33, v34, v32
	v_mov_b32_e32 v29, 0xbb360b61
	v_cmp_lt_f32_e64 s[10:11], |v28|, s10
	v_fmac_f32_e32 v29, v34, v33
	v_cndmask_b32_e64 v33, 0, 32, s[10:11]
	v_ldexp_f32 v33, |v28|, v33
	v_log_f32_e32 v33, v33
	v_mov_b32_e32 v32, 0x3daaaaab
	v_fmac_f32_e32 v32, v34, v29
	v_mov_b32_e32 v29, 0x3ed67f1d
	v_fmac_f32_e32 v29, v31, v32
	s_mov_b32 s12, 0x3f317217
	v_mul_f32_e32 v32, 0x3f317217, v33
	v_fma_f32 v34, v33, s12, -v32
	v_fmac_f32_e32 v34, 0x3377d1cf, v33
	s_mov_b32 s12, 0x7f800000
	v_add_f32_e32 v32, v32, v34
	v_cmp_lt_f32_e64 s[12:13], |v33|, s12
	v_cndmask_b32_e64 v32, v33, v32, s[12:13]
	v_mov_b32_e32 v33, 0x41b17218
	v_cndmask_b32_e64 v33, 0, v33, s[10:11]
	v_sub_f32_e32 v32, v32, v33
	v_add_f32_e64 v31, |v28|, -0.5
	v_add_f32_e32 v32, -1.0, v32
	v_fmac_f32_e32 v29, v31, v32
.LBB152_363:
	s_or_b64 exec, exec, s[24:25]
.LBB152_364:
	s_andn2_saveexec_b64 s[18:19], s[18:19]
	s_cbranch_execz .LBB152_366
; %bb.365:
	v_cvt_i32_f32_e32 v29, v30
	v_mov_b32_e32 v31, 0x3af135b4
	v_mov_b32_e32 v32, 0x3cda40e4
	;; [unrolled: 1-line block ×3, first 2 shown]
	v_cvt_f32_i32_e32 v34, v29
	v_mov_b32_e32 v35, 0x3ea6cc7a
	v_mov_b32_e32 v36, 0x3e5c245a
	v_cmp_lt_i32_e64 s[10:11], 2, v29
	v_sub_f32_e64 v34, |v28|, v34
	v_fmac_f32_e32 v31, 0x3805ff67, v34
	v_fmac_f32_e32 v32, v34, v31
	;; [unrolled: 1-line block ×3, first 2 shown]
	v_mov_b32_e32 v32, 0x3a4beed6
	v_fmac_f32_e32 v35, v34, v33
	v_fmac_f32_e32 v32, 0x36f5d7bd, v34
	v_mov_b32_e32 v33, 0x3c98bf54
	v_fmac_f32_e32 v33, v34, v32
	v_mov_b32_e32 v32, 0x3e300f6e
	;; [unrolled: 2-line block ×4, first 2 shown]
	v_fmac_f32_e32 v32, v34, v33
	v_add_f32_e32 v33, 2.0, v34
	v_mov_b32_e32 v37, 0xbd9e233f
	v_fmac_f32_e32 v36, v34, v35
	v_add_f32_e32 v35, 0x40400000, v34
	v_cndmask_b32_e64 v33, 1.0, v33, s[10:11]
	v_cmp_lt_i32_e64 s[10:11], 3, v29
	v_fmac_f32_e32 v37, v34, v36
	v_add_f32_e32 v36, 4.0, v34
	v_cndmask_b32_e64 v35, 1.0, v35, s[10:11]
	v_cmp_lt_i32_e64 s[10:11], 4, v29
	v_mul_f32_e32 v31, v34, v37
	v_add_f32_e32 v37, 0x40a00000, v34
	v_mul_f32_e32 v33, v33, v35
	v_cndmask_b32_e64 v35, 1.0, v36, s[10:11]
	v_cmp_lt_i32_e64 s[10:11], 5, v29
	v_add_f32_e32 v38, 0x40c00000, v34
	v_mul_f32_e32 v33, v35, v33
	v_cndmask_b32_e64 v35, 1.0, v37, s[10:11]
	v_cmp_lt_i32_e64 s[10:11], 6, v29
	v_mul_f32_e32 v33, v35, v33
	v_cndmask_b32_e64 v29, 1.0, v38, s[10:11]
	v_mul_f32_e32 v29, v29, v33
	s_mov_b32 s10, 0x800000
	v_cmp_gt_f32_e64 s[10:11], s10, v29
	v_cndmask_b32_e64 v33, 0, 32, s[10:11]
	v_fma_f32 v32, v34, v32, 1.0
	v_ldexp_f32 v29, v29, v33
	v_rcp_f32_e32 v32, v32
	v_log_f32_e32 v29, v29
	s_mov_b32 s12, 0x3f317217
	v_mul_f32_e32 v31, v31, v32
	v_mul_f32_e32 v32, 0x3f317217, v29
	v_fma_f32 v33, v29, s12, -v32
	v_fmac_f32_e32 v33, 0x3377d1cf, v29
	s_mov_b32 s12, 0x7f800000
	v_add_f32_e32 v32, v32, v33
	v_cmp_lt_f32_e64 s[12:13], |v29|, s12
	v_cndmask_b32_e64 v29, v29, v32, s[12:13]
	v_mov_b32_e32 v32, 0x41b17218
	v_cndmask_b32_e64 v32, 0, v32, s[10:11]
	v_fmac_f32_e32 v31, 0.5, v34
	v_sub_f32_e32 v29, v29, v32
	v_add_f32_e32 v29, v29, v31
.LBB152_366:
	s_or_b64 exec, exec, s[18:19]
.LBB152_367:
	s_andn2_saveexec_b64 s[16:17], s[16:17]
	s_cbranch_execz .LBB152_385
; %bb.368:
	s_mov_b32 s10, 0x3f666666
	v_cmp_le_f32_e64 s[10:11], |v28|, s10
                                        ; implicit-def: $vgpr29
                                        ; implicit-def: $vgpr32
                                        ; implicit-def: $vgpr31
	s_and_saveexec_b64 s[12:13], s[10:11]
	s_xor_b64 s[18:19], exec, s[12:13]
	s_cbranch_execz .LBB152_370
; %bb.369:
	s_mov_b32 s10, 0x800000
	v_cmp_lt_f32_e64 s[10:11], |v28|, s10
	v_cndmask_b32_e64 v29, 0, 32, s[10:11]
	v_ldexp_f32 v29, |v28|, v29
	v_log_f32_e32 v29, v29
	s_mov_b32 s12, 0x3f317217
	s_mov_b32 s13, 0x7f800000
	v_mul_f32_e32 v31, 0x3f317217, v29
	v_fma_f32 v32, v29, s12, -v31
	v_fmac_f32_e32 v32, 0x3377d1cf, v29
	v_add_f32_e32 v31, v31, v32
	v_cmp_lt_f32_e64 s[12:13], |v29|, s13
	v_cndmask_b32_e64 v29, v29, v31, s[12:13]
	v_mov_b32_e32 v31, 0x41b17218
	v_cndmask_b32_e64 v31, 0, v31, s[10:11]
	s_mov_b32 s10, 0x3f3b4a23
	s_mov_b32 s11, 0xbeec5b0c
	v_sub_f32_e32 v29, v29, v31
	v_sub_f32_e64 v31, 1.0, |v28|
	v_add_f32_e64 v32, |v28|, s11
	v_cmp_lt_f32_e64 s[10:11], |v28|, s10
	v_cndmask_b32_e64 v31, v31, v32, s[10:11]
	v_cndmask_b32_e64 v32, 0, 1, s[10:11]
	s_mov_b32 s10, 0x3e6d3309
	v_cmp_lt_f32_e64 s[10:11], |v28|, s10
	v_xor_b32_e32 v29, 0x80000000, v29
	v_cndmask_b32_e64 v31, v31, |v28|, s[10:11]
	v_cndmask_b32_e64 v32, v32, 2, s[10:11]
.LBB152_370:
	s_andn2_saveexec_b64 s[12:13], s[18:19]
	s_cbranch_execz .LBB152_372
; %bb.371:
	s_mov_b32 s10, 0x3fdda512
	s_mov_b32 s11, 0xbfbb16c3
	v_sub_f32_e64 v29, 2.0, |v28|
	v_add_f32_e64 v31, |v28|, s11
	v_cmp_lt_f32_e64 s[10:11], |v28|, s10
	v_cndmask_b32_e64 v31, v29, v31, s[10:11]
	v_cndmask_b32_e64 v29, v29, 1.0, s[10:11]
	v_cvt_i32_f32_e32 v29, v29
	s_mov_b32 s10, 0x3f9d70a4
	v_add_f32_e64 v32, |v28|, -1.0
	v_cmp_lt_f32_e64 s[10:11], |v28|, s10
	v_cndmask_b32_e64 v31, v31, v32, s[10:11]
	v_cndmask_b32_e64 v32, v29, 2, s[10:11]
	v_mov_b32_e32 v29, 0
.LBB152_372:
	s_or_b64 exec, exec, s[12:13]
	v_cmp_lt_i32_e64 s[10:11], 0, v32
	s_and_saveexec_b64 s[12:13], s[10:11]
	s_xor_b64 s[12:13], exec, s[12:13]
	s_cbranch_execz .LBB152_380
; %bb.373:
	v_cmp_lt_i32_e64 s[10:11], 1, v32
	s_and_saveexec_b64 s[18:19], s[10:11]
	s_xor_b64 s[18:19], exec, s[18:19]
	s_cbranch_execz .LBB152_377
; %bb.374:
	v_cmp_eq_u32_e64 s[10:11], 2, v32
	s_and_saveexec_b64 s[24:25], s[10:11]
	s_cbranch_execz .LBB152_376
; %bb.375:
	v_mov_b32_e32 v32, 0x3e6a7578
	v_fmac_f32_e32 v32, 0x3c5b3c5e, v31
	v_mov_b32_e32 v33, 0x3f7a4bb2
	v_fmac_f32_e32 v33, v31, v32
	;; [unrolled: 2-line block ×8, first 2 shown]
	v_fma_f32 v32, v31, v34, 1.0
	v_rcp_f32_e32 v32, v32
	v_mov_b32_e32 v34, 0xbd9e233f
	v_fmac_f32_e32 v34, v31, v33
	v_mul_f32_e32 v33, v31, v34
	v_mul_f32_e32 v32, v33, v32
	v_fmac_f32_e32 v32, -0.5, v31
	v_add_f32_e32 v29, v29, v32
.LBB152_376:
	s_or_b64 exec, exec, s[24:25]
                                        ; implicit-def: $vgpr31
.LBB152_377:
	s_andn2_saveexec_b64 s[10:11], s[18:19]
	s_cbranch_execz .LBB152_379
; %bb.378:
	v_mul_f32_e32 v32, v31, v31
	v_mul_f32_e32 v33, v31, v32
	v_mov_b32_e32 v34, 0xbab7f476
	v_fmac_f32_e32 v34, 0x39a57b6b, v33
	v_mov_b32_e32 v35, 0x3bc7e707
	v_fmac_f32_e32 v35, v33, v34
	;; [unrolled: 2-line block ×12, first 2 shown]
	v_fmac_f32_e32 v36, v31, v37
	s_mov_b32 s18, 0xa2863e55
	v_fma_f32 v31, v33, -v36, s18
	v_fma_f32 v31, v32, v35, -v31
	v_add_f32_e32 v31, 0xbdf8cdce, v31
	v_add_f32_e32 v29, v29, v31
.LBB152_379:
	s_or_b64 exec, exec, s[10:11]
                                        ; implicit-def: $vgpr32
                                        ; implicit-def: $vgpr31
.LBB152_380:
	s_andn2_saveexec_b64 s[12:13], s[12:13]
	s_cbranch_execz .LBB152_384
; %bb.381:
	v_cmp_eq_u32_e64 s[10:11], 0, v32
	s_and_saveexec_b64 s[18:19], s[10:11]
	s_cbranch_execz .LBB152_383
; %bb.382:
	v_mul_f32_e32 v32, v31, v31
	v_mov_b32_e32 v33, 0x39679767
	v_fmac_f32_e32 v33, 0x37d383a2, v32
	v_mov_b32_e32 v34, 0x3a9c54a1
	v_fmac_f32_e32 v34, v32, v33
	;; [unrolled: 2-line block ×10, first 2 shown]
	v_mul_f32_e32 v32, v32, v34
	v_fmac_f32_e32 v32, v31, v33
	v_fmac_f32_e32 v32, -0.5, v31
	v_add_f32_e32 v29, v29, v32
.LBB152_383:
	s_or_b64 exec, exec, s[18:19]
.LBB152_384:
	s_or_b64 exec, exec, s[12:13]
.LBB152_385:
	s_or_b64 exec, exec, s[16:17]
.LBB152_386:
	s_andn2_saveexec_b64 s[14:15], s[14:15]
	s_cbranch_execz .LBB152_388
; %bb.387:
	s_mov_b32 s10, 0x3e8a8991
	v_mov_b32_e32 v29, 0xbecd26ab
	v_fma_f32 v29, |v28|, s10, v29
	s_mov_b32 s10, 0x3f528d33
	v_fma_f32 v29, |v28|, v29, s10
	s_mov_b32 s10, 0x800000
	v_cmp_lt_f32_e64 s[10:11], |v28|, s10
	v_cndmask_b32_e64 v31, 0, 32, s[10:11]
	v_ldexp_f32 v31, |v28|, v31
	v_log_f32_e32 v31, v31
	s_mov_b32 s12, 0xbf13c468
	v_fma_f32 v29, |v28|, v29, s12
	s_mov_b32 s12, 0x3f317217
	v_mul_f32_e32 v32, 0x3f317217, v31
	v_fma_f32 v33, v31, s12, -v32
	v_fmac_f32_e32 v33, 0x3377d1cf, v31
	s_mov_b32 s12, 0x7f800000
	v_add_f32_e32 v32, v32, v33
	v_cmp_lt_f32_e64 s[12:13], |v31|, s12
	v_cndmask_b32_e64 v31, v31, v32, s[12:13]
	v_mov_b32_e32 v32, 0x41b17218
	v_cndmask_b32_e64 v32, 0, v32, s[10:11]
	v_sub_f32_e32 v31, v31, v32
	v_fma_f32 v29, |v28|, v29, -v31
.LBB152_388:
	s_or_b64 exec, exec, s[14:15]
	v_cmp_le_f16_e64 s[10:11], 0, v11
	v_cmp_nle_f16_e64 s[12:13], 0, v11
	s_and_saveexec_b64 s[14:15], s[12:13]
	s_xor_b64 s[16:17], exec, s[14:15]
	s_cbranch_execz .LBB152_392
; %bb.389:
	s_mov_b32 s12, 0x4b000000
	s_mov_b32 s14, 0x35000000
	v_cmp_lt_f32_e64 s[12:13], |v28|, s12
	v_cmp_gt_f32_e64 s[14:15], |v28|, s14
	s_and_b64 s[12:13], s[12:13], s[14:15]
	s_and_saveexec_b64 s[18:19], s[12:13]
	s_cbranch_execz .LBB152_391
; %bb.390:
	v_mul_f32_e64 v31, |v28|, 0.5
	v_floor_f32_e32 v32, v31
	v_sub_f32_e32 v32, v31, v32
	v_min_f32_e32 v32, 0x3f7fffff, v32
	s_mov_b32 s14, 0x7f800000
	v_add_f32_e32 v32, v32, v32
	v_cmp_neq_f32_e64 s[12:13], s14, v31
	v_cndmask_b32_e64 v31, 0, v32, s[12:13]
	v_cmp_gt_f32_e64 s[12:13], |v28|, 1.0
	v_cndmask_b32_e64 v31, |v28|, v31, s[12:13]
	v_add_f32_e32 v32, v31, v31
	v_rndne_f32_e32 v32, v32
	v_fmac_f32_e32 v31, -0.5, v32
	v_mul_f32_e32 v33, v31, v31
	v_mov_b32_e32 v34, 0xbf1f24be
	v_fmac_f32_e32 v34, 0x3e75aa41, v33
	v_mov_b32_e32 v35, 0x40234736
	v_fmac_f32_e32 v35, v33, v34
	v_mov_b32_e32 v34, 0xc0a55e0e
	v_fmac_f32_e32 v34, v33, v35
	v_mul_f32_e32 v35, v31, v33
	v_mul_f32_e32 v34, v35, v34
	v_fmac_f32_e32 v34, 0x40490fdb, v31
	v_mov_b32_e32 v31, 0x3e642e9d
	v_cvt_i32_f32_e32 v32, v32
	v_fmac_f32_e32 v31, 0x3d4be544, v33
	v_mov_b32_e32 v35, 0xbfaad1da
	v_fmac_f32_e32 v35, v33, v31
	v_mov_b32_e32 v31, 0x4081e0d3
	;; [unrolled: 2-line block ×3, first 2 shown]
	v_fmac_f32_e32 v35, v33, v31
	v_fma_f32 v31, v33, v35, 1.0
	v_and_b32_e32 v33, 1, v32
	v_lshlrev_b32_e32 v32, 30, v32
	v_cmp_eq_u32_e64 s[12:13], 0, v33
	v_and_b32_e32 v32, 0x80000000, v32
	v_xor_b32_e32 v30, v30, v28
	v_cndmask_b32_e64 v31, v31, v34, s[12:13]
	v_xor_b32_e32 v30, v30, v32
	v_xor_b32_e32 v30, v30, v31
	v_mul_f32_e32 v30, v28, v30
	v_frexp_mant_f32_e64 v31, |v30|
	v_rcp_f32_e32 v31, v31
	v_frexp_exp_i32_f32_e32 v30, v30
	v_sub_u32_e32 v30, 2, v30
	s_mov_b32 s12, 0x800000
	v_mul_f32_e32 v31, 0x3f490fdb, v31
	v_ldexp_f32 v30, v31, v30
	v_cmp_gt_f32_e64 s[12:13], s12, v30
	v_cndmask_b32_e64 v31, 0, 32, s[12:13]
	v_ldexp_f32 v30, v30, v31
	v_log_f32_e32 v30, v30
	s_mov_b32 s15, 0x3f317217
	v_mul_f32_e32 v31, 0x3f317217, v30
	v_fma_f32 v32, v30, s15, -v31
	v_fmac_f32_e32 v32, 0x3377d1cf, v30
	v_add_f32_e32 v31, v31, v32
	v_cmp_lt_f32_e64 s[14:15], |v30|, s14
	v_cndmask_b32_e64 v30, v30, v31, s[14:15]
	v_mov_b32_e32 v31, 0x41b17218
	v_cndmask_b32_e64 v31, 0, v31, s[12:13]
	v_sub_f32_e32 v30, v30, v31
	v_sub_f32_e32 v29, v30, v29
	v_floor_f32_e32 v30, v28
	v_sub_f32_e32 v30, v28, v30
	v_min_f32_e32 v30, 0x3f7fffff, v30
	v_mov_b32_e32 v31, 0x7f800000
	v_cmp_neq_f32_e64 s[12:13], 0, v30
	v_cndmask_b32_e64 v29, v31, v29, s[12:13]
.LBB152_391:
	s_or_b64 exec, exec, s[18:19]
.LBB152_392:
	s_andn2_saveexec_b64 s[16:17], s[16:17]
; %bb.393:
	v_cmp_eq_f16_e64 s[12:13], 1.0, v11
	v_cmp_eq_f16_e64 s[14:15], 2.0, v11
	s_or_b64 s[12:13], s[12:13], s[14:15]
	v_cndmask_b32_e64 v29, v29, 0, s[12:13]
; %bb.394:
	s_or_b64 exec, exec, s[16:17]
	global_load_ushort v9, v9, s[22:23]
	s_mov_b32 s12, 0x3c800000
                                        ; implicit-def: $vgpr32
	s_waitcnt vmcnt(0)
	v_cvt_f32_f16_e32 v30, v9
	v_and_b32_e32 v31, 0x7fffffff, v30
	v_cmp_nlt_f32_e64 s[12:13], |v30|, s12
	s_and_saveexec_b64 s[14:15], s[12:13]
	s_xor_b64 s[16:17], exec, s[14:15]
	s_cbranch_execz .LBB152_424
; %bb.395:
	v_cmp_nlt_f32_e64 s[12:13], |v30|, 2.0
                                        ; implicit-def: $vgpr32
	s_and_saveexec_b64 s[14:15], s[12:13]
	s_xor_b64 s[18:19], exec, s[14:15]
	s_cbranch_execz .LBB152_405
; %bb.396:
	s_mov_b32 s12, 0x41000000
	v_cmp_nlt_f32_e64 s[12:13], |v30|, s12
                                        ; implicit-def: $vgpr32
	s_and_saveexec_b64 s[14:15], s[12:13]
	s_xor_b64 s[22:23], exec, s[14:15]
	s_cbranch_execz .LBB152_402
; %bb.397:
	s_mov_b32 s12, 0x5c800000
	v_cmp_nlt_f32_e64 s[12:13], |v30|, s12
                                        ; implicit-def: $vgpr32
	s_and_saveexec_b64 s[14:15], s[12:13]
	s_xor_b64 s[24:25], exec, s[14:15]
	s_cbranch_execz .LBB152_399
; %bb.398:
	s_mov_b32 s12, 0x800000
	v_cmp_lt_f32_e64 s[12:13], |v30|, s12
	v_cndmask_b32_e64 v32, 0, 32, s[12:13]
	v_ldexp_f32 v32, |v30|, v32
	v_log_f32_e32 v32, v32
	s_mov_b32 s14, 0x3f317217
	s_mov_b32 s15, 0x7f800000
	v_mul_f32_e32 v33, 0x3f317217, v32
	v_fma_f32 v34, v32, s14, -v33
	v_fmac_f32_e32 v34, 0x3377d1cf, v32
	v_add_f32_e32 v33, v33, v34
	v_cmp_lt_f32_e64 s[14:15], |v32|, s15
	v_cndmask_b32_e64 v32, v32, v33, s[14:15]
	v_mov_b32_e32 v33, 0x41b17218
	v_cndmask_b32_e64 v33, 0, v33, s[12:13]
	v_sub_f32_e32 v32, v32, v33
	v_fma_f32 v32, |v30|, v32, -|v30|
.LBB152_399:
	s_andn2_saveexec_b64 s[24:25], s[24:25]
	s_cbranch_execz .LBB152_401
; %bb.400:
	v_rcp_f32_e64 v33, |v30|
	v_mov_b32_e32 v32, 0x3a5b3dd2
	v_mov_b32_e32 v34, 0xba1c065c
	;; [unrolled: 1-line block ×3, first 2 shown]
	v_mul_f32_e32 v36, v33, v33
	v_fmac_f32_e32 v32, 0xbad5c4e8, v36
	v_fmac_f32_e32 v34, v36, v32
	s_mov_b32 s12, 0x800000
	v_fmac_f32_e32 v35, v36, v34
	v_mov_b32_e32 v32, 0xbb360b61
	v_cmp_lt_f32_e64 s[12:13], |v30|, s12
	v_fmac_f32_e32 v32, v36, v35
	v_cndmask_b32_e64 v35, 0, 32, s[12:13]
	v_ldexp_f32 v35, |v30|, v35
	v_log_f32_e32 v35, v35
	v_mov_b32_e32 v34, 0x3daaaaab
	v_fmac_f32_e32 v34, v36, v32
	v_mov_b32_e32 v32, 0x3ed67f1d
	v_fmac_f32_e32 v32, v33, v34
	s_mov_b32 s14, 0x3f317217
	v_mul_f32_e32 v34, 0x3f317217, v35
	v_fma_f32 v36, v35, s14, -v34
	v_fmac_f32_e32 v36, 0x3377d1cf, v35
	s_mov_b32 s14, 0x7f800000
	v_add_f32_e32 v34, v34, v36
	v_cmp_lt_f32_e64 s[14:15], |v35|, s14
	v_cndmask_b32_e64 v34, v35, v34, s[14:15]
	v_mov_b32_e32 v35, 0x41b17218
	v_cndmask_b32_e64 v35, 0, v35, s[12:13]
	v_sub_f32_e32 v34, v34, v35
	v_add_f32_e64 v33, |v30|, -0.5
	v_add_f32_e32 v34, -1.0, v34
	v_fmac_f32_e32 v32, v33, v34
.LBB152_401:
	s_or_b64 exec, exec, s[24:25]
.LBB152_402:
	s_andn2_saveexec_b64 s[22:23], s[22:23]
	s_cbranch_execz .LBB152_404
; %bb.403:
	v_cvt_i32_f32_e32 v32, v31
	v_mov_b32_e32 v33, 0x3af135b4
	v_mov_b32_e32 v34, 0x3cda40e4
	;; [unrolled: 1-line block ×3, first 2 shown]
	v_cvt_f32_i32_e32 v36, v32
	v_mov_b32_e32 v37, 0x3ea6cc7a
	v_mov_b32_e32 v38, 0x3e5c245a
	v_cmp_lt_i32_e64 s[12:13], 2, v32
	v_sub_f32_e64 v36, |v30|, v36
	v_fmac_f32_e32 v33, 0x3805ff67, v36
	v_fmac_f32_e32 v34, v36, v33
	;; [unrolled: 1-line block ×3, first 2 shown]
	v_mov_b32_e32 v34, 0x3a4beed6
	v_fmac_f32_e32 v37, v36, v35
	v_fmac_f32_e32 v34, 0x36f5d7bd, v36
	v_mov_b32_e32 v35, 0x3c98bf54
	v_fmac_f32_e32 v35, v36, v34
	v_mov_b32_e32 v34, 0x3e300f6e
	;; [unrolled: 2-line block ×4, first 2 shown]
	v_fmac_f32_e32 v34, v36, v35
	v_add_f32_e32 v35, 2.0, v36
	v_mov_b32_e32 v39, 0xbd9e233f
	v_fmac_f32_e32 v38, v36, v37
	v_add_f32_e32 v37, 0x40400000, v36
	v_cndmask_b32_e64 v35, 1.0, v35, s[12:13]
	v_cmp_lt_i32_e64 s[12:13], 3, v32
	v_fmac_f32_e32 v39, v36, v38
	v_add_f32_e32 v38, 4.0, v36
	v_cndmask_b32_e64 v37, 1.0, v37, s[12:13]
	v_cmp_lt_i32_e64 s[12:13], 4, v32
	v_mul_f32_e32 v33, v36, v39
	v_add_f32_e32 v39, 0x40a00000, v36
	v_mul_f32_e32 v35, v35, v37
	v_cndmask_b32_e64 v37, 1.0, v38, s[12:13]
	v_cmp_lt_i32_e64 s[12:13], 5, v32
	v_add_f32_e32 v40, 0x40c00000, v36
	v_mul_f32_e32 v35, v37, v35
	v_cndmask_b32_e64 v37, 1.0, v39, s[12:13]
	v_cmp_lt_i32_e64 s[12:13], 6, v32
	v_mul_f32_e32 v35, v37, v35
	v_cndmask_b32_e64 v32, 1.0, v40, s[12:13]
	v_mul_f32_e32 v32, v32, v35
	s_mov_b32 s12, 0x800000
	v_cmp_gt_f32_e64 s[12:13], s12, v32
	v_cndmask_b32_e64 v35, 0, 32, s[12:13]
	v_fma_f32 v34, v36, v34, 1.0
	v_ldexp_f32 v32, v32, v35
	v_rcp_f32_e32 v34, v34
	v_log_f32_e32 v32, v32
	s_mov_b32 s14, 0x3f317217
	v_mul_f32_e32 v33, v33, v34
	v_mul_f32_e32 v34, 0x3f317217, v32
	v_fma_f32 v35, v32, s14, -v34
	v_fmac_f32_e32 v35, 0x3377d1cf, v32
	s_mov_b32 s14, 0x7f800000
	v_add_f32_e32 v34, v34, v35
	v_cmp_lt_f32_e64 s[14:15], |v32|, s14
	v_cndmask_b32_e64 v32, v32, v34, s[14:15]
	v_mov_b32_e32 v34, 0x41b17218
	v_cndmask_b32_e64 v34, 0, v34, s[12:13]
	v_fmac_f32_e32 v33, 0.5, v36
	v_sub_f32_e32 v32, v32, v34
	v_add_f32_e32 v32, v32, v33
.LBB152_404:
	s_or_b64 exec, exec, s[22:23]
.LBB152_405:
	s_andn2_saveexec_b64 s[18:19], s[18:19]
	s_cbranch_execz .LBB152_423
; %bb.406:
	s_mov_b32 s12, 0x3f666666
	v_cmp_le_f32_e64 s[12:13], |v30|, s12
                                        ; implicit-def: $vgpr32
                                        ; implicit-def: $vgpr34
                                        ; implicit-def: $vgpr33
	s_and_saveexec_b64 s[14:15], s[12:13]
	s_xor_b64 s[22:23], exec, s[14:15]
	s_cbranch_execz .LBB152_408
; %bb.407:
	s_mov_b32 s12, 0x800000
	v_cmp_lt_f32_e64 s[12:13], |v30|, s12
	v_cndmask_b32_e64 v32, 0, 32, s[12:13]
	v_ldexp_f32 v32, |v30|, v32
	v_log_f32_e32 v32, v32
	s_mov_b32 s14, 0x3f317217
	s_mov_b32 s15, 0x7f800000
	v_mul_f32_e32 v33, 0x3f317217, v32
	v_fma_f32 v34, v32, s14, -v33
	v_fmac_f32_e32 v34, 0x3377d1cf, v32
	v_add_f32_e32 v33, v33, v34
	v_cmp_lt_f32_e64 s[14:15], |v32|, s15
	v_cndmask_b32_e64 v32, v32, v33, s[14:15]
	v_mov_b32_e32 v33, 0x41b17218
	v_cndmask_b32_e64 v33, 0, v33, s[12:13]
	s_mov_b32 s12, 0x3f3b4a23
	s_mov_b32 s13, 0xbeec5b0c
	v_sub_f32_e32 v32, v32, v33
	v_sub_f32_e64 v33, 1.0, |v30|
	v_add_f32_e64 v34, |v30|, s13
	v_cmp_lt_f32_e64 s[12:13], |v30|, s12
	v_cndmask_b32_e64 v33, v33, v34, s[12:13]
	v_cndmask_b32_e64 v34, 0, 1, s[12:13]
	s_mov_b32 s12, 0x3e6d3309
	v_cmp_lt_f32_e64 s[12:13], |v30|, s12
	v_xor_b32_e32 v32, 0x80000000, v32
	v_cndmask_b32_e64 v33, v33, |v30|, s[12:13]
	v_cndmask_b32_e64 v34, v34, 2, s[12:13]
.LBB152_408:
	s_andn2_saveexec_b64 s[14:15], s[22:23]
	s_cbranch_execz .LBB152_410
; %bb.409:
	s_mov_b32 s12, 0x3fdda512
	s_mov_b32 s13, 0xbfbb16c3
	v_sub_f32_e64 v32, 2.0, |v30|
	v_add_f32_e64 v33, |v30|, s13
	v_cmp_lt_f32_e64 s[12:13], |v30|, s12
	v_cndmask_b32_e64 v33, v32, v33, s[12:13]
	v_cndmask_b32_e64 v32, v32, 1.0, s[12:13]
	v_cvt_i32_f32_e32 v32, v32
	s_mov_b32 s12, 0x3f9d70a4
	v_add_f32_e64 v34, |v30|, -1.0
	v_cmp_lt_f32_e64 s[12:13], |v30|, s12
	v_cndmask_b32_e64 v33, v33, v34, s[12:13]
	v_cndmask_b32_e64 v34, v32, 2, s[12:13]
	v_mov_b32_e32 v32, 0
.LBB152_410:
	s_or_b64 exec, exec, s[14:15]
	v_cmp_lt_i32_e64 s[12:13], 0, v34
	s_and_saveexec_b64 s[14:15], s[12:13]
	s_xor_b64 s[14:15], exec, s[14:15]
	s_cbranch_execz .LBB152_418
; %bb.411:
	v_cmp_lt_i32_e64 s[12:13], 1, v34
	s_and_saveexec_b64 s[22:23], s[12:13]
	s_xor_b64 s[22:23], exec, s[22:23]
	s_cbranch_execz .LBB152_415
; %bb.412:
	v_cmp_eq_u32_e64 s[12:13], 2, v34
	s_and_saveexec_b64 s[24:25], s[12:13]
	s_cbranch_execz .LBB152_414
; %bb.413:
	v_mov_b32_e32 v34, 0x3e6a7578
	v_fmac_f32_e32 v34, 0x3c5b3c5e, v33
	v_mov_b32_e32 v35, 0x3f7a4bb2
	v_fmac_f32_e32 v35, v33, v34
	;; [unrolled: 2-line block ×8, first 2 shown]
	v_fma_f32 v34, v33, v36, 1.0
	v_rcp_f32_e32 v34, v34
	v_mov_b32_e32 v36, 0xbd9e233f
	v_fmac_f32_e32 v36, v33, v35
	v_mul_f32_e32 v35, v33, v36
	v_mul_f32_e32 v34, v35, v34
	v_fmac_f32_e32 v34, -0.5, v33
	v_add_f32_e32 v32, v32, v34
.LBB152_414:
	s_or_b64 exec, exec, s[24:25]
                                        ; implicit-def: $vgpr33
.LBB152_415:
	s_andn2_saveexec_b64 s[12:13], s[22:23]
	s_cbranch_execz .LBB152_417
; %bb.416:
	v_mul_f32_e32 v34, v33, v33
	v_mul_f32_e32 v35, v33, v34
	v_mov_b32_e32 v36, 0xbab7f476
	v_fmac_f32_e32 v36, 0x39a57b6b, v35
	v_mov_b32_e32 v37, 0x3bc7e707
	v_fmac_f32_e32 v37, v35, v36
	;; [unrolled: 2-line block ×12, first 2 shown]
	v_fmac_f32_e32 v38, v33, v39
	s_mov_b32 s22, 0xa2863e55
	v_fma_f32 v33, v35, -v38, s22
	v_fma_f32 v33, v34, v37, -v33
	v_add_f32_e32 v33, 0xbdf8cdce, v33
	v_add_f32_e32 v32, v32, v33
.LBB152_417:
	s_or_b64 exec, exec, s[12:13]
                                        ; implicit-def: $vgpr34
                                        ; implicit-def: $vgpr33
.LBB152_418:
	s_andn2_saveexec_b64 s[14:15], s[14:15]
	s_cbranch_execz .LBB152_422
; %bb.419:
	v_cmp_eq_u32_e64 s[12:13], 0, v34
	s_and_saveexec_b64 s[22:23], s[12:13]
	s_cbranch_execz .LBB152_421
; %bb.420:
	v_mul_f32_e32 v34, v33, v33
	v_mov_b32_e32 v35, 0x39679767
	v_fmac_f32_e32 v35, 0x37d383a2, v34
	v_mov_b32_e32 v36, 0x3a9c54a1
	v_fmac_f32_e32 v36, v34, v35
	v_mov_b32_e32 v35, 0x3bf2027e
	v_fmac_f32_e32 v35, v34, v36
	v_mov_b32_e32 v36, 0x3d89f001
	v_fmac_f32_e32 v36, v34, v35
	v_mov_b32_e32 v35, 0x3d9e233f
	v_fmac_f32_e32 v35, v34, v36
	v_mov_b32_e32 v36, 0x38e28445
	v_fmac_f32_e32 v36, 0x383c2c75, v34
	v_mov_b32_e32 v37, 0x3a05b634
	v_fmac_f32_e32 v37, v34, v36
	v_mov_b32_e32 v36, 0x3b3d6ec6
	v_fmac_f32_e32 v36, v34, v37
	v_mov_b32_e32 v37, 0x3ca89915
	v_fmac_f32_e32 v37, v34, v36
	v_mov_b32_e32 v36, 0x3ea51a66
	v_fmac_f32_e32 v36, v34, v37
	v_mul_f32_e32 v34, v34, v36
	v_fmac_f32_e32 v34, v33, v35
	v_fmac_f32_e32 v34, -0.5, v33
	v_add_f32_e32 v32, v32, v34
.LBB152_421:
	s_or_b64 exec, exec, s[22:23]
.LBB152_422:
	s_or_b64 exec, exec, s[14:15]
.LBB152_423:
	s_or_b64 exec, exec, s[18:19]
.LBB152_424:
	s_andn2_saveexec_b64 s[16:17], s[16:17]
	s_cbranch_execz .LBB152_426
; %bb.425:
	s_mov_b32 s12, 0x3e8a8991
	v_mov_b32_e32 v32, 0xbecd26ab
	v_fma_f32 v32, |v30|, s12, v32
	s_mov_b32 s12, 0x3f528d33
	v_fma_f32 v32, |v30|, v32, s12
	s_mov_b32 s12, 0x800000
	v_cmp_lt_f32_e64 s[12:13], |v30|, s12
	v_cndmask_b32_e64 v33, 0, 32, s[12:13]
	v_ldexp_f32 v33, |v30|, v33
	v_log_f32_e32 v33, v33
	s_mov_b32 s14, 0xbf13c468
	v_fma_f32 v32, |v30|, v32, s14
	s_mov_b32 s14, 0x3f317217
	v_mul_f32_e32 v34, 0x3f317217, v33
	v_fma_f32 v35, v33, s14, -v34
	v_fmac_f32_e32 v35, 0x3377d1cf, v33
	s_mov_b32 s14, 0x7f800000
	v_add_f32_e32 v34, v34, v35
	v_cmp_lt_f32_e64 s[14:15], |v33|, s14
	v_cndmask_b32_e64 v33, v33, v34, s[14:15]
	v_mov_b32_e32 v34, 0x41b17218
	v_cndmask_b32_e64 v34, 0, v34, s[12:13]
	v_sub_f32_e32 v33, v33, v34
	v_fma_f32 v32, |v30|, v32, -v33
.LBB152_426:
	s_or_b64 exec, exec, s[16:17]
	v_cmp_le_f16_e64 s[12:13], 0, v9
	v_cmp_nle_f16_e64 s[14:15], 0, v9
	s_and_saveexec_b64 s[16:17], s[14:15]
	s_xor_b64 s[18:19], exec, s[16:17]
	s_cbranch_execz .LBB152_430
; %bb.427:
	s_mov_b32 s14, 0x4b000000
	s_mov_b32 s16, 0x35000000
	v_cmp_lt_f32_e64 s[14:15], |v30|, s14
	v_cmp_gt_f32_e64 s[16:17], |v30|, s16
	s_and_b64 s[14:15], s[14:15], s[16:17]
	s_and_saveexec_b64 s[22:23], s[14:15]
	s_cbranch_execz .LBB152_429
; %bb.428:
	v_mul_f32_e64 v33, |v30|, 0.5
	v_floor_f32_e32 v34, v33
	v_sub_f32_e32 v34, v33, v34
	v_min_f32_e32 v34, 0x3f7fffff, v34
	s_mov_b32 s16, 0x7f800000
	v_add_f32_e32 v34, v34, v34
	v_cmp_neq_f32_e64 s[14:15], s16, v33
	v_cndmask_b32_e64 v33, 0, v34, s[14:15]
	v_cmp_gt_f32_e64 s[14:15], |v30|, 1.0
	v_cndmask_b32_e64 v33, |v30|, v33, s[14:15]
	v_add_f32_e32 v34, v33, v33
	v_rndne_f32_e32 v34, v34
	v_fmac_f32_e32 v33, -0.5, v34
	v_mul_f32_e32 v35, v33, v33
	v_mov_b32_e32 v36, 0xbf1f24be
	v_fmac_f32_e32 v36, 0x3e75aa41, v35
	v_mov_b32_e32 v37, 0x40234736
	v_fmac_f32_e32 v37, v35, v36
	;; [unrolled: 2-line block ×3, first 2 shown]
	v_mul_f32_e32 v37, v33, v35
	v_mul_f32_e32 v36, v37, v36
	v_fmac_f32_e32 v36, 0x40490fdb, v33
	v_mov_b32_e32 v33, 0x3e642e9d
	v_cvt_i32_f32_e32 v34, v34
	v_fmac_f32_e32 v33, 0x3d4be544, v35
	v_mov_b32_e32 v37, 0xbfaad1da
	v_fmac_f32_e32 v37, v35, v33
	v_mov_b32_e32 v33, 0x4081e0d3
	;; [unrolled: 2-line block ×3, first 2 shown]
	v_fmac_f32_e32 v37, v35, v33
	v_fma_f32 v33, v35, v37, 1.0
	v_and_b32_e32 v35, 1, v34
	v_lshlrev_b32_e32 v34, 30, v34
	v_cmp_eq_u32_e64 s[14:15], 0, v35
	v_and_b32_e32 v34, 0x80000000, v34
	v_xor_b32_e32 v31, v31, v30
	v_cndmask_b32_e64 v33, v33, v36, s[14:15]
	v_xor_b32_e32 v31, v31, v34
	v_xor_b32_e32 v31, v31, v33
	v_mul_f32_e32 v31, v30, v31
	v_frexp_mant_f32_e64 v33, |v31|
	v_rcp_f32_e32 v33, v33
	v_frexp_exp_i32_f32_e32 v31, v31
	v_sub_u32_e32 v31, 2, v31
	s_mov_b32 s14, 0x800000
	v_mul_f32_e32 v33, 0x3f490fdb, v33
	v_ldexp_f32 v31, v33, v31
	v_cmp_gt_f32_e64 s[14:15], s14, v31
	v_cndmask_b32_e64 v33, 0, 32, s[14:15]
	v_ldexp_f32 v31, v31, v33
	v_log_f32_e32 v31, v31
	s_mov_b32 s17, 0x3f317217
	v_mul_f32_e32 v33, 0x3f317217, v31
	v_fma_f32 v34, v31, s17, -v33
	v_fmac_f32_e32 v34, 0x3377d1cf, v31
	v_add_f32_e32 v33, v33, v34
	v_cmp_lt_f32_e64 s[16:17], |v31|, s16
	v_cndmask_b32_e64 v31, v31, v33, s[16:17]
	v_mov_b32_e32 v33, 0x41b17218
	v_cndmask_b32_e64 v33, 0, v33, s[14:15]
	v_sub_f32_e32 v31, v31, v33
	v_sub_f32_e32 v31, v31, v32
	v_floor_f32_e32 v32, v30
	v_sub_f32_e32 v32, v30, v32
	v_min_f32_e32 v32, 0x3f7fffff, v32
	v_mov_b32_e32 v33, 0x7f800000
	v_cmp_neq_f32_e64 s[14:15], 0, v32
	v_cndmask_b32_e64 v32, v33, v31, s[14:15]
.LBB152_429:
	s_or_b64 exec, exec, s[22:23]
.LBB152_430:
	s_andn2_saveexec_b64 s[18:19], s[18:19]
; %bb.431:
	v_cmp_eq_f16_e64 s[14:15], 1.0, v9
	v_cmp_eq_f16_e64 s[16:17], 2.0, v9
	s_or_b64 s[14:15], s[14:15], s[16:17]
	v_cndmask_b32_e64 v32, v32, 0, s[14:15]
; %bb.432:
	s_or_b64 exec, exec, s[18:19]
	v_cvt_f16_f32_e32 v29, v29
	s_mov_b32 s16, 0x4b000000
	v_cmp_lt_f32_e64 s[14:15], |v28|, s16
	v_mov_b32_e32 v31, 0x264
	v_mov_b32_e32 v33, 0x7c00
	s_or_b64 s[10:11], s[10:11], s[14:15]
	v_cndmask_b32_e64 v29, v33, v29, s[10:11]
	v_cmp_class_f32_e64 s[10:11], v28, v31
	v_cvt_f16_f32_e32 v27, v27
	v_cndmask_b32_e64 v28, v29, v33, s[10:11]
	v_cmp_u_f16_e64 s[10:11], v11, v11
	v_cndmask_b32_e64 v11, v28, v11, s[10:11]
	v_cmp_lt_f32_e64 s[10:11], |v26|, s16
	s_or_b64 s[8:9], s[8:9], s[10:11]
	v_cndmask_b32_e64 v27, v33, v27, s[8:9]
	v_cmp_class_f32_e64 s[8:9], v26, v31
	v_cvt_f16_f32_e32 v25, v25
	v_cndmask_b32_e64 v26, v27, v33, s[8:9]
	v_cmp_u_f16_e64 s[8:9], v13, v13
	v_cndmask_b32_e64 v13, v26, v13, s[8:9]
	v_cmp_lt_f32_e64 s[8:9], |v24|, s16
	;; [unrolled: 8-line block ×6, first 2 shown]
	s_or_b64 vcc, vcc, s[0:1]
	v_cndmask_b32_e32 v12, v33, v12, vcc
	v_cmp_class_f32_e32 vcc, v10, v31
	v_cndmask_b32_e32 v10, v12, v33, vcc
	v_cvt_f16_f32_e32 v12, v32
	v_cmp_u_f16_e32 vcc, v8, v8
	v_cmp_lt_f32_e64 s[0:1], |v30|, s16
	v_cndmask_b32_e32 v8, v10, v8, vcc
	s_or_b64 vcc, s[12:13], s[0:1]
	v_cndmask_b32_e32 v10, v33, v12, vcc
	v_cmp_class_f32_e32 vcc, v30, v31
	v_cndmask_b32_e32 v10, v10, v33, vcc
	v_cmp_u_f16_e32 vcc, v9, v9
	v_cndmask_b32_e32 v9, v10, v9, vcc
	global_store_short v0, v8, s[20:21]
	global_store_short v1, v14, s[20:21]
	;; [unrolled: 1-line block ×8, first 2 shown]
	s_endpgm
.LBB152_433:
	v_mov_b32_e32 v0, 0
	v_mov_b32_e32 v2, 0
	s_branch .LBB152_439
.LBB152_434:
	v_mov_b32_e32 v0, 0
	v_mov_b32_e32 v2, 0
	s_branch .LBB152_493
.LBB152_435:
	s_mov_b32 s57, 0
	v_mov_b32_e32 v0, 0
	v_mov_b32_e32 v2, 0
	;; [unrolled: 1-line block ×3, first 2 shown]
.LBB152_436:
	s_and_b32 s4, s58, 3
	s_cmp_eq_u32 s4, 0
	s_cbranch_scc1 .LBB152_439
; %bb.437:
	s_lshl_b32 s0, s57, 3
	s_add_u32 s0, s34, s0
	s_addc_u32 s1, s35, 0
	s_add_u32 s0, s0, 0xc4
	s_addc_u32 s1, s1, 0
	s_mul_i32 s2, s57, 12
	s_add_u32 s2, s34, s2
	s_addc_u32 s3, s35, 0
.LBB152_438:                            ; =>This Inner Loop Header: Depth=1
	s_load_dwordx2 s[6:7], s[2:3], 0x4
	s_load_dword s5, s[2:3], 0xc
	s_load_dwordx2 s[8:9], s[0:1], 0x0
	s_add_u32 s2, s2, 12
	s_addc_u32 s3, s3, 0
	s_waitcnt lgkmcnt(0)
	v_mul_hi_u32 v3, s7, v1
	s_add_u32 s0, s0, 8
	s_addc_u32 s1, s1, 0
	s_add_i32 s4, s4, -1
	v_add_u32_e32 v3, v1, v3
	v_lshrrev_b32_e32 v4, s5, v3
	v_mul_lo_u32 v3, v4, s6
	s_cmp_lg_u32 s4, 0
	v_sub_u32_e32 v3, v1, v3
	v_mad_u64_u32 v[0:1], s[6:7], v3, s8, v[0:1]
	v_mad_u64_u32 v[2:3], s[6:7], v3, s9, v[2:3]
	v_mov_b32_e32 v1, v4
	s_cbranch_scc1 .LBB152_438
.LBB152_439:
	s_cbranch_execnz .LBB152_442
.LBB152_440:
	s_waitcnt lgkmcnt(0)
	v_mul_hi_u32 v0, s25, v7
	s_andn2_b64 vcc, exec, s[42:43]
	v_add_u32_e32 v0, v7, v0
	v_lshrrev_b32_e32 v1, s26, v0
	v_mul_lo_u32 v0, v1, s24
	v_sub_u32_e32 v2, v7, v0
	v_mul_lo_u32 v0, v2, s20
	v_mul_lo_u32 v2, v2, s21
	s_cbranch_vccnz .LBB152_442
; %bb.441:
	v_mul_hi_u32 v3, s40, v1
	v_add_u32_e32 v3, v1, v3
	v_lshrrev_b32_e32 v3, s41, v3
	v_mul_lo_u32 v3, v3, s27
	v_sub_u32_e32 v3, v1, v3
	v_mad_u64_u32 v[0:1], s[0:1], v3, s22, v[0:1]
	v_mad_u64_u32 v[2:3], s[0:1], v3, s23, v[2:3]
.LBB152_442:
	s_waitcnt lgkmcnt(0)
	global_load_ushort v1, v2, s[18:19]
	s_mov_b32 s0, 0x3c800000
                                        ; implicit-def: $vgpr4
	s_waitcnt vmcnt(0)
	v_cvt_f32_f16_e32 v2, v1
	v_and_b32_e32 v3, 0x7fffffff, v2
	v_cmp_nlt_f32_e64 s[0:1], |v2|, s0
	s_and_saveexec_b64 s[2:3], s[0:1]
	s_xor_b64 s[2:3], exec, s[2:3]
	s_cbranch_execz .LBB152_472
; %bb.443:
	v_cmp_nlt_f32_e64 s[0:1], |v2|, 2.0
                                        ; implicit-def: $vgpr4
	s_and_saveexec_b64 s[4:5], s[0:1]
	s_xor_b64 s[4:5], exec, s[4:5]
	s_cbranch_execz .LBB152_453
; %bb.444:
	s_mov_b32 s0, 0x41000000
	v_cmp_nlt_f32_e64 s[0:1], |v2|, s0
                                        ; implicit-def: $vgpr4
	s_and_saveexec_b64 s[6:7], s[0:1]
	s_xor_b64 s[6:7], exec, s[6:7]
	s_cbranch_execz .LBB152_450
; %bb.445:
	s_mov_b32 s0, 0x5c800000
	v_cmp_nlt_f32_e64 s[0:1], |v2|, s0
                                        ; implicit-def: $vgpr4
	s_and_saveexec_b64 s[8:9], s[0:1]
	s_xor_b64 s[8:9], exec, s[8:9]
	s_cbranch_execz .LBB152_447
; %bb.446:
	s_mov_b32 s0, 0x800000
	v_cmp_lt_f32_e64 vcc, |v2|, s0
	v_cndmask_b32_e64 v4, 0, 32, vcc
	v_ldexp_f32 v4, |v2|, v4
	v_log_f32_e32 v4, v4
	s_mov_b32 s0, 0x3f317217
	s_mov_b32 s1, 0x7f800000
	v_mul_f32_e32 v5, 0x3f317217, v4
	v_fma_f32 v6, v4, s0, -v5
	v_fmac_f32_e32 v6, 0x3377d1cf, v4
	v_add_f32_e32 v5, v5, v6
	v_cmp_lt_f32_e64 s[0:1], |v4|, s1
	v_cndmask_b32_e64 v4, v4, v5, s[0:1]
	v_mov_b32_e32 v5, 0x41b17218
	v_cndmask_b32_e32 v5, 0, v5, vcc
	v_sub_f32_e32 v4, v4, v5
	v_fma_f32 v4, |v2|, v4, -|v2|
.LBB152_447:
	s_andn2_saveexec_b64 s[8:9], s[8:9]
	s_cbranch_execz .LBB152_449
; %bb.448:
	v_rcp_f32_e64 v5, |v2|
	v_mov_b32_e32 v4, 0x3a5b3dd2
	v_mov_b32_e32 v6, 0xba1c065c
	;; [unrolled: 1-line block ×3, first 2 shown]
	v_mul_f32_e32 v9, v5, v5
	v_fmac_f32_e32 v4, 0xbad5c4e8, v9
	v_fmac_f32_e32 v6, v9, v4
	s_mov_b32 s0, 0x800000
	v_fmac_f32_e32 v8, v9, v6
	v_mov_b32_e32 v4, 0xbb360b61
	v_cmp_lt_f32_e64 vcc, |v2|, s0
	v_fmac_f32_e32 v4, v9, v8
	v_cndmask_b32_e64 v8, 0, 32, vcc
	v_ldexp_f32 v8, |v2|, v8
	v_log_f32_e32 v8, v8
	v_mov_b32_e32 v6, 0x3daaaaab
	v_fmac_f32_e32 v6, v9, v4
	v_mov_b32_e32 v4, 0x3ed67f1d
	v_fmac_f32_e32 v4, v5, v6
	s_mov_b32 s0, 0x3f317217
	v_mul_f32_e32 v6, 0x3f317217, v8
	v_fma_f32 v9, v8, s0, -v6
	v_fmac_f32_e32 v9, 0x3377d1cf, v8
	s_mov_b32 s0, 0x7f800000
	v_add_f32_e32 v6, v6, v9
	v_cmp_lt_f32_e64 s[0:1], |v8|, s0
	v_cndmask_b32_e64 v6, v8, v6, s[0:1]
	v_mov_b32_e32 v8, 0x41b17218
	v_cndmask_b32_e32 v8, 0, v8, vcc
	v_sub_f32_e32 v6, v6, v8
	v_add_f32_e64 v5, |v2|, -0.5
	v_add_f32_e32 v6, -1.0, v6
	v_fmac_f32_e32 v4, v5, v6
.LBB152_449:
	s_or_b64 exec, exec, s[8:9]
.LBB152_450:
	s_andn2_saveexec_b64 s[6:7], s[6:7]
	s_cbranch_execz .LBB152_452
; %bb.451:
	v_cvt_i32_f32_e32 v4, v3
	v_mov_b32_e32 v5, 0x3af135b4
	v_mov_b32_e32 v6, 0x3cda40e4
	;; [unrolled: 1-line block ×3, first 2 shown]
	v_cvt_f32_i32_e32 v9, v4
	v_mov_b32_e32 v10, 0x3ea6cc7a
	v_mov_b32_e32 v11, 0x3e5c245a
	v_cmp_lt_i32_e32 vcc, 2, v4
	v_sub_f32_e64 v9, |v2|, v9
	v_fmac_f32_e32 v5, 0x3805ff67, v9
	v_fmac_f32_e32 v6, v9, v5
	;; [unrolled: 1-line block ×3, first 2 shown]
	v_mov_b32_e32 v6, 0x3a4beed6
	v_fmac_f32_e32 v10, v9, v8
	v_fmac_f32_e32 v6, 0x36f5d7bd, v9
	v_mov_b32_e32 v8, 0x3c98bf54
	v_fmac_f32_e32 v8, v9, v6
	v_mov_b32_e32 v6, 0x3e300f6e
	;; [unrolled: 2-line block ×4, first 2 shown]
	v_fmac_f32_e32 v6, v9, v8
	v_add_f32_e32 v8, 2.0, v9
	v_mov_b32_e32 v12, 0xbd9e233f
	v_fmac_f32_e32 v11, v9, v10
	v_add_f32_e32 v10, 0x40400000, v9
	v_cndmask_b32_e32 v8, 1.0, v8, vcc
	v_cmp_lt_i32_e32 vcc, 3, v4
	v_fmac_f32_e32 v12, v9, v11
	v_add_f32_e32 v11, 4.0, v9
	v_cndmask_b32_e32 v10, 1.0, v10, vcc
	v_cmp_lt_i32_e32 vcc, 4, v4
	v_mul_f32_e32 v5, v9, v12
	v_add_f32_e32 v12, 0x40a00000, v9
	v_mul_f32_e32 v8, v8, v10
	v_cndmask_b32_e32 v10, 1.0, v11, vcc
	v_cmp_lt_i32_e32 vcc, 5, v4
	v_add_f32_e32 v13, 0x40c00000, v9
	v_mul_f32_e32 v8, v10, v8
	v_cndmask_b32_e32 v10, 1.0, v12, vcc
	v_cmp_lt_i32_e32 vcc, 6, v4
	v_mul_f32_e32 v8, v10, v8
	v_cndmask_b32_e32 v4, 1.0, v13, vcc
	v_mul_f32_e32 v4, v4, v8
	s_mov_b32 s0, 0x800000
	v_cmp_gt_f32_e32 vcc, s0, v4
	v_cndmask_b32_e64 v8, 0, 32, vcc
	v_fma_f32 v6, v9, v6, 1.0
	v_ldexp_f32 v4, v4, v8
	v_rcp_f32_e32 v6, v6
	v_log_f32_e32 v4, v4
	s_mov_b32 s0, 0x3f317217
	v_mul_f32_e32 v5, v5, v6
	v_mul_f32_e32 v6, 0x3f317217, v4
	v_fma_f32 v8, v4, s0, -v6
	v_fmac_f32_e32 v8, 0x3377d1cf, v4
	s_mov_b32 s0, 0x7f800000
	v_add_f32_e32 v6, v6, v8
	v_cmp_lt_f32_e64 s[0:1], |v4|, s0
	v_cndmask_b32_e64 v4, v4, v6, s[0:1]
	v_mov_b32_e32 v6, 0x41b17218
	v_cndmask_b32_e32 v6, 0, v6, vcc
	v_fmac_f32_e32 v5, 0.5, v9
	v_sub_f32_e32 v4, v4, v6
	v_add_f32_e32 v4, v4, v5
.LBB152_452:
	s_or_b64 exec, exec, s[6:7]
.LBB152_453:
	s_andn2_saveexec_b64 s[4:5], s[4:5]
	s_cbranch_execz .LBB152_471
; %bb.454:
	s_mov_b32 s0, 0x3f666666
	v_cmp_le_f32_e64 s[0:1], |v2|, s0
                                        ; implicit-def: $vgpr4
                                        ; implicit-def: $vgpr6
                                        ; implicit-def: $vgpr5
	s_and_saveexec_b64 s[6:7], s[0:1]
	s_xor_b64 s[6:7], exec, s[6:7]
	s_cbranch_execz .LBB152_456
; %bb.455:
	s_mov_b32 s0, 0x800000
	v_cmp_lt_f32_e64 vcc, |v2|, s0
	v_cndmask_b32_e64 v4, 0, 32, vcc
	v_ldexp_f32 v4, |v2|, v4
	v_log_f32_e32 v4, v4
	s_mov_b32 s0, 0x3f317217
	s_mov_b32 s1, 0x7f800000
	v_mul_f32_e32 v5, 0x3f317217, v4
	v_fma_f32 v6, v4, s0, -v5
	v_fmac_f32_e32 v6, 0x3377d1cf, v4
	v_add_f32_e32 v5, v5, v6
	v_cmp_lt_f32_e64 s[0:1], |v4|, s1
	v_cndmask_b32_e64 v4, v4, v5, s[0:1]
	v_mov_b32_e32 v5, 0x41b17218
	v_cndmask_b32_e32 v5, 0, v5, vcc
	s_mov_b32 s0, 0x3f3b4a23
	s_mov_b32 s1, 0xbeec5b0c
	v_sub_f32_e32 v4, v4, v5
	v_sub_f32_e64 v5, 1.0, |v2|
	v_add_f32_e64 v6, |v2|, s1
	v_cmp_lt_f32_e64 vcc, |v2|, s0
	s_mov_b32 s0, 0x3e6d3309
	v_cndmask_b32_e32 v5, v5, v6, vcc
	v_cndmask_b32_e64 v6, 0, 1, vcc
	v_cmp_lt_f32_e64 s[0:1], |v2|, s0
	v_xor_b32_e32 v4, 0x80000000, v4
	v_cndmask_b32_e64 v5, v5, |v2|, s[0:1]
	v_cndmask_b32_e64 v6, v6, 2, s[0:1]
.LBB152_456:
	s_andn2_saveexec_b64 s[0:1], s[6:7]
	s_cbranch_execz .LBB152_458
; %bb.457:
	s_mov_b32 s6, 0x3fdda512
	s_mov_b32 s7, 0xbfbb16c3
	v_sub_f32_e64 v4, 2.0, |v2|
	v_add_f32_e64 v5, |v2|, s7
	v_cmp_lt_f32_e64 vcc, |v2|, s6
	v_cndmask_b32_e32 v5, v4, v5, vcc
	v_cndmask_b32_e64 v4, v4, 1.0, vcc
	v_cvt_i32_f32_e32 v4, v4
	s_mov_b32 s6, 0x3f9d70a4
	v_add_f32_e64 v6, |v2|, -1.0
	v_cmp_lt_f32_e64 vcc, |v2|, s6
	v_cndmask_b32_e32 v5, v5, v6, vcc
	v_cndmask_b32_e64 v6, v4, 2, vcc
	v_mov_b32_e32 v4, 0
.LBB152_458:
	s_or_b64 exec, exec, s[0:1]
	v_cmp_lt_i32_e32 vcc, 0, v6
	s_and_saveexec_b64 s[0:1], vcc
	s_xor_b64 s[0:1], exec, s[0:1]
	s_cbranch_execz .LBB152_466
; %bb.459:
	v_cmp_lt_i32_e32 vcc, 1, v6
	s_and_saveexec_b64 s[6:7], vcc
	s_xor_b64 s[6:7], exec, s[6:7]
	s_cbranch_execz .LBB152_463
; %bb.460:
	v_cmp_eq_u32_e32 vcc, 2, v6
	s_and_saveexec_b64 s[8:9], vcc
	s_cbranch_execz .LBB152_462
; %bb.461:
	v_mov_b32_e32 v6, 0x3e6a7578
	v_fmac_f32_e32 v6, 0x3c5b3c5e, v5
	v_mov_b32_e32 v8, 0x3f7a4bb2
	v_fmac_f32_e32 v8, v5, v6
	;; [unrolled: 2-line block ×8, first 2 shown]
	v_fma_f32 v6, v5, v9, 1.0
	v_rcp_f32_e32 v6, v6
	v_mov_b32_e32 v9, 0xbd9e233f
	v_fmac_f32_e32 v9, v5, v8
	v_mul_f32_e32 v8, v5, v9
	v_mul_f32_e32 v6, v8, v6
	v_fmac_f32_e32 v6, -0.5, v5
	v_add_f32_e32 v4, v4, v6
.LBB152_462:
	s_or_b64 exec, exec, s[8:9]
                                        ; implicit-def: $vgpr5
.LBB152_463:
	s_andn2_saveexec_b64 s[6:7], s[6:7]
	s_cbranch_execz .LBB152_465
; %bb.464:
	v_mul_f32_e32 v6, v5, v5
	v_mul_f32_e32 v8, v5, v6
	v_mov_b32_e32 v9, 0xbab7f476
	v_fmac_f32_e32 v9, 0x39a57b6b, v8
	v_mov_b32_e32 v10, 0x3bc7e707
	v_fmac_f32_e32 v10, v8, v9
	;; [unrolled: 2-line block ×12, first 2 shown]
	v_fmac_f32_e32 v11, v5, v12
	s_mov_b32 s8, 0xa2863e55
	v_fma_f32 v5, v8, -v11, s8
	v_fma_f32 v5, v6, v10, -v5
	v_add_f32_e32 v5, 0xbdf8cdce, v5
	v_add_f32_e32 v4, v4, v5
.LBB152_465:
	s_or_b64 exec, exec, s[6:7]
                                        ; implicit-def: $vgpr6
                                        ; implicit-def: $vgpr5
.LBB152_466:
	s_andn2_saveexec_b64 s[0:1], s[0:1]
	s_cbranch_execz .LBB152_470
; %bb.467:
	v_cmp_eq_u32_e32 vcc, 0, v6
	s_and_saveexec_b64 s[6:7], vcc
	s_cbranch_execz .LBB152_469
; %bb.468:
	v_mul_f32_e32 v6, v5, v5
	v_mov_b32_e32 v8, 0x39679767
	v_fmac_f32_e32 v8, 0x37d383a2, v6
	v_mov_b32_e32 v9, 0x3a9c54a1
	v_fmac_f32_e32 v9, v6, v8
	;; [unrolled: 2-line block ×10, first 2 shown]
	v_mul_f32_e32 v6, v6, v9
	v_fmac_f32_e32 v6, v5, v8
	v_fmac_f32_e32 v6, -0.5, v5
	v_add_f32_e32 v4, v4, v6
.LBB152_469:
	s_or_b64 exec, exec, s[6:7]
.LBB152_470:
	s_or_b64 exec, exec, s[0:1]
.LBB152_471:
	s_or_b64 exec, exec, s[4:5]
.LBB152_472:
	s_andn2_saveexec_b64 s[2:3], s[2:3]
	s_cbranch_execz .LBB152_474
; %bb.473:
	s_mov_b32 s0, 0x3e8a8991
	v_mov_b32_e32 v4, 0xbecd26ab
	v_fma_f32 v4, |v2|, s0, v4
	s_mov_b32 s0, 0x3f528d33
	v_fma_f32 v4, |v2|, v4, s0
	s_mov_b32 s0, 0x800000
	v_cmp_lt_f32_e64 vcc, |v2|, s0
	v_cndmask_b32_e64 v5, 0, 32, vcc
	v_ldexp_f32 v5, |v2|, v5
	v_log_f32_e32 v5, v5
	s_mov_b32 s0, 0xbf13c468
	v_fma_f32 v4, |v2|, v4, s0
	s_mov_b32 s0, 0x3f317217
	v_mul_f32_e32 v6, 0x3f317217, v5
	v_fma_f32 v8, v5, s0, -v6
	v_fmac_f32_e32 v8, 0x3377d1cf, v5
	s_mov_b32 s0, 0x7f800000
	v_add_f32_e32 v6, v6, v8
	v_cmp_lt_f32_e64 s[0:1], |v5|, s0
	v_cndmask_b32_e64 v5, v5, v6, s[0:1]
	v_mov_b32_e32 v6, 0x41b17218
	v_cndmask_b32_e32 v6, 0, v6, vcc
	v_sub_f32_e32 v5, v5, v6
	v_fma_f32 v4, |v2|, v4, -v5
.LBB152_474:
	s_or_b64 exec, exec, s[2:3]
	v_cmp_le_f16_e32 vcc, 0, v1
	v_cmp_nle_f16_e64 s[0:1], 0, v1
	s_and_saveexec_b64 s[2:3], s[0:1]
	s_xor_b64 s[4:5], exec, s[2:3]
	s_cbranch_execz .LBB152_478
; %bb.475:
	s_mov_b32 s0, 0x4b000000
	s_mov_b32 s2, 0x35000000
	v_cmp_lt_f32_e64 s[0:1], |v2|, s0
	v_cmp_gt_f32_e64 s[2:3], |v2|, s2
	s_and_b64 s[0:1], s[0:1], s[2:3]
	s_and_saveexec_b64 s[6:7], s[0:1]
	s_cbranch_execz .LBB152_477
; %bb.476:
	v_mul_f32_e64 v5, |v2|, 0.5
	v_floor_f32_e32 v6, v5
	v_sub_f32_e32 v6, v5, v6
	v_min_f32_e32 v6, 0x3f7fffff, v6
	s_mov_b32 s2, 0x7f800000
	v_add_f32_e32 v6, v6, v6
	v_cmp_neq_f32_e64 s[0:1], s2, v5
	v_cndmask_b32_e64 v5, 0, v6, s[0:1]
	v_cmp_gt_f32_e64 s[0:1], |v2|, 1.0
	v_cndmask_b32_e64 v5, |v2|, v5, s[0:1]
	v_add_f32_e32 v6, v5, v5
	v_rndne_f32_e32 v6, v6
	v_fmac_f32_e32 v5, -0.5, v6
	v_mul_f32_e32 v8, v5, v5
	v_mov_b32_e32 v9, 0xbf1f24be
	v_fmac_f32_e32 v9, 0x3e75aa41, v8
	v_mov_b32_e32 v10, 0x40234736
	v_fmac_f32_e32 v10, v8, v9
	;; [unrolled: 2-line block ×3, first 2 shown]
	v_mul_f32_e32 v10, v5, v8
	v_mul_f32_e32 v9, v10, v9
	v_fmac_f32_e32 v9, 0x40490fdb, v5
	v_mov_b32_e32 v5, 0x3e642e9d
	v_cvt_i32_f32_e32 v6, v6
	v_fmac_f32_e32 v5, 0x3d4be544, v8
	v_mov_b32_e32 v10, 0xbfaad1da
	v_fmac_f32_e32 v10, v8, v5
	v_mov_b32_e32 v5, 0x4081e0d3
	;; [unrolled: 2-line block ×3, first 2 shown]
	v_fmac_f32_e32 v10, v8, v5
	v_fma_f32 v5, v8, v10, 1.0
	v_and_b32_e32 v8, 1, v6
	v_lshlrev_b32_e32 v6, 30, v6
	v_cmp_eq_u32_e64 s[0:1], 0, v8
	v_and_b32_e32 v6, 0x80000000, v6
	v_xor_b32_e32 v3, v3, v2
	v_cndmask_b32_e64 v5, v5, v9, s[0:1]
	v_xor_b32_e32 v3, v3, v6
	v_xor_b32_e32 v3, v3, v5
	v_mul_f32_e32 v3, v2, v3
	v_frexp_mant_f32_e64 v5, |v3|
	v_rcp_f32_e32 v5, v5
	v_frexp_exp_i32_f32_e32 v3, v3
	v_sub_u32_e32 v3, 2, v3
	s_mov_b32 s0, 0x800000
	v_mul_f32_e32 v5, 0x3f490fdb, v5
	v_ldexp_f32 v3, v5, v3
	v_cmp_gt_f32_e64 s[0:1], s0, v3
	v_cndmask_b32_e64 v5, 0, 32, s[0:1]
	v_ldexp_f32 v3, v3, v5
	v_log_f32_e32 v3, v3
	s_mov_b32 s3, 0x3f317217
	v_mul_f32_e32 v5, 0x3f317217, v3
	v_fma_f32 v6, v3, s3, -v5
	v_fmac_f32_e32 v6, 0x3377d1cf, v3
	v_add_f32_e32 v5, v5, v6
	v_cmp_lt_f32_e64 s[2:3], |v3|, s2
	v_cndmask_b32_e64 v3, v3, v5, s[2:3]
	v_mov_b32_e32 v5, 0x41b17218
	v_cndmask_b32_e64 v5, 0, v5, s[0:1]
	v_sub_f32_e32 v3, v3, v5
	v_sub_f32_e32 v3, v3, v4
	v_floor_f32_e32 v4, v2
	v_sub_f32_e32 v4, v2, v4
	v_min_f32_e32 v4, 0x3f7fffff, v4
	v_mov_b32_e32 v5, 0x7f800000
	v_cmp_neq_f32_e64 s[0:1], 0, v4
	v_cndmask_b32_e64 v4, v5, v3, s[0:1]
.LBB152_477:
	s_or_b64 exec, exec, s[6:7]
.LBB152_478:
	s_andn2_saveexec_b64 s[4:5], s[4:5]
; %bb.479:
	v_cmp_eq_f16_e64 s[0:1], 1.0, v1
	v_cmp_eq_f16_e64 s[2:3], 2.0, v1
	s_or_b64 s[0:1], s[0:1], s[2:3]
	v_cndmask_b32_e64 v4, v4, 0, s[0:1]
; %bb.480:
	s_or_b64 exec, exec, s[4:5]
	v_cvt_f16_f32_e32 v4, v4
	s_mov_b32 s0, 0x4b000000
	v_cmp_lt_f32_e64 s[0:1], |v2|, s0
	v_mov_b32_e32 v3, 0x264
	v_mov_b32_e32 v5, 0x7c00
	s_or_b64 vcc, vcc, s[0:1]
	v_cndmask_b32_e32 v4, v5, v4, vcc
	v_cmp_class_f32_e32 vcc, v2, v3
	v_cndmask_b32_e32 v2, v4, v5, vcc
	v_cmp_u_f16_e32 vcc, v1, v1
	v_cndmask_b32_e32 v1, v2, v1, vcc
	v_add_u32_e32 v7, 0x80, v7
	global_store_short v0, v1, s[16:17]
	s_or_b64 exec, exec, s[48:49]
	v_cmp_gt_i32_e32 vcc, s55, v7
	s_and_saveexec_b64 s[48:49], vcc
	s_cbranch_execnz .LBB152_15
.LBB152_481:
	s_or_b64 exec, exec, s[48:49]
	v_cmp_gt_i32_e32 vcc, s55, v7
	s_and_saveexec_b64 s[48:49], vcc
	s_cbranch_execz .LBB152_535
.LBB152_482:
	s_andn2_b64 vcc, exec, s[36:37]
	s_cbranch_vccnz .LBB152_487
; %bb.483:
	s_andn2_b64 vcc, exec, s[46:47]
	s_cbranch_vccnz .LBB152_488
; %bb.484:
	s_add_i32 s58, s56, 1
	s_cmp_eq_u32 s54, 2
	s_cbranch_scc1 .LBB152_543
; %bb.485:
	s_and_b32 s57, s58, 28
	v_mov_b32_e32 v2, 0
	s_mov_b32 s59, 0
	s_mov_b64 s[50:51], s[34:35]
	s_mov_b64 s[52:53], s[44:45]
	v_mov_b32_e32 v0, 0
	v_mov_b32_e32 v1, v7
.LBB152_486:                            ; =>This Inner Loop Header: Depth=1
	s_load_dwordx8 s[8:15], s[50:51], 0x4
	s_load_dwordx4 s[28:31], s[50:51], 0x24
	s_load_dwordx8 s[0:7], s[52:53], 0x0
	s_add_u32 s50, s50, 48
	s_addc_u32 s51, s51, 0
	s_waitcnt lgkmcnt(0)
	v_mul_hi_u32 v3, s9, v1
	s_add_i32 s59, s59, 4
	s_add_u32 s52, s52, 32
	s_addc_u32 s53, s53, 0
	v_add_u32_e32 v3, v1, v3
	v_lshrrev_b32_e32 v3, s10, v3
	v_mul_lo_u32 v4, v3, s8
	v_mul_hi_u32 v5, s12, v3
	s_cmp_eq_u32 s57, s59
	v_sub_u32_e32 v1, v1, v4
	v_add_u32_e32 v4, v3, v5
	v_mul_lo_u32 v5, v1, s0
	v_mul_lo_u32 v6, v1, s1
	v_lshrrev_b32_e32 v1, s13, v4
	v_mul_lo_u32 v4, v1, s11
	v_mul_hi_u32 v8, s15, v1
	v_sub_u32_e32 v3, v3, v4
	v_add_u32_e32 v4, v1, v8
	v_lshrrev_b32_e32 v4, s28, v4
	v_mul_hi_u32 v9, s30, v4
	v_mul_lo_u32 v10, v4, s14
	v_mul_lo_u32 v8, v3, s2
	v_mul_lo_u32 v3, v3, s3
	v_sub_u32_e32 v10, v1, v10
	v_add_u32_e32 v1, v4, v9
	v_lshrrev_b32_e32 v1, s31, v1
	v_mul_lo_u32 v9, v1, s29
	v_mul_lo_u32 v11, v10, s4
	;; [unrolled: 1-line block ×3, first 2 shown]
	v_add3_u32 v0, v5, v0, v8
	v_sub_u32_e32 v4, v4, v9
	v_mul_lo_u32 v9, v4, s6
	v_mul_lo_u32 v4, v4, s7
	v_add3_u32 v2, v6, v2, v3
	v_add3_u32 v0, v11, v0, v9
	;; [unrolled: 1-line block ×3, first 2 shown]
	s_cbranch_scc0 .LBB152_486
	s_branch .LBB152_544
.LBB152_487:
                                        ; implicit-def: $vgpr0
                                        ; implicit-def: $vgpr2
	s_branch .LBB152_548
.LBB152_488:
	v_mov_b32_e32 v0, 0
	v_mov_b32_e32 v2, 0
	s_branch .LBB152_547
.LBB152_489:
	s_mov_b32 s57, 0
	v_mov_b32_e32 v0, 0
	v_mov_b32_e32 v2, 0
	;; [unrolled: 1-line block ×3, first 2 shown]
.LBB152_490:
	s_and_b32 s4, s58, 3
	s_cmp_eq_u32 s4, 0
	s_cbranch_scc1 .LBB152_493
; %bb.491:
	s_lshl_b32 s0, s57, 3
	s_add_u32 s0, s34, s0
	s_addc_u32 s1, s35, 0
	s_add_u32 s0, s0, 0xc4
	s_addc_u32 s1, s1, 0
	s_mul_i32 s2, s57, 12
	s_add_u32 s2, s34, s2
	s_addc_u32 s3, s35, 0
.LBB152_492:                            ; =>This Inner Loop Header: Depth=1
	s_load_dwordx2 s[6:7], s[2:3], 0x4
	s_load_dword s5, s[2:3], 0xc
	s_load_dwordx2 s[8:9], s[0:1], 0x0
	s_add_u32 s2, s2, 12
	s_addc_u32 s3, s3, 0
	s_waitcnt lgkmcnt(0)
	v_mul_hi_u32 v3, s7, v1
	s_add_u32 s0, s0, 8
	s_addc_u32 s1, s1, 0
	s_add_i32 s4, s4, -1
	v_add_u32_e32 v3, v1, v3
	v_lshrrev_b32_e32 v4, s5, v3
	v_mul_lo_u32 v3, v4, s6
	s_cmp_lg_u32 s4, 0
	v_sub_u32_e32 v3, v1, v3
	v_mad_u64_u32 v[0:1], s[6:7], v3, s8, v[0:1]
	v_mad_u64_u32 v[2:3], s[6:7], v3, s9, v[2:3]
	v_mov_b32_e32 v1, v4
	s_cbranch_scc1 .LBB152_492
.LBB152_493:
	s_cbranch_execnz .LBB152_496
.LBB152_494:
	s_waitcnt lgkmcnt(0)
	v_mul_hi_u32 v0, s25, v7
	s_andn2_b64 vcc, exec, s[42:43]
	v_add_u32_e32 v0, v7, v0
	v_lshrrev_b32_e32 v1, s26, v0
	v_mul_lo_u32 v0, v1, s24
	v_sub_u32_e32 v2, v7, v0
	v_mul_lo_u32 v0, v2, s20
	v_mul_lo_u32 v2, v2, s21
	s_cbranch_vccnz .LBB152_496
; %bb.495:
	v_mul_hi_u32 v3, s40, v1
	v_add_u32_e32 v3, v1, v3
	v_lshrrev_b32_e32 v3, s41, v3
	v_mul_lo_u32 v3, v3, s27
	v_sub_u32_e32 v3, v1, v3
	v_mad_u64_u32 v[0:1], s[0:1], v3, s22, v[0:1]
	v_mad_u64_u32 v[2:3], s[0:1], v3, s23, v[2:3]
.LBB152_496:
	s_waitcnt lgkmcnt(0)
	global_load_ushort v1, v2, s[18:19]
	s_mov_b32 s0, 0x3c800000
                                        ; implicit-def: $vgpr4
	s_waitcnt vmcnt(0)
	v_cvt_f32_f16_e32 v2, v1
	v_and_b32_e32 v3, 0x7fffffff, v2
	v_cmp_nlt_f32_e64 s[0:1], |v2|, s0
	s_and_saveexec_b64 s[2:3], s[0:1]
	s_xor_b64 s[2:3], exec, s[2:3]
	s_cbranch_execz .LBB152_526
; %bb.497:
	v_cmp_nlt_f32_e64 s[0:1], |v2|, 2.0
                                        ; implicit-def: $vgpr4
	s_and_saveexec_b64 s[4:5], s[0:1]
	s_xor_b64 s[4:5], exec, s[4:5]
	s_cbranch_execz .LBB152_507
; %bb.498:
	s_mov_b32 s0, 0x41000000
	v_cmp_nlt_f32_e64 s[0:1], |v2|, s0
                                        ; implicit-def: $vgpr4
	s_and_saveexec_b64 s[6:7], s[0:1]
	s_xor_b64 s[6:7], exec, s[6:7]
	s_cbranch_execz .LBB152_504
; %bb.499:
	s_mov_b32 s0, 0x5c800000
	v_cmp_nlt_f32_e64 s[0:1], |v2|, s0
                                        ; implicit-def: $vgpr4
	s_and_saveexec_b64 s[8:9], s[0:1]
	s_xor_b64 s[8:9], exec, s[8:9]
	s_cbranch_execz .LBB152_501
; %bb.500:
	s_mov_b32 s0, 0x800000
	v_cmp_lt_f32_e64 vcc, |v2|, s0
	v_cndmask_b32_e64 v4, 0, 32, vcc
	v_ldexp_f32 v4, |v2|, v4
	v_log_f32_e32 v4, v4
	s_mov_b32 s0, 0x3f317217
	s_mov_b32 s1, 0x7f800000
	v_mul_f32_e32 v5, 0x3f317217, v4
	v_fma_f32 v6, v4, s0, -v5
	v_fmac_f32_e32 v6, 0x3377d1cf, v4
	v_add_f32_e32 v5, v5, v6
	v_cmp_lt_f32_e64 s[0:1], |v4|, s1
	v_cndmask_b32_e64 v4, v4, v5, s[0:1]
	v_mov_b32_e32 v5, 0x41b17218
	v_cndmask_b32_e32 v5, 0, v5, vcc
	v_sub_f32_e32 v4, v4, v5
	v_fma_f32 v4, |v2|, v4, -|v2|
.LBB152_501:
	s_andn2_saveexec_b64 s[8:9], s[8:9]
	s_cbranch_execz .LBB152_503
; %bb.502:
	v_rcp_f32_e64 v5, |v2|
	v_mov_b32_e32 v4, 0x3a5b3dd2
	v_mov_b32_e32 v6, 0xba1c065c
	;; [unrolled: 1-line block ×3, first 2 shown]
	v_mul_f32_e32 v9, v5, v5
	v_fmac_f32_e32 v4, 0xbad5c4e8, v9
	v_fmac_f32_e32 v6, v9, v4
	s_mov_b32 s0, 0x800000
	v_fmac_f32_e32 v8, v9, v6
	v_mov_b32_e32 v4, 0xbb360b61
	v_cmp_lt_f32_e64 vcc, |v2|, s0
	v_fmac_f32_e32 v4, v9, v8
	v_cndmask_b32_e64 v8, 0, 32, vcc
	v_ldexp_f32 v8, |v2|, v8
	v_log_f32_e32 v8, v8
	v_mov_b32_e32 v6, 0x3daaaaab
	v_fmac_f32_e32 v6, v9, v4
	v_mov_b32_e32 v4, 0x3ed67f1d
	v_fmac_f32_e32 v4, v5, v6
	s_mov_b32 s0, 0x3f317217
	v_mul_f32_e32 v6, 0x3f317217, v8
	v_fma_f32 v9, v8, s0, -v6
	v_fmac_f32_e32 v9, 0x3377d1cf, v8
	s_mov_b32 s0, 0x7f800000
	v_add_f32_e32 v6, v6, v9
	v_cmp_lt_f32_e64 s[0:1], |v8|, s0
	v_cndmask_b32_e64 v6, v8, v6, s[0:1]
	v_mov_b32_e32 v8, 0x41b17218
	v_cndmask_b32_e32 v8, 0, v8, vcc
	v_sub_f32_e32 v6, v6, v8
	v_add_f32_e64 v5, |v2|, -0.5
	v_add_f32_e32 v6, -1.0, v6
	v_fmac_f32_e32 v4, v5, v6
.LBB152_503:
	s_or_b64 exec, exec, s[8:9]
.LBB152_504:
	s_andn2_saveexec_b64 s[6:7], s[6:7]
	s_cbranch_execz .LBB152_506
; %bb.505:
	v_cvt_i32_f32_e32 v4, v3
	v_mov_b32_e32 v5, 0x3af135b4
	v_mov_b32_e32 v6, 0x3cda40e4
	;; [unrolled: 1-line block ×3, first 2 shown]
	v_cvt_f32_i32_e32 v9, v4
	v_mov_b32_e32 v10, 0x3ea6cc7a
	v_mov_b32_e32 v11, 0x3e5c245a
	v_cmp_lt_i32_e32 vcc, 2, v4
	v_sub_f32_e64 v9, |v2|, v9
	v_fmac_f32_e32 v5, 0x3805ff67, v9
	v_fmac_f32_e32 v6, v9, v5
	;; [unrolled: 1-line block ×3, first 2 shown]
	v_mov_b32_e32 v6, 0x3a4beed6
	v_fmac_f32_e32 v10, v9, v8
	v_fmac_f32_e32 v6, 0x36f5d7bd, v9
	v_mov_b32_e32 v8, 0x3c98bf54
	v_fmac_f32_e32 v8, v9, v6
	v_mov_b32_e32 v6, 0x3e300f6e
	v_fmac_f32_e32 v6, v9, v8
	v_mov_b32_e32 v8, 0x3f38d0c5
	v_fmac_f32_e32 v8, v9, v6
	v_mov_b32_e32 v6, 0x3fb22d3b
	v_fmac_f32_e32 v6, v9, v8
	v_add_f32_e32 v8, 2.0, v9
	v_mov_b32_e32 v12, 0xbd9e233f
	v_fmac_f32_e32 v11, v9, v10
	v_add_f32_e32 v10, 0x40400000, v9
	v_cndmask_b32_e32 v8, 1.0, v8, vcc
	v_cmp_lt_i32_e32 vcc, 3, v4
	v_fmac_f32_e32 v12, v9, v11
	v_add_f32_e32 v11, 4.0, v9
	v_cndmask_b32_e32 v10, 1.0, v10, vcc
	v_cmp_lt_i32_e32 vcc, 4, v4
	v_mul_f32_e32 v5, v9, v12
	v_add_f32_e32 v12, 0x40a00000, v9
	v_mul_f32_e32 v8, v8, v10
	v_cndmask_b32_e32 v10, 1.0, v11, vcc
	v_cmp_lt_i32_e32 vcc, 5, v4
	v_add_f32_e32 v13, 0x40c00000, v9
	v_mul_f32_e32 v8, v10, v8
	v_cndmask_b32_e32 v10, 1.0, v12, vcc
	v_cmp_lt_i32_e32 vcc, 6, v4
	v_mul_f32_e32 v8, v10, v8
	v_cndmask_b32_e32 v4, 1.0, v13, vcc
	v_mul_f32_e32 v4, v4, v8
	s_mov_b32 s0, 0x800000
	v_cmp_gt_f32_e32 vcc, s0, v4
	v_cndmask_b32_e64 v8, 0, 32, vcc
	v_fma_f32 v6, v9, v6, 1.0
	v_ldexp_f32 v4, v4, v8
	v_rcp_f32_e32 v6, v6
	v_log_f32_e32 v4, v4
	s_mov_b32 s0, 0x3f317217
	v_mul_f32_e32 v5, v5, v6
	v_mul_f32_e32 v6, 0x3f317217, v4
	v_fma_f32 v8, v4, s0, -v6
	v_fmac_f32_e32 v8, 0x3377d1cf, v4
	s_mov_b32 s0, 0x7f800000
	v_add_f32_e32 v6, v6, v8
	v_cmp_lt_f32_e64 s[0:1], |v4|, s0
	v_cndmask_b32_e64 v4, v4, v6, s[0:1]
	v_mov_b32_e32 v6, 0x41b17218
	v_cndmask_b32_e32 v6, 0, v6, vcc
	v_fmac_f32_e32 v5, 0.5, v9
	v_sub_f32_e32 v4, v4, v6
	v_add_f32_e32 v4, v4, v5
.LBB152_506:
	s_or_b64 exec, exec, s[6:7]
.LBB152_507:
	s_andn2_saveexec_b64 s[4:5], s[4:5]
	s_cbranch_execz .LBB152_525
; %bb.508:
	s_mov_b32 s0, 0x3f666666
	v_cmp_le_f32_e64 s[0:1], |v2|, s0
                                        ; implicit-def: $vgpr4
                                        ; implicit-def: $vgpr6
                                        ; implicit-def: $vgpr5
	s_and_saveexec_b64 s[6:7], s[0:1]
	s_xor_b64 s[6:7], exec, s[6:7]
	s_cbranch_execz .LBB152_510
; %bb.509:
	s_mov_b32 s0, 0x800000
	v_cmp_lt_f32_e64 vcc, |v2|, s0
	v_cndmask_b32_e64 v4, 0, 32, vcc
	v_ldexp_f32 v4, |v2|, v4
	v_log_f32_e32 v4, v4
	s_mov_b32 s0, 0x3f317217
	s_mov_b32 s1, 0x7f800000
	v_mul_f32_e32 v5, 0x3f317217, v4
	v_fma_f32 v6, v4, s0, -v5
	v_fmac_f32_e32 v6, 0x3377d1cf, v4
	v_add_f32_e32 v5, v5, v6
	v_cmp_lt_f32_e64 s[0:1], |v4|, s1
	v_cndmask_b32_e64 v4, v4, v5, s[0:1]
	v_mov_b32_e32 v5, 0x41b17218
	v_cndmask_b32_e32 v5, 0, v5, vcc
	s_mov_b32 s0, 0x3f3b4a23
	s_mov_b32 s1, 0xbeec5b0c
	v_sub_f32_e32 v4, v4, v5
	v_sub_f32_e64 v5, 1.0, |v2|
	v_add_f32_e64 v6, |v2|, s1
	v_cmp_lt_f32_e64 vcc, |v2|, s0
	s_mov_b32 s0, 0x3e6d3309
	v_cndmask_b32_e32 v5, v5, v6, vcc
	v_cndmask_b32_e64 v6, 0, 1, vcc
	v_cmp_lt_f32_e64 s[0:1], |v2|, s0
	v_xor_b32_e32 v4, 0x80000000, v4
	v_cndmask_b32_e64 v5, v5, |v2|, s[0:1]
	v_cndmask_b32_e64 v6, v6, 2, s[0:1]
.LBB152_510:
	s_andn2_saveexec_b64 s[0:1], s[6:7]
	s_cbranch_execz .LBB152_512
; %bb.511:
	s_mov_b32 s6, 0x3fdda512
	s_mov_b32 s7, 0xbfbb16c3
	v_sub_f32_e64 v4, 2.0, |v2|
	v_add_f32_e64 v5, |v2|, s7
	v_cmp_lt_f32_e64 vcc, |v2|, s6
	v_cndmask_b32_e32 v5, v4, v5, vcc
	v_cndmask_b32_e64 v4, v4, 1.0, vcc
	v_cvt_i32_f32_e32 v4, v4
	s_mov_b32 s6, 0x3f9d70a4
	v_add_f32_e64 v6, |v2|, -1.0
	v_cmp_lt_f32_e64 vcc, |v2|, s6
	v_cndmask_b32_e32 v5, v5, v6, vcc
	v_cndmask_b32_e64 v6, v4, 2, vcc
	v_mov_b32_e32 v4, 0
.LBB152_512:
	s_or_b64 exec, exec, s[0:1]
	v_cmp_lt_i32_e32 vcc, 0, v6
	s_and_saveexec_b64 s[0:1], vcc
	s_xor_b64 s[0:1], exec, s[0:1]
	s_cbranch_execz .LBB152_520
; %bb.513:
	v_cmp_lt_i32_e32 vcc, 1, v6
	s_and_saveexec_b64 s[6:7], vcc
	s_xor_b64 s[6:7], exec, s[6:7]
	s_cbranch_execz .LBB152_517
; %bb.514:
	v_cmp_eq_u32_e32 vcc, 2, v6
	s_and_saveexec_b64 s[8:9], vcc
	s_cbranch_execz .LBB152_516
; %bb.515:
	v_mov_b32_e32 v6, 0x3e6a7578
	v_fmac_f32_e32 v6, 0x3c5b3c5e, v5
	v_mov_b32_e32 v8, 0x3f7a4bb2
	v_fmac_f32_e32 v8, v5, v6
	;; [unrolled: 2-line block ×8, first 2 shown]
	v_fma_f32 v6, v5, v9, 1.0
	v_rcp_f32_e32 v6, v6
	v_mov_b32_e32 v9, 0xbd9e233f
	v_fmac_f32_e32 v9, v5, v8
	v_mul_f32_e32 v8, v5, v9
	v_mul_f32_e32 v6, v8, v6
	v_fmac_f32_e32 v6, -0.5, v5
	v_add_f32_e32 v4, v4, v6
.LBB152_516:
	s_or_b64 exec, exec, s[8:9]
                                        ; implicit-def: $vgpr5
.LBB152_517:
	s_andn2_saveexec_b64 s[6:7], s[6:7]
	s_cbranch_execz .LBB152_519
; %bb.518:
	v_mul_f32_e32 v6, v5, v5
	v_mul_f32_e32 v8, v5, v6
	v_mov_b32_e32 v9, 0xbab7f476
	v_fmac_f32_e32 v9, 0x39a57b6b, v8
	v_mov_b32_e32 v10, 0x3bc7e707
	v_fmac_f32_e32 v10, v8, v9
	;; [unrolled: 2-line block ×12, first 2 shown]
	v_fmac_f32_e32 v11, v5, v12
	s_mov_b32 s8, 0xa2863e55
	v_fma_f32 v5, v8, -v11, s8
	v_fma_f32 v5, v6, v10, -v5
	v_add_f32_e32 v5, 0xbdf8cdce, v5
	v_add_f32_e32 v4, v4, v5
.LBB152_519:
	s_or_b64 exec, exec, s[6:7]
                                        ; implicit-def: $vgpr6
                                        ; implicit-def: $vgpr5
.LBB152_520:
	s_andn2_saveexec_b64 s[0:1], s[0:1]
	s_cbranch_execz .LBB152_524
; %bb.521:
	v_cmp_eq_u32_e32 vcc, 0, v6
	s_and_saveexec_b64 s[6:7], vcc
	s_cbranch_execz .LBB152_523
; %bb.522:
	v_mul_f32_e32 v6, v5, v5
	v_mov_b32_e32 v8, 0x39679767
	v_fmac_f32_e32 v8, 0x37d383a2, v6
	v_mov_b32_e32 v9, 0x3a9c54a1
	v_fmac_f32_e32 v9, v6, v8
	;; [unrolled: 2-line block ×10, first 2 shown]
	v_mul_f32_e32 v6, v6, v9
	v_fmac_f32_e32 v6, v5, v8
	v_fmac_f32_e32 v6, -0.5, v5
	v_add_f32_e32 v4, v4, v6
.LBB152_523:
	s_or_b64 exec, exec, s[6:7]
.LBB152_524:
	s_or_b64 exec, exec, s[0:1]
.LBB152_525:
	s_or_b64 exec, exec, s[4:5]
.LBB152_526:
	s_andn2_saveexec_b64 s[2:3], s[2:3]
	s_cbranch_execz .LBB152_528
; %bb.527:
	s_mov_b32 s0, 0x3e8a8991
	v_mov_b32_e32 v4, 0xbecd26ab
	v_fma_f32 v4, |v2|, s0, v4
	s_mov_b32 s0, 0x3f528d33
	v_fma_f32 v4, |v2|, v4, s0
	s_mov_b32 s0, 0x800000
	v_cmp_lt_f32_e64 vcc, |v2|, s0
	v_cndmask_b32_e64 v5, 0, 32, vcc
	v_ldexp_f32 v5, |v2|, v5
	v_log_f32_e32 v5, v5
	s_mov_b32 s0, 0xbf13c468
	v_fma_f32 v4, |v2|, v4, s0
	s_mov_b32 s0, 0x3f317217
	v_mul_f32_e32 v6, 0x3f317217, v5
	v_fma_f32 v8, v5, s0, -v6
	v_fmac_f32_e32 v8, 0x3377d1cf, v5
	s_mov_b32 s0, 0x7f800000
	v_add_f32_e32 v6, v6, v8
	v_cmp_lt_f32_e64 s[0:1], |v5|, s0
	v_cndmask_b32_e64 v5, v5, v6, s[0:1]
	v_mov_b32_e32 v6, 0x41b17218
	v_cndmask_b32_e32 v6, 0, v6, vcc
	v_sub_f32_e32 v5, v5, v6
	v_fma_f32 v4, |v2|, v4, -v5
.LBB152_528:
	s_or_b64 exec, exec, s[2:3]
	v_cmp_le_f16_e32 vcc, 0, v1
	v_cmp_nle_f16_e64 s[0:1], 0, v1
	s_and_saveexec_b64 s[2:3], s[0:1]
	s_xor_b64 s[4:5], exec, s[2:3]
	s_cbranch_execz .LBB152_532
; %bb.529:
	s_mov_b32 s0, 0x4b000000
	s_mov_b32 s2, 0x35000000
	v_cmp_lt_f32_e64 s[0:1], |v2|, s0
	v_cmp_gt_f32_e64 s[2:3], |v2|, s2
	s_and_b64 s[0:1], s[0:1], s[2:3]
	s_and_saveexec_b64 s[6:7], s[0:1]
	s_cbranch_execz .LBB152_531
; %bb.530:
	v_mul_f32_e64 v5, |v2|, 0.5
	v_floor_f32_e32 v6, v5
	v_sub_f32_e32 v6, v5, v6
	v_min_f32_e32 v6, 0x3f7fffff, v6
	s_mov_b32 s2, 0x7f800000
	v_add_f32_e32 v6, v6, v6
	v_cmp_neq_f32_e64 s[0:1], s2, v5
	v_cndmask_b32_e64 v5, 0, v6, s[0:1]
	v_cmp_gt_f32_e64 s[0:1], |v2|, 1.0
	v_cndmask_b32_e64 v5, |v2|, v5, s[0:1]
	v_add_f32_e32 v6, v5, v5
	v_rndne_f32_e32 v6, v6
	v_fmac_f32_e32 v5, -0.5, v6
	v_mul_f32_e32 v8, v5, v5
	v_mov_b32_e32 v9, 0xbf1f24be
	v_fmac_f32_e32 v9, 0x3e75aa41, v8
	v_mov_b32_e32 v10, 0x40234736
	v_fmac_f32_e32 v10, v8, v9
	;; [unrolled: 2-line block ×3, first 2 shown]
	v_mul_f32_e32 v10, v5, v8
	v_mul_f32_e32 v9, v10, v9
	v_fmac_f32_e32 v9, 0x40490fdb, v5
	v_mov_b32_e32 v5, 0x3e642e9d
	v_cvt_i32_f32_e32 v6, v6
	v_fmac_f32_e32 v5, 0x3d4be544, v8
	v_mov_b32_e32 v10, 0xbfaad1da
	v_fmac_f32_e32 v10, v8, v5
	v_mov_b32_e32 v5, 0x4081e0d3
	;; [unrolled: 2-line block ×3, first 2 shown]
	v_fmac_f32_e32 v10, v8, v5
	v_fma_f32 v5, v8, v10, 1.0
	v_and_b32_e32 v8, 1, v6
	v_lshlrev_b32_e32 v6, 30, v6
	v_cmp_eq_u32_e64 s[0:1], 0, v8
	v_and_b32_e32 v6, 0x80000000, v6
	v_xor_b32_e32 v3, v3, v2
	v_cndmask_b32_e64 v5, v5, v9, s[0:1]
	v_xor_b32_e32 v3, v3, v6
	v_xor_b32_e32 v3, v3, v5
	v_mul_f32_e32 v3, v2, v3
	v_frexp_mant_f32_e64 v5, |v3|
	v_rcp_f32_e32 v5, v5
	v_frexp_exp_i32_f32_e32 v3, v3
	v_sub_u32_e32 v3, 2, v3
	s_mov_b32 s0, 0x800000
	v_mul_f32_e32 v5, 0x3f490fdb, v5
	v_ldexp_f32 v3, v5, v3
	v_cmp_gt_f32_e64 s[0:1], s0, v3
	v_cndmask_b32_e64 v5, 0, 32, s[0:1]
	v_ldexp_f32 v3, v3, v5
	v_log_f32_e32 v3, v3
	s_mov_b32 s3, 0x3f317217
	v_mul_f32_e32 v5, 0x3f317217, v3
	v_fma_f32 v6, v3, s3, -v5
	v_fmac_f32_e32 v6, 0x3377d1cf, v3
	v_add_f32_e32 v5, v5, v6
	v_cmp_lt_f32_e64 s[2:3], |v3|, s2
	v_cndmask_b32_e64 v3, v3, v5, s[2:3]
	v_mov_b32_e32 v5, 0x41b17218
	v_cndmask_b32_e64 v5, 0, v5, s[0:1]
	v_sub_f32_e32 v3, v3, v5
	v_sub_f32_e32 v3, v3, v4
	v_floor_f32_e32 v4, v2
	v_sub_f32_e32 v4, v2, v4
	v_min_f32_e32 v4, 0x3f7fffff, v4
	v_mov_b32_e32 v5, 0x7f800000
	v_cmp_neq_f32_e64 s[0:1], 0, v4
	v_cndmask_b32_e64 v4, v5, v3, s[0:1]
.LBB152_531:
	s_or_b64 exec, exec, s[6:7]
.LBB152_532:
	s_andn2_saveexec_b64 s[4:5], s[4:5]
; %bb.533:
	v_cmp_eq_f16_e64 s[0:1], 1.0, v1
	v_cmp_eq_f16_e64 s[2:3], 2.0, v1
	s_or_b64 s[0:1], s[0:1], s[2:3]
	v_cndmask_b32_e64 v4, v4, 0, s[0:1]
; %bb.534:
	s_or_b64 exec, exec, s[4:5]
	v_cvt_f16_f32_e32 v4, v4
	s_mov_b32 s0, 0x4b000000
	v_cmp_lt_f32_e64 s[0:1], |v2|, s0
	v_mov_b32_e32 v3, 0x264
	v_mov_b32_e32 v5, 0x7c00
	s_or_b64 vcc, vcc, s[0:1]
	v_cndmask_b32_e32 v4, v5, v4, vcc
	v_cmp_class_f32_e32 vcc, v2, v3
	v_cndmask_b32_e32 v2, v4, v5, vcc
	v_cmp_u_f16_e32 vcc, v1, v1
	v_cndmask_b32_e32 v1, v2, v1, vcc
	v_add_u32_e32 v7, 0x80, v7
	global_store_short v0, v1, s[16:17]
	s_or_b64 exec, exec, s[48:49]
	v_cmp_gt_i32_e32 vcc, s55, v7
	s_and_saveexec_b64 s[48:49], vcc
	s_cbranch_execnz .LBB152_482
.LBB152_535:
	s_or_b64 exec, exec, s[48:49]
	v_cmp_gt_i32_e32 vcc, s55, v7
	s_and_saveexec_b64 s[48:49], vcc
	s_cbranch_execz .LBB152_589
.LBB152_536:
	s_andn2_b64 vcc, exec, s[36:37]
	s_cbranch_vccnz .LBB152_541
; %bb.537:
	s_andn2_b64 vcc, exec, s[46:47]
	s_cbranch_vccnz .LBB152_542
; %bb.538:
	s_add_i32 s58, s56, 1
	s_cmp_eq_u32 s54, 2
	s_cbranch_scc1 .LBB152_597
; %bb.539:
	s_and_b32 s57, s58, 28
	v_mov_b32_e32 v2, 0
	s_mov_b32 s59, 0
	s_mov_b64 s[50:51], s[34:35]
	s_mov_b64 s[52:53], s[44:45]
	v_mov_b32_e32 v0, 0
	v_mov_b32_e32 v1, v7
.LBB152_540:                            ; =>This Inner Loop Header: Depth=1
	s_load_dwordx8 s[8:15], s[50:51], 0x4
	s_load_dwordx4 s[28:31], s[50:51], 0x24
	s_load_dwordx8 s[0:7], s[52:53], 0x0
	s_add_u32 s50, s50, 48
	s_addc_u32 s51, s51, 0
	s_waitcnt lgkmcnt(0)
	v_mul_hi_u32 v3, s9, v1
	s_add_i32 s59, s59, 4
	s_add_u32 s52, s52, 32
	s_addc_u32 s53, s53, 0
	v_add_u32_e32 v3, v1, v3
	v_lshrrev_b32_e32 v3, s10, v3
	v_mul_lo_u32 v4, v3, s8
	v_mul_hi_u32 v5, s12, v3
	s_cmp_eq_u32 s57, s59
	v_sub_u32_e32 v1, v1, v4
	v_add_u32_e32 v4, v3, v5
	v_mul_lo_u32 v5, v1, s0
	v_mul_lo_u32 v6, v1, s1
	v_lshrrev_b32_e32 v1, s13, v4
	v_mul_lo_u32 v4, v1, s11
	v_mul_hi_u32 v8, s15, v1
	v_sub_u32_e32 v3, v3, v4
	v_add_u32_e32 v4, v1, v8
	v_lshrrev_b32_e32 v4, s28, v4
	v_mul_hi_u32 v9, s30, v4
	v_mul_lo_u32 v10, v4, s14
	v_mul_lo_u32 v8, v3, s2
	;; [unrolled: 1-line block ×3, first 2 shown]
	v_sub_u32_e32 v10, v1, v10
	v_add_u32_e32 v1, v4, v9
	v_lshrrev_b32_e32 v1, s31, v1
	v_mul_lo_u32 v9, v1, s29
	v_mul_lo_u32 v11, v10, s4
	;; [unrolled: 1-line block ×3, first 2 shown]
	v_add3_u32 v0, v5, v0, v8
	v_sub_u32_e32 v4, v4, v9
	v_mul_lo_u32 v9, v4, s6
	v_mul_lo_u32 v4, v4, s7
	v_add3_u32 v2, v6, v2, v3
	v_add3_u32 v0, v11, v0, v9
	;; [unrolled: 1-line block ×3, first 2 shown]
	s_cbranch_scc0 .LBB152_540
	s_branch .LBB152_598
.LBB152_541:
                                        ; implicit-def: $vgpr0
                                        ; implicit-def: $vgpr2
	s_branch .LBB152_602
.LBB152_542:
	v_mov_b32_e32 v0, 0
	v_mov_b32_e32 v2, 0
	s_branch .LBB152_601
.LBB152_543:
	s_mov_b32 s57, 0
	v_mov_b32_e32 v0, 0
	v_mov_b32_e32 v2, 0
	;; [unrolled: 1-line block ×3, first 2 shown]
.LBB152_544:
	s_and_b32 s4, s58, 3
	s_cmp_eq_u32 s4, 0
	s_cbranch_scc1 .LBB152_547
; %bb.545:
	s_lshl_b32 s0, s57, 3
	s_add_u32 s0, s34, s0
	s_addc_u32 s1, s35, 0
	s_add_u32 s0, s0, 0xc4
	s_addc_u32 s1, s1, 0
	s_mul_i32 s2, s57, 12
	s_add_u32 s2, s34, s2
	s_addc_u32 s3, s35, 0
.LBB152_546:                            ; =>This Inner Loop Header: Depth=1
	s_load_dwordx2 s[6:7], s[2:3], 0x4
	s_load_dword s5, s[2:3], 0xc
	s_load_dwordx2 s[8:9], s[0:1], 0x0
	s_add_u32 s2, s2, 12
	s_addc_u32 s3, s3, 0
	s_waitcnt lgkmcnt(0)
	v_mul_hi_u32 v3, s7, v1
	s_add_u32 s0, s0, 8
	s_addc_u32 s1, s1, 0
	s_add_i32 s4, s4, -1
	v_add_u32_e32 v3, v1, v3
	v_lshrrev_b32_e32 v4, s5, v3
	v_mul_lo_u32 v3, v4, s6
	s_cmp_lg_u32 s4, 0
	v_sub_u32_e32 v3, v1, v3
	v_mad_u64_u32 v[0:1], s[6:7], v3, s8, v[0:1]
	v_mad_u64_u32 v[2:3], s[6:7], v3, s9, v[2:3]
	v_mov_b32_e32 v1, v4
	s_cbranch_scc1 .LBB152_546
.LBB152_547:
	s_cbranch_execnz .LBB152_550
.LBB152_548:
	s_waitcnt lgkmcnt(0)
	v_mul_hi_u32 v0, s25, v7
	s_andn2_b64 vcc, exec, s[42:43]
	v_add_u32_e32 v0, v7, v0
	v_lshrrev_b32_e32 v1, s26, v0
	v_mul_lo_u32 v0, v1, s24
	v_sub_u32_e32 v2, v7, v0
	v_mul_lo_u32 v0, v2, s20
	v_mul_lo_u32 v2, v2, s21
	s_cbranch_vccnz .LBB152_550
; %bb.549:
	v_mul_hi_u32 v3, s40, v1
	v_add_u32_e32 v3, v1, v3
	v_lshrrev_b32_e32 v3, s41, v3
	v_mul_lo_u32 v3, v3, s27
	v_sub_u32_e32 v3, v1, v3
	v_mad_u64_u32 v[0:1], s[0:1], v3, s22, v[0:1]
	v_mad_u64_u32 v[2:3], s[0:1], v3, s23, v[2:3]
.LBB152_550:
	s_waitcnt lgkmcnt(0)
	global_load_ushort v1, v2, s[18:19]
	s_mov_b32 s0, 0x3c800000
                                        ; implicit-def: $vgpr4
	s_waitcnt vmcnt(0)
	v_cvt_f32_f16_e32 v2, v1
	v_and_b32_e32 v3, 0x7fffffff, v2
	v_cmp_nlt_f32_e64 s[0:1], |v2|, s0
	s_and_saveexec_b64 s[2:3], s[0:1]
	s_xor_b64 s[2:3], exec, s[2:3]
	s_cbranch_execz .LBB152_580
; %bb.551:
	v_cmp_nlt_f32_e64 s[0:1], |v2|, 2.0
                                        ; implicit-def: $vgpr4
	s_and_saveexec_b64 s[4:5], s[0:1]
	s_xor_b64 s[4:5], exec, s[4:5]
	s_cbranch_execz .LBB152_561
; %bb.552:
	s_mov_b32 s0, 0x41000000
	v_cmp_nlt_f32_e64 s[0:1], |v2|, s0
                                        ; implicit-def: $vgpr4
	s_and_saveexec_b64 s[6:7], s[0:1]
	s_xor_b64 s[6:7], exec, s[6:7]
	s_cbranch_execz .LBB152_558
; %bb.553:
	s_mov_b32 s0, 0x5c800000
	v_cmp_nlt_f32_e64 s[0:1], |v2|, s0
                                        ; implicit-def: $vgpr4
	s_and_saveexec_b64 s[8:9], s[0:1]
	s_xor_b64 s[8:9], exec, s[8:9]
	s_cbranch_execz .LBB152_555
; %bb.554:
	s_mov_b32 s0, 0x800000
	v_cmp_lt_f32_e64 vcc, |v2|, s0
	v_cndmask_b32_e64 v4, 0, 32, vcc
	v_ldexp_f32 v4, |v2|, v4
	v_log_f32_e32 v4, v4
	s_mov_b32 s0, 0x3f317217
	s_mov_b32 s1, 0x7f800000
	v_mul_f32_e32 v5, 0x3f317217, v4
	v_fma_f32 v6, v4, s0, -v5
	v_fmac_f32_e32 v6, 0x3377d1cf, v4
	v_add_f32_e32 v5, v5, v6
	v_cmp_lt_f32_e64 s[0:1], |v4|, s1
	v_cndmask_b32_e64 v4, v4, v5, s[0:1]
	v_mov_b32_e32 v5, 0x41b17218
	v_cndmask_b32_e32 v5, 0, v5, vcc
	v_sub_f32_e32 v4, v4, v5
	v_fma_f32 v4, |v2|, v4, -|v2|
.LBB152_555:
	s_andn2_saveexec_b64 s[8:9], s[8:9]
	s_cbranch_execz .LBB152_557
; %bb.556:
	v_rcp_f32_e64 v5, |v2|
	v_mov_b32_e32 v4, 0x3a5b3dd2
	v_mov_b32_e32 v6, 0xba1c065c
	v_mov_b32_e32 v8, 0x3a500cfd
	v_mul_f32_e32 v9, v5, v5
	v_fmac_f32_e32 v4, 0xbad5c4e8, v9
	v_fmac_f32_e32 v6, v9, v4
	s_mov_b32 s0, 0x800000
	v_fmac_f32_e32 v8, v9, v6
	v_mov_b32_e32 v4, 0xbb360b61
	v_cmp_lt_f32_e64 vcc, |v2|, s0
	v_fmac_f32_e32 v4, v9, v8
	v_cndmask_b32_e64 v8, 0, 32, vcc
	v_ldexp_f32 v8, |v2|, v8
	v_log_f32_e32 v8, v8
	v_mov_b32_e32 v6, 0x3daaaaab
	v_fmac_f32_e32 v6, v9, v4
	v_mov_b32_e32 v4, 0x3ed67f1d
	v_fmac_f32_e32 v4, v5, v6
	s_mov_b32 s0, 0x3f317217
	v_mul_f32_e32 v6, 0x3f317217, v8
	v_fma_f32 v9, v8, s0, -v6
	v_fmac_f32_e32 v9, 0x3377d1cf, v8
	s_mov_b32 s0, 0x7f800000
	v_add_f32_e32 v6, v6, v9
	v_cmp_lt_f32_e64 s[0:1], |v8|, s0
	v_cndmask_b32_e64 v6, v8, v6, s[0:1]
	v_mov_b32_e32 v8, 0x41b17218
	v_cndmask_b32_e32 v8, 0, v8, vcc
	v_sub_f32_e32 v6, v6, v8
	v_add_f32_e64 v5, |v2|, -0.5
	v_add_f32_e32 v6, -1.0, v6
	v_fmac_f32_e32 v4, v5, v6
.LBB152_557:
	s_or_b64 exec, exec, s[8:9]
.LBB152_558:
	s_andn2_saveexec_b64 s[6:7], s[6:7]
	s_cbranch_execz .LBB152_560
; %bb.559:
	v_cvt_i32_f32_e32 v4, v3
	v_mov_b32_e32 v5, 0x3af135b4
	v_mov_b32_e32 v6, 0x3cda40e4
	;; [unrolled: 1-line block ×3, first 2 shown]
	v_cvt_f32_i32_e32 v9, v4
	v_mov_b32_e32 v10, 0x3ea6cc7a
	v_mov_b32_e32 v11, 0x3e5c245a
	v_cmp_lt_i32_e32 vcc, 2, v4
	v_sub_f32_e64 v9, |v2|, v9
	v_fmac_f32_e32 v5, 0x3805ff67, v9
	v_fmac_f32_e32 v6, v9, v5
	;; [unrolled: 1-line block ×3, first 2 shown]
	v_mov_b32_e32 v6, 0x3a4beed6
	v_fmac_f32_e32 v10, v9, v8
	v_fmac_f32_e32 v6, 0x36f5d7bd, v9
	v_mov_b32_e32 v8, 0x3c98bf54
	v_fmac_f32_e32 v8, v9, v6
	v_mov_b32_e32 v6, 0x3e300f6e
	v_fmac_f32_e32 v6, v9, v8
	v_mov_b32_e32 v8, 0x3f38d0c5
	v_fmac_f32_e32 v8, v9, v6
	v_mov_b32_e32 v6, 0x3fb22d3b
	v_fmac_f32_e32 v6, v9, v8
	v_add_f32_e32 v8, 2.0, v9
	v_mov_b32_e32 v12, 0xbd9e233f
	v_fmac_f32_e32 v11, v9, v10
	v_add_f32_e32 v10, 0x40400000, v9
	v_cndmask_b32_e32 v8, 1.0, v8, vcc
	v_cmp_lt_i32_e32 vcc, 3, v4
	v_fmac_f32_e32 v12, v9, v11
	v_add_f32_e32 v11, 4.0, v9
	v_cndmask_b32_e32 v10, 1.0, v10, vcc
	v_cmp_lt_i32_e32 vcc, 4, v4
	v_mul_f32_e32 v5, v9, v12
	v_add_f32_e32 v12, 0x40a00000, v9
	v_mul_f32_e32 v8, v8, v10
	v_cndmask_b32_e32 v10, 1.0, v11, vcc
	v_cmp_lt_i32_e32 vcc, 5, v4
	v_add_f32_e32 v13, 0x40c00000, v9
	v_mul_f32_e32 v8, v10, v8
	v_cndmask_b32_e32 v10, 1.0, v12, vcc
	v_cmp_lt_i32_e32 vcc, 6, v4
	v_mul_f32_e32 v8, v10, v8
	v_cndmask_b32_e32 v4, 1.0, v13, vcc
	v_mul_f32_e32 v4, v4, v8
	s_mov_b32 s0, 0x800000
	v_cmp_gt_f32_e32 vcc, s0, v4
	v_cndmask_b32_e64 v8, 0, 32, vcc
	v_fma_f32 v6, v9, v6, 1.0
	v_ldexp_f32 v4, v4, v8
	v_rcp_f32_e32 v6, v6
	v_log_f32_e32 v4, v4
	s_mov_b32 s0, 0x3f317217
	v_mul_f32_e32 v5, v5, v6
	v_mul_f32_e32 v6, 0x3f317217, v4
	v_fma_f32 v8, v4, s0, -v6
	v_fmac_f32_e32 v8, 0x3377d1cf, v4
	s_mov_b32 s0, 0x7f800000
	v_add_f32_e32 v6, v6, v8
	v_cmp_lt_f32_e64 s[0:1], |v4|, s0
	v_cndmask_b32_e64 v4, v4, v6, s[0:1]
	v_mov_b32_e32 v6, 0x41b17218
	v_cndmask_b32_e32 v6, 0, v6, vcc
	v_fmac_f32_e32 v5, 0.5, v9
	v_sub_f32_e32 v4, v4, v6
	v_add_f32_e32 v4, v4, v5
.LBB152_560:
	s_or_b64 exec, exec, s[6:7]
.LBB152_561:
	s_andn2_saveexec_b64 s[4:5], s[4:5]
	s_cbranch_execz .LBB152_579
; %bb.562:
	s_mov_b32 s0, 0x3f666666
	v_cmp_le_f32_e64 s[0:1], |v2|, s0
                                        ; implicit-def: $vgpr4
                                        ; implicit-def: $vgpr6
                                        ; implicit-def: $vgpr5
	s_and_saveexec_b64 s[6:7], s[0:1]
	s_xor_b64 s[6:7], exec, s[6:7]
	s_cbranch_execz .LBB152_564
; %bb.563:
	s_mov_b32 s0, 0x800000
	v_cmp_lt_f32_e64 vcc, |v2|, s0
	v_cndmask_b32_e64 v4, 0, 32, vcc
	v_ldexp_f32 v4, |v2|, v4
	v_log_f32_e32 v4, v4
	s_mov_b32 s0, 0x3f317217
	s_mov_b32 s1, 0x7f800000
	v_mul_f32_e32 v5, 0x3f317217, v4
	v_fma_f32 v6, v4, s0, -v5
	v_fmac_f32_e32 v6, 0x3377d1cf, v4
	v_add_f32_e32 v5, v5, v6
	v_cmp_lt_f32_e64 s[0:1], |v4|, s1
	v_cndmask_b32_e64 v4, v4, v5, s[0:1]
	v_mov_b32_e32 v5, 0x41b17218
	v_cndmask_b32_e32 v5, 0, v5, vcc
	s_mov_b32 s0, 0x3f3b4a23
	s_mov_b32 s1, 0xbeec5b0c
	v_sub_f32_e32 v4, v4, v5
	v_sub_f32_e64 v5, 1.0, |v2|
	v_add_f32_e64 v6, |v2|, s1
	v_cmp_lt_f32_e64 vcc, |v2|, s0
	s_mov_b32 s0, 0x3e6d3309
	v_cndmask_b32_e32 v5, v5, v6, vcc
	v_cndmask_b32_e64 v6, 0, 1, vcc
	v_cmp_lt_f32_e64 s[0:1], |v2|, s0
	v_xor_b32_e32 v4, 0x80000000, v4
	v_cndmask_b32_e64 v5, v5, |v2|, s[0:1]
	v_cndmask_b32_e64 v6, v6, 2, s[0:1]
.LBB152_564:
	s_andn2_saveexec_b64 s[0:1], s[6:7]
	s_cbranch_execz .LBB152_566
; %bb.565:
	s_mov_b32 s6, 0x3fdda512
	s_mov_b32 s7, 0xbfbb16c3
	v_sub_f32_e64 v4, 2.0, |v2|
	v_add_f32_e64 v5, |v2|, s7
	v_cmp_lt_f32_e64 vcc, |v2|, s6
	v_cndmask_b32_e32 v5, v4, v5, vcc
	v_cndmask_b32_e64 v4, v4, 1.0, vcc
	v_cvt_i32_f32_e32 v4, v4
	s_mov_b32 s6, 0x3f9d70a4
	v_add_f32_e64 v6, |v2|, -1.0
	v_cmp_lt_f32_e64 vcc, |v2|, s6
	v_cndmask_b32_e32 v5, v5, v6, vcc
	v_cndmask_b32_e64 v6, v4, 2, vcc
	v_mov_b32_e32 v4, 0
.LBB152_566:
	s_or_b64 exec, exec, s[0:1]
	v_cmp_lt_i32_e32 vcc, 0, v6
	s_and_saveexec_b64 s[0:1], vcc
	s_xor_b64 s[0:1], exec, s[0:1]
	s_cbranch_execz .LBB152_574
; %bb.567:
	v_cmp_lt_i32_e32 vcc, 1, v6
	s_and_saveexec_b64 s[6:7], vcc
	s_xor_b64 s[6:7], exec, s[6:7]
	s_cbranch_execz .LBB152_571
; %bb.568:
	v_cmp_eq_u32_e32 vcc, 2, v6
	s_and_saveexec_b64 s[8:9], vcc
	s_cbranch_execz .LBB152_570
; %bb.569:
	v_mov_b32_e32 v6, 0x3e6a7578
	v_fmac_f32_e32 v6, 0x3c5b3c5e, v5
	v_mov_b32_e32 v8, 0x3f7a4bb2
	v_fmac_f32_e32 v8, v5, v6
	;; [unrolled: 2-line block ×8, first 2 shown]
	v_fma_f32 v6, v5, v9, 1.0
	v_rcp_f32_e32 v6, v6
	v_mov_b32_e32 v9, 0xbd9e233f
	v_fmac_f32_e32 v9, v5, v8
	v_mul_f32_e32 v8, v5, v9
	v_mul_f32_e32 v6, v8, v6
	v_fmac_f32_e32 v6, -0.5, v5
	v_add_f32_e32 v4, v4, v6
.LBB152_570:
	s_or_b64 exec, exec, s[8:9]
                                        ; implicit-def: $vgpr5
.LBB152_571:
	s_andn2_saveexec_b64 s[6:7], s[6:7]
	s_cbranch_execz .LBB152_573
; %bb.572:
	v_mul_f32_e32 v6, v5, v5
	v_mul_f32_e32 v8, v5, v6
	v_mov_b32_e32 v9, 0xbab7f476
	v_fmac_f32_e32 v9, 0x39a57b6b, v8
	v_mov_b32_e32 v10, 0x3bc7e707
	v_fmac_f32_e32 v10, v8, v9
	;; [unrolled: 2-line block ×12, first 2 shown]
	v_fmac_f32_e32 v11, v5, v12
	s_mov_b32 s8, 0xa2863e55
	v_fma_f32 v5, v8, -v11, s8
	v_fma_f32 v5, v6, v10, -v5
	v_add_f32_e32 v5, 0xbdf8cdce, v5
	v_add_f32_e32 v4, v4, v5
.LBB152_573:
	s_or_b64 exec, exec, s[6:7]
                                        ; implicit-def: $vgpr6
                                        ; implicit-def: $vgpr5
.LBB152_574:
	s_andn2_saveexec_b64 s[0:1], s[0:1]
	s_cbranch_execz .LBB152_578
; %bb.575:
	v_cmp_eq_u32_e32 vcc, 0, v6
	s_and_saveexec_b64 s[6:7], vcc
	s_cbranch_execz .LBB152_577
; %bb.576:
	v_mul_f32_e32 v6, v5, v5
	v_mov_b32_e32 v8, 0x39679767
	v_fmac_f32_e32 v8, 0x37d383a2, v6
	v_mov_b32_e32 v9, 0x3a9c54a1
	v_fmac_f32_e32 v9, v6, v8
	;; [unrolled: 2-line block ×10, first 2 shown]
	v_mul_f32_e32 v6, v6, v9
	v_fmac_f32_e32 v6, v5, v8
	v_fmac_f32_e32 v6, -0.5, v5
	v_add_f32_e32 v4, v4, v6
.LBB152_577:
	s_or_b64 exec, exec, s[6:7]
.LBB152_578:
	s_or_b64 exec, exec, s[0:1]
.LBB152_579:
	s_or_b64 exec, exec, s[4:5]
.LBB152_580:
	s_andn2_saveexec_b64 s[2:3], s[2:3]
	s_cbranch_execz .LBB152_582
; %bb.581:
	s_mov_b32 s0, 0x3e8a8991
	v_mov_b32_e32 v4, 0xbecd26ab
	v_fma_f32 v4, |v2|, s0, v4
	s_mov_b32 s0, 0x3f528d33
	v_fma_f32 v4, |v2|, v4, s0
	s_mov_b32 s0, 0x800000
	v_cmp_lt_f32_e64 vcc, |v2|, s0
	v_cndmask_b32_e64 v5, 0, 32, vcc
	v_ldexp_f32 v5, |v2|, v5
	v_log_f32_e32 v5, v5
	s_mov_b32 s0, 0xbf13c468
	v_fma_f32 v4, |v2|, v4, s0
	s_mov_b32 s0, 0x3f317217
	v_mul_f32_e32 v6, 0x3f317217, v5
	v_fma_f32 v8, v5, s0, -v6
	v_fmac_f32_e32 v8, 0x3377d1cf, v5
	s_mov_b32 s0, 0x7f800000
	v_add_f32_e32 v6, v6, v8
	v_cmp_lt_f32_e64 s[0:1], |v5|, s0
	v_cndmask_b32_e64 v5, v5, v6, s[0:1]
	v_mov_b32_e32 v6, 0x41b17218
	v_cndmask_b32_e32 v6, 0, v6, vcc
	v_sub_f32_e32 v5, v5, v6
	v_fma_f32 v4, |v2|, v4, -v5
.LBB152_582:
	s_or_b64 exec, exec, s[2:3]
	v_cmp_le_f16_e32 vcc, 0, v1
	v_cmp_nle_f16_e64 s[0:1], 0, v1
	s_and_saveexec_b64 s[2:3], s[0:1]
	s_xor_b64 s[4:5], exec, s[2:3]
	s_cbranch_execz .LBB152_586
; %bb.583:
	s_mov_b32 s0, 0x4b000000
	s_mov_b32 s2, 0x35000000
	v_cmp_lt_f32_e64 s[0:1], |v2|, s0
	v_cmp_gt_f32_e64 s[2:3], |v2|, s2
	s_and_b64 s[0:1], s[0:1], s[2:3]
	s_and_saveexec_b64 s[6:7], s[0:1]
	s_cbranch_execz .LBB152_585
; %bb.584:
	v_mul_f32_e64 v5, |v2|, 0.5
	v_floor_f32_e32 v6, v5
	v_sub_f32_e32 v6, v5, v6
	v_min_f32_e32 v6, 0x3f7fffff, v6
	s_mov_b32 s2, 0x7f800000
	v_add_f32_e32 v6, v6, v6
	v_cmp_neq_f32_e64 s[0:1], s2, v5
	v_cndmask_b32_e64 v5, 0, v6, s[0:1]
	v_cmp_gt_f32_e64 s[0:1], |v2|, 1.0
	v_cndmask_b32_e64 v5, |v2|, v5, s[0:1]
	v_add_f32_e32 v6, v5, v5
	v_rndne_f32_e32 v6, v6
	v_fmac_f32_e32 v5, -0.5, v6
	v_mul_f32_e32 v8, v5, v5
	v_mov_b32_e32 v9, 0xbf1f24be
	v_fmac_f32_e32 v9, 0x3e75aa41, v8
	v_mov_b32_e32 v10, 0x40234736
	v_fmac_f32_e32 v10, v8, v9
	;; [unrolled: 2-line block ×3, first 2 shown]
	v_mul_f32_e32 v10, v5, v8
	v_mul_f32_e32 v9, v10, v9
	v_fmac_f32_e32 v9, 0x40490fdb, v5
	v_mov_b32_e32 v5, 0x3e642e9d
	v_cvt_i32_f32_e32 v6, v6
	v_fmac_f32_e32 v5, 0x3d4be544, v8
	v_mov_b32_e32 v10, 0xbfaad1da
	v_fmac_f32_e32 v10, v8, v5
	v_mov_b32_e32 v5, 0x4081e0d3
	;; [unrolled: 2-line block ×3, first 2 shown]
	v_fmac_f32_e32 v10, v8, v5
	v_fma_f32 v5, v8, v10, 1.0
	v_and_b32_e32 v8, 1, v6
	v_lshlrev_b32_e32 v6, 30, v6
	v_cmp_eq_u32_e64 s[0:1], 0, v8
	v_and_b32_e32 v6, 0x80000000, v6
	v_xor_b32_e32 v3, v3, v2
	v_cndmask_b32_e64 v5, v5, v9, s[0:1]
	v_xor_b32_e32 v3, v3, v6
	v_xor_b32_e32 v3, v3, v5
	v_mul_f32_e32 v3, v2, v3
	v_frexp_mant_f32_e64 v5, |v3|
	v_rcp_f32_e32 v5, v5
	v_frexp_exp_i32_f32_e32 v3, v3
	v_sub_u32_e32 v3, 2, v3
	s_mov_b32 s0, 0x800000
	v_mul_f32_e32 v5, 0x3f490fdb, v5
	v_ldexp_f32 v3, v5, v3
	v_cmp_gt_f32_e64 s[0:1], s0, v3
	v_cndmask_b32_e64 v5, 0, 32, s[0:1]
	v_ldexp_f32 v3, v3, v5
	v_log_f32_e32 v3, v3
	s_mov_b32 s3, 0x3f317217
	v_mul_f32_e32 v5, 0x3f317217, v3
	v_fma_f32 v6, v3, s3, -v5
	v_fmac_f32_e32 v6, 0x3377d1cf, v3
	v_add_f32_e32 v5, v5, v6
	v_cmp_lt_f32_e64 s[2:3], |v3|, s2
	v_cndmask_b32_e64 v3, v3, v5, s[2:3]
	v_mov_b32_e32 v5, 0x41b17218
	v_cndmask_b32_e64 v5, 0, v5, s[0:1]
	v_sub_f32_e32 v3, v3, v5
	v_sub_f32_e32 v3, v3, v4
	v_floor_f32_e32 v4, v2
	v_sub_f32_e32 v4, v2, v4
	v_min_f32_e32 v4, 0x3f7fffff, v4
	v_mov_b32_e32 v5, 0x7f800000
	v_cmp_neq_f32_e64 s[0:1], 0, v4
	v_cndmask_b32_e64 v4, v5, v3, s[0:1]
.LBB152_585:
	s_or_b64 exec, exec, s[6:7]
.LBB152_586:
	s_andn2_saveexec_b64 s[4:5], s[4:5]
; %bb.587:
	v_cmp_eq_f16_e64 s[0:1], 1.0, v1
	v_cmp_eq_f16_e64 s[2:3], 2.0, v1
	s_or_b64 s[0:1], s[0:1], s[2:3]
	v_cndmask_b32_e64 v4, v4, 0, s[0:1]
; %bb.588:
	s_or_b64 exec, exec, s[4:5]
	v_cvt_f16_f32_e32 v4, v4
	s_mov_b32 s0, 0x4b000000
	v_cmp_lt_f32_e64 s[0:1], |v2|, s0
	v_mov_b32_e32 v3, 0x264
	v_mov_b32_e32 v5, 0x7c00
	s_or_b64 vcc, vcc, s[0:1]
	v_cndmask_b32_e32 v4, v5, v4, vcc
	v_cmp_class_f32_e32 vcc, v2, v3
	v_cndmask_b32_e32 v2, v4, v5, vcc
	v_cmp_u_f16_e32 vcc, v1, v1
	v_cndmask_b32_e32 v1, v2, v1, vcc
	v_add_u32_e32 v7, 0x80, v7
	global_store_short v0, v1, s[16:17]
	s_or_b64 exec, exec, s[48:49]
	v_cmp_gt_i32_e32 vcc, s55, v7
	s_and_saveexec_b64 s[48:49], vcc
	s_cbranch_execnz .LBB152_536
.LBB152_589:
	s_or_b64 exec, exec, s[48:49]
	v_cmp_gt_i32_e32 vcc, s55, v7
	s_and_saveexec_b64 s[48:49], vcc
	s_cbranch_execz .LBB152_643
.LBB152_590:
	s_andn2_b64 vcc, exec, s[36:37]
	s_cbranch_vccnz .LBB152_595
; %bb.591:
	s_andn2_b64 vcc, exec, s[46:47]
	s_cbranch_vccnz .LBB152_596
; %bb.592:
	s_add_i32 s58, s56, 1
	s_cmp_eq_u32 s54, 2
	s_cbranch_scc1 .LBB152_651
; %bb.593:
	s_and_b32 s57, s58, 28
	v_mov_b32_e32 v2, 0
	s_mov_b32 s59, 0
	s_mov_b64 s[50:51], s[34:35]
	s_mov_b64 s[52:53], s[44:45]
	v_mov_b32_e32 v0, 0
	v_mov_b32_e32 v1, v7
.LBB152_594:                            ; =>This Inner Loop Header: Depth=1
	s_load_dwordx8 s[8:15], s[50:51], 0x4
	s_load_dwordx4 s[28:31], s[50:51], 0x24
	s_load_dwordx8 s[0:7], s[52:53], 0x0
	s_add_u32 s50, s50, 48
	s_addc_u32 s51, s51, 0
	s_waitcnt lgkmcnt(0)
	v_mul_hi_u32 v3, s9, v1
	s_add_i32 s59, s59, 4
	s_add_u32 s52, s52, 32
	s_addc_u32 s53, s53, 0
	v_add_u32_e32 v3, v1, v3
	v_lshrrev_b32_e32 v3, s10, v3
	v_mul_lo_u32 v4, v3, s8
	v_mul_hi_u32 v5, s12, v3
	s_cmp_eq_u32 s57, s59
	v_sub_u32_e32 v1, v1, v4
	v_add_u32_e32 v4, v3, v5
	v_mul_lo_u32 v5, v1, s0
	v_mul_lo_u32 v6, v1, s1
	v_lshrrev_b32_e32 v1, s13, v4
	v_mul_lo_u32 v4, v1, s11
	v_mul_hi_u32 v8, s15, v1
	v_sub_u32_e32 v3, v3, v4
	v_add_u32_e32 v4, v1, v8
	v_lshrrev_b32_e32 v4, s28, v4
	v_mul_hi_u32 v9, s30, v4
	v_mul_lo_u32 v10, v4, s14
	v_mul_lo_u32 v8, v3, s2
	;; [unrolled: 1-line block ×3, first 2 shown]
	v_sub_u32_e32 v10, v1, v10
	v_add_u32_e32 v1, v4, v9
	v_lshrrev_b32_e32 v1, s31, v1
	v_mul_lo_u32 v9, v1, s29
	v_mul_lo_u32 v11, v10, s4
	;; [unrolled: 1-line block ×3, first 2 shown]
	v_add3_u32 v0, v5, v0, v8
	v_sub_u32_e32 v4, v4, v9
	v_mul_lo_u32 v9, v4, s6
	v_mul_lo_u32 v4, v4, s7
	v_add3_u32 v2, v6, v2, v3
	v_add3_u32 v0, v11, v0, v9
	;; [unrolled: 1-line block ×3, first 2 shown]
	s_cbranch_scc0 .LBB152_594
	s_branch .LBB152_652
.LBB152_595:
                                        ; implicit-def: $vgpr0
                                        ; implicit-def: $vgpr2
	s_branch .LBB152_656
.LBB152_596:
	v_mov_b32_e32 v0, 0
	v_mov_b32_e32 v2, 0
	s_branch .LBB152_655
.LBB152_597:
	s_mov_b32 s57, 0
	v_mov_b32_e32 v0, 0
	v_mov_b32_e32 v2, 0
	;; [unrolled: 1-line block ×3, first 2 shown]
.LBB152_598:
	s_and_b32 s4, s58, 3
	s_cmp_eq_u32 s4, 0
	s_cbranch_scc1 .LBB152_601
; %bb.599:
	s_lshl_b32 s0, s57, 3
	s_add_u32 s0, s34, s0
	s_addc_u32 s1, s35, 0
	s_add_u32 s0, s0, 0xc4
	s_addc_u32 s1, s1, 0
	s_mul_i32 s2, s57, 12
	s_add_u32 s2, s34, s2
	s_addc_u32 s3, s35, 0
.LBB152_600:                            ; =>This Inner Loop Header: Depth=1
	s_load_dwordx2 s[6:7], s[2:3], 0x4
	s_load_dword s5, s[2:3], 0xc
	s_load_dwordx2 s[8:9], s[0:1], 0x0
	s_add_u32 s2, s2, 12
	s_addc_u32 s3, s3, 0
	s_waitcnt lgkmcnt(0)
	v_mul_hi_u32 v3, s7, v1
	s_add_u32 s0, s0, 8
	s_addc_u32 s1, s1, 0
	s_add_i32 s4, s4, -1
	v_add_u32_e32 v3, v1, v3
	v_lshrrev_b32_e32 v4, s5, v3
	v_mul_lo_u32 v3, v4, s6
	s_cmp_lg_u32 s4, 0
	v_sub_u32_e32 v3, v1, v3
	v_mad_u64_u32 v[0:1], s[6:7], v3, s8, v[0:1]
	v_mad_u64_u32 v[2:3], s[6:7], v3, s9, v[2:3]
	v_mov_b32_e32 v1, v4
	s_cbranch_scc1 .LBB152_600
.LBB152_601:
	s_cbranch_execnz .LBB152_604
.LBB152_602:
	s_waitcnt lgkmcnt(0)
	v_mul_hi_u32 v0, s25, v7
	s_andn2_b64 vcc, exec, s[42:43]
	v_add_u32_e32 v0, v7, v0
	v_lshrrev_b32_e32 v1, s26, v0
	v_mul_lo_u32 v0, v1, s24
	v_sub_u32_e32 v2, v7, v0
	v_mul_lo_u32 v0, v2, s20
	v_mul_lo_u32 v2, v2, s21
	s_cbranch_vccnz .LBB152_604
; %bb.603:
	v_mul_hi_u32 v3, s40, v1
	v_add_u32_e32 v3, v1, v3
	v_lshrrev_b32_e32 v3, s41, v3
	v_mul_lo_u32 v3, v3, s27
	v_sub_u32_e32 v3, v1, v3
	v_mad_u64_u32 v[0:1], s[0:1], v3, s22, v[0:1]
	v_mad_u64_u32 v[2:3], s[0:1], v3, s23, v[2:3]
.LBB152_604:
	s_waitcnt lgkmcnt(0)
	global_load_ushort v1, v2, s[18:19]
	s_mov_b32 s0, 0x3c800000
                                        ; implicit-def: $vgpr4
	s_waitcnt vmcnt(0)
	v_cvt_f32_f16_e32 v2, v1
	v_and_b32_e32 v3, 0x7fffffff, v2
	v_cmp_nlt_f32_e64 s[0:1], |v2|, s0
	s_and_saveexec_b64 s[2:3], s[0:1]
	s_xor_b64 s[2:3], exec, s[2:3]
	s_cbranch_execz .LBB152_634
; %bb.605:
	v_cmp_nlt_f32_e64 s[0:1], |v2|, 2.0
                                        ; implicit-def: $vgpr4
	s_and_saveexec_b64 s[4:5], s[0:1]
	s_xor_b64 s[4:5], exec, s[4:5]
	s_cbranch_execz .LBB152_615
; %bb.606:
	s_mov_b32 s0, 0x41000000
	v_cmp_nlt_f32_e64 s[0:1], |v2|, s0
                                        ; implicit-def: $vgpr4
	s_and_saveexec_b64 s[6:7], s[0:1]
	s_xor_b64 s[6:7], exec, s[6:7]
	s_cbranch_execz .LBB152_612
; %bb.607:
	s_mov_b32 s0, 0x5c800000
	v_cmp_nlt_f32_e64 s[0:1], |v2|, s0
                                        ; implicit-def: $vgpr4
	s_and_saveexec_b64 s[8:9], s[0:1]
	s_xor_b64 s[8:9], exec, s[8:9]
	s_cbranch_execz .LBB152_609
; %bb.608:
	s_mov_b32 s0, 0x800000
	v_cmp_lt_f32_e64 vcc, |v2|, s0
	v_cndmask_b32_e64 v4, 0, 32, vcc
	v_ldexp_f32 v4, |v2|, v4
	v_log_f32_e32 v4, v4
	s_mov_b32 s0, 0x3f317217
	s_mov_b32 s1, 0x7f800000
	v_mul_f32_e32 v5, 0x3f317217, v4
	v_fma_f32 v6, v4, s0, -v5
	v_fmac_f32_e32 v6, 0x3377d1cf, v4
	v_add_f32_e32 v5, v5, v6
	v_cmp_lt_f32_e64 s[0:1], |v4|, s1
	v_cndmask_b32_e64 v4, v4, v5, s[0:1]
	v_mov_b32_e32 v5, 0x41b17218
	v_cndmask_b32_e32 v5, 0, v5, vcc
	v_sub_f32_e32 v4, v4, v5
	v_fma_f32 v4, |v2|, v4, -|v2|
.LBB152_609:
	s_andn2_saveexec_b64 s[8:9], s[8:9]
	s_cbranch_execz .LBB152_611
; %bb.610:
	v_rcp_f32_e64 v5, |v2|
	v_mov_b32_e32 v4, 0x3a5b3dd2
	v_mov_b32_e32 v6, 0xba1c065c
	;; [unrolled: 1-line block ×3, first 2 shown]
	v_mul_f32_e32 v9, v5, v5
	v_fmac_f32_e32 v4, 0xbad5c4e8, v9
	v_fmac_f32_e32 v6, v9, v4
	s_mov_b32 s0, 0x800000
	v_fmac_f32_e32 v8, v9, v6
	v_mov_b32_e32 v4, 0xbb360b61
	v_cmp_lt_f32_e64 vcc, |v2|, s0
	v_fmac_f32_e32 v4, v9, v8
	v_cndmask_b32_e64 v8, 0, 32, vcc
	v_ldexp_f32 v8, |v2|, v8
	v_log_f32_e32 v8, v8
	v_mov_b32_e32 v6, 0x3daaaaab
	v_fmac_f32_e32 v6, v9, v4
	v_mov_b32_e32 v4, 0x3ed67f1d
	v_fmac_f32_e32 v4, v5, v6
	s_mov_b32 s0, 0x3f317217
	v_mul_f32_e32 v6, 0x3f317217, v8
	v_fma_f32 v9, v8, s0, -v6
	v_fmac_f32_e32 v9, 0x3377d1cf, v8
	s_mov_b32 s0, 0x7f800000
	v_add_f32_e32 v6, v6, v9
	v_cmp_lt_f32_e64 s[0:1], |v8|, s0
	v_cndmask_b32_e64 v6, v8, v6, s[0:1]
	v_mov_b32_e32 v8, 0x41b17218
	v_cndmask_b32_e32 v8, 0, v8, vcc
	v_sub_f32_e32 v6, v6, v8
	v_add_f32_e64 v5, |v2|, -0.5
	v_add_f32_e32 v6, -1.0, v6
	v_fmac_f32_e32 v4, v5, v6
.LBB152_611:
	s_or_b64 exec, exec, s[8:9]
.LBB152_612:
	s_andn2_saveexec_b64 s[6:7], s[6:7]
	s_cbranch_execz .LBB152_614
; %bb.613:
	v_cvt_i32_f32_e32 v4, v3
	v_mov_b32_e32 v5, 0x3af135b4
	v_mov_b32_e32 v6, 0x3cda40e4
	v_mov_b32_e32 v8, 0x3e15dce6
	v_cvt_f32_i32_e32 v9, v4
	v_mov_b32_e32 v10, 0x3ea6cc7a
	v_mov_b32_e32 v11, 0x3e5c245a
	v_cmp_lt_i32_e32 vcc, 2, v4
	v_sub_f32_e64 v9, |v2|, v9
	v_fmac_f32_e32 v5, 0x3805ff67, v9
	v_fmac_f32_e32 v6, v9, v5
	;; [unrolled: 1-line block ×3, first 2 shown]
	v_mov_b32_e32 v6, 0x3a4beed6
	v_fmac_f32_e32 v10, v9, v8
	v_fmac_f32_e32 v6, 0x36f5d7bd, v9
	v_mov_b32_e32 v8, 0x3c98bf54
	v_fmac_f32_e32 v8, v9, v6
	v_mov_b32_e32 v6, 0x3e300f6e
	;; [unrolled: 2-line block ×4, first 2 shown]
	v_fmac_f32_e32 v6, v9, v8
	v_add_f32_e32 v8, 2.0, v9
	v_mov_b32_e32 v12, 0xbd9e233f
	v_fmac_f32_e32 v11, v9, v10
	v_add_f32_e32 v10, 0x40400000, v9
	v_cndmask_b32_e32 v8, 1.0, v8, vcc
	v_cmp_lt_i32_e32 vcc, 3, v4
	v_fmac_f32_e32 v12, v9, v11
	v_add_f32_e32 v11, 4.0, v9
	v_cndmask_b32_e32 v10, 1.0, v10, vcc
	v_cmp_lt_i32_e32 vcc, 4, v4
	v_mul_f32_e32 v5, v9, v12
	v_add_f32_e32 v12, 0x40a00000, v9
	v_mul_f32_e32 v8, v8, v10
	v_cndmask_b32_e32 v10, 1.0, v11, vcc
	v_cmp_lt_i32_e32 vcc, 5, v4
	v_add_f32_e32 v13, 0x40c00000, v9
	v_mul_f32_e32 v8, v10, v8
	v_cndmask_b32_e32 v10, 1.0, v12, vcc
	v_cmp_lt_i32_e32 vcc, 6, v4
	v_mul_f32_e32 v8, v10, v8
	v_cndmask_b32_e32 v4, 1.0, v13, vcc
	v_mul_f32_e32 v4, v4, v8
	s_mov_b32 s0, 0x800000
	v_cmp_gt_f32_e32 vcc, s0, v4
	v_cndmask_b32_e64 v8, 0, 32, vcc
	v_fma_f32 v6, v9, v6, 1.0
	v_ldexp_f32 v4, v4, v8
	v_rcp_f32_e32 v6, v6
	v_log_f32_e32 v4, v4
	s_mov_b32 s0, 0x3f317217
	v_mul_f32_e32 v5, v5, v6
	v_mul_f32_e32 v6, 0x3f317217, v4
	v_fma_f32 v8, v4, s0, -v6
	v_fmac_f32_e32 v8, 0x3377d1cf, v4
	s_mov_b32 s0, 0x7f800000
	v_add_f32_e32 v6, v6, v8
	v_cmp_lt_f32_e64 s[0:1], |v4|, s0
	v_cndmask_b32_e64 v4, v4, v6, s[0:1]
	v_mov_b32_e32 v6, 0x41b17218
	v_cndmask_b32_e32 v6, 0, v6, vcc
	v_fmac_f32_e32 v5, 0.5, v9
	v_sub_f32_e32 v4, v4, v6
	v_add_f32_e32 v4, v4, v5
.LBB152_614:
	s_or_b64 exec, exec, s[6:7]
.LBB152_615:
	s_andn2_saveexec_b64 s[4:5], s[4:5]
	s_cbranch_execz .LBB152_633
; %bb.616:
	s_mov_b32 s0, 0x3f666666
	v_cmp_le_f32_e64 s[0:1], |v2|, s0
                                        ; implicit-def: $vgpr4
                                        ; implicit-def: $vgpr6
                                        ; implicit-def: $vgpr5
	s_and_saveexec_b64 s[6:7], s[0:1]
	s_xor_b64 s[6:7], exec, s[6:7]
	s_cbranch_execz .LBB152_618
; %bb.617:
	s_mov_b32 s0, 0x800000
	v_cmp_lt_f32_e64 vcc, |v2|, s0
	v_cndmask_b32_e64 v4, 0, 32, vcc
	v_ldexp_f32 v4, |v2|, v4
	v_log_f32_e32 v4, v4
	s_mov_b32 s0, 0x3f317217
	s_mov_b32 s1, 0x7f800000
	v_mul_f32_e32 v5, 0x3f317217, v4
	v_fma_f32 v6, v4, s0, -v5
	v_fmac_f32_e32 v6, 0x3377d1cf, v4
	v_add_f32_e32 v5, v5, v6
	v_cmp_lt_f32_e64 s[0:1], |v4|, s1
	v_cndmask_b32_e64 v4, v4, v5, s[0:1]
	v_mov_b32_e32 v5, 0x41b17218
	v_cndmask_b32_e32 v5, 0, v5, vcc
	s_mov_b32 s0, 0x3f3b4a23
	s_mov_b32 s1, 0xbeec5b0c
	v_sub_f32_e32 v4, v4, v5
	v_sub_f32_e64 v5, 1.0, |v2|
	v_add_f32_e64 v6, |v2|, s1
	v_cmp_lt_f32_e64 vcc, |v2|, s0
	s_mov_b32 s0, 0x3e6d3309
	v_cndmask_b32_e32 v5, v5, v6, vcc
	v_cndmask_b32_e64 v6, 0, 1, vcc
	v_cmp_lt_f32_e64 s[0:1], |v2|, s0
	v_xor_b32_e32 v4, 0x80000000, v4
	v_cndmask_b32_e64 v5, v5, |v2|, s[0:1]
	v_cndmask_b32_e64 v6, v6, 2, s[0:1]
.LBB152_618:
	s_andn2_saveexec_b64 s[0:1], s[6:7]
	s_cbranch_execz .LBB152_620
; %bb.619:
	s_mov_b32 s6, 0x3fdda512
	s_mov_b32 s7, 0xbfbb16c3
	v_sub_f32_e64 v4, 2.0, |v2|
	v_add_f32_e64 v5, |v2|, s7
	v_cmp_lt_f32_e64 vcc, |v2|, s6
	v_cndmask_b32_e32 v5, v4, v5, vcc
	v_cndmask_b32_e64 v4, v4, 1.0, vcc
	v_cvt_i32_f32_e32 v4, v4
	s_mov_b32 s6, 0x3f9d70a4
	v_add_f32_e64 v6, |v2|, -1.0
	v_cmp_lt_f32_e64 vcc, |v2|, s6
	v_cndmask_b32_e32 v5, v5, v6, vcc
	v_cndmask_b32_e64 v6, v4, 2, vcc
	v_mov_b32_e32 v4, 0
.LBB152_620:
	s_or_b64 exec, exec, s[0:1]
	v_cmp_lt_i32_e32 vcc, 0, v6
	s_and_saveexec_b64 s[0:1], vcc
	s_xor_b64 s[0:1], exec, s[0:1]
	s_cbranch_execz .LBB152_628
; %bb.621:
	v_cmp_lt_i32_e32 vcc, 1, v6
	s_and_saveexec_b64 s[6:7], vcc
	s_xor_b64 s[6:7], exec, s[6:7]
	s_cbranch_execz .LBB152_625
; %bb.622:
	v_cmp_eq_u32_e32 vcc, 2, v6
	s_and_saveexec_b64 s[8:9], vcc
	s_cbranch_execz .LBB152_624
; %bb.623:
	v_mov_b32_e32 v6, 0x3e6a7578
	v_fmac_f32_e32 v6, 0x3c5b3c5e, v5
	v_mov_b32_e32 v8, 0x3f7a4bb2
	v_fmac_f32_e32 v8, v5, v6
	;; [unrolled: 2-line block ×8, first 2 shown]
	v_fma_f32 v6, v5, v9, 1.0
	v_rcp_f32_e32 v6, v6
	v_mov_b32_e32 v9, 0xbd9e233f
	v_fmac_f32_e32 v9, v5, v8
	v_mul_f32_e32 v8, v5, v9
	v_mul_f32_e32 v6, v8, v6
	v_fmac_f32_e32 v6, -0.5, v5
	v_add_f32_e32 v4, v4, v6
.LBB152_624:
	s_or_b64 exec, exec, s[8:9]
                                        ; implicit-def: $vgpr5
.LBB152_625:
	s_andn2_saveexec_b64 s[6:7], s[6:7]
	s_cbranch_execz .LBB152_627
; %bb.626:
	v_mul_f32_e32 v6, v5, v5
	v_mul_f32_e32 v8, v5, v6
	v_mov_b32_e32 v9, 0xbab7f476
	v_fmac_f32_e32 v9, 0x39a57b6b, v8
	v_mov_b32_e32 v10, 0x3bc7e707
	v_fmac_f32_e32 v10, v8, v9
	;; [unrolled: 2-line block ×12, first 2 shown]
	v_fmac_f32_e32 v11, v5, v12
	s_mov_b32 s8, 0xa2863e55
	v_fma_f32 v5, v8, -v11, s8
	v_fma_f32 v5, v6, v10, -v5
	v_add_f32_e32 v5, 0xbdf8cdce, v5
	v_add_f32_e32 v4, v4, v5
.LBB152_627:
	s_or_b64 exec, exec, s[6:7]
                                        ; implicit-def: $vgpr6
                                        ; implicit-def: $vgpr5
.LBB152_628:
	s_andn2_saveexec_b64 s[0:1], s[0:1]
	s_cbranch_execz .LBB152_632
; %bb.629:
	v_cmp_eq_u32_e32 vcc, 0, v6
	s_and_saveexec_b64 s[6:7], vcc
	s_cbranch_execz .LBB152_631
; %bb.630:
	v_mul_f32_e32 v6, v5, v5
	v_mov_b32_e32 v8, 0x39679767
	v_fmac_f32_e32 v8, 0x37d383a2, v6
	v_mov_b32_e32 v9, 0x3a9c54a1
	v_fmac_f32_e32 v9, v6, v8
	v_mov_b32_e32 v8, 0x3bf2027e
	v_fmac_f32_e32 v8, v6, v9
	v_mov_b32_e32 v9, 0x3d89f001
	v_fmac_f32_e32 v9, v6, v8
	v_mov_b32_e32 v8, 0x3d9e233f
	v_fmac_f32_e32 v8, v6, v9
	v_mov_b32_e32 v9, 0x38e28445
	v_fmac_f32_e32 v9, 0x383c2c75, v6
	v_mov_b32_e32 v10, 0x3a05b634
	v_fmac_f32_e32 v10, v6, v9
	v_mov_b32_e32 v9, 0x3b3d6ec6
	v_fmac_f32_e32 v9, v6, v10
	v_mov_b32_e32 v10, 0x3ca89915
	v_fmac_f32_e32 v10, v6, v9
	v_mov_b32_e32 v9, 0x3ea51a66
	v_fmac_f32_e32 v9, v6, v10
	v_mul_f32_e32 v6, v6, v9
	v_fmac_f32_e32 v6, v5, v8
	v_fmac_f32_e32 v6, -0.5, v5
	v_add_f32_e32 v4, v4, v6
.LBB152_631:
	s_or_b64 exec, exec, s[6:7]
.LBB152_632:
	s_or_b64 exec, exec, s[0:1]
.LBB152_633:
	s_or_b64 exec, exec, s[4:5]
.LBB152_634:
	s_andn2_saveexec_b64 s[2:3], s[2:3]
	s_cbranch_execz .LBB152_636
; %bb.635:
	s_mov_b32 s0, 0x3e8a8991
	v_mov_b32_e32 v4, 0xbecd26ab
	v_fma_f32 v4, |v2|, s0, v4
	s_mov_b32 s0, 0x3f528d33
	v_fma_f32 v4, |v2|, v4, s0
	s_mov_b32 s0, 0x800000
	v_cmp_lt_f32_e64 vcc, |v2|, s0
	v_cndmask_b32_e64 v5, 0, 32, vcc
	v_ldexp_f32 v5, |v2|, v5
	v_log_f32_e32 v5, v5
	s_mov_b32 s0, 0xbf13c468
	v_fma_f32 v4, |v2|, v4, s0
	s_mov_b32 s0, 0x3f317217
	v_mul_f32_e32 v6, 0x3f317217, v5
	v_fma_f32 v8, v5, s0, -v6
	v_fmac_f32_e32 v8, 0x3377d1cf, v5
	s_mov_b32 s0, 0x7f800000
	v_add_f32_e32 v6, v6, v8
	v_cmp_lt_f32_e64 s[0:1], |v5|, s0
	v_cndmask_b32_e64 v5, v5, v6, s[0:1]
	v_mov_b32_e32 v6, 0x41b17218
	v_cndmask_b32_e32 v6, 0, v6, vcc
	v_sub_f32_e32 v5, v5, v6
	v_fma_f32 v4, |v2|, v4, -v5
.LBB152_636:
	s_or_b64 exec, exec, s[2:3]
	v_cmp_le_f16_e32 vcc, 0, v1
	v_cmp_nle_f16_e64 s[0:1], 0, v1
	s_and_saveexec_b64 s[2:3], s[0:1]
	s_xor_b64 s[4:5], exec, s[2:3]
	s_cbranch_execz .LBB152_640
; %bb.637:
	s_mov_b32 s0, 0x4b000000
	s_mov_b32 s2, 0x35000000
	v_cmp_lt_f32_e64 s[0:1], |v2|, s0
	v_cmp_gt_f32_e64 s[2:3], |v2|, s2
	s_and_b64 s[0:1], s[0:1], s[2:3]
	s_and_saveexec_b64 s[6:7], s[0:1]
	s_cbranch_execz .LBB152_639
; %bb.638:
	v_mul_f32_e64 v5, |v2|, 0.5
	v_floor_f32_e32 v6, v5
	v_sub_f32_e32 v6, v5, v6
	v_min_f32_e32 v6, 0x3f7fffff, v6
	s_mov_b32 s2, 0x7f800000
	v_add_f32_e32 v6, v6, v6
	v_cmp_neq_f32_e64 s[0:1], s2, v5
	v_cndmask_b32_e64 v5, 0, v6, s[0:1]
	v_cmp_gt_f32_e64 s[0:1], |v2|, 1.0
	v_cndmask_b32_e64 v5, |v2|, v5, s[0:1]
	v_add_f32_e32 v6, v5, v5
	v_rndne_f32_e32 v6, v6
	v_fmac_f32_e32 v5, -0.5, v6
	v_mul_f32_e32 v8, v5, v5
	v_mov_b32_e32 v9, 0xbf1f24be
	v_fmac_f32_e32 v9, 0x3e75aa41, v8
	v_mov_b32_e32 v10, 0x40234736
	v_fmac_f32_e32 v10, v8, v9
	;; [unrolled: 2-line block ×3, first 2 shown]
	v_mul_f32_e32 v10, v5, v8
	v_mul_f32_e32 v9, v10, v9
	v_fmac_f32_e32 v9, 0x40490fdb, v5
	v_mov_b32_e32 v5, 0x3e642e9d
	v_cvt_i32_f32_e32 v6, v6
	v_fmac_f32_e32 v5, 0x3d4be544, v8
	v_mov_b32_e32 v10, 0xbfaad1da
	v_fmac_f32_e32 v10, v8, v5
	v_mov_b32_e32 v5, 0x4081e0d3
	;; [unrolled: 2-line block ×3, first 2 shown]
	v_fmac_f32_e32 v10, v8, v5
	v_fma_f32 v5, v8, v10, 1.0
	v_and_b32_e32 v8, 1, v6
	v_lshlrev_b32_e32 v6, 30, v6
	v_cmp_eq_u32_e64 s[0:1], 0, v8
	v_and_b32_e32 v6, 0x80000000, v6
	v_xor_b32_e32 v3, v3, v2
	v_cndmask_b32_e64 v5, v5, v9, s[0:1]
	v_xor_b32_e32 v3, v3, v6
	v_xor_b32_e32 v3, v3, v5
	v_mul_f32_e32 v3, v2, v3
	v_frexp_mant_f32_e64 v5, |v3|
	v_rcp_f32_e32 v5, v5
	v_frexp_exp_i32_f32_e32 v3, v3
	v_sub_u32_e32 v3, 2, v3
	s_mov_b32 s0, 0x800000
	v_mul_f32_e32 v5, 0x3f490fdb, v5
	v_ldexp_f32 v3, v5, v3
	v_cmp_gt_f32_e64 s[0:1], s0, v3
	v_cndmask_b32_e64 v5, 0, 32, s[0:1]
	v_ldexp_f32 v3, v3, v5
	v_log_f32_e32 v3, v3
	s_mov_b32 s3, 0x3f317217
	v_mul_f32_e32 v5, 0x3f317217, v3
	v_fma_f32 v6, v3, s3, -v5
	v_fmac_f32_e32 v6, 0x3377d1cf, v3
	v_add_f32_e32 v5, v5, v6
	v_cmp_lt_f32_e64 s[2:3], |v3|, s2
	v_cndmask_b32_e64 v3, v3, v5, s[2:3]
	v_mov_b32_e32 v5, 0x41b17218
	v_cndmask_b32_e64 v5, 0, v5, s[0:1]
	v_sub_f32_e32 v3, v3, v5
	v_sub_f32_e32 v3, v3, v4
	v_floor_f32_e32 v4, v2
	v_sub_f32_e32 v4, v2, v4
	v_min_f32_e32 v4, 0x3f7fffff, v4
	v_mov_b32_e32 v5, 0x7f800000
	v_cmp_neq_f32_e64 s[0:1], 0, v4
	v_cndmask_b32_e64 v4, v5, v3, s[0:1]
.LBB152_639:
	s_or_b64 exec, exec, s[6:7]
.LBB152_640:
	s_andn2_saveexec_b64 s[4:5], s[4:5]
; %bb.641:
	v_cmp_eq_f16_e64 s[0:1], 1.0, v1
	v_cmp_eq_f16_e64 s[2:3], 2.0, v1
	s_or_b64 s[0:1], s[0:1], s[2:3]
	v_cndmask_b32_e64 v4, v4, 0, s[0:1]
; %bb.642:
	s_or_b64 exec, exec, s[4:5]
	v_cvt_f16_f32_e32 v4, v4
	s_mov_b32 s0, 0x4b000000
	v_cmp_lt_f32_e64 s[0:1], |v2|, s0
	v_mov_b32_e32 v3, 0x264
	v_mov_b32_e32 v5, 0x7c00
	s_or_b64 vcc, vcc, s[0:1]
	v_cndmask_b32_e32 v4, v5, v4, vcc
	v_cmp_class_f32_e32 vcc, v2, v3
	v_cndmask_b32_e32 v2, v4, v5, vcc
	v_cmp_u_f16_e32 vcc, v1, v1
	v_cndmask_b32_e32 v1, v2, v1, vcc
	v_add_u32_e32 v7, 0x80, v7
	global_store_short v0, v1, s[16:17]
	s_or_b64 exec, exec, s[48:49]
	v_cmp_gt_i32_e32 vcc, s55, v7
	s_and_saveexec_b64 s[48:49], vcc
	s_cbranch_execnz .LBB152_590
.LBB152_643:
	s_or_b64 exec, exec, s[48:49]
	v_cmp_gt_i32_e32 vcc, s55, v7
	s_and_saveexec_b64 s[48:49], vcc
	s_cbranch_execz .LBB152_697
.LBB152_644:
	s_andn2_b64 vcc, exec, s[36:37]
	s_cbranch_vccnz .LBB152_649
; %bb.645:
	s_andn2_b64 vcc, exec, s[46:47]
	s_cbranch_vccnz .LBB152_650
; %bb.646:
	s_add_i32 s58, s56, 1
	s_cmp_eq_u32 s54, 2
	s_cbranch_scc1 .LBB152_705
; %bb.647:
	s_and_b32 s57, s58, 28
	v_mov_b32_e32 v2, 0
	s_mov_b32 s59, 0
	s_mov_b64 s[50:51], s[34:35]
	s_mov_b64 s[52:53], s[44:45]
	v_mov_b32_e32 v0, 0
	v_mov_b32_e32 v1, v7
.LBB152_648:                            ; =>This Inner Loop Header: Depth=1
	s_load_dwordx8 s[8:15], s[50:51], 0x4
	s_load_dwordx4 s[28:31], s[50:51], 0x24
	s_load_dwordx8 s[0:7], s[52:53], 0x0
	s_add_u32 s50, s50, 48
	s_addc_u32 s51, s51, 0
	s_waitcnt lgkmcnt(0)
	v_mul_hi_u32 v3, s9, v1
	s_add_i32 s59, s59, 4
	s_add_u32 s52, s52, 32
	s_addc_u32 s53, s53, 0
	v_add_u32_e32 v3, v1, v3
	v_lshrrev_b32_e32 v3, s10, v3
	v_mul_lo_u32 v4, v3, s8
	v_mul_hi_u32 v5, s12, v3
	s_cmp_eq_u32 s57, s59
	v_sub_u32_e32 v1, v1, v4
	v_add_u32_e32 v4, v3, v5
	v_mul_lo_u32 v5, v1, s0
	v_mul_lo_u32 v6, v1, s1
	v_lshrrev_b32_e32 v1, s13, v4
	v_mul_lo_u32 v4, v1, s11
	v_mul_hi_u32 v8, s15, v1
	v_sub_u32_e32 v3, v3, v4
	v_add_u32_e32 v4, v1, v8
	v_lshrrev_b32_e32 v4, s28, v4
	v_mul_hi_u32 v9, s30, v4
	v_mul_lo_u32 v10, v4, s14
	v_mul_lo_u32 v8, v3, s2
	;; [unrolled: 1-line block ×3, first 2 shown]
	v_sub_u32_e32 v10, v1, v10
	v_add_u32_e32 v1, v4, v9
	v_lshrrev_b32_e32 v1, s31, v1
	v_mul_lo_u32 v9, v1, s29
	v_mul_lo_u32 v11, v10, s4
	;; [unrolled: 1-line block ×3, first 2 shown]
	v_add3_u32 v0, v5, v0, v8
	v_sub_u32_e32 v4, v4, v9
	v_mul_lo_u32 v9, v4, s6
	v_mul_lo_u32 v4, v4, s7
	v_add3_u32 v2, v6, v2, v3
	v_add3_u32 v0, v11, v0, v9
	;; [unrolled: 1-line block ×3, first 2 shown]
	s_cbranch_scc0 .LBB152_648
	s_branch .LBB152_706
.LBB152_649:
                                        ; implicit-def: $vgpr0
                                        ; implicit-def: $vgpr2
	s_branch .LBB152_710
.LBB152_650:
	v_mov_b32_e32 v0, 0
	v_mov_b32_e32 v2, 0
	s_branch .LBB152_709
.LBB152_651:
	s_mov_b32 s57, 0
	v_mov_b32_e32 v0, 0
	v_mov_b32_e32 v2, 0
	v_mov_b32_e32 v1, v7
.LBB152_652:
	s_and_b32 s4, s58, 3
	s_cmp_eq_u32 s4, 0
	s_cbranch_scc1 .LBB152_655
; %bb.653:
	s_lshl_b32 s0, s57, 3
	s_add_u32 s0, s34, s0
	s_addc_u32 s1, s35, 0
	s_add_u32 s0, s0, 0xc4
	s_addc_u32 s1, s1, 0
	s_mul_i32 s2, s57, 12
	s_add_u32 s2, s34, s2
	s_addc_u32 s3, s35, 0
.LBB152_654:                            ; =>This Inner Loop Header: Depth=1
	s_load_dwordx2 s[6:7], s[2:3], 0x4
	s_load_dword s5, s[2:3], 0xc
	s_load_dwordx2 s[8:9], s[0:1], 0x0
	s_add_u32 s2, s2, 12
	s_addc_u32 s3, s3, 0
	s_waitcnt lgkmcnt(0)
	v_mul_hi_u32 v3, s7, v1
	s_add_u32 s0, s0, 8
	s_addc_u32 s1, s1, 0
	s_add_i32 s4, s4, -1
	v_add_u32_e32 v3, v1, v3
	v_lshrrev_b32_e32 v4, s5, v3
	v_mul_lo_u32 v3, v4, s6
	s_cmp_lg_u32 s4, 0
	v_sub_u32_e32 v3, v1, v3
	v_mad_u64_u32 v[0:1], s[6:7], v3, s8, v[0:1]
	v_mad_u64_u32 v[2:3], s[6:7], v3, s9, v[2:3]
	v_mov_b32_e32 v1, v4
	s_cbranch_scc1 .LBB152_654
.LBB152_655:
	s_cbranch_execnz .LBB152_658
.LBB152_656:
	s_waitcnt lgkmcnt(0)
	v_mul_hi_u32 v0, s25, v7
	s_andn2_b64 vcc, exec, s[42:43]
	v_add_u32_e32 v0, v7, v0
	v_lshrrev_b32_e32 v1, s26, v0
	v_mul_lo_u32 v0, v1, s24
	v_sub_u32_e32 v2, v7, v0
	v_mul_lo_u32 v0, v2, s20
	v_mul_lo_u32 v2, v2, s21
	s_cbranch_vccnz .LBB152_658
; %bb.657:
	v_mul_hi_u32 v3, s40, v1
	v_add_u32_e32 v3, v1, v3
	v_lshrrev_b32_e32 v3, s41, v3
	v_mul_lo_u32 v3, v3, s27
	v_sub_u32_e32 v3, v1, v3
	v_mad_u64_u32 v[0:1], s[0:1], v3, s22, v[0:1]
	v_mad_u64_u32 v[2:3], s[0:1], v3, s23, v[2:3]
.LBB152_658:
	s_waitcnt lgkmcnt(0)
	global_load_ushort v1, v2, s[18:19]
	s_mov_b32 s0, 0x3c800000
                                        ; implicit-def: $vgpr4
	s_waitcnt vmcnt(0)
	v_cvt_f32_f16_e32 v2, v1
	v_and_b32_e32 v3, 0x7fffffff, v2
	v_cmp_nlt_f32_e64 s[0:1], |v2|, s0
	s_and_saveexec_b64 s[2:3], s[0:1]
	s_xor_b64 s[2:3], exec, s[2:3]
	s_cbranch_execz .LBB152_688
; %bb.659:
	v_cmp_nlt_f32_e64 s[0:1], |v2|, 2.0
                                        ; implicit-def: $vgpr4
	s_and_saveexec_b64 s[4:5], s[0:1]
	s_xor_b64 s[4:5], exec, s[4:5]
	s_cbranch_execz .LBB152_669
; %bb.660:
	s_mov_b32 s0, 0x41000000
	v_cmp_nlt_f32_e64 s[0:1], |v2|, s0
                                        ; implicit-def: $vgpr4
	s_and_saveexec_b64 s[6:7], s[0:1]
	s_xor_b64 s[6:7], exec, s[6:7]
	s_cbranch_execz .LBB152_666
; %bb.661:
	s_mov_b32 s0, 0x5c800000
	v_cmp_nlt_f32_e64 s[0:1], |v2|, s0
                                        ; implicit-def: $vgpr4
	s_and_saveexec_b64 s[8:9], s[0:1]
	s_xor_b64 s[8:9], exec, s[8:9]
	s_cbranch_execz .LBB152_663
; %bb.662:
	s_mov_b32 s0, 0x800000
	v_cmp_lt_f32_e64 vcc, |v2|, s0
	v_cndmask_b32_e64 v4, 0, 32, vcc
	v_ldexp_f32 v4, |v2|, v4
	v_log_f32_e32 v4, v4
	s_mov_b32 s0, 0x3f317217
	s_mov_b32 s1, 0x7f800000
	v_mul_f32_e32 v5, 0x3f317217, v4
	v_fma_f32 v6, v4, s0, -v5
	v_fmac_f32_e32 v6, 0x3377d1cf, v4
	v_add_f32_e32 v5, v5, v6
	v_cmp_lt_f32_e64 s[0:1], |v4|, s1
	v_cndmask_b32_e64 v4, v4, v5, s[0:1]
	v_mov_b32_e32 v5, 0x41b17218
	v_cndmask_b32_e32 v5, 0, v5, vcc
	v_sub_f32_e32 v4, v4, v5
	v_fma_f32 v4, |v2|, v4, -|v2|
.LBB152_663:
	s_andn2_saveexec_b64 s[8:9], s[8:9]
	s_cbranch_execz .LBB152_665
; %bb.664:
	v_rcp_f32_e64 v5, |v2|
	v_mov_b32_e32 v4, 0x3a5b3dd2
	v_mov_b32_e32 v6, 0xba1c065c
	;; [unrolled: 1-line block ×3, first 2 shown]
	v_mul_f32_e32 v9, v5, v5
	v_fmac_f32_e32 v4, 0xbad5c4e8, v9
	v_fmac_f32_e32 v6, v9, v4
	s_mov_b32 s0, 0x800000
	v_fmac_f32_e32 v8, v9, v6
	v_mov_b32_e32 v4, 0xbb360b61
	v_cmp_lt_f32_e64 vcc, |v2|, s0
	v_fmac_f32_e32 v4, v9, v8
	v_cndmask_b32_e64 v8, 0, 32, vcc
	v_ldexp_f32 v8, |v2|, v8
	v_log_f32_e32 v8, v8
	v_mov_b32_e32 v6, 0x3daaaaab
	v_fmac_f32_e32 v6, v9, v4
	v_mov_b32_e32 v4, 0x3ed67f1d
	v_fmac_f32_e32 v4, v5, v6
	s_mov_b32 s0, 0x3f317217
	v_mul_f32_e32 v6, 0x3f317217, v8
	v_fma_f32 v9, v8, s0, -v6
	v_fmac_f32_e32 v9, 0x3377d1cf, v8
	s_mov_b32 s0, 0x7f800000
	v_add_f32_e32 v6, v6, v9
	v_cmp_lt_f32_e64 s[0:1], |v8|, s0
	v_cndmask_b32_e64 v6, v8, v6, s[0:1]
	v_mov_b32_e32 v8, 0x41b17218
	v_cndmask_b32_e32 v8, 0, v8, vcc
	v_sub_f32_e32 v6, v6, v8
	v_add_f32_e64 v5, |v2|, -0.5
	v_add_f32_e32 v6, -1.0, v6
	v_fmac_f32_e32 v4, v5, v6
.LBB152_665:
	s_or_b64 exec, exec, s[8:9]
.LBB152_666:
	s_andn2_saveexec_b64 s[6:7], s[6:7]
	s_cbranch_execz .LBB152_668
; %bb.667:
	v_cvt_i32_f32_e32 v4, v3
	v_mov_b32_e32 v5, 0x3af135b4
	v_mov_b32_e32 v6, 0x3cda40e4
	;; [unrolled: 1-line block ×3, first 2 shown]
	v_cvt_f32_i32_e32 v9, v4
	v_mov_b32_e32 v10, 0x3ea6cc7a
	v_mov_b32_e32 v11, 0x3e5c245a
	v_cmp_lt_i32_e32 vcc, 2, v4
	v_sub_f32_e64 v9, |v2|, v9
	v_fmac_f32_e32 v5, 0x3805ff67, v9
	v_fmac_f32_e32 v6, v9, v5
	;; [unrolled: 1-line block ×3, first 2 shown]
	v_mov_b32_e32 v6, 0x3a4beed6
	v_fmac_f32_e32 v10, v9, v8
	v_fmac_f32_e32 v6, 0x36f5d7bd, v9
	v_mov_b32_e32 v8, 0x3c98bf54
	v_fmac_f32_e32 v8, v9, v6
	v_mov_b32_e32 v6, 0x3e300f6e
	;; [unrolled: 2-line block ×4, first 2 shown]
	v_fmac_f32_e32 v6, v9, v8
	v_add_f32_e32 v8, 2.0, v9
	v_mov_b32_e32 v12, 0xbd9e233f
	v_fmac_f32_e32 v11, v9, v10
	v_add_f32_e32 v10, 0x40400000, v9
	v_cndmask_b32_e32 v8, 1.0, v8, vcc
	v_cmp_lt_i32_e32 vcc, 3, v4
	v_fmac_f32_e32 v12, v9, v11
	v_add_f32_e32 v11, 4.0, v9
	v_cndmask_b32_e32 v10, 1.0, v10, vcc
	v_cmp_lt_i32_e32 vcc, 4, v4
	v_mul_f32_e32 v5, v9, v12
	v_add_f32_e32 v12, 0x40a00000, v9
	v_mul_f32_e32 v8, v8, v10
	v_cndmask_b32_e32 v10, 1.0, v11, vcc
	v_cmp_lt_i32_e32 vcc, 5, v4
	v_add_f32_e32 v13, 0x40c00000, v9
	v_mul_f32_e32 v8, v10, v8
	v_cndmask_b32_e32 v10, 1.0, v12, vcc
	v_cmp_lt_i32_e32 vcc, 6, v4
	v_mul_f32_e32 v8, v10, v8
	v_cndmask_b32_e32 v4, 1.0, v13, vcc
	v_mul_f32_e32 v4, v4, v8
	s_mov_b32 s0, 0x800000
	v_cmp_gt_f32_e32 vcc, s0, v4
	v_cndmask_b32_e64 v8, 0, 32, vcc
	v_fma_f32 v6, v9, v6, 1.0
	v_ldexp_f32 v4, v4, v8
	v_rcp_f32_e32 v6, v6
	v_log_f32_e32 v4, v4
	s_mov_b32 s0, 0x3f317217
	v_mul_f32_e32 v5, v5, v6
	v_mul_f32_e32 v6, 0x3f317217, v4
	v_fma_f32 v8, v4, s0, -v6
	v_fmac_f32_e32 v8, 0x3377d1cf, v4
	s_mov_b32 s0, 0x7f800000
	v_add_f32_e32 v6, v6, v8
	v_cmp_lt_f32_e64 s[0:1], |v4|, s0
	v_cndmask_b32_e64 v4, v4, v6, s[0:1]
	v_mov_b32_e32 v6, 0x41b17218
	v_cndmask_b32_e32 v6, 0, v6, vcc
	v_fmac_f32_e32 v5, 0.5, v9
	v_sub_f32_e32 v4, v4, v6
	v_add_f32_e32 v4, v4, v5
.LBB152_668:
	s_or_b64 exec, exec, s[6:7]
.LBB152_669:
	s_andn2_saveexec_b64 s[4:5], s[4:5]
	s_cbranch_execz .LBB152_687
; %bb.670:
	s_mov_b32 s0, 0x3f666666
	v_cmp_le_f32_e64 s[0:1], |v2|, s0
                                        ; implicit-def: $vgpr4
                                        ; implicit-def: $vgpr6
                                        ; implicit-def: $vgpr5
	s_and_saveexec_b64 s[6:7], s[0:1]
	s_xor_b64 s[6:7], exec, s[6:7]
	s_cbranch_execz .LBB152_672
; %bb.671:
	s_mov_b32 s0, 0x800000
	v_cmp_lt_f32_e64 vcc, |v2|, s0
	v_cndmask_b32_e64 v4, 0, 32, vcc
	v_ldexp_f32 v4, |v2|, v4
	v_log_f32_e32 v4, v4
	s_mov_b32 s0, 0x3f317217
	s_mov_b32 s1, 0x7f800000
	v_mul_f32_e32 v5, 0x3f317217, v4
	v_fma_f32 v6, v4, s0, -v5
	v_fmac_f32_e32 v6, 0x3377d1cf, v4
	v_add_f32_e32 v5, v5, v6
	v_cmp_lt_f32_e64 s[0:1], |v4|, s1
	v_cndmask_b32_e64 v4, v4, v5, s[0:1]
	v_mov_b32_e32 v5, 0x41b17218
	v_cndmask_b32_e32 v5, 0, v5, vcc
	s_mov_b32 s0, 0x3f3b4a23
	s_mov_b32 s1, 0xbeec5b0c
	v_sub_f32_e32 v4, v4, v5
	v_sub_f32_e64 v5, 1.0, |v2|
	v_add_f32_e64 v6, |v2|, s1
	v_cmp_lt_f32_e64 vcc, |v2|, s0
	s_mov_b32 s0, 0x3e6d3309
	v_cndmask_b32_e32 v5, v5, v6, vcc
	v_cndmask_b32_e64 v6, 0, 1, vcc
	v_cmp_lt_f32_e64 s[0:1], |v2|, s0
	v_xor_b32_e32 v4, 0x80000000, v4
	v_cndmask_b32_e64 v5, v5, |v2|, s[0:1]
	v_cndmask_b32_e64 v6, v6, 2, s[0:1]
.LBB152_672:
	s_andn2_saveexec_b64 s[0:1], s[6:7]
	s_cbranch_execz .LBB152_674
; %bb.673:
	s_mov_b32 s6, 0x3fdda512
	s_mov_b32 s7, 0xbfbb16c3
	v_sub_f32_e64 v4, 2.0, |v2|
	v_add_f32_e64 v5, |v2|, s7
	v_cmp_lt_f32_e64 vcc, |v2|, s6
	v_cndmask_b32_e32 v5, v4, v5, vcc
	v_cndmask_b32_e64 v4, v4, 1.0, vcc
	v_cvt_i32_f32_e32 v4, v4
	s_mov_b32 s6, 0x3f9d70a4
	v_add_f32_e64 v6, |v2|, -1.0
	v_cmp_lt_f32_e64 vcc, |v2|, s6
	v_cndmask_b32_e32 v5, v5, v6, vcc
	v_cndmask_b32_e64 v6, v4, 2, vcc
	v_mov_b32_e32 v4, 0
.LBB152_674:
	s_or_b64 exec, exec, s[0:1]
	v_cmp_lt_i32_e32 vcc, 0, v6
	s_and_saveexec_b64 s[0:1], vcc
	s_xor_b64 s[0:1], exec, s[0:1]
	s_cbranch_execz .LBB152_682
; %bb.675:
	v_cmp_lt_i32_e32 vcc, 1, v6
	s_and_saveexec_b64 s[6:7], vcc
	s_xor_b64 s[6:7], exec, s[6:7]
	s_cbranch_execz .LBB152_679
; %bb.676:
	v_cmp_eq_u32_e32 vcc, 2, v6
	s_and_saveexec_b64 s[8:9], vcc
	s_cbranch_execz .LBB152_678
; %bb.677:
	v_mov_b32_e32 v6, 0x3e6a7578
	v_fmac_f32_e32 v6, 0x3c5b3c5e, v5
	v_mov_b32_e32 v8, 0x3f7a4bb2
	v_fmac_f32_e32 v8, v5, v6
	;; [unrolled: 2-line block ×8, first 2 shown]
	v_fma_f32 v6, v5, v9, 1.0
	v_rcp_f32_e32 v6, v6
	v_mov_b32_e32 v9, 0xbd9e233f
	v_fmac_f32_e32 v9, v5, v8
	v_mul_f32_e32 v8, v5, v9
	v_mul_f32_e32 v6, v8, v6
	v_fmac_f32_e32 v6, -0.5, v5
	v_add_f32_e32 v4, v4, v6
.LBB152_678:
	s_or_b64 exec, exec, s[8:9]
                                        ; implicit-def: $vgpr5
.LBB152_679:
	s_andn2_saveexec_b64 s[6:7], s[6:7]
	s_cbranch_execz .LBB152_681
; %bb.680:
	v_mul_f32_e32 v6, v5, v5
	v_mul_f32_e32 v8, v5, v6
	v_mov_b32_e32 v9, 0xbab7f476
	v_fmac_f32_e32 v9, 0x39a57b6b, v8
	v_mov_b32_e32 v10, 0x3bc7e707
	v_fmac_f32_e32 v10, v8, v9
	;; [unrolled: 2-line block ×12, first 2 shown]
	v_fmac_f32_e32 v11, v5, v12
	s_mov_b32 s8, 0xa2863e55
	v_fma_f32 v5, v8, -v11, s8
	v_fma_f32 v5, v6, v10, -v5
	v_add_f32_e32 v5, 0xbdf8cdce, v5
	v_add_f32_e32 v4, v4, v5
.LBB152_681:
	s_or_b64 exec, exec, s[6:7]
                                        ; implicit-def: $vgpr6
                                        ; implicit-def: $vgpr5
.LBB152_682:
	s_andn2_saveexec_b64 s[0:1], s[0:1]
	s_cbranch_execz .LBB152_686
; %bb.683:
	v_cmp_eq_u32_e32 vcc, 0, v6
	s_and_saveexec_b64 s[6:7], vcc
	s_cbranch_execz .LBB152_685
; %bb.684:
	v_mul_f32_e32 v6, v5, v5
	v_mov_b32_e32 v8, 0x39679767
	v_fmac_f32_e32 v8, 0x37d383a2, v6
	v_mov_b32_e32 v9, 0x3a9c54a1
	v_fmac_f32_e32 v9, v6, v8
	;; [unrolled: 2-line block ×10, first 2 shown]
	v_mul_f32_e32 v6, v6, v9
	v_fmac_f32_e32 v6, v5, v8
	v_fmac_f32_e32 v6, -0.5, v5
	v_add_f32_e32 v4, v4, v6
.LBB152_685:
	s_or_b64 exec, exec, s[6:7]
.LBB152_686:
	s_or_b64 exec, exec, s[0:1]
.LBB152_687:
	s_or_b64 exec, exec, s[4:5]
.LBB152_688:
	s_andn2_saveexec_b64 s[2:3], s[2:3]
	s_cbranch_execz .LBB152_690
; %bb.689:
	s_mov_b32 s0, 0x3e8a8991
	v_mov_b32_e32 v4, 0xbecd26ab
	v_fma_f32 v4, |v2|, s0, v4
	s_mov_b32 s0, 0x3f528d33
	v_fma_f32 v4, |v2|, v4, s0
	s_mov_b32 s0, 0x800000
	v_cmp_lt_f32_e64 vcc, |v2|, s0
	v_cndmask_b32_e64 v5, 0, 32, vcc
	v_ldexp_f32 v5, |v2|, v5
	v_log_f32_e32 v5, v5
	s_mov_b32 s0, 0xbf13c468
	v_fma_f32 v4, |v2|, v4, s0
	s_mov_b32 s0, 0x3f317217
	v_mul_f32_e32 v6, 0x3f317217, v5
	v_fma_f32 v8, v5, s0, -v6
	v_fmac_f32_e32 v8, 0x3377d1cf, v5
	s_mov_b32 s0, 0x7f800000
	v_add_f32_e32 v6, v6, v8
	v_cmp_lt_f32_e64 s[0:1], |v5|, s0
	v_cndmask_b32_e64 v5, v5, v6, s[0:1]
	v_mov_b32_e32 v6, 0x41b17218
	v_cndmask_b32_e32 v6, 0, v6, vcc
	v_sub_f32_e32 v5, v5, v6
	v_fma_f32 v4, |v2|, v4, -v5
.LBB152_690:
	s_or_b64 exec, exec, s[2:3]
	v_cmp_le_f16_e32 vcc, 0, v1
	v_cmp_nle_f16_e64 s[0:1], 0, v1
	s_and_saveexec_b64 s[2:3], s[0:1]
	s_xor_b64 s[4:5], exec, s[2:3]
	s_cbranch_execz .LBB152_694
; %bb.691:
	s_mov_b32 s0, 0x4b000000
	s_mov_b32 s2, 0x35000000
	v_cmp_lt_f32_e64 s[0:1], |v2|, s0
	v_cmp_gt_f32_e64 s[2:3], |v2|, s2
	s_and_b64 s[0:1], s[0:1], s[2:3]
	s_and_saveexec_b64 s[6:7], s[0:1]
	s_cbranch_execz .LBB152_693
; %bb.692:
	v_mul_f32_e64 v5, |v2|, 0.5
	v_floor_f32_e32 v6, v5
	v_sub_f32_e32 v6, v5, v6
	v_min_f32_e32 v6, 0x3f7fffff, v6
	s_mov_b32 s2, 0x7f800000
	v_add_f32_e32 v6, v6, v6
	v_cmp_neq_f32_e64 s[0:1], s2, v5
	v_cndmask_b32_e64 v5, 0, v6, s[0:1]
	v_cmp_gt_f32_e64 s[0:1], |v2|, 1.0
	v_cndmask_b32_e64 v5, |v2|, v5, s[0:1]
	v_add_f32_e32 v6, v5, v5
	v_rndne_f32_e32 v6, v6
	v_fmac_f32_e32 v5, -0.5, v6
	v_mul_f32_e32 v8, v5, v5
	v_mov_b32_e32 v9, 0xbf1f24be
	v_fmac_f32_e32 v9, 0x3e75aa41, v8
	v_mov_b32_e32 v10, 0x40234736
	v_fmac_f32_e32 v10, v8, v9
	;; [unrolled: 2-line block ×3, first 2 shown]
	v_mul_f32_e32 v10, v5, v8
	v_mul_f32_e32 v9, v10, v9
	v_fmac_f32_e32 v9, 0x40490fdb, v5
	v_mov_b32_e32 v5, 0x3e642e9d
	v_cvt_i32_f32_e32 v6, v6
	v_fmac_f32_e32 v5, 0x3d4be544, v8
	v_mov_b32_e32 v10, 0xbfaad1da
	v_fmac_f32_e32 v10, v8, v5
	v_mov_b32_e32 v5, 0x4081e0d3
	;; [unrolled: 2-line block ×3, first 2 shown]
	v_fmac_f32_e32 v10, v8, v5
	v_fma_f32 v5, v8, v10, 1.0
	v_and_b32_e32 v8, 1, v6
	v_lshlrev_b32_e32 v6, 30, v6
	v_cmp_eq_u32_e64 s[0:1], 0, v8
	v_and_b32_e32 v6, 0x80000000, v6
	v_xor_b32_e32 v3, v3, v2
	v_cndmask_b32_e64 v5, v5, v9, s[0:1]
	v_xor_b32_e32 v3, v3, v6
	v_xor_b32_e32 v3, v3, v5
	v_mul_f32_e32 v3, v2, v3
	v_frexp_mant_f32_e64 v5, |v3|
	v_rcp_f32_e32 v5, v5
	v_frexp_exp_i32_f32_e32 v3, v3
	v_sub_u32_e32 v3, 2, v3
	s_mov_b32 s0, 0x800000
	v_mul_f32_e32 v5, 0x3f490fdb, v5
	v_ldexp_f32 v3, v5, v3
	v_cmp_gt_f32_e64 s[0:1], s0, v3
	v_cndmask_b32_e64 v5, 0, 32, s[0:1]
	v_ldexp_f32 v3, v3, v5
	v_log_f32_e32 v3, v3
	s_mov_b32 s3, 0x3f317217
	v_mul_f32_e32 v5, 0x3f317217, v3
	v_fma_f32 v6, v3, s3, -v5
	v_fmac_f32_e32 v6, 0x3377d1cf, v3
	v_add_f32_e32 v5, v5, v6
	v_cmp_lt_f32_e64 s[2:3], |v3|, s2
	v_cndmask_b32_e64 v3, v3, v5, s[2:3]
	v_mov_b32_e32 v5, 0x41b17218
	v_cndmask_b32_e64 v5, 0, v5, s[0:1]
	v_sub_f32_e32 v3, v3, v5
	v_sub_f32_e32 v3, v3, v4
	v_floor_f32_e32 v4, v2
	v_sub_f32_e32 v4, v2, v4
	v_min_f32_e32 v4, 0x3f7fffff, v4
	v_mov_b32_e32 v5, 0x7f800000
	v_cmp_neq_f32_e64 s[0:1], 0, v4
	v_cndmask_b32_e64 v4, v5, v3, s[0:1]
.LBB152_693:
	s_or_b64 exec, exec, s[6:7]
.LBB152_694:
	s_andn2_saveexec_b64 s[4:5], s[4:5]
; %bb.695:
	v_cmp_eq_f16_e64 s[0:1], 1.0, v1
	v_cmp_eq_f16_e64 s[2:3], 2.0, v1
	s_or_b64 s[0:1], s[0:1], s[2:3]
	v_cndmask_b32_e64 v4, v4, 0, s[0:1]
; %bb.696:
	s_or_b64 exec, exec, s[4:5]
	v_cvt_f16_f32_e32 v4, v4
	s_mov_b32 s0, 0x4b000000
	v_cmp_lt_f32_e64 s[0:1], |v2|, s0
	v_mov_b32_e32 v3, 0x264
	v_mov_b32_e32 v5, 0x7c00
	s_or_b64 vcc, vcc, s[0:1]
	v_cndmask_b32_e32 v4, v5, v4, vcc
	v_cmp_class_f32_e32 vcc, v2, v3
	v_cndmask_b32_e32 v2, v4, v5, vcc
	v_cmp_u_f16_e32 vcc, v1, v1
	v_cndmask_b32_e32 v1, v2, v1, vcc
	v_add_u32_e32 v7, 0x80, v7
	global_store_short v0, v1, s[16:17]
	s_or_b64 exec, exec, s[48:49]
	v_cmp_gt_i32_e32 vcc, s55, v7
	s_and_saveexec_b64 s[48:49], vcc
	s_cbranch_execnz .LBB152_644
.LBB152_697:
	s_or_b64 exec, exec, s[48:49]
	v_cmp_gt_i32_e32 vcc, s55, v7
	s_and_saveexec_b64 s[48:49], vcc
	s_cbranch_execz .LBB152_751
.LBB152_698:
	s_andn2_b64 vcc, exec, s[36:37]
	s_cbranch_vccnz .LBB152_703
; %bb.699:
	s_andn2_b64 vcc, exec, s[46:47]
	s_cbranch_vccnz .LBB152_704
; %bb.700:
	s_add_i32 s58, s56, 1
	s_cmp_eq_u32 s54, 2
	s_cbranch_scc1 .LBB152_754
; %bb.701:
	s_and_b32 s57, s58, 28
	v_mov_b32_e32 v2, 0
	s_mov_b32 s59, 0
	s_mov_b64 s[50:51], s[34:35]
	s_mov_b64 s[52:53], s[44:45]
	v_mov_b32_e32 v0, 0
	v_mov_b32_e32 v1, v7
.LBB152_702:                            ; =>This Inner Loop Header: Depth=1
	s_load_dwordx8 s[8:15], s[50:51], 0x4
	s_load_dwordx4 s[28:31], s[50:51], 0x24
	s_load_dwordx8 s[0:7], s[52:53], 0x0
	s_add_u32 s50, s50, 48
	s_addc_u32 s51, s51, 0
	s_waitcnt lgkmcnt(0)
	v_mul_hi_u32 v3, s9, v1
	s_add_i32 s59, s59, 4
	s_add_u32 s52, s52, 32
	s_addc_u32 s53, s53, 0
	v_add_u32_e32 v3, v1, v3
	v_lshrrev_b32_e32 v3, s10, v3
	v_mul_lo_u32 v4, v3, s8
	v_mul_hi_u32 v5, s12, v3
	s_cmp_eq_u32 s57, s59
	v_sub_u32_e32 v1, v1, v4
	v_add_u32_e32 v4, v3, v5
	v_mul_lo_u32 v5, v1, s0
	v_mul_lo_u32 v6, v1, s1
	v_lshrrev_b32_e32 v1, s13, v4
	v_mul_lo_u32 v4, v1, s11
	v_mul_hi_u32 v8, s15, v1
	v_sub_u32_e32 v3, v3, v4
	v_add_u32_e32 v4, v1, v8
	v_lshrrev_b32_e32 v4, s28, v4
	v_mul_hi_u32 v9, s30, v4
	v_mul_lo_u32 v10, v4, s14
	v_mul_lo_u32 v8, v3, s2
	v_mul_lo_u32 v3, v3, s3
	v_sub_u32_e32 v10, v1, v10
	v_add_u32_e32 v1, v4, v9
	v_lshrrev_b32_e32 v1, s31, v1
	v_mul_lo_u32 v9, v1, s29
	v_mul_lo_u32 v11, v10, s4
	;; [unrolled: 1-line block ×3, first 2 shown]
	v_add3_u32 v0, v5, v0, v8
	v_sub_u32_e32 v4, v4, v9
	v_mul_lo_u32 v9, v4, s6
	v_mul_lo_u32 v4, v4, s7
	v_add3_u32 v2, v6, v2, v3
	v_add3_u32 v0, v11, v0, v9
	;; [unrolled: 1-line block ×3, first 2 shown]
	s_cbranch_scc0 .LBB152_702
	s_branch .LBB152_755
.LBB152_703:
                                        ; implicit-def: $vgpr0
                                        ; implicit-def: $vgpr2
	s_branch .LBB152_759
.LBB152_704:
	v_mov_b32_e32 v0, 0
	v_mov_b32_e32 v2, 0
	s_branch .LBB152_758
.LBB152_705:
	s_mov_b32 s57, 0
	v_mov_b32_e32 v0, 0
	v_mov_b32_e32 v2, 0
	;; [unrolled: 1-line block ×3, first 2 shown]
.LBB152_706:
	s_and_b32 s4, s58, 3
	s_cmp_eq_u32 s4, 0
	s_cbranch_scc1 .LBB152_709
; %bb.707:
	s_lshl_b32 s0, s57, 3
	s_add_u32 s0, s34, s0
	s_addc_u32 s1, s35, 0
	s_add_u32 s0, s0, 0xc4
	s_addc_u32 s1, s1, 0
	s_mul_i32 s2, s57, 12
	s_add_u32 s2, s34, s2
	s_addc_u32 s3, s35, 0
.LBB152_708:                            ; =>This Inner Loop Header: Depth=1
	s_load_dwordx2 s[6:7], s[2:3], 0x4
	s_load_dword s5, s[2:3], 0xc
	s_load_dwordx2 s[8:9], s[0:1], 0x0
	s_add_u32 s2, s2, 12
	s_addc_u32 s3, s3, 0
	s_waitcnt lgkmcnt(0)
	v_mul_hi_u32 v3, s7, v1
	s_add_u32 s0, s0, 8
	s_addc_u32 s1, s1, 0
	s_add_i32 s4, s4, -1
	v_add_u32_e32 v3, v1, v3
	v_lshrrev_b32_e32 v4, s5, v3
	v_mul_lo_u32 v3, v4, s6
	s_cmp_lg_u32 s4, 0
	v_sub_u32_e32 v3, v1, v3
	v_mad_u64_u32 v[0:1], s[6:7], v3, s8, v[0:1]
	v_mad_u64_u32 v[2:3], s[6:7], v3, s9, v[2:3]
	v_mov_b32_e32 v1, v4
	s_cbranch_scc1 .LBB152_708
.LBB152_709:
	s_cbranch_execnz .LBB152_712
.LBB152_710:
	s_waitcnt lgkmcnt(0)
	v_mul_hi_u32 v0, s25, v7
	s_andn2_b64 vcc, exec, s[42:43]
	v_add_u32_e32 v0, v7, v0
	v_lshrrev_b32_e32 v1, s26, v0
	v_mul_lo_u32 v0, v1, s24
	v_sub_u32_e32 v2, v7, v0
	v_mul_lo_u32 v0, v2, s20
	v_mul_lo_u32 v2, v2, s21
	s_cbranch_vccnz .LBB152_712
; %bb.711:
	v_mul_hi_u32 v3, s40, v1
	v_add_u32_e32 v3, v1, v3
	v_lshrrev_b32_e32 v3, s41, v3
	v_mul_lo_u32 v3, v3, s27
	v_sub_u32_e32 v3, v1, v3
	v_mad_u64_u32 v[0:1], s[0:1], v3, s22, v[0:1]
	v_mad_u64_u32 v[2:3], s[0:1], v3, s23, v[2:3]
.LBB152_712:
	s_waitcnt lgkmcnt(0)
	global_load_ushort v1, v2, s[18:19]
	s_mov_b32 s0, 0x3c800000
                                        ; implicit-def: $vgpr4
	s_waitcnt vmcnt(0)
	v_cvt_f32_f16_e32 v2, v1
	v_and_b32_e32 v3, 0x7fffffff, v2
	v_cmp_nlt_f32_e64 s[0:1], |v2|, s0
	s_and_saveexec_b64 s[2:3], s[0:1]
	s_xor_b64 s[2:3], exec, s[2:3]
	s_cbranch_execz .LBB152_742
; %bb.713:
	v_cmp_nlt_f32_e64 s[0:1], |v2|, 2.0
                                        ; implicit-def: $vgpr4
	s_and_saveexec_b64 s[4:5], s[0:1]
	s_xor_b64 s[4:5], exec, s[4:5]
	s_cbranch_execz .LBB152_723
; %bb.714:
	s_mov_b32 s0, 0x41000000
	v_cmp_nlt_f32_e64 s[0:1], |v2|, s0
                                        ; implicit-def: $vgpr4
	s_and_saveexec_b64 s[6:7], s[0:1]
	s_xor_b64 s[6:7], exec, s[6:7]
	s_cbranch_execz .LBB152_720
; %bb.715:
	s_mov_b32 s0, 0x5c800000
	v_cmp_nlt_f32_e64 s[0:1], |v2|, s0
                                        ; implicit-def: $vgpr4
	s_and_saveexec_b64 s[8:9], s[0:1]
	s_xor_b64 s[8:9], exec, s[8:9]
	s_cbranch_execz .LBB152_717
; %bb.716:
	s_mov_b32 s0, 0x800000
	v_cmp_lt_f32_e64 vcc, |v2|, s0
	v_cndmask_b32_e64 v4, 0, 32, vcc
	v_ldexp_f32 v4, |v2|, v4
	v_log_f32_e32 v4, v4
	s_mov_b32 s0, 0x3f317217
	s_mov_b32 s1, 0x7f800000
	v_mul_f32_e32 v5, 0x3f317217, v4
	v_fma_f32 v6, v4, s0, -v5
	v_fmac_f32_e32 v6, 0x3377d1cf, v4
	v_add_f32_e32 v5, v5, v6
	v_cmp_lt_f32_e64 s[0:1], |v4|, s1
	v_cndmask_b32_e64 v4, v4, v5, s[0:1]
	v_mov_b32_e32 v5, 0x41b17218
	v_cndmask_b32_e32 v5, 0, v5, vcc
	v_sub_f32_e32 v4, v4, v5
	v_fma_f32 v4, |v2|, v4, -|v2|
.LBB152_717:
	s_andn2_saveexec_b64 s[8:9], s[8:9]
	s_cbranch_execz .LBB152_719
; %bb.718:
	v_rcp_f32_e64 v5, |v2|
	v_mov_b32_e32 v4, 0x3a5b3dd2
	v_mov_b32_e32 v6, 0xba1c065c
	;; [unrolled: 1-line block ×3, first 2 shown]
	v_mul_f32_e32 v9, v5, v5
	v_fmac_f32_e32 v4, 0xbad5c4e8, v9
	v_fmac_f32_e32 v6, v9, v4
	s_mov_b32 s0, 0x800000
	v_fmac_f32_e32 v8, v9, v6
	v_mov_b32_e32 v4, 0xbb360b61
	v_cmp_lt_f32_e64 vcc, |v2|, s0
	v_fmac_f32_e32 v4, v9, v8
	v_cndmask_b32_e64 v8, 0, 32, vcc
	v_ldexp_f32 v8, |v2|, v8
	v_log_f32_e32 v8, v8
	v_mov_b32_e32 v6, 0x3daaaaab
	v_fmac_f32_e32 v6, v9, v4
	v_mov_b32_e32 v4, 0x3ed67f1d
	v_fmac_f32_e32 v4, v5, v6
	s_mov_b32 s0, 0x3f317217
	v_mul_f32_e32 v6, 0x3f317217, v8
	v_fma_f32 v9, v8, s0, -v6
	v_fmac_f32_e32 v9, 0x3377d1cf, v8
	s_mov_b32 s0, 0x7f800000
	v_add_f32_e32 v6, v6, v9
	v_cmp_lt_f32_e64 s[0:1], |v8|, s0
	v_cndmask_b32_e64 v6, v8, v6, s[0:1]
	v_mov_b32_e32 v8, 0x41b17218
	v_cndmask_b32_e32 v8, 0, v8, vcc
	v_sub_f32_e32 v6, v6, v8
	v_add_f32_e64 v5, |v2|, -0.5
	v_add_f32_e32 v6, -1.0, v6
	v_fmac_f32_e32 v4, v5, v6
.LBB152_719:
	s_or_b64 exec, exec, s[8:9]
.LBB152_720:
	s_andn2_saveexec_b64 s[6:7], s[6:7]
	s_cbranch_execz .LBB152_722
; %bb.721:
	v_cvt_i32_f32_e32 v4, v3
	v_mov_b32_e32 v5, 0x3af135b4
	v_mov_b32_e32 v6, 0x3cda40e4
	;; [unrolled: 1-line block ×3, first 2 shown]
	v_cvt_f32_i32_e32 v9, v4
	v_mov_b32_e32 v10, 0x3ea6cc7a
	v_mov_b32_e32 v11, 0x3e5c245a
	v_cmp_lt_i32_e32 vcc, 2, v4
	v_sub_f32_e64 v9, |v2|, v9
	v_fmac_f32_e32 v5, 0x3805ff67, v9
	v_fmac_f32_e32 v6, v9, v5
	v_fmac_f32_e32 v8, v9, v6
	v_mov_b32_e32 v6, 0x3a4beed6
	v_fmac_f32_e32 v10, v9, v8
	v_fmac_f32_e32 v6, 0x36f5d7bd, v9
	v_mov_b32_e32 v8, 0x3c98bf54
	v_fmac_f32_e32 v8, v9, v6
	v_mov_b32_e32 v6, 0x3e300f6e
	;; [unrolled: 2-line block ×4, first 2 shown]
	v_fmac_f32_e32 v6, v9, v8
	v_add_f32_e32 v8, 2.0, v9
	v_mov_b32_e32 v12, 0xbd9e233f
	v_fmac_f32_e32 v11, v9, v10
	v_add_f32_e32 v10, 0x40400000, v9
	v_cndmask_b32_e32 v8, 1.0, v8, vcc
	v_cmp_lt_i32_e32 vcc, 3, v4
	v_fmac_f32_e32 v12, v9, v11
	v_add_f32_e32 v11, 4.0, v9
	v_cndmask_b32_e32 v10, 1.0, v10, vcc
	v_cmp_lt_i32_e32 vcc, 4, v4
	v_mul_f32_e32 v5, v9, v12
	v_add_f32_e32 v12, 0x40a00000, v9
	v_mul_f32_e32 v8, v8, v10
	v_cndmask_b32_e32 v10, 1.0, v11, vcc
	v_cmp_lt_i32_e32 vcc, 5, v4
	v_add_f32_e32 v13, 0x40c00000, v9
	v_mul_f32_e32 v8, v10, v8
	v_cndmask_b32_e32 v10, 1.0, v12, vcc
	v_cmp_lt_i32_e32 vcc, 6, v4
	v_mul_f32_e32 v8, v10, v8
	v_cndmask_b32_e32 v4, 1.0, v13, vcc
	v_mul_f32_e32 v4, v4, v8
	s_mov_b32 s0, 0x800000
	v_cmp_gt_f32_e32 vcc, s0, v4
	v_cndmask_b32_e64 v8, 0, 32, vcc
	v_fma_f32 v6, v9, v6, 1.0
	v_ldexp_f32 v4, v4, v8
	v_rcp_f32_e32 v6, v6
	v_log_f32_e32 v4, v4
	s_mov_b32 s0, 0x3f317217
	v_mul_f32_e32 v5, v5, v6
	v_mul_f32_e32 v6, 0x3f317217, v4
	v_fma_f32 v8, v4, s0, -v6
	v_fmac_f32_e32 v8, 0x3377d1cf, v4
	s_mov_b32 s0, 0x7f800000
	v_add_f32_e32 v6, v6, v8
	v_cmp_lt_f32_e64 s[0:1], |v4|, s0
	v_cndmask_b32_e64 v4, v4, v6, s[0:1]
	v_mov_b32_e32 v6, 0x41b17218
	v_cndmask_b32_e32 v6, 0, v6, vcc
	v_fmac_f32_e32 v5, 0.5, v9
	v_sub_f32_e32 v4, v4, v6
	v_add_f32_e32 v4, v4, v5
.LBB152_722:
	s_or_b64 exec, exec, s[6:7]
.LBB152_723:
	s_andn2_saveexec_b64 s[4:5], s[4:5]
	s_cbranch_execz .LBB152_741
; %bb.724:
	s_mov_b32 s0, 0x3f666666
	v_cmp_le_f32_e64 s[0:1], |v2|, s0
                                        ; implicit-def: $vgpr4
                                        ; implicit-def: $vgpr6
                                        ; implicit-def: $vgpr5
	s_and_saveexec_b64 s[6:7], s[0:1]
	s_xor_b64 s[6:7], exec, s[6:7]
	s_cbranch_execz .LBB152_726
; %bb.725:
	s_mov_b32 s0, 0x800000
	v_cmp_lt_f32_e64 vcc, |v2|, s0
	v_cndmask_b32_e64 v4, 0, 32, vcc
	v_ldexp_f32 v4, |v2|, v4
	v_log_f32_e32 v4, v4
	s_mov_b32 s0, 0x3f317217
	s_mov_b32 s1, 0x7f800000
	v_mul_f32_e32 v5, 0x3f317217, v4
	v_fma_f32 v6, v4, s0, -v5
	v_fmac_f32_e32 v6, 0x3377d1cf, v4
	v_add_f32_e32 v5, v5, v6
	v_cmp_lt_f32_e64 s[0:1], |v4|, s1
	v_cndmask_b32_e64 v4, v4, v5, s[0:1]
	v_mov_b32_e32 v5, 0x41b17218
	v_cndmask_b32_e32 v5, 0, v5, vcc
	s_mov_b32 s0, 0x3f3b4a23
	s_mov_b32 s1, 0xbeec5b0c
	v_sub_f32_e32 v4, v4, v5
	v_sub_f32_e64 v5, 1.0, |v2|
	v_add_f32_e64 v6, |v2|, s1
	v_cmp_lt_f32_e64 vcc, |v2|, s0
	s_mov_b32 s0, 0x3e6d3309
	v_cndmask_b32_e32 v5, v5, v6, vcc
	v_cndmask_b32_e64 v6, 0, 1, vcc
	v_cmp_lt_f32_e64 s[0:1], |v2|, s0
	v_xor_b32_e32 v4, 0x80000000, v4
	v_cndmask_b32_e64 v5, v5, |v2|, s[0:1]
	v_cndmask_b32_e64 v6, v6, 2, s[0:1]
.LBB152_726:
	s_andn2_saveexec_b64 s[0:1], s[6:7]
	s_cbranch_execz .LBB152_728
; %bb.727:
	s_mov_b32 s6, 0x3fdda512
	s_mov_b32 s7, 0xbfbb16c3
	v_sub_f32_e64 v4, 2.0, |v2|
	v_add_f32_e64 v5, |v2|, s7
	v_cmp_lt_f32_e64 vcc, |v2|, s6
	v_cndmask_b32_e32 v5, v4, v5, vcc
	v_cndmask_b32_e64 v4, v4, 1.0, vcc
	v_cvt_i32_f32_e32 v4, v4
	s_mov_b32 s6, 0x3f9d70a4
	v_add_f32_e64 v6, |v2|, -1.0
	v_cmp_lt_f32_e64 vcc, |v2|, s6
	v_cndmask_b32_e32 v5, v5, v6, vcc
	v_cndmask_b32_e64 v6, v4, 2, vcc
	v_mov_b32_e32 v4, 0
.LBB152_728:
	s_or_b64 exec, exec, s[0:1]
	v_cmp_lt_i32_e32 vcc, 0, v6
	s_and_saveexec_b64 s[0:1], vcc
	s_xor_b64 s[0:1], exec, s[0:1]
	s_cbranch_execz .LBB152_736
; %bb.729:
	v_cmp_lt_i32_e32 vcc, 1, v6
	s_and_saveexec_b64 s[6:7], vcc
	s_xor_b64 s[6:7], exec, s[6:7]
	s_cbranch_execz .LBB152_733
; %bb.730:
	v_cmp_eq_u32_e32 vcc, 2, v6
	s_and_saveexec_b64 s[8:9], vcc
	s_cbranch_execz .LBB152_732
; %bb.731:
	v_mov_b32_e32 v6, 0x3e6a7578
	v_fmac_f32_e32 v6, 0x3c5b3c5e, v5
	v_mov_b32_e32 v8, 0x3f7a4bb2
	v_fmac_f32_e32 v8, v5, v6
	;; [unrolled: 2-line block ×8, first 2 shown]
	v_fma_f32 v6, v5, v9, 1.0
	v_rcp_f32_e32 v6, v6
	v_mov_b32_e32 v9, 0xbd9e233f
	v_fmac_f32_e32 v9, v5, v8
	v_mul_f32_e32 v8, v5, v9
	v_mul_f32_e32 v6, v8, v6
	v_fmac_f32_e32 v6, -0.5, v5
	v_add_f32_e32 v4, v4, v6
.LBB152_732:
	s_or_b64 exec, exec, s[8:9]
                                        ; implicit-def: $vgpr5
.LBB152_733:
	s_andn2_saveexec_b64 s[6:7], s[6:7]
	s_cbranch_execz .LBB152_735
; %bb.734:
	v_mul_f32_e32 v6, v5, v5
	v_mul_f32_e32 v8, v5, v6
	v_mov_b32_e32 v9, 0xbab7f476
	v_fmac_f32_e32 v9, 0x39a57b6b, v8
	v_mov_b32_e32 v10, 0x3bc7e707
	v_fmac_f32_e32 v10, v8, v9
	v_mov_b32_e32 v9, 0xbd064d47
	v_fmac_f32_e32 v9, v8, v10
	v_mov_b32_e32 v10, 0x3ef7b95e
	v_fmac_f32_e32 v10, v8, v9
	v_mov_b32_e32 v9, 0x3a66f867
	v_fmac_f32_e32 v9, 0xb9a3f927, v8
	v_mov_b32_e32 v11, 0xbb7177fe
	v_fmac_f32_e32 v11, v8, v9
	v_mov_b32_e32 v9, 0x3c93373d
	v_fmac_f32_e32 v9, v8, v11
	v_mov_b32_e32 v11, 0xbe17213c
	v_fmac_f32_e32 v11, v8, v9
	v_mov_b32_e32 v9, 0xba0d3085
	v_fmac_f32_e32 v9, 0x39afe9f7, v8
	v_mov_b32_e32 v12, 0x3b141699
	v_fmac_f32_e32 v12, v8, v9
	v_mov_b32_e32 v9, 0xbc28fcfe
	v_fmac_f32_e32 v9, v8, v12
	v_mov_b32_e32 v12, 0x3d845a15
	v_fmac_f32_e32 v12, v8, v9
	v_fmac_f32_e32 v11, v5, v12
	s_mov_b32 s8, 0xa2863e55
	v_fma_f32 v5, v8, -v11, s8
	v_fma_f32 v5, v6, v10, -v5
	v_add_f32_e32 v5, 0xbdf8cdce, v5
	v_add_f32_e32 v4, v4, v5
.LBB152_735:
	s_or_b64 exec, exec, s[6:7]
                                        ; implicit-def: $vgpr6
                                        ; implicit-def: $vgpr5
.LBB152_736:
	s_andn2_saveexec_b64 s[0:1], s[0:1]
	s_cbranch_execz .LBB152_740
; %bb.737:
	v_cmp_eq_u32_e32 vcc, 0, v6
	s_and_saveexec_b64 s[6:7], vcc
	s_cbranch_execz .LBB152_739
; %bb.738:
	v_mul_f32_e32 v6, v5, v5
	v_mov_b32_e32 v8, 0x39679767
	v_fmac_f32_e32 v8, 0x37d383a2, v6
	v_mov_b32_e32 v9, 0x3a9c54a1
	v_fmac_f32_e32 v9, v6, v8
	;; [unrolled: 2-line block ×10, first 2 shown]
	v_mul_f32_e32 v6, v6, v9
	v_fmac_f32_e32 v6, v5, v8
	v_fmac_f32_e32 v6, -0.5, v5
	v_add_f32_e32 v4, v4, v6
.LBB152_739:
	s_or_b64 exec, exec, s[6:7]
.LBB152_740:
	s_or_b64 exec, exec, s[0:1]
.LBB152_741:
	s_or_b64 exec, exec, s[4:5]
.LBB152_742:
	s_andn2_saveexec_b64 s[2:3], s[2:3]
	s_cbranch_execz .LBB152_744
; %bb.743:
	s_mov_b32 s0, 0x3e8a8991
	v_mov_b32_e32 v4, 0xbecd26ab
	v_fma_f32 v4, |v2|, s0, v4
	s_mov_b32 s0, 0x3f528d33
	v_fma_f32 v4, |v2|, v4, s0
	s_mov_b32 s0, 0x800000
	v_cmp_lt_f32_e64 vcc, |v2|, s0
	v_cndmask_b32_e64 v5, 0, 32, vcc
	v_ldexp_f32 v5, |v2|, v5
	v_log_f32_e32 v5, v5
	s_mov_b32 s0, 0xbf13c468
	v_fma_f32 v4, |v2|, v4, s0
	s_mov_b32 s0, 0x3f317217
	v_mul_f32_e32 v6, 0x3f317217, v5
	v_fma_f32 v8, v5, s0, -v6
	v_fmac_f32_e32 v8, 0x3377d1cf, v5
	s_mov_b32 s0, 0x7f800000
	v_add_f32_e32 v6, v6, v8
	v_cmp_lt_f32_e64 s[0:1], |v5|, s0
	v_cndmask_b32_e64 v5, v5, v6, s[0:1]
	v_mov_b32_e32 v6, 0x41b17218
	v_cndmask_b32_e32 v6, 0, v6, vcc
	v_sub_f32_e32 v5, v5, v6
	v_fma_f32 v4, |v2|, v4, -v5
.LBB152_744:
	s_or_b64 exec, exec, s[2:3]
	v_cmp_le_f16_e32 vcc, 0, v1
	v_cmp_nle_f16_e64 s[0:1], 0, v1
	s_and_saveexec_b64 s[2:3], s[0:1]
	s_xor_b64 s[4:5], exec, s[2:3]
	s_cbranch_execz .LBB152_748
; %bb.745:
	s_mov_b32 s0, 0x4b000000
	s_mov_b32 s2, 0x35000000
	v_cmp_lt_f32_e64 s[0:1], |v2|, s0
	v_cmp_gt_f32_e64 s[2:3], |v2|, s2
	s_and_b64 s[0:1], s[0:1], s[2:3]
	s_and_saveexec_b64 s[6:7], s[0:1]
	s_cbranch_execz .LBB152_747
; %bb.746:
	v_mul_f32_e64 v5, |v2|, 0.5
	v_floor_f32_e32 v6, v5
	v_sub_f32_e32 v6, v5, v6
	v_min_f32_e32 v6, 0x3f7fffff, v6
	s_mov_b32 s2, 0x7f800000
	v_add_f32_e32 v6, v6, v6
	v_cmp_neq_f32_e64 s[0:1], s2, v5
	v_cndmask_b32_e64 v5, 0, v6, s[0:1]
	v_cmp_gt_f32_e64 s[0:1], |v2|, 1.0
	v_cndmask_b32_e64 v5, |v2|, v5, s[0:1]
	v_add_f32_e32 v6, v5, v5
	v_rndne_f32_e32 v6, v6
	v_fmac_f32_e32 v5, -0.5, v6
	v_mul_f32_e32 v8, v5, v5
	v_mov_b32_e32 v9, 0xbf1f24be
	v_fmac_f32_e32 v9, 0x3e75aa41, v8
	v_mov_b32_e32 v10, 0x40234736
	v_fmac_f32_e32 v10, v8, v9
	;; [unrolled: 2-line block ×3, first 2 shown]
	v_mul_f32_e32 v10, v5, v8
	v_mul_f32_e32 v9, v10, v9
	v_fmac_f32_e32 v9, 0x40490fdb, v5
	v_mov_b32_e32 v5, 0x3e642e9d
	v_cvt_i32_f32_e32 v6, v6
	v_fmac_f32_e32 v5, 0x3d4be544, v8
	v_mov_b32_e32 v10, 0xbfaad1da
	v_fmac_f32_e32 v10, v8, v5
	v_mov_b32_e32 v5, 0x4081e0d3
	;; [unrolled: 2-line block ×3, first 2 shown]
	v_fmac_f32_e32 v10, v8, v5
	v_fma_f32 v5, v8, v10, 1.0
	v_and_b32_e32 v8, 1, v6
	v_lshlrev_b32_e32 v6, 30, v6
	v_cmp_eq_u32_e64 s[0:1], 0, v8
	v_and_b32_e32 v6, 0x80000000, v6
	v_xor_b32_e32 v3, v3, v2
	v_cndmask_b32_e64 v5, v5, v9, s[0:1]
	v_xor_b32_e32 v3, v3, v6
	v_xor_b32_e32 v3, v3, v5
	v_mul_f32_e32 v3, v2, v3
	v_frexp_mant_f32_e64 v5, |v3|
	v_rcp_f32_e32 v5, v5
	v_frexp_exp_i32_f32_e32 v3, v3
	v_sub_u32_e32 v3, 2, v3
	s_mov_b32 s0, 0x800000
	v_mul_f32_e32 v5, 0x3f490fdb, v5
	v_ldexp_f32 v3, v5, v3
	v_cmp_gt_f32_e64 s[0:1], s0, v3
	v_cndmask_b32_e64 v5, 0, 32, s[0:1]
	v_ldexp_f32 v3, v3, v5
	v_log_f32_e32 v3, v3
	s_mov_b32 s3, 0x3f317217
	v_mul_f32_e32 v5, 0x3f317217, v3
	v_fma_f32 v6, v3, s3, -v5
	v_fmac_f32_e32 v6, 0x3377d1cf, v3
	v_add_f32_e32 v5, v5, v6
	v_cmp_lt_f32_e64 s[2:3], |v3|, s2
	v_cndmask_b32_e64 v3, v3, v5, s[2:3]
	v_mov_b32_e32 v5, 0x41b17218
	v_cndmask_b32_e64 v5, 0, v5, s[0:1]
	v_sub_f32_e32 v3, v3, v5
	v_sub_f32_e32 v3, v3, v4
	v_floor_f32_e32 v4, v2
	v_sub_f32_e32 v4, v2, v4
	v_min_f32_e32 v4, 0x3f7fffff, v4
	v_mov_b32_e32 v5, 0x7f800000
	v_cmp_neq_f32_e64 s[0:1], 0, v4
	v_cndmask_b32_e64 v4, v5, v3, s[0:1]
.LBB152_747:
	s_or_b64 exec, exec, s[6:7]
.LBB152_748:
	s_andn2_saveexec_b64 s[4:5], s[4:5]
; %bb.749:
	v_cmp_eq_f16_e64 s[0:1], 1.0, v1
	v_cmp_eq_f16_e64 s[2:3], 2.0, v1
	s_or_b64 s[0:1], s[0:1], s[2:3]
	v_cndmask_b32_e64 v4, v4, 0, s[0:1]
; %bb.750:
	s_or_b64 exec, exec, s[4:5]
	v_cvt_f16_f32_e32 v4, v4
	s_mov_b32 s0, 0x4b000000
	v_cmp_lt_f32_e64 s[0:1], |v2|, s0
	v_mov_b32_e32 v3, 0x264
	v_mov_b32_e32 v5, 0x7c00
	s_or_b64 vcc, vcc, s[0:1]
	v_cndmask_b32_e32 v4, v5, v4, vcc
	v_cmp_class_f32_e32 vcc, v2, v3
	v_cndmask_b32_e32 v2, v4, v5, vcc
	v_cmp_u_f16_e32 vcc, v1, v1
	v_cndmask_b32_e32 v1, v2, v1, vcc
	v_add_u32_e32 v7, 0x80, v7
	global_store_short v0, v1, s[16:17]
	s_or_b64 exec, exec, s[48:49]
	v_cmp_gt_i32_e32 vcc, s55, v7
	s_and_saveexec_b64 s[48:49], vcc
	s_cbranch_execnz .LBB152_698
.LBB152_751:
	s_or_b64 exec, exec, s[48:49]
	v_cmp_gt_i32_e32 vcc, s55, v7
	s_and_saveexec_b64 s[48:49], vcc
	s_cbranch_execnz .LBB152_800
.LBB152_752:
	s_or_b64 exec, exec, s[48:49]
                                        ; implicit-def: $vgpr25
                                        ; implicit-def: $vgpr7
	s_andn2_saveexec_b64 s[0:1], s[38:39]
	s_cbranch_execnz .LBB152_8
.LBB152_753:
	s_endpgm
.LBB152_754:
	s_mov_b32 s57, 0
	v_mov_b32_e32 v0, 0
	v_mov_b32_e32 v2, 0
	;; [unrolled: 1-line block ×3, first 2 shown]
.LBB152_755:
	s_and_b32 s4, s58, 3
	s_cmp_eq_u32 s4, 0
	s_cbranch_scc1 .LBB152_758
; %bb.756:
	s_lshl_b32 s0, s57, 3
	s_add_u32 s0, s34, s0
	s_addc_u32 s1, s35, 0
	s_add_u32 s0, s0, 0xc4
	s_addc_u32 s1, s1, 0
	s_mul_i32 s2, s57, 12
	s_add_u32 s2, s34, s2
	s_addc_u32 s3, s35, 0
.LBB152_757:                            ; =>This Inner Loop Header: Depth=1
	s_load_dwordx2 s[6:7], s[2:3], 0x4
	s_load_dword s5, s[2:3], 0xc
	s_load_dwordx2 s[8:9], s[0:1], 0x0
	s_add_u32 s2, s2, 12
	s_addc_u32 s3, s3, 0
	s_waitcnt lgkmcnt(0)
	v_mul_hi_u32 v3, s7, v1
	s_add_u32 s0, s0, 8
	s_addc_u32 s1, s1, 0
	s_add_i32 s4, s4, -1
	v_add_u32_e32 v3, v1, v3
	v_lshrrev_b32_e32 v4, s5, v3
	v_mul_lo_u32 v3, v4, s6
	s_cmp_lg_u32 s4, 0
	v_sub_u32_e32 v3, v1, v3
	v_mad_u64_u32 v[0:1], s[6:7], v3, s8, v[0:1]
	v_mad_u64_u32 v[2:3], s[6:7], v3, s9, v[2:3]
	v_mov_b32_e32 v1, v4
	s_cbranch_scc1 .LBB152_757
.LBB152_758:
	s_cbranch_execnz .LBB152_761
.LBB152_759:
	s_waitcnt lgkmcnt(0)
	v_mul_hi_u32 v0, s25, v7
	s_andn2_b64 vcc, exec, s[42:43]
	v_add_u32_e32 v0, v7, v0
	v_lshrrev_b32_e32 v1, s26, v0
	v_mul_lo_u32 v0, v1, s24
	v_sub_u32_e32 v2, v7, v0
	v_mul_lo_u32 v0, v2, s20
	v_mul_lo_u32 v2, v2, s21
	s_cbranch_vccnz .LBB152_761
; %bb.760:
	v_mul_hi_u32 v3, s40, v1
	v_add_u32_e32 v3, v1, v3
	v_lshrrev_b32_e32 v3, s41, v3
	v_mul_lo_u32 v3, v3, s27
	v_sub_u32_e32 v3, v1, v3
	v_mad_u64_u32 v[0:1], s[0:1], v3, s22, v[0:1]
	v_mad_u64_u32 v[2:3], s[0:1], v3, s23, v[2:3]
.LBB152_761:
	s_waitcnt lgkmcnt(0)
	global_load_ushort v1, v2, s[18:19]
	s_mov_b32 s0, 0x3c800000
                                        ; implicit-def: $vgpr4
	s_waitcnt vmcnt(0)
	v_cvt_f32_f16_e32 v2, v1
	v_and_b32_e32 v3, 0x7fffffff, v2
	v_cmp_nlt_f32_e64 s[0:1], |v2|, s0
	s_and_saveexec_b64 s[2:3], s[0:1]
	s_xor_b64 s[2:3], exec, s[2:3]
	s_cbranch_execz .LBB152_791
; %bb.762:
	v_cmp_nlt_f32_e64 s[0:1], |v2|, 2.0
                                        ; implicit-def: $vgpr4
	s_and_saveexec_b64 s[4:5], s[0:1]
	s_xor_b64 s[4:5], exec, s[4:5]
	s_cbranch_execz .LBB152_772
; %bb.763:
	s_mov_b32 s0, 0x41000000
	v_cmp_nlt_f32_e64 s[0:1], |v2|, s0
                                        ; implicit-def: $vgpr4
	s_and_saveexec_b64 s[6:7], s[0:1]
	s_xor_b64 s[6:7], exec, s[6:7]
	s_cbranch_execz .LBB152_769
; %bb.764:
	s_mov_b32 s0, 0x5c800000
	v_cmp_nlt_f32_e64 s[0:1], |v2|, s0
                                        ; implicit-def: $vgpr4
	s_and_saveexec_b64 s[8:9], s[0:1]
	s_xor_b64 s[8:9], exec, s[8:9]
	s_cbranch_execz .LBB152_766
; %bb.765:
	s_mov_b32 s0, 0x800000
	v_cmp_lt_f32_e64 vcc, |v2|, s0
	v_cndmask_b32_e64 v4, 0, 32, vcc
	v_ldexp_f32 v4, |v2|, v4
	v_log_f32_e32 v4, v4
	s_mov_b32 s0, 0x3f317217
	s_mov_b32 s1, 0x7f800000
	v_mul_f32_e32 v5, 0x3f317217, v4
	v_fma_f32 v6, v4, s0, -v5
	v_fmac_f32_e32 v6, 0x3377d1cf, v4
	v_add_f32_e32 v5, v5, v6
	v_cmp_lt_f32_e64 s[0:1], |v4|, s1
	v_cndmask_b32_e64 v4, v4, v5, s[0:1]
	v_mov_b32_e32 v5, 0x41b17218
	v_cndmask_b32_e32 v5, 0, v5, vcc
	v_sub_f32_e32 v4, v4, v5
	v_fma_f32 v4, |v2|, v4, -|v2|
.LBB152_766:
	s_andn2_saveexec_b64 s[8:9], s[8:9]
	s_cbranch_execz .LBB152_768
; %bb.767:
	v_rcp_f32_e64 v5, |v2|
	v_mov_b32_e32 v4, 0x3a5b3dd2
	v_mov_b32_e32 v6, 0xba1c065c
	;; [unrolled: 1-line block ×3, first 2 shown]
	v_mul_f32_e32 v9, v5, v5
	v_fmac_f32_e32 v4, 0xbad5c4e8, v9
	v_fmac_f32_e32 v6, v9, v4
	s_mov_b32 s0, 0x800000
	v_fmac_f32_e32 v8, v9, v6
	v_mov_b32_e32 v4, 0xbb360b61
	v_cmp_lt_f32_e64 vcc, |v2|, s0
	v_fmac_f32_e32 v4, v9, v8
	v_cndmask_b32_e64 v8, 0, 32, vcc
	v_ldexp_f32 v8, |v2|, v8
	v_log_f32_e32 v8, v8
	v_mov_b32_e32 v6, 0x3daaaaab
	v_fmac_f32_e32 v6, v9, v4
	v_mov_b32_e32 v4, 0x3ed67f1d
	v_fmac_f32_e32 v4, v5, v6
	s_mov_b32 s0, 0x3f317217
	v_mul_f32_e32 v6, 0x3f317217, v8
	v_fma_f32 v9, v8, s0, -v6
	v_fmac_f32_e32 v9, 0x3377d1cf, v8
	s_mov_b32 s0, 0x7f800000
	v_add_f32_e32 v6, v6, v9
	v_cmp_lt_f32_e64 s[0:1], |v8|, s0
	v_cndmask_b32_e64 v6, v8, v6, s[0:1]
	v_mov_b32_e32 v8, 0x41b17218
	v_cndmask_b32_e32 v8, 0, v8, vcc
	v_sub_f32_e32 v6, v6, v8
	v_add_f32_e64 v5, |v2|, -0.5
	v_add_f32_e32 v6, -1.0, v6
	v_fmac_f32_e32 v4, v5, v6
.LBB152_768:
	s_or_b64 exec, exec, s[8:9]
.LBB152_769:
	s_andn2_saveexec_b64 s[6:7], s[6:7]
	s_cbranch_execz .LBB152_771
; %bb.770:
	v_cvt_i32_f32_e32 v4, v3
	v_mov_b32_e32 v5, 0x3af135b4
	v_mov_b32_e32 v6, 0x3cda40e4
	;; [unrolled: 1-line block ×3, first 2 shown]
	v_cvt_f32_i32_e32 v9, v4
	v_mov_b32_e32 v10, 0x3ea6cc7a
	v_mov_b32_e32 v11, 0x3e5c245a
	v_cmp_lt_i32_e32 vcc, 2, v4
	v_sub_f32_e64 v9, |v2|, v9
	v_fmac_f32_e32 v5, 0x3805ff67, v9
	v_fmac_f32_e32 v6, v9, v5
	;; [unrolled: 1-line block ×3, first 2 shown]
	v_mov_b32_e32 v6, 0x3a4beed6
	v_fmac_f32_e32 v10, v9, v8
	v_fmac_f32_e32 v6, 0x36f5d7bd, v9
	v_mov_b32_e32 v8, 0x3c98bf54
	v_fmac_f32_e32 v8, v9, v6
	v_mov_b32_e32 v6, 0x3e300f6e
	;; [unrolled: 2-line block ×4, first 2 shown]
	v_fmac_f32_e32 v6, v9, v8
	v_add_f32_e32 v8, 2.0, v9
	v_mov_b32_e32 v12, 0xbd9e233f
	v_fmac_f32_e32 v11, v9, v10
	v_add_f32_e32 v10, 0x40400000, v9
	v_cndmask_b32_e32 v8, 1.0, v8, vcc
	v_cmp_lt_i32_e32 vcc, 3, v4
	v_fmac_f32_e32 v12, v9, v11
	v_add_f32_e32 v11, 4.0, v9
	v_cndmask_b32_e32 v10, 1.0, v10, vcc
	v_cmp_lt_i32_e32 vcc, 4, v4
	v_mul_f32_e32 v5, v9, v12
	v_add_f32_e32 v12, 0x40a00000, v9
	v_mul_f32_e32 v8, v8, v10
	v_cndmask_b32_e32 v10, 1.0, v11, vcc
	v_cmp_lt_i32_e32 vcc, 5, v4
	v_add_f32_e32 v13, 0x40c00000, v9
	v_mul_f32_e32 v8, v10, v8
	v_cndmask_b32_e32 v10, 1.0, v12, vcc
	v_cmp_lt_i32_e32 vcc, 6, v4
	v_mul_f32_e32 v8, v10, v8
	v_cndmask_b32_e32 v4, 1.0, v13, vcc
	v_mul_f32_e32 v4, v4, v8
	s_mov_b32 s0, 0x800000
	v_cmp_gt_f32_e32 vcc, s0, v4
	v_cndmask_b32_e64 v8, 0, 32, vcc
	v_fma_f32 v6, v9, v6, 1.0
	v_ldexp_f32 v4, v4, v8
	v_rcp_f32_e32 v6, v6
	v_log_f32_e32 v4, v4
	s_mov_b32 s0, 0x3f317217
	v_mul_f32_e32 v5, v5, v6
	v_mul_f32_e32 v6, 0x3f317217, v4
	v_fma_f32 v8, v4, s0, -v6
	v_fmac_f32_e32 v8, 0x3377d1cf, v4
	s_mov_b32 s0, 0x7f800000
	v_add_f32_e32 v6, v6, v8
	v_cmp_lt_f32_e64 s[0:1], |v4|, s0
	v_cndmask_b32_e64 v4, v4, v6, s[0:1]
	v_mov_b32_e32 v6, 0x41b17218
	v_cndmask_b32_e32 v6, 0, v6, vcc
	v_fmac_f32_e32 v5, 0.5, v9
	v_sub_f32_e32 v4, v4, v6
	v_add_f32_e32 v4, v4, v5
.LBB152_771:
	s_or_b64 exec, exec, s[6:7]
.LBB152_772:
	s_andn2_saveexec_b64 s[4:5], s[4:5]
	s_cbranch_execz .LBB152_790
; %bb.773:
	s_mov_b32 s0, 0x3f666666
	v_cmp_le_f32_e64 s[0:1], |v2|, s0
                                        ; implicit-def: $vgpr4
                                        ; implicit-def: $vgpr6
                                        ; implicit-def: $vgpr5
	s_and_saveexec_b64 s[6:7], s[0:1]
	s_xor_b64 s[6:7], exec, s[6:7]
	s_cbranch_execz .LBB152_775
; %bb.774:
	s_mov_b32 s0, 0x800000
	v_cmp_lt_f32_e64 vcc, |v2|, s0
	v_cndmask_b32_e64 v4, 0, 32, vcc
	v_ldexp_f32 v4, |v2|, v4
	v_log_f32_e32 v4, v4
	s_mov_b32 s0, 0x3f317217
	s_mov_b32 s1, 0x7f800000
	v_mul_f32_e32 v5, 0x3f317217, v4
	v_fma_f32 v6, v4, s0, -v5
	v_fmac_f32_e32 v6, 0x3377d1cf, v4
	v_add_f32_e32 v5, v5, v6
	v_cmp_lt_f32_e64 s[0:1], |v4|, s1
	v_cndmask_b32_e64 v4, v4, v5, s[0:1]
	v_mov_b32_e32 v5, 0x41b17218
	v_cndmask_b32_e32 v5, 0, v5, vcc
	s_mov_b32 s0, 0x3f3b4a23
	s_mov_b32 s1, 0xbeec5b0c
	v_sub_f32_e32 v4, v4, v5
	v_sub_f32_e64 v5, 1.0, |v2|
	v_add_f32_e64 v6, |v2|, s1
	v_cmp_lt_f32_e64 vcc, |v2|, s0
	s_mov_b32 s0, 0x3e6d3309
	v_cndmask_b32_e32 v5, v5, v6, vcc
	v_cndmask_b32_e64 v6, 0, 1, vcc
	v_cmp_lt_f32_e64 s[0:1], |v2|, s0
	v_xor_b32_e32 v4, 0x80000000, v4
	v_cndmask_b32_e64 v5, v5, |v2|, s[0:1]
	v_cndmask_b32_e64 v6, v6, 2, s[0:1]
.LBB152_775:
	s_andn2_saveexec_b64 s[0:1], s[6:7]
	s_cbranch_execz .LBB152_777
; %bb.776:
	s_mov_b32 s6, 0x3fdda512
	s_mov_b32 s7, 0xbfbb16c3
	v_sub_f32_e64 v4, 2.0, |v2|
	v_add_f32_e64 v5, |v2|, s7
	v_cmp_lt_f32_e64 vcc, |v2|, s6
	v_cndmask_b32_e32 v5, v4, v5, vcc
	v_cndmask_b32_e64 v4, v4, 1.0, vcc
	v_cvt_i32_f32_e32 v4, v4
	s_mov_b32 s6, 0x3f9d70a4
	v_add_f32_e64 v6, |v2|, -1.0
	v_cmp_lt_f32_e64 vcc, |v2|, s6
	v_cndmask_b32_e32 v5, v5, v6, vcc
	v_cndmask_b32_e64 v6, v4, 2, vcc
	v_mov_b32_e32 v4, 0
.LBB152_777:
	s_or_b64 exec, exec, s[0:1]
	v_cmp_lt_i32_e32 vcc, 0, v6
	s_and_saveexec_b64 s[0:1], vcc
	s_xor_b64 s[0:1], exec, s[0:1]
	s_cbranch_execz .LBB152_785
; %bb.778:
	v_cmp_lt_i32_e32 vcc, 1, v6
	s_and_saveexec_b64 s[6:7], vcc
	s_xor_b64 s[6:7], exec, s[6:7]
	s_cbranch_execz .LBB152_782
; %bb.779:
	v_cmp_eq_u32_e32 vcc, 2, v6
	s_and_saveexec_b64 s[8:9], vcc
	s_cbranch_execz .LBB152_781
; %bb.780:
	v_mov_b32_e32 v6, 0x3e6a7578
	v_fmac_f32_e32 v6, 0x3c5b3c5e, v5
	v_mov_b32_e32 v8, 0x3f7a4bb2
	v_fmac_f32_e32 v8, v5, v6
	;; [unrolled: 2-line block ×8, first 2 shown]
	v_fma_f32 v6, v5, v9, 1.0
	v_rcp_f32_e32 v6, v6
	v_mov_b32_e32 v9, 0xbd9e233f
	v_fmac_f32_e32 v9, v5, v8
	v_mul_f32_e32 v8, v5, v9
	v_mul_f32_e32 v6, v8, v6
	v_fmac_f32_e32 v6, -0.5, v5
	v_add_f32_e32 v4, v4, v6
.LBB152_781:
	s_or_b64 exec, exec, s[8:9]
                                        ; implicit-def: $vgpr5
.LBB152_782:
	s_andn2_saveexec_b64 s[6:7], s[6:7]
	s_cbranch_execz .LBB152_784
; %bb.783:
	v_mul_f32_e32 v6, v5, v5
	v_mul_f32_e32 v8, v5, v6
	v_mov_b32_e32 v9, 0xbab7f476
	v_fmac_f32_e32 v9, 0x39a57b6b, v8
	v_mov_b32_e32 v10, 0x3bc7e707
	v_fmac_f32_e32 v10, v8, v9
	;; [unrolled: 2-line block ×12, first 2 shown]
	v_fmac_f32_e32 v11, v5, v12
	s_mov_b32 s8, 0xa2863e55
	v_fma_f32 v5, v8, -v11, s8
	v_fma_f32 v5, v6, v10, -v5
	v_add_f32_e32 v5, 0xbdf8cdce, v5
	v_add_f32_e32 v4, v4, v5
.LBB152_784:
	s_or_b64 exec, exec, s[6:7]
                                        ; implicit-def: $vgpr6
                                        ; implicit-def: $vgpr5
.LBB152_785:
	s_andn2_saveexec_b64 s[0:1], s[0:1]
	s_cbranch_execz .LBB152_789
; %bb.786:
	v_cmp_eq_u32_e32 vcc, 0, v6
	s_and_saveexec_b64 s[6:7], vcc
	s_cbranch_execz .LBB152_788
; %bb.787:
	v_mul_f32_e32 v6, v5, v5
	v_mov_b32_e32 v8, 0x39679767
	v_fmac_f32_e32 v8, 0x37d383a2, v6
	v_mov_b32_e32 v9, 0x3a9c54a1
	v_fmac_f32_e32 v9, v6, v8
	;; [unrolled: 2-line block ×10, first 2 shown]
	v_mul_f32_e32 v6, v6, v9
	v_fmac_f32_e32 v6, v5, v8
	v_fmac_f32_e32 v6, -0.5, v5
	v_add_f32_e32 v4, v4, v6
.LBB152_788:
	s_or_b64 exec, exec, s[6:7]
.LBB152_789:
	s_or_b64 exec, exec, s[0:1]
.LBB152_790:
	s_or_b64 exec, exec, s[4:5]
.LBB152_791:
	s_andn2_saveexec_b64 s[2:3], s[2:3]
	s_cbranch_execz .LBB152_793
; %bb.792:
	s_mov_b32 s0, 0x3e8a8991
	v_mov_b32_e32 v4, 0xbecd26ab
	v_fma_f32 v4, |v2|, s0, v4
	s_mov_b32 s0, 0x3f528d33
	v_fma_f32 v4, |v2|, v4, s0
	s_mov_b32 s0, 0x800000
	v_cmp_lt_f32_e64 vcc, |v2|, s0
	v_cndmask_b32_e64 v5, 0, 32, vcc
	v_ldexp_f32 v5, |v2|, v5
	v_log_f32_e32 v5, v5
	s_mov_b32 s0, 0xbf13c468
	v_fma_f32 v4, |v2|, v4, s0
	s_mov_b32 s0, 0x3f317217
	v_mul_f32_e32 v6, 0x3f317217, v5
	v_fma_f32 v8, v5, s0, -v6
	v_fmac_f32_e32 v8, 0x3377d1cf, v5
	s_mov_b32 s0, 0x7f800000
	v_add_f32_e32 v6, v6, v8
	v_cmp_lt_f32_e64 s[0:1], |v5|, s0
	v_cndmask_b32_e64 v5, v5, v6, s[0:1]
	v_mov_b32_e32 v6, 0x41b17218
	v_cndmask_b32_e32 v6, 0, v6, vcc
	v_sub_f32_e32 v5, v5, v6
	v_fma_f32 v4, |v2|, v4, -v5
.LBB152_793:
	s_or_b64 exec, exec, s[2:3]
	v_cmp_le_f16_e32 vcc, 0, v1
	v_cmp_nle_f16_e64 s[0:1], 0, v1
	s_and_saveexec_b64 s[2:3], s[0:1]
	s_xor_b64 s[4:5], exec, s[2:3]
	s_cbranch_execz .LBB152_797
; %bb.794:
	s_mov_b32 s0, 0x4b000000
	s_mov_b32 s2, 0x35000000
	v_cmp_lt_f32_e64 s[0:1], |v2|, s0
	v_cmp_gt_f32_e64 s[2:3], |v2|, s2
	s_and_b64 s[0:1], s[0:1], s[2:3]
	s_and_saveexec_b64 s[6:7], s[0:1]
	s_cbranch_execz .LBB152_796
; %bb.795:
	v_mul_f32_e64 v5, |v2|, 0.5
	v_floor_f32_e32 v6, v5
	v_sub_f32_e32 v6, v5, v6
	v_min_f32_e32 v6, 0x3f7fffff, v6
	s_mov_b32 s2, 0x7f800000
	v_add_f32_e32 v6, v6, v6
	v_cmp_neq_f32_e64 s[0:1], s2, v5
	v_cndmask_b32_e64 v5, 0, v6, s[0:1]
	v_cmp_gt_f32_e64 s[0:1], |v2|, 1.0
	v_cndmask_b32_e64 v5, |v2|, v5, s[0:1]
	v_add_f32_e32 v6, v5, v5
	v_rndne_f32_e32 v6, v6
	v_fmac_f32_e32 v5, -0.5, v6
	v_mul_f32_e32 v8, v5, v5
	v_mov_b32_e32 v9, 0xbf1f24be
	v_fmac_f32_e32 v9, 0x3e75aa41, v8
	v_mov_b32_e32 v10, 0x40234736
	v_fmac_f32_e32 v10, v8, v9
	;; [unrolled: 2-line block ×3, first 2 shown]
	v_mul_f32_e32 v10, v5, v8
	v_mul_f32_e32 v9, v10, v9
	v_fmac_f32_e32 v9, 0x40490fdb, v5
	v_mov_b32_e32 v5, 0x3e642e9d
	v_cvt_i32_f32_e32 v6, v6
	v_fmac_f32_e32 v5, 0x3d4be544, v8
	v_mov_b32_e32 v10, 0xbfaad1da
	v_fmac_f32_e32 v10, v8, v5
	v_mov_b32_e32 v5, 0x4081e0d3
	;; [unrolled: 2-line block ×3, first 2 shown]
	v_fmac_f32_e32 v10, v8, v5
	v_fma_f32 v5, v8, v10, 1.0
	v_and_b32_e32 v8, 1, v6
	v_lshlrev_b32_e32 v6, 30, v6
	v_cmp_eq_u32_e64 s[0:1], 0, v8
	v_and_b32_e32 v6, 0x80000000, v6
	v_xor_b32_e32 v3, v3, v2
	v_cndmask_b32_e64 v5, v5, v9, s[0:1]
	v_xor_b32_e32 v3, v3, v6
	v_xor_b32_e32 v3, v3, v5
	v_mul_f32_e32 v3, v2, v3
	v_frexp_mant_f32_e64 v5, |v3|
	v_rcp_f32_e32 v5, v5
	v_frexp_exp_i32_f32_e32 v3, v3
	v_sub_u32_e32 v3, 2, v3
	s_mov_b32 s0, 0x800000
	v_mul_f32_e32 v5, 0x3f490fdb, v5
	v_ldexp_f32 v3, v5, v3
	v_cmp_gt_f32_e64 s[0:1], s0, v3
	v_cndmask_b32_e64 v5, 0, 32, s[0:1]
	v_ldexp_f32 v3, v3, v5
	v_log_f32_e32 v3, v3
	s_mov_b32 s3, 0x3f317217
	v_mul_f32_e32 v5, 0x3f317217, v3
	v_fma_f32 v6, v3, s3, -v5
	v_fmac_f32_e32 v6, 0x3377d1cf, v3
	v_add_f32_e32 v5, v5, v6
	v_cmp_lt_f32_e64 s[2:3], |v3|, s2
	v_cndmask_b32_e64 v3, v3, v5, s[2:3]
	v_mov_b32_e32 v5, 0x41b17218
	v_cndmask_b32_e64 v5, 0, v5, s[0:1]
	v_sub_f32_e32 v3, v3, v5
	v_sub_f32_e32 v3, v3, v4
	v_floor_f32_e32 v4, v2
	v_sub_f32_e32 v4, v2, v4
	v_min_f32_e32 v4, 0x3f7fffff, v4
	v_mov_b32_e32 v5, 0x7f800000
	v_cmp_neq_f32_e64 s[0:1], 0, v4
	v_cndmask_b32_e64 v4, v5, v3, s[0:1]
.LBB152_796:
	s_or_b64 exec, exec, s[6:7]
.LBB152_797:
	s_andn2_saveexec_b64 s[4:5], s[4:5]
; %bb.798:
	v_cmp_eq_f16_e64 s[0:1], 1.0, v1
	v_cmp_eq_f16_e64 s[2:3], 2.0, v1
	s_or_b64 s[0:1], s[0:1], s[2:3]
	v_cndmask_b32_e64 v4, v4, 0, s[0:1]
; %bb.799:
	s_or_b64 exec, exec, s[4:5]
	v_cvt_f16_f32_e32 v4, v4
	s_mov_b32 s0, 0x4b000000
	v_cmp_lt_f32_e64 s[0:1], |v2|, s0
	v_mov_b32_e32 v3, 0x264
	v_mov_b32_e32 v5, 0x7c00
	s_or_b64 vcc, vcc, s[0:1]
	v_cndmask_b32_e32 v4, v5, v4, vcc
	v_cmp_class_f32_e32 vcc, v2, v3
	v_cndmask_b32_e32 v2, v4, v5, vcc
	v_cmp_u_f16_e32 vcc, v1, v1
	v_cndmask_b32_e32 v1, v2, v1, vcc
	v_add_u32_e32 v7, 0x80, v7
	global_store_short v0, v1, s[16:17]
	s_or_b64 exec, exec, s[48:49]
	v_cmp_gt_i32_e32 vcc, s55, v7
	s_and_saveexec_b64 s[48:49], vcc
	s_cbranch_execz .LBB152_752
.LBB152_800:
	s_andn2_b64 vcc, exec, s[36:37]
	s_cbranch_vccnz .LBB152_805
; %bb.801:
	s_andn2_b64 vcc, exec, s[46:47]
	s_cbranch_vccnz .LBB152_806
; %bb.802:
	s_add_i32 s56, s56, 1
	s_cmp_eq_u32 s54, 2
	s_cbranch_scc1 .LBB152_807
; %bb.803:
	s_and_b32 s50, s56, 28
	v_mov_b32_e32 v2, 0
	s_mov_b32 s51, 0
	s_mov_b64 s[46:47], s[34:35]
	v_mov_b32_e32 v0, 0
	v_mov_b32_e32 v1, v7
.LBB152_804:                            ; =>This Inner Loop Header: Depth=1
	s_load_dwordx8 s[8:15], s[46:47], 0x4
	s_load_dwordx4 s[28:31], s[46:47], 0x24
	s_load_dwordx8 s[0:7], s[44:45], 0x0
	s_add_u32 s46, s46, 48
	s_addc_u32 s47, s47, 0
	s_waitcnt lgkmcnt(0)
	v_mul_hi_u32 v3, s9, v1
	s_add_i32 s51, s51, 4
	s_add_u32 s44, s44, 32
	s_addc_u32 s45, s45, 0
	v_add_u32_e32 v3, v1, v3
	v_lshrrev_b32_e32 v3, s10, v3
	v_mul_lo_u32 v4, v3, s8
	v_mul_hi_u32 v5, s12, v3
	s_cmp_eq_u32 s50, s51
	v_sub_u32_e32 v1, v1, v4
	v_add_u32_e32 v4, v3, v5
	v_mul_lo_u32 v5, v1, s0
	v_mul_lo_u32 v6, v1, s1
	v_lshrrev_b32_e32 v1, s13, v4
	v_mul_lo_u32 v4, v1, s11
	v_mul_hi_u32 v8, s15, v1
	v_sub_u32_e32 v3, v3, v4
	v_add_u32_e32 v4, v1, v8
	v_lshrrev_b32_e32 v4, s28, v4
	v_mul_hi_u32 v9, s30, v4
	v_mul_lo_u32 v10, v4, s14
	v_mul_lo_u32 v8, v3, s2
	;; [unrolled: 1-line block ×3, first 2 shown]
	v_sub_u32_e32 v10, v1, v10
	v_add_u32_e32 v1, v4, v9
	v_lshrrev_b32_e32 v1, s31, v1
	v_mul_lo_u32 v9, v1, s29
	v_mul_lo_u32 v11, v10, s4
	;; [unrolled: 1-line block ×3, first 2 shown]
	v_add3_u32 v0, v5, v0, v8
	v_sub_u32_e32 v4, v4, v9
	v_mul_lo_u32 v9, v4, s6
	v_mul_lo_u32 v4, v4, s7
	v_add3_u32 v2, v6, v2, v3
	v_add3_u32 v0, v11, v0, v9
	;; [unrolled: 1-line block ×3, first 2 shown]
	s_cbranch_scc0 .LBB152_804
	s_branch .LBB152_808
.LBB152_805:
                                        ; implicit-def: $vgpr0
                                        ; implicit-def: $vgpr2
	s_branch .LBB152_812
.LBB152_806:
	v_mov_b32_e32 v0, 0
	v_mov_b32_e32 v2, 0
	s_branch .LBB152_811
.LBB152_807:
	s_mov_b32 s50, 0
	v_mov_b32_e32 v0, 0
	v_mov_b32_e32 v2, 0
	;; [unrolled: 1-line block ×3, first 2 shown]
.LBB152_808:
	s_and_b32 s4, s56, 3
	s_cmp_eq_u32 s4, 0
	s_cbranch_scc1 .LBB152_811
; %bb.809:
	s_lshl_b32 s0, s50, 3
	s_add_u32 s0, s34, s0
	s_addc_u32 s1, s35, 0
	s_add_u32 s0, s0, 0xc4
	s_addc_u32 s1, s1, 0
	s_mul_i32 s2, s50, 12
	s_add_u32 s2, s34, s2
	s_addc_u32 s3, s35, 0
.LBB152_810:                            ; =>This Inner Loop Header: Depth=1
	s_load_dwordx2 s[6:7], s[2:3], 0x4
	s_load_dword s5, s[2:3], 0xc
	s_load_dwordx2 s[8:9], s[0:1], 0x0
	s_add_u32 s2, s2, 12
	s_addc_u32 s3, s3, 0
	s_waitcnt lgkmcnt(0)
	v_mul_hi_u32 v3, s7, v1
	s_add_u32 s0, s0, 8
	s_addc_u32 s1, s1, 0
	s_add_i32 s4, s4, -1
	v_add_u32_e32 v3, v1, v3
	v_lshrrev_b32_e32 v4, s5, v3
	v_mul_lo_u32 v3, v4, s6
	s_cmp_lg_u32 s4, 0
	v_sub_u32_e32 v3, v1, v3
	v_mad_u64_u32 v[0:1], s[6:7], v3, s8, v[0:1]
	v_mad_u64_u32 v[2:3], s[6:7], v3, s9, v[2:3]
	v_mov_b32_e32 v1, v4
	s_cbranch_scc1 .LBB152_810
.LBB152_811:
	s_cbranch_execnz .LBB152_814
.LBB152_812:
	s_waitcnt lgkmcnt(0)
	v_mul_hi_u32 v0, s25, v7
	s_andn2_b64 vcc, exec, s[42:43]
	v_add_u32_e32 v0, v7, v0
	v_lshrrev_b32_e32 v1, s26, v0
	v_mul_lo_u32 v0, v1, s24
	v_sub_u32_e32 v2, v7, v0
	v_mul_lo_u32 v0, v2, s20
	v_mul_lo_u32 v2, v2, s21
	s_cbranch_vccnz .LBB152_814
; %bb.813:
	v_mul_hi_u32 v3, s40, v1
	v_add_u32_e32 v3, v1, v3
	v_lshrrev_b32_e32 v3, s41, v3
	v_mul_lo_u32 v3, v3, s27
	v_sub_u32_e32 v3, v1, v3
	v_mad_u64_u32 v[0:1], s[0:1], v3, s22, v[0:1]
	v_mad_u64_u32 v[2:3], s[0:1], v3, s23, v[2:3]
.LBB152_814:
	s_waitcnt lgkmcnt(0)
	global_load_ushort v1, v2, s[18:19]
	s_mov_b32 s0, 0x3c800000
                                        ; implicit-def: $vgpr4
	s_waitcnt vmcnt(0)
	v_cvt_f32_f16_e32 v2, v1
	v_and_b32_e32 v3, 0x7fffffff, v2
	v_cmp_nlt_f32_e64 s[0:1], |v2|, s0
	s_and_saveexec_b64 s[2:3], s[0:1]
	s_xor_b64 s[2:3], exec, s[2:3]
	s_cbranch_execz .LBB152_844
; %bb.815:
	v_cmp_nlt_f32_e64 s[0:1], |v2|, 2.0
                                        ; implicit-def: $vgpr4
	s_and_saveexec_b64 s[4:5], s[0:1]
	s_xor_b64 s[4:5], exec, s[4:5]
	s_cbranch_execz .LBB152_825
; %bb.816:
	s_mov_b32 s0, 0x41000000
	v_cmp_nlt_f32_e64 s[0:1], |v2|, s0
                                        ; implicit-def: $vgpr4
	s_and_saveexec_b64 s[6:7], s[0:1]
	s_xor_b64 s[6:7], exec, s[6:7]
	s_cbranch_execz .LBB152_822
; %bb.817:
	s_mov_b32 s0, 0x5c800000
	v_cmp_nlt_f32_e64 s[0:1], |v2|, s0
                                        ; implicit-def: $vgpr4
	s_and_saveexec_b64 s[8:9], s[0:1]
	s_xor_b64 s[8:9], exec, s[8:9]
	s_cbranch_execz .LBB152_819
; %bb.818:
	s_mov_b32 s0, 0x800000
	v_cmp_lt_f32_e64 vcc, |v2|, s0
	v_cndmask_b32_e64 v4, 0, 32, vcc
	v_ldexp_f32 v4, |v2|, v4
	v_log_f32_e32 v4, v4
	s_mov_b32 s0, 0x3f317217
	s_mov_b32 s1, 0x7f800000
	v_mul_f32_e32 v5, 0x3f317217, v4
	v_fma_f32 v6, v4, s0, -v5
	v_fmac_f32_e32 v6, 0x3377d1cf, v4
	v_add_f32_e32 v5, v5, v6
	v_cmp_lt_f32_e64 s[0:1], |v4|, s1
	v_cndmask_b32_e64 v4, v4, v5, s[0:1]
	v_mov_b32_e32 v5, 0x41b17218
	v_cndmask_b32_e32 v5, 0, v5, vcc
	v_sub_f32_e32 v4, v4, v5
	v_fma_f32 v4, |v2|, v4, -|v2|
.LBB152_819:
	s_andn2_saveexec_b64 s[8:9], s[8:9]
	s_cbranch_execz .LBB152_821
; %bb.820:
	v_rcp_f32_e64 v5, |v2|
	v_mov_b32_e32 v4, 0x3a5b3dd2
	v_mov_b32_e32 v6, 0xba1c065c
	;; [unrolled: 1-line block ×3, first 2 shown]
	v_mul_f32_e32 v8, v5, v5
	v_fmac_f32_e32 v4, 0xbad5c4e8, v8
	v_fmac_f32_e32 v6, v8, v4
	s_mov_b32 s0, 0x800000
	v_fmac_f32_e32 v7, v8, v6
	v_mov_b32_e32 v4, 0xbb360b61
	v_cmp_lt_f32_e64 vcc, |v2|, s0
	v_fmac_f32_e32 v4, v8, v7
	v_cndmask_b32_e64 v7, 0, 32, vcc
	v_ldexp_f32 v7, |v2|, v7
	v_log_f32_e32 v7, v7
	v_mov_b32_e32 v6, 0x3daaaaab
	v_fmac_f32_e32 v6, v8, v4
	v_mov_b32_e32 v4, 0x3ed67f1d
	v_fmac_f32_e32 v4, v5, v6
	s_mov_b32 s0, 0x3f317217
	v_mul_f32_e32 v6, 0x3f317217, v7
	v_fma_f32 v8, v7, s0, -v6
	v_fmac_f32_e32 v8, 0x3377d1cf, v7
	s_mov_b32 s0, 0x7f800000
	v_add_f32_e32 v6, v6, v8
	v_cmp_lt_f32_e64 s[0:1], |v7|, s0
	v_cndmask_b32_e64 v6, v7, v6, s[0:1]
	v_mov_b32_e32 v7, 0x41b17218
	v_cndmask_b32_e32 v7, 0, v7, vcc
	v_sub_f32_e32 v6, v6, v7
	v_add_f32_e64 v5, |v2|, -0.5
	v_add_f32_e32 v6, -1.0, v6
	v_fmac_f32_e32 v4, v5, v6
.LBB152_821:
	s_or_b64 exec, exec, s[8:9]
.LBB152_822:
	s_andn2_saveexec_b64 s[6:7], s[6:7]
	s_cbranch_execz .LBB152_824
; %bb.823:
	v_cvt_i32_f32_e32 v4, v3
	v_mov_b32_e32 v5, 0x3af135b4
	v_mov_b32_e32 v6, 0x3cda40e4
	;; [unrolled: 1-line block ×3, first 2 shown]
	v_cvt_f32_i32_e32 v8, v4
	v_mov_b32_e32 v9, 0x3ea6cc7a
	v_mov_b32_e32 v10, 0x3e5c245a
	v_cmp_lt_i32_e32 vcc, 2, v4
	v_sub_f32_e64 v8, |v2|, v8
	v_fmac_f32_e32 v5, 0x3805ff67, v8
	v_fmac_f32_e32 v6, v8, v5
	;; [unrolled: 1-line block ×3, first 2 shown]
	v_mov_b32_e32 v6, 0x3a4beed6
	v_fmac_f32_e32 v9, v8, v7
	v_fmac_f32_e32 v6, 0x36f5d7bd, v8
	v_mov_b32_e32 v7, 0x3c98bf54
	v_fmac_f32_e32 v7, v8, v6
	v_mov_b32_e32 v6, 0x3e300f6e
	;; [unrolled: 2-line block ×4, first 2 shown]
	v_fmac_f32_e32 v6, v8, v7
	v_add_f32_e32 v7, 2.0, v8
	v_mov_b32_e32 v11, 0xbd9e233f
	v_fmac_f32_e32 v10, v8, v9
	v_add_f32_e32 v9, 0x40400000, v8
	v_cndmask_b32_e32 v7, 1.0, v7, vcc
	v_cmp_lt_i32_e32 vcc, 3, v4
	v_fmac_f32_e32 v11, v8, v10
	v_add_f32_e32 v10, 4.0, v8
	v_cndmask_b32_e32 v9, 1.0, v9, vcc
	v_cmp_lt_i32_e32 vcc, 4, v4
	v_mul_f32_e32 v5, v8, v11
	v_add_f32_e32 v11, 0x40a00000, v8
	v_mul_f32_e32 v7, v7, v9
	v_cndmask_b32_e32 v9, 1.0, v10, vcc
	v_cmp_lt_i32_e32 vcc, 5, v4
	v_add_f32_e32 v12, 0x40c00000, v8
	v_mul_f32_e32 v7, v9, v7
	v_cndmask_b32_e32 v9, 1.0, v11, vcc
	v_cmp_lt_i32_e32 vcc, 6, v4
	v_mul_f32_e32 v7, v9, v7
	v_cndmask_b32_e32 v4, 1.0, v12, vcc
	v_mul_f32_e32 v4, v4, v7
	s_mov_b32 s0, 0x800000
	v_cmp_gt_f32_e32 vcc, s0, v4
	v_cndmask_b32_e64 v7, 0, 32, vcc
	v_fma_f32 v6, v8, v6, 1.0
	v_ldexp_f32 v4, v4, v7
	v_rcp_f32_e32 v6, v6
	v_log_f32_e32 v4, v4
	s_mov_b32 s0, 0x3f317217
	v_mul_f32_e32 v5, v5, v6
	v_mul_f32_e32 v6, 0x3f317217, v4
	v_fma_f32 v7, v4, s0, -v6
	v_fmac_f32_e32 v7, 0x3377d1cf, v4
	s_mov_b32 s0, 0x7f800000
	v_add_f32_e32 v6, v6, v7
	v_cmp_lt_f32_e64 s[0:1], |v4|, s0
	v_cndmask_b32_e64 v4, v4, v6, s[0:1]
	v_mov_b32_e32 v6, 0x41b17218
	v_cndmask_b32_e32 v6, 0, v6, vcc
	v_fmac_f32_e32 v5, 0.5, v8
	v_sub_f32_e32 v4, v4, v6
	v_add_f32_e32 v4, v4, v5
.LBB152_824:
	s_or_b64 exec, exec, s[6:7]
.LBB152_825:
	s_andn2_saveexec_b64 s[4:5], s[4:5]
	s_cbranch_execz .LBB152_843
; %bb.826:
	s_mov_b32 s0, 0x3f666666
	v_cmp_le_f32_e64 s[0:1], |v2|, s0
                                        ; implicit-def: $vgpr4
                                        ; implicit-def: $vgpr6
                                        ; implicit-def: $vgpr5
	s_and_saveexec_b64 s[6:7], s[0:1]
	s_xor_b64 s[6:7], exec, s[6:7]
	s_cbranch_execz .LBB152_828
; %bb.827:
	s_mov_b32 s0, 0x800000
	v_cmp_lt_f32_e64 vcc, |v2|, s0
	v_cndmask_b32_e64 v4, 0, 32, vcc
	v_ldexp_f32 v4, |v2|, v4
	v_log_f32_e32 v4, v4
	s_mov_b32 s0, 0x3f317217
	s_mov_b32 s1, 0x7f800000
	v_mul_f32_e32 v5, 0x3f317217, v4
	v_fma_f32 v6, v4, s0, -v5
	v_fmac_f32_e32 v6, 0x3377d1cf, v4
	v_add_f32_e32 v5, v5, v6
	v_cmp_lt_f32_e64 s[0:1], |v4|, s1
	v_cndmask_b32_e64 v4, v4, v5, s[0:1]
	v_mov_b32_e32 v5, 0x41b17218
	v_cndmask_b32_e32 v5, 0, v5, vcc
	s_mov_b32 s0, 0x3f3b4a23
	s_mov_b32 s1, 0xbeec5b0c
	v_sub_f32_e32 v4, v4, v5
	v_sub_f32_e64 v5, 1.0, |v2|
	v_add_f32_e64 v6, |v2|, s1
	v_cmp_lt_f32_e64 vcc, |v2|, s0
	s_mov_b32 s0, 0x3e6d3309
	v_cndmask_b32_e32 v5, v5, v6, vcc
	v_cndmask_b32_e64 v6, 0, 1, vcc
	v_cmp_lt_f32_e64 s[0:1], |v2|, s0
	v_xor_b32_e32 v4, 0x80000000, v4
	v_cndmask_b32_e64 v5, v5, |v2|, s[0:1]
	v_cndmask_b32_e64 v6, v6, 2, s[0:1]
.LBB152_828:
	s_andn2_saveexec_b64 s[0:1], s[6:7]
	s_cbranch_execz .LBB152_830
; %bb.829:
	s_mov_b32 s6, 0x3fdda512
	s_mov_b32 s7, 0xbfbb16c3
	v_sub_f32_e64 v4, 2.0, |v2|
	v_add_f32_e64 v5, |v2|, s7
	v_cmp_lt_f32_e64 vcc, |v2|, s6
	v_cndmask_b32_e32 v5, v4, v5, vcc
	v_cndmask_b32_e64 v4, v4, 1.0, vcc
	v_cvt_i32_f32_e32 v4, v4
	s_mov_b32 s6, 0x3f9d70a4
	v_add_f32_e64 v6, |v2|, -1.0
	v_cmp_lt_f32_e64 vcc, |v2|, s6
	v_cndmask_b32_e32 v5, v5, v6, vcc
	v_cndmask_b32_e64 v6, v4, 2, vcc
	v_mov_b32_e32 v4, 0
.LBB152_830:
	s_or_b64 exec, exec, s[0:1]
	v_cmp_lt_i32_e32 vcc, 0, v6
	s_and_saveexec_b64 s[0:1], vcc
	s_xor_b64 s[0:1], exec, s[0:1]
	s_cbranch_execz .LBB152_838
; %bb.831:
	v_cmp_lt_i32_e32 vcc, 1, v6
	s_and_saveexec_b64 s[6:7], vcc
	s_xor_b64 s[6:7], exec, s[6:7]
	s_cbranch_execz .LBB152_835
; %bb.832:
	v_cmp_eq_u32_e32 vcc, 2, v6
	s_and_saveexec_b64 s[8:9], vcc
	s_cbranch_execz .LBB152_834
; %bb.833:
	v_mov_b32_e32 v6, 0x3e6a7578
	v_fmac_f32_e32 v6, 0x3c5b3c5e, v5
	v_mov_b32_e32 v7, 0x3f7a4bb2
	v_fmac_f32_e32 v7, v5, v6
	;; [unrolled: 2-line block ×8, first 2 shown]
	v_fma_f32 v6, v5, v8, 1.0
	v_rcp_f32_e32 v6, v6
	v_mov_b32_e32 v8, 0xbd9e233f
	v_fmac_f32_e32 v8, v5, v7
	v_mul_f32_e32 v7, v5, v8
	v_mul_f32_e32 v6, v7, v6
	v_fmac_f32_e32 v6, -0.5, v5
	v_add_f32_e32 v4, v4, v6
.LBB152_834:
	s_or_b64 exec, exec, s[8:9]
                                        ; implicit-def: $vgpr5
.LBB152_835:
	s_andn2_saveexec_b64 s[6:7], s[6:7]
	s_cbranch_execz .LBB152_837
; %bb.836:
	v_mul_f32_e32 v6, v5, v5
	v_mul_f32_e32 v7, v5, v6
	v_mov_b32_e32 v8, 0xbab7f476
	v_fmac_f32_e32 v8, 0x39a57b6b, v7
	v_mov_b32_e32 v9, 0x3bc7e707
	v_fmac_f32_e32 v9, v7, v8
	;; [unrolled: 2-line block ×12, first 2 shown]
	v_fmac_f32_e32 v10, v5, v11
	s_mov_b32 s8, 0xa2863e55
	v_fma_f32 v5, v7, -v10, s8
	v_fma_f32 v5, v6, v9, -v5
	v_add_f32_e32 v5, 0xbdf8cdce, v5
	v_add_f32_e32 v4, v4, v5
.LBB152_837:
	s_or_b64 exec, exec, s[6:7]
                                        ; implicit-def: $vgpr6
                                        ; implicit-def: $vgpr5
.LBB152_838:
	s_andn2_saveexec_b64 s[0:1], s[0:1]
	s_cbranch_execz .LBB152_842
; %bb.839:
	v_cmp_eq_u32_e32 vcc, 0, v6
	s_and_saveexec_b64 s[6:7], vcc
	s_cbranch_execz .LBB152_841
; %bb.840:
	v_mul_f32_e32 v6, v5, v5
	v_mov_b32_e32 v7, 0x39679767
	v_fmac_f32_e32 v7, 0x37d383a2, v6
	v_mov_b32_e32 v8, 0x3a9c54a1
	v_fmac_f32_e32 v8, v6, v7
	;; [unrolled: 2-line block ×10, first 2 shown]
	v_mul_f32_e32 v6, v6, v8
	v_fmac_f32_e32 v6, v5, v7
	v_fmac_f32_e32 v6, -0.5, v5
	v_add_f32_e32 v4, v4, v6
.LBB152_841:
	s_or_b64 exec, exec, s[6:7]
.LBB152_842:
	s_or_b64 exec, exec, s[0:1]
.LBB152_843:
	s_or_b64 exec, exec, s[4:5]
.LBB152_844:
	s_andn2_saveexec_b64 s[2:3], s[2:3]
	s_cbranch_execz .LBB152_846
; %bb.845:
	s_mov_b32 s0, 0x3e8a8991
	v_mov_b32_e32 v4, 0xbecd26ab
	v_fma_f32 v4, |v2|, s0, v4
	s_mov_b32 s0, 0x3f528d33
	v_fma_f32 v4, |v2|, v4, s0
	s_mov_b32 s0, 0x800000
	v_cmp_lt_f32_e64 vcc, |v2|, s0
	v_cndmask_b32_e64 v5, 0, 32, vcc
	v_ldexp_f32 v5, |v2|, v5
	v_log_f32_e32 v5, v5
	s_mov_b32 s0, 0xbf13c468
	v_fma_f32 v4, |v2|, v4, s0
	s_mov_b32 s0, 0x3f317217
	v_mul_f32_e32 v6, 0x3f317217, v5
	v_fma_f32 v7, v5, s0, -v6
	v_fmac_f32_e32 v7, 0x3377d1cf, v5
	s_mov_b32 s0, 0x7f800000
	v_add_f32_e32 v6, v6, v7
	v_cmp_lt_f32_e64 s[0:1], |v5|, s0
	v_cndmask_b32_e64 v5, v5, v6, s[0:1]
	v_mov_b32_e32 v6, 0x41b17218
	v_cndmask_b32_e32 v6, 0, v6, vcc
	v_sub_f32_e32 v5, v5, v6
	v_fma_f32 v4, |v2|, v4, -v5
.LBB152_846:
	s_or_b64 exec, exec, s[2:3]
	v_cmp_le_f16_e32 vcc, 0, v1
	v_cmp_nle_f16_e64 s[0:1], 0, v1
	s_and_saveexec_b64 s[2:3], s[0:1]
	s_xor_b64 s[4:5], exec, s[2:3]
	s_cbranch_execz .LBB152_850
; %bb.847:
	s_mov_b32 s0, 0x4b000000
	s_mov_b32 s2, 0x35000000
	v_cmp_lt_f32_e64 s[0:1], |v2|, s0
	v_cmp_gt_f32_e64 s[2:3], |v2|, s2
	s_and_b64 s[0:1], s[0:1], s[2:3]
	s_and_saveexec_b64 s[6:7], s[0:1]
	s_cbranch_execz .LBB152_849
; %bb.848:
	v_mul_f32_e64 v5, |v2|, 0.5
	v_floor_f32_e32 v6, v5
	v_sub_f32_e32 v6, v5, v6
	v_min_f32_e32 v6, 0x3f7fffff, v6
	s_mov_b32 s2, 0x7f800000
	v_add_f32_e32 v6, v6, v6
	v_cmp_neq_f32_e64 s[0:1], s2, v5
	v_cndmask_b32_e64 v5, 0, v6, s[0:1]
	v_cmp_gt_f32_e64 s[0:1], |v2|, 1.0
	v_cndmask_b32_e64 v5, |v2|, v5, s[0:1]
	v_add_f32_e32 v6, v5, v5
	v_rndne_f32_e32 v6, v6
	v_fmac_f32_e32 v5, -0.5, v6
	v_mul_f32_e32 v7, v5, v5
	v_mov_b32_e32 v8, 0xbf1f24be
	v_fmac_f32_e32 v8, 0x3e75aa41, v7
	v_mov_b32_e32 v9, 0x40234736
	v_fmac_f32_e32 v9, v7, v8
	;; [unrolled: 2-line block ×3, first 2 shown]
	v_mul_f32_e32 v9, v5, v7
	v_mul_f32_e32 v8, v9, v8
	v_fmac_f32_e32 v8, 0x40490fdb, v5
	v_mov_b32_e32 v5, 0x3e642e9d
	v_cvt_i32_f32_e32 v6, v6
	v_fmac_f32_e32 v5, 0x3d4be544, v7
	v_mov_b32_e32 v9, 0xbfaad1da
	v_fmac_f32_e32 v9, v7, v5
	v_mov_b32_e32 v5, 0x4081e0d3
	;; [unrolled: 2-line block ×3, first 2 shown]
	v_fmac_f32_e32 v9, v7, v5
	v_fma_f32 v5, v7, v9, 1.0
	v_and_b32_e32 v7, 1, v6
	v_lshlrev_b32_e32 v6, 30, v6
	v_cmp_eq_u32_e64 s[0:1], 0, v7
	v_and_b32_e32 v6, 0x80000000, v6
	v_xor_b32_e32 v3, v3, v2
	v_cndmask_b32_e64 v5, v5, v8, s[0:1]
	v_xor_b32_e32 v3, v3, v6
	v_xor_b32_e32 v3, v3, v5
	v_mul_f32_e32 v3, v2, v3
	v_frexp_mant_f32_e64 v5, |v3|
	v_rcp_f32_e32 v5, v5
	v_frexp_exp_i32_f32_e32 v3, v3
	v_sub_u32_e32 v3, 2, v3
	s_mov_b32 s0, 0x800000
	v_mul_f32_e32 v5, 0x3f490fdb, v5
	v_ldexp_f32 v3, v5, v3
	v_cmp_gt_f32_e64 s[0:1], s0, v3
	v_cndmask_b32_e64 v5, 0, 32, s[0:1]
	v_ldexp_f32 v3, v3, v5
	v_log_f32_e32 v3, v3
	s_mov_b32 s3, 0x3f317217
	v_mul_f32_e32 v5, 0x3f317217, v3
	v_fma_f32 v6, v3, s3, -v5
	v_fmac_f32_e32 v6, 0x3377d1cf, v3
	v_add_f32_e32 v5, v5, v6
	v_cmp_lt_f32_e64 s[2:3], |v3|, s2
	v_cndmask_b32_e64 v3, v3, v5, s[2:3]
	v_mov_b32_e32 v5, 0x41b17218
	v_cndmask_b32_e64 v5, 0, v5, s[0:1]
	v_sub_f32_e32 v3, v3, v5
	v_sub_f32_e32 v3, v3, v4
	v_floor_f32_e32 v4, v2
	v_sub_f32_e32 v4, v2, v4
	v_min_f32_e32 v4, 0x3f7fffff, v4
	v_mov_b32_e32 v5, 0x7f800000
	v_cmp_neq_f32_e64 s[0:1], 0, v4
	v_cndmask_b32_e64 v4, v5, v3, s[0:1]
.LBB152_849:
	s_or_b64 exec, exec, s[6:7]
.LBB152_850:
	s_andn2_saveexec_b64 s[4:5], s[4:5]
; %bb.851:
	v_cmp_eq_f16_e64 s[0:1], 1.0, v1
	v_cmp_eq_f16_e64 s[2:3], 2.0, v1
	s_or_b64 s[0:1], s[0:1], s[2:3]
	v_cndmask_b32_e64 v4, v4, 0, s[0:1]
; %bb.852:
	s_or_b64 exec, exec, s[4:5]
	v_cvt_f16_f32_e32 v4, v4
	s_mov_b32 s0, 0x4b000000
	v_cmp_lt_f32_e64 s[0:1], |v2|, s0
	v_mov_b32_e32 v3, 0x264
	v_mov_b32_e32 v5, 0x7c00
	s_or_b64 vcc, vcc, s[0:1]
	v_cndmask_b32_e32 v4, v5, v4, vcc
	v_cmp_class_f32_e32 vcc, v2, v3
	v_cndmask_b32_e32 v2, v4, v5, vcc
	v_cmp_u_f16_e32 vcc, v1, v1
	v_cndmask_b32_e32 v1, v2, v1, vcc
	global_store_short v0, v1, s[16:17]
	s_or_b64 exec, exec, s[48:49]
                                        ; implicit-def: $vgpr25
                                        ; implicit-def: $vgpr7
	s_andn2_saveexec_b64 s[0:1], s[38:39]
	s_cbranch_execz .LBB152_753
	s_branch .LBB152_8
	.section	.rodata,"a",@progbits
	.p2align	6, 0x0
	.amdhsa_kernel _ZN2at6native32elementwise_kernel_manual_unrollILi128ELi8EZNS0_22gpu_kernel_impl_nocastIZZZNS0_18lgamma_kernel_cudaERNS_18TensorIteratorBaseEENKUlvE_clEvENKUlvE1_clEvEUlN3c104HalfEE_EEvS4_RKT_EUlibE_EEviT1_
		.amdhsa_group_segment_fixed_size 0
		.amdhsa_private_segment_fixed_size 0
		.amdhsa_kernarg_size 360
		.amdhsa_user_sgpr_count 6
		.amdhsa_user_sgpr_private_segment_buffer 1
		.amdhsa_user_sgpr_dispatch_ptr 0
		.amdhsa_user_sgpr_queue_ptr 0
		.amdhsa_user_sgpr_kernarg_segment_ptr 1
		.amdhsa_user_sgpr_dispatch_id 0
		.amdhsa_user_sgpr_flat_scratch_init 0
		.amdhsa_user_sgpr_private_segment_size 0
		.amdhsa_uses_dynamic_stack 0
		.amdhsa_system_sgpr_private_segment_wavefront_offset 0
		.amdhsa_system_sgpr_workgroup_id_x 1
		.amdhsa_system_sgpr_workgroup_id_y 0
		.amdhsa_system_sgpr_workgroup_id_z 0
		.amdhsa_system_sgpr_workgroup_info 0
		.amdhsa_system_vgpr_workitem_id 0
		.amdhsa_next_free_vgpr 41
		.amdhsa_next_free_sgpr 60
		.amdhsa_reserve_vcc 1
		.amdhsa_reserve_flat_scratch 0
		.amdhsa_float_round_mode_32 0
		.amdhsa_float_round_mode_16_64 0
		.amdhsa_float_denorm_mode_32 3
		.amdhsa_float_denorm_mode_16_64 3
		.amdhsa_dx10_clamp 1
		.amdhsa_ieee_mode 1
		.amdhsa_fp16_overflow 0
		.amdhsa_exception_fp_ieee_invalid_op 0
		.amdhsa_exception_fp_denorm_src 0
		.amdhsa_exception_fp_ieee_div_zero 0
		.amdhsa_exception_fp_ieee_overflow 0
		.amdhsa_exception_fp_ieee_underflow 0
		.amdhsa_exception_fp_ieee_inexact 0
		.amdhsa_exception_int_div_zero 0
	.end_amdhsa_kernel
	.section	.text._ZN2at6native32elementwise_kernel_manual_unrollILi128ELi8EZNS0_22gpu_kernel_impl_nocastIZZZNS0_18lgamma_kernel_cudaERNS_18TensorIteratorBaseEENKUlvE_clEvENKUlvE1_clEvEUlN3c104HalfEE_EEvS4_RKT_EUlibE_EEviT1_,"axG",@progbits,_ZN2at6native32elementwise_kernel_manual_unrollILi128ELi8EZNS0_22gpu_kernel_impl_nocastIZZZNS0_18lgamma_kernel_cudaERNS_18TensorIteratorBaseEENKUlvE_clEvENKUlvE1_clEvEUlN3c104HalfEE_EEvS4_RKT_EUlibE_EEviT1_,comdat
.Lfunc_end152:
	.size	_ZN2at6native32elementwise_kernel_manual_unrollILi128ELi8EZNS0_22gpu_kernel_impl_nocastIZZZNS0_18lgamma_kernel_cudaERNS_18TensorIteratorBaseEENKUlvE_clEvENKUlvE1_clEvEUlN3c104HalfEE_EEvS4_RKT_EUlibE_EEviT1_, .Lfunc_end152-_ZN2at6native32elementwise_kernel_manual_unrollILi128ELi8EZNS0_22gpu_kernel_impl_nocastIZZZNS0_18lgamma_kernel_cudaERNS_18TensorIteratorBaseEENKUlvE_clEvENKUlvE1_clEvEUlN3c104HalfEE_EEvS4_RKT_EUlibE_EEviT1_
                                        ; -- End function
	.set _ZN2at6native32elementwise_kernel_manual_unrollILi128ELi8EZNS0_22gpu_kernel_impl_nocastIZZZNS0_18lgamma_kernel_cudaERNS_18TensorIteratorBaseEENKUlvE_clEvENKUlvE1_clEvEUlN3c104HalfEE_EEvS4_RKT_EUlibE_EEviT1_.num_vgpr, 41
	.set _ZN2at6native32elementwise_kernel_manual_unrollILi128ELi8EZNS0_22gpu_kernel_impl_nocastIZZZNS0_18lgamma_kernel_cudaERNS_18TensorIteratorBaseEENKUlvE_clEvENKUlvE1_clEvEUlN3c104HalfEE_EEvS4_RKT_EUlibE_EEviT1_.num_agpr, 0
	.set _ZN2at6native32elementwise_kernel_manual_unrollILi128ELi8EZNS0_22gpu_kernel_impl_nocastIZZZNS0_18lgamma_kernel_cudaERNS_18TensorIteratorBaseEENKUlvE_clEvENKUlvE1_clEvEUlN3c104HalfEE_EEvS4_RKT_EUlibE_EEviT1_.numbered_sgpr, 60
	.set _ZN2at6native32elementwise_kernel_manual_unrollILi128ELi8EZNS0_22gpu_kernel_impl_nocastIZZZNS0_18lgamma_kernel_cudaERNS_18TensorIteratorBaseEENKUlvE_clEvENKUlvE1_clEvEUlN3c104HalfEE_EEvS4_RKT_EUlibE_EEviT1_.num_named_barrier, 0
	.set _ZN2at6native32elementwise_kernel_manual_unrollILi128ELi8EZNS0_22gpu_kernel_impl_nocastIZZZNS0_18lgamma_kernel_cudaERNS_18TensorIteratorBaseEENKUlvE_clEvENKUlvE1_clEvEUlN3c104HalfEE_EEvS4_RKT_EUlibE_EEviT1_.private_seg_size, 0
	.set _ZN2at6native32elementwise_kernel_manual_unrollILi128ELi8EZNS0_22gpu_kernel_impl_nocastIZZZNS0_18lgamma_kernel_cudaERNS_18TensorIteratorBaseEENKUlvE_clEvENKUlvE1_clEvEUlN3c104HalfEE_EEvS4_RKT_EUlibE_EEviT1_.uses_vcc, 1
	.set _ZN2at6native32elementwise_kernel_manual_unrollILi128ELi8EZNS0_22gpu_kernel_impl_nocastIZZZNS0_18lgamma_kernel_cudaERNS_18TensorIteratorBaseEENKUlvE_clEvENKUlvE1_clEvEUlN3c104HalfEE_EEvS4_RKT_EUlibE_EEviT1_.uses_flat_scratch, 0
	.set _ZN2at6native32elementwise_kernel_manual_unrollILi128ELi8EZNS0_22gpu_kernel_impl_nocastIZZZNS0_18lgamma_kernel_cudaERNS_18TensorIteratorBaseEENKUlvE_clEvENKUlvE1_clEvEUlN3c104HalfEE_EEvS4_RKT_EUlibE_EEviT1_.has_dyn_sized_stack, 0
	.set _ZN2at6native32elementwise_kernel_manual_unrollILi128ELi8EZNS0_22gpu_kernel_impl_nocastIZZZNS0_18lgamma_kernel_cudaERNS_18TensorIteratorBaseEENKUlvE_clEvENKUlvE1_clEvEUlN3c104HalfEE_EEvS4_RKT_EUlibE_EEviT1_.has_recursion, 0
	.set _ZN2at6native32elementwise_kernel_manual_unrollILi128ELi8EZNS0_22gpu_kernel_impl_nocastIZZZNS0_18lgamma_kernel_cudaERNS_18TensorIteratorBaseEENKUlvE_clEvENKUlvE1_clEvEUlN3c104HalfEE_EEvS4_RKT_EUlibE_EEviT1_.has_indirect_call, 0
	.section	.AMDGPU.csdata,"",@progbits
; Kernel info:
; codeLenInByte = 53236
; TotalNumSgprs: 64
; NumVgprs: 41
; ScratchSize: 0
; MemoryBound: 0
; FloatMode: 240
; IeeeMode: 1
; LDSByteSize: 0 bytes/workgroup (compile time only)
; SGPRBlocks: 7
; VGPRBlocks: 10
; NumSGPRsForWavesPerEU: 64
; NumVGPRsForWavesPerEU: 41
; Occupancy: 5
; WaveLimiterHint : 1
; COMPUTE_PGM_RSRC2:SCRATCH_EN: 0
; COMPUTE_PGM_RSRC2:USER_SGPR: 6
; COMPUTE_PGM_RSRC2:TRAP_HANDLER: 0
; COMPUTE_PGM_RSRC2:TGID_X_EN: 1
; COMPUTE_PGM_RSRC2:TGID_Y_EN: 0
; COMPUTE_PGM_RSRC2:TGID_Z_EN: 0
; COMPUTE_PGM_RSRC2:TIDIG_COMP_CNT: 0
	.section	.text._ZN2at6native32elementwise_kernel_manual_unrollILi128ELi4EZNS0_15gpu_kernel_implIZZZNS0_18lgamma_kernel_cudaERNS_18TensorIteratorBaseEENKUlvE_clEvENKUlvE1_clEvEUlN3c104HalfEE_EEvS4_RKT_EUlibE_EEviT1_,"axG",@progbits,_ZN2at6native32elementwise_kernel_manual_unrollILi128ELi4EZNS0_15gpu_kernel_implIZZZNS0_18lgamma_kernel_cudaERNS_18TensorIteratorBaseEENKUlvE_clEvENKUlvE1_clEvEUlN3c104HalfEE_EEvS4_RKT_EUlibE_EEviT1_,comdat
	.globl	_ZN2at6native32elementwise_kernel_manual_unrollILi128ELi4EZNS0_15gpu_kernel_implIZZZNS0_18lgamma_kernel_cudaERNS_18TensorIteratorBaseEENKUlvE_clEvENKUlvE1_clEvEUlN3c104HalfEE_EEvS4_RKT_EUlibE_EEviT1_ ; -- Begin function _ZN2at6native32elementwise_kernel_manual_unrollILi128ELi4EZNS0_15gpu_kernel_implIZZZNS0_18lgamma_kernel_cudaERNS_18TensorIteratorBaseEENKUlvE_clEvENKUlvE1_clEvEUlN3c104HalfEE_EEvS4_RKT_EUlibE_EEviT1_
	.p2align	8
	.type	_ZN2at6native32elementwise_kernel_manual_unrollILi128ELi4EZNS0_15gpu_kernel_implIZZZNS0_18lgamma_kernel_cudaERNS_18TensorIteratorBaseEENKUlvE_clEvENKUlvE1_clEvEUlN3c104HalfEE_EEvS4_RKT_EUlibE_EEviT1_,@function
_ZN2at6native32elementwise_kernel_manual_unrollILi128ELi4EZNS0_15gpu_kernel_implIZZZNS0_18lgamma_kernel_cudaERNS_18TensorIteratorBaseEENKUlvE_clEvENKUlvE1_clEvEUlN3c104HalfEE_EEvS4_RKT_EUlibE_EEviT1_: ; @_ZN2at6native32elementwise_kernel_manual_unrollILi128ELi4EZNS0_15gpu_kernel_implIZZZNS0_18lgamma_kernel_cudaERNS_18TensorIteratorBaseEENKUlvE_clEvENKUlvE1_clEvEUlN3c104HalfEE_EEvS4_RKT_EUlibE_EEviT1_
; %bb.0:
	v_mov_b32_e32 v1, 0
	global_load_ushort v1, v1, s[4:5] offset:33
	s_load_dwordx4 s[12:15], s[4:5], 0x8
	s_load_dwordx2 s[10:11], s[4:5], 0x18
	s_load_dword s38, s[4:5], 0x0
	v_lshl_or_b32 v2, s6, 9, v0
	v_or_b32_e32 v0, 0x180, v2
	s_mov_b64 s[8:9], 0
	s_mov_b64 s[16:17], 0
	s_waitcnt lgkmcnt(0)
	v_cmp_le_i32_e32 vcc, s38, v0
	s_waitcnt vmcnt(0)
	v_readfirstlane_b32 s33, v1
	s_and_b32 s0, 0xffff, s33
	s_lshr_b32 s42, s0, 8
	s_and_saveexec_b64 s[0:1], vcc
	s_xor_b64 s[4:5], exec, s[0:1]
	s_cbranch_execz .LBB153_1178
; %bb.1:
	v_cmp_gt_i32_e32 vcc, s38, v2
	s_mov_b64 s[2:3], -1
	s_mov_b64 s[22:23], 0
	s_mov_b64 s[6:7], 0
	s_and_saveexec_b64 s[18:19], vcc
	s_cbranch_execz .LBB153_289
; %bb.2:
	v_mul_lo_u32 v0, v2, s11
	v_mov_b32_e32 v1, s15
	s_and_b32 s20, 0xffff, s42
	s_cmp_lt_i32 s20, 11
	v_ashrrev_i32_e32 v3, 31, v0
	v_add_co_u32_e32 v0, vcc, s14, v0
	v_addc_co_u32_e32 v1, vcc, v1, v3, vcc
	s_cbranch_scc1 .LBB153_9
; %bb.3:
	s_cmp_gt_i32 s20, 25
	s_cbranch_scc0 .LBB153_56
; %bb.4:
	s_cmp_gt_i32 s20, 28
	s_cbranch_scc0 .LBB153_60
	;; [unrolled: 3-line block ×4, first 2 shown]
; %bb.7:
	s_cmp_eq_u32 s20, 46
	s_mov_b64 s[2:3], 0
	s_cbranch_scc0 .LBB153_65
; %bb.8:
	global_load_dword v3, v[0:1], off
	s_mov_b64 s[0:1], -1
	s_waitcnt vmcnt(0)
	v_lshlrev_b32_e32 v3, 16, v3
	v_cvt_f16_f32_e32 v3, v3
	s_branch .LBB153_67
.LBB153_9:
                                        ; implicit-def: $vgpr3
	s_mov_b64 s[0:1], 0
	s_and_b64 vcc, exec, s[2:3]
	s_cbranch_vccnz .LBB153_240
.LBB153_10:
	s_andn2_b64 vcc, exec, s[0:1]
	s_cbranch_vccnz .LBB153_287
.LBB153_11:
	s_waitcnt vmcnt(0)
	v_cvt_f32_f16_e32 v0, v3
	s_mov_b32 s0, 0x3c800000
                                        ; implicit-def: $vgpr4
	v_and_b32_e32 v1, 0x7fffffff, v0
	v_cmp_nlt_f32_e64 s[0:1], |v0|, s0
	s_and_saveexec_b64 s[2:3], s[0:1]
	s_xor_b64 s[2:3], exec, s[2:3]
	s_cbranch_execz .LBB153_41
; %bb.12:
	v_cmp_nlt_f32_e64 s[0:1], |v0|, 2.0
                                        ; implicit-def: $vgpr4
	s_and_saveexec_b64 s[6:7], s[0:1]
	s_xor_b64 s[6:7], exec, s[6:7]
	s_cbranch_execz .LBB153_22
; %bb.13:
	s_mov_b32 s0, 0x41000000
	v_cmp_nlt_f32_e64 s[0:1], |v0|, s0
                                        ; implicit-def: $vgpr4
	s_and_saveexec_b64 s[20:21], s[0:1]
	s_xor_b64 s[20:21], exec, s[20:21]
	s_cbranch_execz .LBB153_19
; %bb.14:
	s_mov_b32 s0, 0x5c800000
	v_cmp_nlt_f32_e64 s[0:1], |v0|, s0
                                        ; implicit-def: $vgpr4
	s_and_saveexec_b64 s[24:25], s[0:1]
	s_xor_b64 s[24:25], exec, s[24:25]
	s_cbranch_execz .LBB153_16
; %bb.15:
	s_mov_b32 s0, 0x800000
	v_cmp_lt_f32_e64 vcc, |v0|, s0
	v_cndmask_b32_e64 v4, 0, 32, vcc
	v_ldexp_f32 v4, |v0|, v4
	v_log_f32_e32 v4, v4
	s_mov_b32 s0, 0x3f317217
	s_mov_b32 s1, 0x7f800000
	v_mul_f32_e32 v5, 0x3f317217, v4
	v_fma_f32 v6, v4, s0, -v5
	v_fmac_f32_e32 v6, 0x3377d1cf, v4
	v_add_f32_e32 v5, v5, v6
	v_cmp_lt_f32_e64 s[0:1], |v4|, s1
	v_cndmask_b32_e64 v4, v4, v5, s[0:1]
	v_mov_b32_e32 v5, 0x41b17218
	v_cndmask_b32_e32 v5, 0, v5, vcc
	v_sub_f32_e32 v4, v4, v5
	v_fma_f32 v4, |v0|, v4, -|v0|
.LBB153_16:
	s_andn2_saveexec_b64 s[24:25], s[24:25]
	s_cbranch_execz .LBB153_18
; %bb.17:
	v_rcp_f32_e64 v5, |v0|
	v_mov_b32_e32 v4, 0x3a5b3dd2
	v_mov_b32_e32 v6, 0xba1c065c
	;; [unrolled: 1-line block ×3, first 2 shown]
	v_mul_f32_e32 v8, v5, v5
	v_fmac_f32_e32 v4, 0xbad5c4e8, v8
	v_fmac_f32_e32 v6, v8, v4
	s_mov_b32 s0, 0x800000
	v_fmac_f32_e32 v7, v8, v6
	v_mov_b32_e32 v4, 0xbb360b61
	v_cmp_lt_f32_e64 vcc, |v0|, s0
	v_fmac_f32_e32 v4, v8, v7
	v_cndmask_b32_e64 v7, 0, 32, vcc
	v_ldexp_f32 v7, |v0|, v7
	v_log_f32_e32 v7, v7
	v_mov_b32_e32 v6, 0x3daaaaab
	v_fmac_f32_e32 v6, v8, v4
	v_mov_b32_e32 v4, 0x3ed67f1d
	v_fmac_f32_e32 v4, v5, v6
	s_mov_b32 s0, 0x3f317217
	v_mul_f32_e32 v6, 0x3f317217, v7
	v_fma_f32 v8, v7, s0, -v6
	v_fmac_f32_e32 v8, 0x3377d1cf, v7
	s_mov_b32 s0, 0x7f800000
	v_add_f32_e32 v6, v6, v8
	v_cmp_lt_f32_e64 s[0:1], |v7|, s0
	v_cndmask_b32_e64 v6, v7, v6, s[0:1]
	v_mov_b32_e32 v7, 0x41b17218
	v_cndmask_b32_e32 v7, 0, v7, vcc
	v_sub_f32_e32 v6, v6, v7
	v_add_f32_e64 v5, |v0|, -0.5
	v_add_f32_e32 v6, -1.0, v6
	v_fmac_f32_e32 v4, v5, v6
.LBB153_18:
	s_or_b64 exec, exec, s[24:25]
.LBB153_19:
	s_andn2_saveexec_b64 s[20:21], s[20:21]
	s_cbranch_execz .LBB153_21
; %bb.20:
	v_cvt_i32_f32_e32 v4, v1
	v_mov_b32_e32 v5, 0x3af135b4
	v_mov_b32_e32 v6, 0x3cda40e4
	;; [unrolled: 1-line block ×3, first 2 shown]
	v_cvt_f32_i32_e32 v8, v4
	v_mov_b32_e32 v9, 0x3ea6cc7a
	v_mov_b32_e32 v10, 0x3e5c245a
	v_cmp_lt_i32_e32 vcc, 2, v4
	v_sub_f32_e64 v8, |v0|, v8
	v_fmac_f32_e32 v5, 0x3805ff67, v8
	v_fmac_f32_e32 v6, v8, v5
	;; [unrolled: 1-line block ×3, first 2 shown]
	v_mov_b32_e32 v6, 0x3a4beed6
	v_fmac_f32_e32 v9, v8, v7
	v_fmac_f32_e32 v6, 0x36f5d7bd, v8
	v_mov_b32_e32 v7, 0x3c98bf54
	v_fmac_f32_e32 v7, v8, v6
	v_mov_b32_e32 v6, 0x3e300f6e
	;; [unrolled: 2-line block ×4, first 2 shown]
	v_fmac_f32_e32 v6, v8, v7
	v_add_f32_e32 v7, 2.0, v8
	v_mov_b32_e32 v11, 0xbd9e233f
	v_fmac_f32_e32 v10, v8, v9
	v_add_f32_e32 v9, 0x40400000, v8
	v_cndmask_b32_e32 v7, 1.0, v7, vcc
	v_cmp_lt_i32_e32 vcc, 3, v4
	v_fmac_f32_e32 v11, v8, v10
	v_add_f32_e32 v10, 4.0, v8
	v_cndmask_b32_e32 v9, 1.0, v9, vcc
	v_cmp_lt_i32_e32 vcc, 4, v4
	v_mul_f32_e32 v5, v8, v11
	v_add_f32_e32 v11, 0x40a00000, v8
	v_mul_f32_e32 v7, v7, v9
	v_cndmask_b32_e32 v9, 1.0, v10, vcc
	v_cmp_lt_i32_e32 vcc, 5, v4
	v_add_f32_e32 v12, 0x40c00000, v8
	v_mul_f32_e32 v7, v9, v7
	v_cndmask_b32_e32 v9, 1.0, v11, vcc
	v_cmp_lt_i32_e32 vcc, 6, v4
	v_mul_f32_e32 v7, v9, v7
	v_cndmask_b32_e32 v4, 1.0, v12, vcc
	v_mul_f32_e32 v4, v4, v7
	s_mov_b32 s0, 0x800000
	v_cmp_gt_f32_e32 vcc, s0, v4
	v_cndmask_b32_e64 v7, 0, 32, vcc
	v_fma_f32 v6, v8, v6, 1.0
	v_ldexp_f32 v4, v4, v7
	v_rcp_f32_e32 v6, v6
	v_log_f32_e32 v4, v4
	s_mov_b32 s0, 0x3f317217
	v_mul_f32_e32 v5, v5, v6
	v_mul_f32_e32 v6, 0x3f317217, v4
	v_fma_f32 v7, v4, s0, -v6
	v_fmac_f32_e32 v7, 0x3377d1cf, v4
	s_mov_b32 s0, 0x7f800000
	v_add_f32_e32 v6, v6, v7
	v_cmp_lt_f32_e64 s[0:1], |v4|, s0
	v_cndmask_b32_e64 v4, v4, v6, s[0:1]
	v_mov_b32_e32 v6, 0x41b17218
	v_cndmask_b32_e32 v6, 0, v6, vcc
	v_fmac_f32_e32 v5, 0.5, v8
	v_sub_f32_e32 v4, v4, v6
	v_add_f32_e32 v4, v4, v5
.LBB153_21:
	s_or_b64 exec, exec, s[20:21]
.LBB153_22:
	s_andn2_saveexec_b64 s[6:7], s[6:7]
	s_cbranch_execz .LBB153_40
; %bb.23:
	s_mov_b32 s0, 0x3f666666
	v_cmp_le_f32_e64 s[0:1], |v0|, s0
                                        ; implicit-def: $vgpr4
                                        ; implicit-def: $vgpr6
                                        ; implicit-def: $vgpr5
	s_and_saveexec_b64 s[20:21], s[0:1]
	s_xor_b64 s[20:21], exec, s[20:21]
	s_cbranch_execz .LBB153_25
; %bb.24:
	s_mov_b32 s0, 0x800000
	v_cmp_lt_f32_e64 vcc, |v0|, s0
	v_cndmask_b32_e64 v4, 0, 32, vcc
	v_ldexp_f32 v4, |v0|, v4
	v_log_f32_e32 v4, v4
	s_mov_b32 s0, 0x3f317217
	s_mov_b32 s1, 0x7f800000
	v_mul_f32_e32 v5, 0x3f317217, v4
	v_fma_f32 v6, v4, s0, -v5
	v_fmac_f32_e32 v6, 0x3377d1cf, v4
	v_add_f32_e32 v5, v5, v6
	v_cmp_lt_f32_e64 s[0:1], |v4|, s1
	v_cndmask_b32_e64 v4, v4, v5, s[0:1]
	v_mov_b32_e32 v5, 0x41b17218
	v_cndmask_b32_e32 v5, 0, v5, vcc
	s_mov_b32 s0, 0x3f3b4a23
	s_mov_b32 s1, 0xbeec5b0c
	v_sub_f32_e32 v4, v4, v5
	v_sub_f32_e64 v5, 1.0, |v0|
	v_add_f32_e64 v6, |v0|, s1
	v_cmp_lt_f32_e64 vcc, |v0|, s0
	s_mov_b32 s0, 0x3e6d3309
	v_cndmask_b32_e32 v5, v5, v6, vcc
	v_cndmask_b32_e64 v6, 0, 1, vcc
	v_cmp_lt_f32_e64 s[0:1], |v0|, s0
	v_xor_b32_e32 v4, 0x80000000, v4
	v_cndmask_b32_e64 v5, v5, |v0|, s[0:1]
	v_cndmask_b32_e64 v6, v6, 2, s[0:1]
.LBB153_25:
	s_andn2_saveexec_b64 s[0:1], s[20:21]
	s_cbranch_execz .LBB153_27
; %bb.26:
	s_mov_b32 s20, 0x3fdda512
	s_mov_b32 s21, 0xbfbb16c3
	v_sub_f32_e64 v4, 2.0, |v0|
	v_add_f32_e64 v5, |v0|, s21
	v_cmp_lt_f32_e64 vcc, |v0|, s20
	v_cndmask_b32_e32 v5, v4, v5, vcc
	v_cndmask_b32_e64 v4, v4, 1.0, vcc
	v_cvt_i32_f32_e32 v4, v4
	s_mov_b32 s20, 0x3f9d70a4
	v_add_f32_e64 v6, |v0|, -1.0
	v_cmp_lt_f32_e64 vcc, |v0|, s20
	v_cndmask_b32_e32 v5, v5, v6, vcc
	v_cndmask_b32_e64 v6, v4, 2, vcc
	v_mov_b32_e32 v4, 0
.LBB153_27:
	s_or_b64 exec, exec, s[0:1]
	v_cmp_lt_i32_e32 vcc, 0, v6
	s_and_saveexec_b64 s[0:1], vcc
	s_xor_b64 s[0:1], exec, s[0:1]
	s_cbranch_execz .LBB153_35
; %bb.28:
	v_cmp_lt_i32_e32 vcc, 1, v6
	s_and_saveexec_b64 s[20:21], vcc
	s_xor_b64 s[20:21], exec, s[20:21]
	s_cbranch_execz .LBB153_32
; %bb.29:
	v_cmp_eq_u32_e32 vcc, 2, v6
	s_and_saveexec_b64 s[24:25], vcc
	s_cbranch_execz .LBB153_31
; %bb.30:
	v_mov_b32_e32 v6, 0x3e6a7578
	v_fmac_f32_e32 v6, 0x3c5b3c5e, v5
	v_mov_b32_e32 v7, 0x3f7a4bb2
	v_fmac_f32_e32 v7, v5, v6
	;; [unrolled: 2-line block ×8, first 2 shown]
	v_fma_f32 v6, v5, v8, 1.0
	v_rcp_f32_e32 v6, v6
	v_mov_b32_e32 v8, 0xbd9e233f
	v_fmac_f32_e32 v8, v5, v7
	v_mul_f32_e32 v7, v5, v8
	v_mul_f32_e32 v6, v7, v6
	v_fmac_f32_e32 v6, -0.5, v5
	v_add_f32_e32 v4, v4, v6
.LBB153_31:
	s_or_b64 exec, exec, s[24:25]
                                        ; implicit-def: $vgpr5
.LBB153_32:
	s_andn2_saveexec_b64 s[20:21], s[20:21]
	s_cbranch_execz .LBB153_34
; %bb.33:
	v_mul_f32_e32 v6, v5, v5
	v_mul_f32_e32 v7, v5, v6
	v_mov_b32_e32 v8, 0xbab7f476
	v_fmac_f32_e32 v8, 0x39a57b6b, v7
	v_mov_b32_e32 v9, 0x3bc7e707
	v_fmac_f32_e32 v9, v7, v8
	;; [unrolled: 2-line block ×12, first 2 shown]
	v_fmac_f32_e32 v10, v5, v11
	s_mov_b32 s24, 0xa2863e55
	v_fma_f32 v5, v7, -v10, s24
	v_fma_f32 v5, v6, v9, -v5
	v_add_f32_e32 v5, 0xbdf8cdce, v5
	v_add_f32_e32 v4, v4, v5
.LBB153_34:
	s_or_b64 exec, exec, s[20:21]
                                        ; implicit-def: $vgpr6
                                        ; implicit-def: $vgpr5
.LBB153_35:
	s_andn2_saveexec_b64 s[0:1], s[0:1]
	s_cbranch_execz .LBB153_39
; %bb.36:
	v_cmp_eq_u32_e32 vcc, 0, v6
	s_and_saveexec_b64 s[20:21], vcc
	s_cbranch_execz .LBB153_38
; %bb.37:
	v_mul_f32_e32 v6, v5, v5
	v_mov_b32_e32 v7, 0x39679767
	v_fmac_f32_e32 v7, 0x37d383a2, v6
	v_mov_b32_e32 v8, 0x3a9c54a1
	v_fmac_f32_e32 v8, v6, v7
	;; [unrolled: 2-line block ×10, first 2 shown]
	v_mul_f32_e32 v6, v6, v8
	v_fmac_f32_e32 v6, v5, v7
	v_fmac_f32_e32 v6, -0.5, v5
	v_add_f32_e32 v4, v4, v6
.LBB153_38:
	s_or_b64 exec, exec, s[20:21]
.LBB153_39:
	s_or_b64 exec, exec, s[0:1]
.LBB153_40:
	s_or_b64 exec, exec, s[6:7]
.LBB153_41:
	s_andn2_saveexec_b64 s[2:3], s[2:3]
	s_cbranch_execz .LBB153_43
; %bb.42:
	s_mov_b32 s0, 0x3e8a8991
	v_mov_b32_e32 v4, 0xbecd26ab
	v_fma_f32 v4, |v0|, s0, v4
	s_mov_b32 s0, 0x3f528d33
	v_fma_f32 v4, |v0|, v4, s0
	s_mov_b32 s0, 0x800000
	v_cmp_lt_f32_e64 vcc, |v0|, s0
	v_cndmask_b32_e64 v5, 0, 32, vcc
	v_ldexp_f32 v5, |v0|, v5
	v_log_f32_e32 v5, v5
	s_mov_b32 s0, 0xbf13c468
	v_fma_f32 v4, |v0|, v4, s0
	s_mov_b32 s0, 0x3f317217
	v_mul_f32_e32 v6, 0x3f317217, v5
	v_fma_f32 v7, v5, s0, -v6
	v_fmac_f32_e32 v7, 0x3377d1cf, v5
	s_mov_b32 s0, 0x7f800000
	v_add_f32_e32 v6, v6, v7
	v_cmp_lt_f32_e64 s[0:1], |v5|, s0
	v_cndmask_b32_e64 v5, v5, v6, s[0:1]
	v_mov_b32_e32 v6, 0x41b17218
	v_cndmask_b32_e32 v6, 0, v6, vcc
	v_sub_f32_e32 v5, v5, v6
	v_fma_f32 v4, |v0|, v4, -v5
.LBB153_43:
	s_or_b64 exec, exec, s[2:3]
	v_cmp_le_f16_e32 vcc, 0, v3
	v_cmp_nle_f16_e64 s[0:1], 0, v3
	s_and_saveexec_b64 s[2:3], s[0:1]
	s_xor_b64 s[6:7], exec, s[2:3]
	s_cbranch_execz .LBB153_47
; %bb.44:
	s_mov_b32 s0, 0x4b000000
	s_mov_b32 s2, 0x35000000
	v_cmp_lt_f32_e64 s[0:1], |v0|, s0
	v_cmp_gt_f32_e64 s[2:3], |v0|, s2
	s_and_b64 s[0:1], s[0:1], s[2:3]
	s_and_saveexec_b64 s[20:21], s[0:1]
	s_cbranch_execz .LBB153_46
; %bb.45:
	v_mul_f32_e64 v5, |v0|, 0.5
	v_floor_f32_e32 v6, v5
	v_sub_f32_e32 v6, v5, v6
	v_min_f32_e32 v6, 0x3f7fffff, v6
	s_mov_b32 s2, 0x7f800000
	v_add_f32_e32 v6, v6, v6
	v_cmp_neq_f32_e64 s[0:1], s2, v5
	v_cndmask_b32_e64 v5, 0, v6, s[0:1]
	v_cmp_gt_f32_e64 s[0:1], |v0|, 1.0
	v_cndmask_b32_e64 v5, |v0|, v5, s[0:1]
	v_add_f32_e32 v6, v5, v5
	v_rndne_f32_e32 v6, v6
	v_fmac_f32_e32 v5, -0.5, v6
	v_mul_f32_e32 v7, v5, v5
	v_mov_b32_e32 v8, 0xbf1f24be
	v_fmac_f32_e32 v8, 0x3e75aa41, v7
	v_mov_b32_e32 v9, 0x40234736
	v_fmac_f32_e32 v9, v7, v8
	;; [unrolled: 2-line block ×3, first 2 shown]
	v_mul_f32_e32 v9, v5, v7
	v_mul_f32_e32 v8, v9, v8
	v_fmac_f32_e32 v8, 0x40490fdb, v5
	v_mov_b32_e32 v5, 0x3e642e9d
	v_cvt_i32_f32_e32 v6, v6
	v_fmac_f32_e32 v5, 0x3d4be544, v7
	v_mov_b32_e32 v9, 0xbfaad1da
	v_fmac_f32_e32 v9, v7, v5
	v_mov_b32_e32 v5, 0x4081e0d3
	;; [unrolled: 2-line block ×3, first 2 shown]
	v_fmac_f32_e32 v9, v7, v5
	v_fma_f32 v5, v7, v9, 1.0
	v_and_b32_e32 v7, 1, v6
	v_lshlrev_b32_e32 v6, 30, v6
	v_cmp_eq_u32_e64 s[0:1], 0, v7
	v_and_b32_e32 v6, 0x80000000, v6
	v_xor_b32_e32 v1, v1, v0
	v_cndmask_b32_e64 v5, v5, v8, s[0:1]
	v_xor_b32_e32 v1, v1, v6
	v_xor_b32_e32 v1, v1, v5
	v_mul_f32_e32 v1, v0, v1
	v_frexp_mant_f32_e64 v5, |v1|
	v_rcp_f32_e32 v5, v5
	v_frexp_exp_i32_f32_e32 v1, v1
	v_sub_u32_e32 v1, 2, v1
	s_mov_b32 s0, 0x800000
	v_mul_f32_e32 v5, 0x3f490fdb, v5
	v_ldexp_f32 v1, v5, v1
	v_cmp_gt_f32_e64 s[0:1], s0, v1
	v_cndmask_b32_e64 v5, 0, 32, s[0:1]
	v_ldexp_f32 v1, v1, v5
	v_log_f32_e32 v1, v1
	s_mov_b32 s3, 0x3f317217
	v_mul_f32_e32 v5, 0x3f317217, v1
	v_fma_f32 v6, v1, s3, -v5
	v_fmac_f32_e32 v6, 0x3377d1cf, v1
	v_add_f32_e32 v5, v5, v6
	v_cmp_lt_f32_e64 s[2:3], |v1|, s2
	v_cndmask_b32_e64 v1, v1, v5, s[2:3]
	v_mov_b32_e32 v5, 0x41b17218
	v_cndmask_b32_e64 v5, 0, v5, s[0:1]
	v_sub_f32_e32 v1, v1, v5
	v_sub_f32_e32 v1, v1, v4
	v_floor_f32_e32 v4, v0
	v_sub_f32_e32 v4, v0, v4
	v_min_f32_e32 v4, 0x3f7fffff, v4
	v_mov_b32_e32 v5, 0x7f800000
	v_cmp_neq_f32_e64 s[0:1], 0, v4
	v_cndmask_b32_e64 v4, v5, v1, s[0:1]
.LBB153_46:
	s_or_b64 exec, exec, s[20:21]
.LBB153_47:
	s_andn2_saveexec_b64 s[6:7], s[6:7]
; %bb.48:
	v_cmp_eq_f16_e64 s[0:1], 1.0, v3
	v_cmp_eq_f16_e64 s[2:3], 2.0, v3
	s_or_b64 s[0:1], s[0:1], s[2:3]
	v_cndmask_b32_e64 v4, v4, 0, s[0:1]
; %bb.49:
	s_or_b64 exec, exec, s[6:7]
	v_cvt_f16_f32_e32 v4, v4
	s_mov_b32 s0, 0x4b000000
	v_cmp_lt_f32_e64 s[0:1], |v0|, s0
	v_mul_lo_u32 v6, v2, s10
	v_mov_b32_e32 v1, 0x264
	v_mov_b32_e32 v5, 0x7c00
	s_or_b64 vcc, vcc, s[0:1]
	v_cndmask_b32_e32 v4, v5, v4, vcc
	v_cmp_class_f32_e32 vcc, v0, v1
	v_cndmask_b32_e32 v0, v4, v5, vcc
	v_cmp_u_f16_e32 vcc, v3, v3
	v_cndmask_b32_e32 v3, v0, v3, vcc
	v_ashrrev_i32_e32 v1, 31, v6
	v_mov_b32_e32 v4, s13
	s_and_b32 s24, s33, 0xff
	v_add_co_u32_e32 v0, vcc, s12, v6
	s_cmp_lt_i32 s24, 11
	v_addc_co_u32_e32 v1, vcc, v4, v1, vcc
	s_cbranch_scc1 .LBB153_57
; %bb.50:
	s_and_b32 s25, 0xffff, s24
	s_cmp_gt_i32 s25, 25
	s_cbranch_scc0 .LBB153_61
; %bb.51:
	s_cmp_gt_i32 s25, 28
	s_cbranch_scc0 .LBB153_63
; %bb.52:
	;; [unrolled: 3-line block ×4, first 2 shown]
	s_mov_b64 s[6:7], 0
	s_mov_b64 s[0:1], -1
	s_cmp_eq_u32 s25, 46
	s_mov_b64 s[2:3], 0
	s_cbranch_scc0 .LBB153_71
; %bb.55:
	v_cvt_f32_f16_e32 v4, v3
	s_movk_i32 s0, 0x7fff
	v_cmp_o_f16_e32 vcc, v3, v3
	v_mov_b32_e32 v5, 0x7fc0
	v_bfe_u32 v6, v4, 16, 1
	v_add3_u32 v4, v4, v6, s0
	v_cndmask_b32_sdwa v4, v5, v4, vcc dst_sel:DWORD dst_unused:UNUSED_PAD src0_sel:DWORD src1_sel:WORD_1
	global_store_dword v[0:1], v4, off
	s_mov_b64 s[2:3], -1
	s_mov_b64 s[0:1], 0
	s_branch .LBB153_71
.LBB153_56:
	s_mov_b64 s[0:1], 0
                                        ; implicit-def: $vgpr3
	s_and_b64 vcc, exec, s[2:3]
	s_cbranch_vccnz .LBB153_205
	s_branch .LBB153_239
.LBB153_57:
	s_mov_b64 s[0:1], 0
	s_mov_b64 s[2:3], 0
	s_cbranch_execnz .LBB153_140
.LBB153_58:
	s_andn2_b64 vcc, exec, s[2:3]
	s_cbranch_vccnz .LBB153_178
.LBB153_59:
	v_add_u32_e32 v2, 0x80, v2
	s_mov_b64 s[2:3], -1
	s_branch .LBB153_288
.LBB153_60:
	s_mov_b64 s[0:1], 0
                                        ; implicit-def: $vgpr3
	s_branch .LBB153_186
.LBB153_61:
	s_mov_b64 s[6:7], -1
	s_mov_b64 s[0:1], 0
	s_mov_b64 s[2:3], 0
	s_branch .LBB153_98
.LBB153_62:
	s_mov_b64 s[0:1], 0
                                        ; implicit-def: $vgpr3
	s_branch .LBB153_181
.LBB153_63:
	s_mov_b64 s[6:7], -1
	s_mov_b64 s[0:1], 0
	s_mov_b64 s[2:3], 0
	s_branch .LBB153_81
.LBB153_64:
	s_mov_b64 s[6:7], -1
	s_mov_b64 s[0:1], 0
	s_mov_b64 s[2:3], 0
	s_branch .LBB153_77
.LBB153_65:
	s_mov_b64 s[16:17], -1
.LBB153_66:
	s_mov_b64 s[0:1], 0
                                        ; implicit-def: $vgpr3
.LBB153_67:
	s_and_b64 vcc, exec, s[2:3]
	s_cbranch_vccz .LBB153_180
; %bb.68:
	s_cmp_eq_u32 s20, 44
	s_cbranch_scc0 .LBB153_179
; %bb.69:
	global_load_ubyte v3, v[0:1], off
	s_movk_i32 s2, 0xff
	v_mov_b32_e32 v5, 0x7e00
	s_mov_b64 s[0:1], -1
	s_mov_b64 s[16:17], 0
	s_waitcnt vmcnt(0)
	v_lshlrev_b32_e32 v4, 23, v3
	v_cvt_f16_f32_e32 v4, v4
	v_cmp_ne_u32_e32 vcc, s2, v3
	v_cndmask_b32_e32 v4, v5, v4, vcc
	v_cmp_ne_u32_e32 vcc, 0, v3
	v_cndmask_b32_e32 v3, 0, v4, vcc
	s_branch .LBB153_180
.LBB153_70:
	s_mov_b64 s[6:7], -1
	s_mov_b64 s[0:1], 0
	s_mov_b64 s[2:3], 0
.LBB153_71:
	s_and_b64 vcc, exec, s[6:7]
	s_cbranch_vccz .LBB153_76
; %bb.72:
	s_cmp_eq_u32 s25, 44
	s_mov_b64 s[0:1], -1
	s_cbranch_scc0 .LBB153_76
; %bb.73:
	v_cvt_f32_f16_e32 v4, v3
	s_movk_i32 s0, 0xff
	v_mov_b32_e32 v6, 0xff
	v_bfe_u32 v5, v4, 23, 8
	v_cmp_ne_u32_e32 vcc, s0, v5
	s_and_saveexec_b64 s[2:3], vcc
; %bb.74:
	s_mov_b32 s0, 0x3fffff
	v_lshrrev_b32_e32 v6, 23, v4
	v_and_b32_e32 v7, 0x400000, v4
	v_and_or_b32 v4, v4, s0, v5
	v_cmp_ne_u32_e32 vcc, 0, v7
	v_cmp_ne_u32_e64 s[0:1], 0, v4
	s_and_b64 s[0:1], vcc, s[0:1]
	v_cndmask_b32_e64 v4, 0, 1, s[0:1]
	v_add_u32_e32 v6, v6, v4
; %bb.75:
	s_or_b64 exec, exec, s[2:3]
	s_mov_b64 s[2:3], -1
	s_mov_b64 s[0:1], 0
	global_store_byte v[0:1], v6, off
.LBB153_76:
	s_mov_b64 s[6:7], 0
.LBB153_77:
	s_and_b64 vcc, exec, s[6:7]
	s_cbranch_vccz .LBB153_80
; %bb.78:
	s_cmp_eq_u32 s25, 29
	s_mov_b64 s[0:1], -1
	s_cbranch_scc0 .LBB153_80
; %bb.79:
	v_cvt_f32_f16_e32 v4, v3
	v_mov_b32_e32 v5, 0
	s_mov_b64 s[2:3], -1
	s_mov_b64 s[0:1], 0
	v_cvt_u32_f32_e32 v4, v4
	s_mov_b64 s[6:7], 0
	global_store_dwordx2 v[0:1], v[4:5], off
	s_branch .LBB153_81
.LBB153_80:
	s_mov_b64 s[6:7], 0
.LBB153_81:
	s_and_b64 vcc, exec, s[6:7]
	s_cbranch_vccz .LBB153_97
; %bb.82:
	s_cmp_lt_i32 s25, 27
	s_mov_b64 s[2:3], -1
	s_cbranch_scc1 .LBB153_88
; %bb.83:
	s_cmp_gt_i32 s25, 27
	s_cbranch_scc0 .LBB153_85
; %bb.84:
	v_cvt_f32_f16_e32 v4, v3
	s_mov_b64 s[2:3], 0
	v_cvt_u32_f32_e32 v4, v4
	global_store_dword v[0:1], v4, off
.LBB153_85:
	s_andn2_b64 vcc, exec, s[2:3]
	s_cbranch_vccnz .LBB153_87
; %bb.86:
	v_cvt_u16_f16_e32 v4, v3
	global_store_short v[0:1], v4, off
.LBB153_87:
	s_mov_b64 s[2:3], 0
.LBB153_88:
	s_andn2_b64 vcc, exec, s[2:3]
	s_cbranch_vccnz .LBB153_96
; %bb.89:
	v_cvt_f32_f16_e32 v4, v3
	s_mov_b32 s2, 0x43800000
	v_mov_b32_e32 v6, 0x80
	v_and_b32_e32 v5, 0x7fffffff, v4
	v_cmp_gt_u32_e32 vcc, s2, v5
	s_and_saveexec_b64 s[2:3], vcc
	s_cbranch_execz .LBB153_95
; %bb.90:
	s_mov_b32 s6, 0x3bffffff
	v_cmp_lt_u32_e32 vcc, s6, v5
	s_mov_b64 s[6:7], 0
                                        ; implicit-def: $vgpr5
	s_and_saveexec_b64 s[20:21], vcc
	s_xor_b64 s[20:21], exec, s[20:21]
	s_cbranch_execz .LBB153_354
; %bb.91:
	v_bfe_u32 v5, v4, 20, 1
	s_mov_b32 s26, 0x487ffff
	v_add3_u32 v5, v4, v5, s26
	s_mov_b64 s[6:7], exec
	v_lshrrev_b32_e32 v5, 20, v5
	s_andn2_saveexec_b64 s[20:21], s[20:21]
	s_cbranch_execnz .LBB153_355
.LBB153_92:
	s_or_b64 exec, exec, s[20:21]
	v_mov_b32_e32 v6, 0
	s_and_saveexec_b64 s[20:21], s[6:7]
.LBB153_93:
	v_lshrrev_b32_e32 v4, 24, v4
	s_movk_i32 s6, 0x80
	v_and_or_b32 v6, v4, s6, v5
.LBB153_94:
	s_or_b64 exec, exec, s[20:21]
.LBB153_95:
	s_or_b64 exec, exec, s[2:3]
	global_store_byte v[0:1], v6, off
.LBB153_96:
	s_mov_b64 s[2:3], -1
.LBB153_97:
	s_mov_b64 s[6:7], 0
.LBB153_98:
	s_and_b64 vcc, exec, s[6:7]
	s_cbranch_vccz .LBB153_139
; %bb.99:
	s_cmp_gt_i32 s25, 22
	s_mov_b64 s[6:7], -1
	s_cbranch_scc0 .LBB153_131
; %bb.100:
	s_cmp_lt_i32 s25, 24
	s_mov_b64 s[2:3], -1
	s_cbranch_scc1 .LBB153_120
; %bb.101:
	s_cmp_gt_i32 s25, 24
	s_cbranch_scc0 .LBB153_109
; %bb.102:
	v_cvt_f32_f16_e32 v4, v3
	s_mov_b32 s2, 0x47800000
	v_mov_b32_e32 v6, 0x80
	v_and_b32_e32 v5, 0x7fffffff, v4
	v_cmp_gt_u32_e32 vcc, s2, v5
	s_and_saveexec_b64 s[2:3], vcc
	s_cbranch_execz .LBB153_108
; %bb.103:
	s_mov_b32 s6, 0x37ffffff
	v_cmp_lt_u32_e32 vcc, s6, v5
	s_mov_b64 s[6:7], 0
                                        ; implicit-def: $vgpr5
	s_and_saveexec_b64 s[20:21], vcc
	s_xor_b64 s[20:21], exec, s[20:21]
	s_cbranch_execz .LBB153_358
; %bb.104:
	v_bfe_u32 v5, v4, 21, 1
	s_mov_b32 s26, 0x88fffff
	v_add3_u32 v5, v4, v5, s26
	s_mov_b64 s[6:7], exec
	v_lshrrev_b32_e32 v5, 21, v5
	s_andn2_saveexec_b64 s[20:21], s[20:21]
	s_cbranch_execnz .LBB153_359
.LBB153_105:
	s_or_b64 exec, exec, s[20:21]
	v_mov_b32_e32 v6, 0
	s_and_saveexec_b64 s[20:21], s[6:7]
.LBB153_106:
	v_lshrrev_b32_e32 v4, 24, v4
	s_movk_i32 s6, 0x80
	v_and_or_b32 v6, v4, s6, v5
.LBB153_107:
	s_or_b64 exec, exec, s[20:21]
.LBB153_108:
	s_or_b64 exec, exec, s[2:3]
	s_mov_b64 s[2:3], 0
	global_store_byte v[0:1], v6, off
.LBB153_109:
	s_and_b64 vcc, exec, s[2:3]
	s_cbranch_vccz .LBB153_119
; %bb.110:
	v_cvt_f32_f16_e32 v4, v3
	s_mov_b32 s2, 0x43f00000
                                        ; implicit-def: $vgpr5
	v_and_b32_e32 v6, 0x7fffffff, v4
	v_cmp_gt_u32_e32 vcc, s2, v6
	s_and_saveexec_b64 s[2:3], vcc
	s_xor_b64 s[2:3], exec, s[2:3]
	s_cbranch_execz .LBB153_116
; %bb.111:
	s_mov_b32 s6, 0x3c7fffff
	v_cmp_lt_u32_e32 vcc, s6, v6
                                        ; implicit-def: $vgpr5
	s_and_saveexec_b64 s[6:7], vcc
	s_xor_b64 s[6:7], exec, s[6:7]
; %bb.112:
	v_bfe_u32 v5, v4, 20, 1
	s_mov_b32 s20, 0x407ffff
	v_add3_u32 v5, v4, v5, s20
	v_lshrrev_b32_e32 v6, 20, v5
	v_and_b32_e32 v5, 0xff00000, v5
	s_mov_b32 s20, 0x7f00000
	v_mov_b32_e32 v7, 0x7e
	v_cmp_ne_u32_e32 vcc, s20, v5
	v_cndmask_b32_e32 v5, v7, v6, vcc
; %bb.113:
	s_andn2_saveexec_b64 s[6:7], s[6:7]
; %bb.114:
	s_mov_b32 s20, 0x46800000
	v_add_f32_e64 v5, |v4|, s20
; %bb.115:
	s_or_b64 exec, exec, s[6:7]
                                        ; implicit-def: $vgpr6
.LBB153_116:
	s_andn2_saveexec_b64 s[2:3], s[2:3]
; %bb.117:
	s_mov_b32 s6, 0x7f800000
	v_mov_b32_e32 v5, 0x7e
	v_mov_b32_e32 v7, 0x7f
	v_cmp_lt_u32_e32 vcc, s6, v6
	v_cndmask_b32_e32 v5, v5, v7, vcc
; %bb.118:
	s_or_b64 exec, exec, s[2:3]
	v_lshrrev_b32_e32 v4, 24, v4
	s_movk_i32 s2, 0x80
	v_and_or_b32 v4, v4, s2, v5
	global_store_byte v[0:1], v4, off
.LBB153_119:
	s_mov_b64 s[2:3], 0
.LBB153_120:
	s_andn2_b64 vcc, exec, s[2:3]
	s_cbranch_vccnz .LBB153_130
; %bb.121:
	v_cvt_f32_f16_e32 v4, v3
	s_mov_b32 s2, 0x47800000
                                        ; implicit-def: $vgpr5
	v_and_b32_e32 v6, 0x7fffffff, v4
	v_cmp_gt_u32_e32 vcc, s2, v6
	s_and_saveexec_b64 s[2:3], vcc
	s_xor_b64 s[2:3], exec, s[2:3]
	s_cbranch_execz .LBB153_127
; %bb.122:
	s_mov_b32 s6, 0x387fffff
	v_cmp_lt_u32_e32 vcc, s6, v6
                                        ; implicit-def: $vgpr5
	s_and_saveexec_b64 s[6:7], vcc
	s_xor_b64 s[6:7], exec, s[6:7]
; %bb.123:
	v_bfe_u32 v5, v4, 21, 1
	s_mov_b32 s20, 0x80fffff
	v_add3_u32 v5, v4, v5, s20
	v_lshrrev_b32_e32 v5, 21, v5
; %bb.124:
	s_andn2_saveexec_b64 s[6:7], s[6:7]
; %bb.125:
	s_mov_b32 s20, 0x43000000
	v_add_f32_e64 v5, |v4|, s20
; %bb.126:
	s_or_b64 exec, exec, s[6:7]
                                        ; implicit-def: $vgpr6
.LBB153_127:
	s_andn2_saveexec_b64 s[2:3], s[2:3]
; %bb.128:
	s_mov_b32 s6, 0x7f800000
	v_mov_b32_e32 v5, 0x7c
	v_mov_b32_e32 v7, 0x7f
	v_cmp_lt_u32_e32 vcc, s6, v6
	v_cndmask_b32_e32 v5, v5, v7, vcc
; %bb.129:
	s_or_b64 exec, exec, s[2:3]
	v_lshrrev_b32_e32 v4, 24, v4
	s_movk_i32 s2, 0x80
	v_and_or_b32 v4, v4, s2, v5
	global_store_byte v[0:1], v4, off
.LBB153_130:
	s_mov_b64 s[6:7], 0
	s_mov_b64 s[2:3], -1
.LBB153_131:
	s_andn2_b64 vcc, exec, s[6:7]
	s_cbranch_vccnz .LBB153_139
; %bb.132:
	s_cmp_gt_i32 s25, 14
	s_mov_b64 s[6:7], -1
	s_cbranch_scc0 .LBB153_136
; %bb.133:
	s_cmp_eq_u32 s25, 15
	s_mov_b64 s[0:1], -1
	s_cbranch_scc0 .LBB153_135
; %bb.134:
	v_cvt_f32_f16_e32 v4, v3
	s_movk_i32 s0, 0x7fff
	v_cmp_o_f16_e32 vcc, v3, v3
	v_mov_b32_e32 v5, 0x7fc0
	v_bfe_u32 v6, v4, 16, 1
	v_add3_u32 v4, v4, v6, s0
	v_cndmask_b32_sdwa v4, v5, v4, vcc dst_sel:DWORD dst_unused:UNUSED_PAD src0_sel:DWORD src1_sel:WORD_1
	global_store_short v[0:1], v4, off
	s_mov_b64 s[2:3], -1
	s_mov_b64 s[0:1], 0
.LBB153_135:
	s_mov_b64 s[6:7], 0
.LBB153_136:
	s_and_b64 vcc, exec, s[6:7]
	s_cbranch_vccz .LBB153_139
; %bb.137:
	s_cmp_eq_u32 s25, 11
	s_mov_b64 s[0:1], -1
	s_cbranch_scc0 .LBB153_139
; %bb.138:
	v_cmp_neq_f16_e32 vcc, 0, v3
	v_cndmask_b32_e64 v4, 0, 1, vcc
	s_mov_b64 s[2:3], -1
	s_mov_b64 s[0:1], 0
	global_store_byte v[0:1], v4, off
.LBB153_139:
	s_branch .LBB153_58
.LBB153_140:
	s_and_b32 s6, 0xffff, s24
	s_cmp_lt_i32 s6, 5
	s_mov_b64 s[2:3], -1
	s_cbranch_scc1 .LBB153_161
; %bb.141:
	s_cmp_lt_i32 s6, 8
	s_cbranch_scc1 .LBB153_151
; %bb.142:
	s_cmp_lt_i32 s6, 9
	s_cbranch_scc1 .LBB153_148
; %bb.143:
	s_cmp_gt_i32 s6, 9
	s_cbranch_scc0 .LBB153_145
; %bb.144:
	v_cvt_f32_f16_e32 v4, v3
	v_mov_b32_e32 v6, 0
	v_mov_b32_e32 v7, v6
	s_mov_b64 s[2:3], 0
	v_cvt_f64_f32_e32 v[4:5], v4
	global_store_dwordx4 v[0:1], v[4:7], off
.LBB153_145:
	s_andn2_b64 vcc, exec, s[2:3]
	s_cbranch_vccnz .LBB153_147
; %bb.146:
	v_cvt_f32_f16_e32 v4, v3
	v_mov_b32_e32 v5, 0
	global_store_dwordx2 v[0:1], v[4:5], off
.LBB153_147:
	s_mov_b64 s[2:3], 0
.LBB153_148:
	s_andn2_b64 vcc, exec, s[2:3]
	s_cbranch_vccnz .LBB153_150
; %bb.149:
	v_and_b32_e32 v4, 0xffff, v3
	global_store_dword v[0:1], v4, off
.LBB153_150:
	s_mov_b64 s[2:3], 0
.LBB153_151:
	s_andn2_b64 vcc, exec, s[2:3]
	s_cbranch_vccnz .LBB153_160
; %bb.152:
	s_cmp_lt_i32 s6, 6
	s_mov_b64 s[2:3], -1
	s_cbranch_scc1 .LBB153_158
; %bb.153:
	s_cmp_gt_i32 s6, 6
	s_cbranch_scc0 .LBB153_155
; %bb.154:
	v_cvt_f32_f16_e32 v4, v3
	s_mov_b64 s[2:3], 0
	v_cvt_f64_f32_e32 v[4:5], v4
	global_store_dwordx2 v[0:1], v[4:5], off
.LBB153_155:
	s_andn2_b64 vcc, exec, s[2:3]
	s_cbranch_vccnz .LBB153_157
; %bb.156:
	v_cvt_f32_f16_e32 v4, v3
	global_store_dword v[0:1], v4, off
.LBB153_157:
	s_mov_b64 s[2:3], 0
.LBB153_158:
	s_andn2_b64 vcc, exec, s[2:3]
	s_cbranch_vccnz .LBB153_160
; %bb.159:
	global_store_short v[0:1], v3, off
.LBB153_160:
	s_mov_b64 s[2:3], 0
.LBB153_161:
	s_andn2_b64 vcc, exec, s[2:3]
	s_cbranch_vccnz .LBB153_177
; %bb.162:
	s_cmp_lt_i32 s6, 2
	s_mov_b64 s[2:3], -1
	s_cbranch_scc1 .LBB153_172
; %bb.163:
	s_cmp_lt_i32 s6, 3
	s_cbranch_scc1 .LBB153_169
; %bb.164:
	s_cmp_gt_i32 s6, 3
	s_cbranch_scc0 .LBB153_166
; %bb.165:
	v_cvt_f32_f16_e32 v4, v3
	s_mov_b64 s[2:3], 0
	v_cvt_i32_f32_e32 v4, v4
	v_ashrrev_i32_e32 v5, 31, v4
	global_store_dwordx2 v[0:1], v[4:5], off
.LBB153_166:
	s_andn2_b64 vcc, exec, s[2:3]
	s_cbranch_vccnz .LBB153_168
; %bb.167:
	v_cvt_f32_f16_e32 v4, v3
	v_cvt_i32_f32_e32 v4, v4
	global_store_dword v[0:1], v4, off
.LBB153_168:
	s_mov_b64 s[2:3], 0
.LBB153_169:
	s_andn2_b64 vcc, exec, s[2:3]
	s_cbranch_vccnz .LBB153_171
; %bb.170:
	v_cvt_i16_f16_e32 v4, v3
	global_store_short v[0:1], v4, off
.LBB153_171:
	s_mov_b64 s[2:3], 0
.LBB153_172:
	s_andn2_b64 vcc, exec, s[2:3]
	s_cbranch_vccnz .LBB153_177
; %bb.173:
	s_cmp_gt_i32 s6, 0
	s_mov_b64 s[2:3], -1
	s_cbranch_scc0 .LBB153_175
; %bb.174:
	v_cvt_i16_f16_e32 v4, v3
	global_store_byte v[0:1], v4, off
	s_mov_b64 s[2:3], 0
.LBB153_175:
	s_andn2_b64 vcc, exec, s[2:3]
	s_cbranch_vccnz .LBB153_177
; %bb.176:
	v_cvt_f32_f16_e32 v3, v3
	v_cvt_i32_f32_e32 v3, v3
	global_store_byte v[0:1], v3, off
.LBB153_177:
	s_branch .LBB153_59
.LBB153_178:
	s_mov_b64 s[2:3], 0
                                        ; implicit-def: $vgpr2
	s_branch .LBB153_288
.LBB153_179:
	s_mov_b64 s[16:17], -1
                                        ; implicit-def: $vgpr3
.LBB153_180:
	s_mov_b64 s[2:3], 0
.LBB153_181:
	s_and_b64 vcc, exec, s[2:3]
	s_cbranch_vccz .LBB153_185
; %bb.182:
	s_cmp_eq_u32 s20, 29
	s_cbranch_scc0 .LBB153_184
; %bb.183:
	global_load_dwordx2 v[3:4], v[0:1], off
	s_mov_b64 s[0:1], -1
	s_mov_b64 s[16:17], 0
	s_mov_b64 s[2:3], 0
	s_waitcnt vmcnt(0)
	v_ffbh_u32_e32 v5, v4
	v_min_u32_e32 v5, 32, v5
	v_lshlrev_b64 v[3:4], v5, v[3:4]
	v_min_u32_e32 v3, 1, v3
	v_or_b32_e32 v3, v4, v3
	v_cvt_f32_u32_e32 v3, v3
	v_sub_u32_e32 v4, 32, v5
	v_ldexp_f32 v3, v3, v4
	v_cvt_f16_f32_e32 v3, v3
	s_branch .LBB153_186
.LBB153_184:
	s_mov_b64 s[16:17], -1
                                        ; implicit-def: $vgpr3
.LBB153_185:
	s_mov_b64 s[2:3], 0
.LBB153_186:
	s_and_b64 vcc, exec, s[2:3]
	s_cbranch_vccz .LBB153_204
; %bb.187:
	s_cmp_lt_i32 s20, 27
	s_cbranch_scc1 .LBB153_190
; %bb.188:
	s_cmp_gt_i32 s20, 27
	s_cbranch_scc0 .LBB153_191
; %bb.189:
	global_load_dword v3, v[0:1], off
	s_mov_b64 s[0:1], 0
	s_waitcnt vmcnt(0)
	v_cvt_f32_u32_e32 v3, v3
	v_cvt_f16_f32_e32 v3, v3
	s_branch .LBB153_192
.LBB153_190:
	s_mov_b64 s[0:1], -1
                                        ; implicit-def: $vgpr3
	s_branch .LBB153_195
.LBB153_191:
	s_mov_b64 s[0:1], -1
                                        ; implicit-def: $vgpr3
.LBB153_192:
	s_andn2_b64 vcc, exec, s[0:1]
	s_cbranch_vccnz .LBB153_194
; %bb.193:
	global_load_ushort v3, v[0:1], off
	s_waitcnt vmcnt(0)
	v_cvt_f16_u16_e32 v3, v3
.LBB153_194:
	s_mov_b64 s[0:1], 0
.LBB153_195:
	s_andn2_b64 vcc, exec, s[0:1]
	s_cbranch_vccnz .LBB153_203
; %bb.196:
	global_load_ubyte v4, v[0:1], off
	s_movk_i32 s0, 0x7f
	s_waitcnt vmcnt(0)
	v_cmp_lt_i16_e32 vcc, s0, v4
	s_mov_b64 s[0:1], 0
	s_and_saveexec_b64 s[2:3], vcc
	s_xor_b64 s[2:3], exec, s[2:3]
	s_cbranch_execz .LBB153_216
; %bb.197:
	s_movk_i32 s0, 0x80
	v_cmp_eq_u16_e32 vcc, s0, v4
	s_mov_b64 s[0:1], -1
	s_and_saveexec_b64 s[6:7], vcc
; %bb.198:
	s_xor_b64 s[0:1], exec, -1
; %bb.199:
	s_or_b64 exec, exec, s[6:7]
	s_and_b64 s[0:1], s[0:1], exec
	s_or_saveexec_b64 s[2:3], s[2:3]
	v_mov_b32_e32 v3, 0x7e00
	s_xor_b64 exec, exec, s[2:3]
	s_cbranch_execnz .LBB153_217
.LBB153_200:
	s_or_b64 exec, exec, s[2:3]
	s_and_saveexec_b64 s[2:3], s[0:1]
	s_cbranch_execz .LBB153_202
.LBB153_201:
	v_lshlrev_b32_e32 v3, 24, v4
	v_and_b32_e32 v4, 0xffff, v4
	v_and_b32_e32 v5, 7, v4
	v_ffbh_u32_e32 v7, v5
	v_min_u32_e32 v7, 32, v7
	v_subrev_u32_e32 v8, 28, v7
	v_bfe_u32 v6, v4, 3, 4
	v_lshlrev_b32_e32 v4, v8, v4
	v_sub_u32_e32 v7, 29, v7
	v_and_b32_e32 v4, 7, v4
	v_cmp_eq_u32_e32 vcc, 0, v6
	v_cndmask_b32_e32 v6, v6, v7, vcc
	v_cndmask_b32_e32 v4, v5, v4, vcc
	v_mov_b32_e32 v5, 0x3b800000
	v_lshlrev_b32_e32 v4, 20, v4
	v_and_b32_e32 v3, 0x80000000, v3
	v_lshl_add_u32 v5, v6, 23, v5
	v_or3_b32 v3, v3, v5, v4
	v_cvt_f16_f32_e32 v3, v3
.LBB153_202:
	s_or_b64 exec, exec, s[2:3]
.LBB153_203:
	s_mov_b64 s[0:1], -1
.LBB153_204:
	s_branch .LBB153_239
.LBB153_205:
	s_cmp_gt_i32 s20, 22
	s_cbranch_scc0 .LBB153_215
; %bb.206:
	s_cmp_lt_i32 s20, 24
	s_cbranch_scc1 .LBB153_218
; %bb.207:
	s_cmp_gt_i32 s20, 24
	s_cbranch_scc0 .LBB153_219
; %bb.208:
	global_load_ubyte v4, v[0:1], off
	s_movk_i32 s0, 0x7f
	s_waitcnt vmcnt(0)
	v_cmp_lt_i16_e32 vcc, s0, v4
	s_mov_b64 s[0:1], 0
	s_and_saveexec_b64 s[2:3], vcc
	s_xor_b64 s[2:3], exec, s[2:3]
	s_cbranch_execz .LBB153_231
; %bb.209:
	s_movk_i32 s0, 0x80
	v_cmp_eq_u16_e32 vcc, s0, v4
	s_mov_b64 s[0:1], -1
	s_and_saveexec_b64 s[6:7], vcc
; %bb.210:
	s_xor_b64 s[0:1], exec, -1
; %bb.211:
	s_or_b64 exec, exec, s[6:7]
	s_and_b64 s[0:1], s[0:1], exec
	s_or_saveexec_b64 s[2:3], s[2:3]
	v_mov_b32_e32 v3, 0x7e00
	s_xor_b64 exec, exec, s[2:3]
	s_cbranch_execnz .LBB153_232
.LBB153_212:
	s_or_b64 exec, exec, s[2:3]
	s_and_saveexec_b64 s[2:3], s[0:1]
	s_cbranch_execz .LBB153_214
.LBB153_213:
	v_lshlrev_b32_e32 v3, 24, v4
	v_and_b32_e32 v4, 0xffff, v4
	v_and_b32_e32 v5, 3, v4
	v_ffbh_u32_e32 v7, v5
	v_min_u32_e32 v7, 32, v7
	v_subrev_u32_e32 v8, 29, v7
	v_bfe_u32 v6, v4, 2, 5
	v_lshlrev_b32_e32 v4, v8, v4
	v_sub_u32_e32 v7, 30, v7
	v_and_b32_e32 v4, 3, v4
	v_cmp_eq_u32_e32 vcc, 0, v6
	v_cndmask_b32_e32 v6, v6, v7, vcc
	v_cndmask_b32_e32 v4, v5, v4, vcc
	v_mov_b32_e32 v5, 0x37800000
	v_lshlrev_b32_e32 v4, 21, v4
	v_and_b32_e32 v3, 0x80000000, v3
	v_lshl_add_u32 v5, v6, 23, v5
	v_or3_b32 v3, v3, v5, v4
	v_cvt_f16_f32_e32 v3, v3
.LBB153_214:
	s_or_b64 exec, exec, s[2:3]
	s_mov_b64 s[0:1], 0
	s_branch .LBB153_220
.LBB153_215:
	s_mov_b64 s[2:3], -1
                                        ; implicit-def: $vgpr3
	s_branch .LBB153_226
.LBB153_216:
	s_or_saveexec_b64 s[2:3], s[2:3]
	v_mov_b32_e32 v3, 0x7e00
	s_xor_b64 exec, exec, s[2:3]
	s_cbranch_execz .LBB153_200
.LBB153_217:
	v_cmp_ne_u16_e32 vcc, 0, v4
	s_andn2_b64 s[0:1], s[0:1], exec
	s_and_b64 s[6:7], vcc, exec
	s_or_b64 s[0:1], s[0:1], s[6:7]
	v_mov_b32_e32 v3, v4
	s_or_b64 exec, exec, s[2:3]
	s_and_saveexec_b64 s[2:3], s[0:1]
	s_cbranch_execnz .LBB153_201
	s_branch .LBB153_202
.LBB153_218:
	s_mov_b64 s[0:1], -1
                                        ; implicit-def: $vgpr3
	s_branch .LBB153_223
.LBB153_219:
	s_mov_b64 s[0:1], -1
                                        ; implicit-def: $vgpr3
.LBB153_220:
	s_and_b64 vcc, exec, s[0:1]
	s_cbranch_vccz .LBB153_222
; %bb.221:
	global_load_ubyte v3, v[0:1], off
	s_mov_b32 s0, 0x7f800000
	s_waitcnt vmcnt(0)
	v_lshlrev_b32_e32 v3, 24, v3
	v_and_b32_e32 v4, 0x7f000000, v3
	v_ffbh_u32_e32 v5, v4
	v_min_u32_e32 v5, 32, v5
	v_sub_u32_e64 v5, v5, 4 clamp
	v_lshlrev_b32_e32 v7, v5, v4
	v_lshlrev_b32_e32 v5, 23, v5
	v_lshrrev_b32_e32 v7, 4, v7
	v_add_u32_e32 v6, 0x1000000, v4
	v_sub_u32_e32 v5, v7, v5
	v_ashrrev_i32_e32 v6, 8, v6
	v_add_u32_e32 v5, 0x3c000000, v5
	v_and_or_b32 v5, v6, s0, v5
	v_cmp_ne_u32_e32 vcc, 0, v4
	v_cndmask_b32_e32 v4, 0, v5, vcc
	s_brev_b32 s0, 1
	v_and_or_b32 v3, v3, s0, v4
	v_cvt_f16_f32_e32 v3, v3
.LBB153_222:
	s_mov_b64 s[0:1], 0
.LBB153_223:
	s_andn2_b64 vcc, exec, s[0:1]
	s_cbranch_vccnz .LBB153_225
; %bb.224:
	global_load_ubyte v3, v[0:1], off
	s_movk_i32 s0, 0x7f00
	s_brev_b32 s1, 16
	s_waitcnt vmcnt(0)
	v_lshlrev_b16_e32 v4, 8, v3
	v_lshlrev_b32_e32 v3, 25, v3
	v_lshrrev_b32_e32 v5, 4, v3
	v_and_or_b32 v6, v4, s0, 0.5
	v_or_b32_e32 v5, 0x70000000, v5
	v_add_f32_e32 v6, -0.5, v6
	v_mul_f32_e32 v5, 0x7800000, v5
	v_cmp_gt_u32_e32 vcc, s1, v3
	v_bfe_i32 v4, v4, 0, 16
	v_cndmask_b32_e32 v3, v5, v6, vcc
	s_brev_b32 s0, 1
	v_and_or_b32 v3, v4, s0, v3
	v_cvt_f16_f32_e32 v3, v3
.LBB153_225:
	s_mov_b64 s[2:3], 0
	s_mov_b64 s[0:1], -1
.LBB153_226:
	s_andn2_b64 vcc, exec, s[2:3]
	s_cbranch_vccnz .LBB153_239
; %bb.227:
	s_cmp_gt_i32 s20, 14
	s_cbranch_scc0 .LBB153_230
; %bb.228:
	s_cmp_eq_u32 s20, 15
	s_cbranch_scc0 .LBB153_233
; %bb.229:
	global_load_ushort v3, v[0:1], off
	s_mov_b64 s[0:1], -1
	s_mov_b64 s[16:17], 0
	s_waitcnt vmcnt(0)
	v_lshlrev_b32_e32 v3, 16, v3
	v_cvt_f16_f32_e32 v3, v3
	s_branch .LBB153_234
.LBB153_230:
	s_mov_b64 s[2:3], -1
                                        ; implicit-def: $vgpr3
	s_branch .LBB153_235
.LBB153_231:
	s_or_saveexec_b64 s[2:3], s[2:3]
	v_mov_b32_e32 v3, 0x7e00
	s_xor_b64 exec, exec, s[2:3]
	s_cbranch_execz .LBB153_212
.LBB153_232:
	v_cmp_ne_u16_e32 vcc, 0, v4
	s_andn2_b64 s[0:1], s[0:1], exec
	s_and_b64 s[6:7], vcc, exec
	s_or_b64 s[0:1], s[0:1], s[6:7]
	v_mov_b32_e32 v3, v4
	s_or_b64 exec, exec, s[2:3]
	s_and_saveexec_b64 s[2:3], s[0:1]
	s_cbranch_execnz .LBB153_213
	s_branch .LBB153_214
.LBB153_233:
	s_mov_b64 s[16:17], -1
                                        ; implicit-def: $vgpr3
.LBB153_234:
	s_mov_b64 s[2:3], 0
.LBB153_235:
	s_and_b64 vcc, exec, s[2:3]
	s_cbranch_vccz .LBB153_239
; %bb.236:
	s_cmp_eq_u32 s20, 11
	s_cbranch_scc0 .LBB153_238
; %bb.237:
	global_load_ubyte v3, v[0:1], off
	v_mov_b32_e32 v4, 0x3c00
	s_mov_b64 s[0:1], -1
	s_mov_b64 s[16:17], 0
	s_waitcnt vmcnt(0)
	v_cmp_ne_u16_e32 vcc, 0, v3
	v_cndmask_b32_e32 v3, 0, v4, vcc
	s_branch .LBB153_239
.LBB153_238:
	s_mov_b64 s[16:17], -1
                                        ; implicit-def: $vgpr3
.LBB153_239:
	s_branch .LBB153_10
.LBB153_240:
	s_cmp_lt_i32 s20, 5
	s_cbranch_scc1 .LBB153_245
; %bb.241:
	s_cmp_lt_i32 s20, 8
	s_cbranch_scc1 .LBB153_246
; %bb.242:
	s_cmp_lt_i32 s20, 9
	s_cbranch_scc1 .LBB153_247
; %bb.243:
	s_cmp_gt_i32 s20, 9
	s_cbranch_scc0 .LBB153_248
; %bb.244:
	global_load_dwordx2 v[3:4], v[0:1], off
	s_movk_i32 s0, 0x1ff
	s_movk_i32 s1, 0xffe
	v_mov_b32_e32 v5, 0x7c00
	v_mov_b32_e32 v6, 0x7e00
	s_movk_i32 s2, 0x40f
	s_mov_b32 s3, 0x8000
	s_waitcnt vmcnt(0)
	v_and_or_b32 v3, v4, s0, v3
	v_cmp_ne_u32_e32 vcc, 0, v3
	v_lshrrev_b32_e32 v7, 8, v4
	v_bfe_u32 v8, v4, 20, 11
	v_cndmask_b32_e64 v3, 0, 1, vcc
	v_sub_u32_e32 v9, 0x3f1, v8
	v_and_or_b32 v3, v7, s1, v3
	v_add_u32_e32 v8, 0xfffffc10, v8
	v_med3_i32 v7, v9, 0, 13
	v_or_b32_e32 v9, 0x1000, v3
	v_cmp_ne_u32_e32 vcc, 0, v3
	v_lshl_or_b32 v10, v8, 12, v3
	v_cndmask_b32_e32 v3, v5, v6, vcc
	v_lshrrev_b32_e32 v6, v7, v9
	v_lshlrev_b32_e32 v7, v7, v6
	v_cmp_ne_u32_e32 vcc, v7, v9
	v_cndmask_b32_e64 v7, 0, 1, vcc
	v_or_b32_e32 v6, v6, v7
	v_cmp_gt_i32_e32 vcc, 1, v8
	v_cndmask_b32_e32 v6, v10, v6, vcc
	v_and_b32_e32 v7, 7, v6
	v_cmp_lt_i32_e32 vcc, 5, v7
	v_cndmask_b32_e64 v9, 0, 1, vcc
	v_cmp_eq_u32_e32 vcc, 3, v7
	v_cndmask_b32_e64 v7, 0, 1, vcc
	v_lshrrev_b32_e32 v6, 2, v6
	v_or_b32_e32 v7, v7, v9
	v_add_u32_e32 v6, v6, v7
	v_cmp_gt_i32_e32 vcc, 31, v8
	v_cndmask_b32_e32 v5, v5, v6, vcc
	v_cmp_eq_u32_e32 vcc, s2, v8
	v_lshrrev_b32_e32 v4, 16, v4
	v_cndmask_b32_e32 v3, v5, v3, vcc
	v_and_or_b32 v3, v4, s3, v3
	s_mov_b64 s[0:1], 0
	s_branch .LBB153_249
.LBB153_245:
                                        ; implicit-def: $vgpr3
	s_branch .LBB153_267
.LBB153_246:
	s_mov_b64 s[0:1], -1
                                        ; implicit-def: $vgpr3
	s_branch .LBB153_255
.LBB153_247:
	s_mov_b64 s[0:1], -1
                                        ; implicit-def: $vgpr3
	s_branch .LBB153_252
.LBB153_248:
	s_mov_b64 s[0:1], -1
                                        ; implicit-def: $vgpr3
.LBB153_249:
	s_andn2_b64 vcc, exec, s[0:1]
	s_cbranch_vccnz .LBB153_251
; %bb.250:
	global_load_dword v3, v[0:1], off
	s_waitcnt vmcnt(0)
	v_cvt_f16_f32_e32 v3, v3
.LBB153_251:
	s_mov_b64 s[0:1], 0
.LBB153_252:
	s_andn2_b64 vcc, exec, s[0:1]
	s_cbranch_vccnz .LBB153_254
; %bb.253:
	global_load_dword v3, v[0:1], off
.LBB153_254:
	s_mov_b64 s[0:1], 0
.LBB153_255:
	s_andn2_b64 vcc, exec, s[0:1]
	s_cbranch_vccnz .LBB153_266
; %bb.256:
	s_cmp_lt_i32 s20, 6
	s_cbranch_scc1 .LBB153_259
; %bb.257:
	s_cmp_gt_i32 s20, 6
	s_cbranch_scc0 .LBB153_260
; %bb.258:
	global_load_dwordx2 v[3:4], v[0:1], off
	s_movk_i32 s0, 0x1ff
	s_movk_i32 s1, 0xffe
	v_mov_b32_e32 v5, 0x7c00
	v_mov_b32_e32 v6, 0x7e00
	s_movk_i32 s2, 0x40f
	s_mov_b32 s3, 0x8000
	s_waitcnt vmcnt(0)
	v_and_or_b32 v3, v4, s0, v3
	v_cmp_ne_u32_e32 vcc, 0, v3
	v_lshrrev_b32_e32 v7, 8, v4
	v_bfe_u32 v8, v4, 20, 11
	v_cndmask_b32_e64 v3, 0, 1, vcc
	v_sub_u32_e32 v9, 0x3f1, v8
	v_and_or_b32 v3, v7, s1, v3
	v_add_u32_e32 v8, 0xfffffc10, v8
	v_med3_i32 v7, v9, 0, 13
	v_or_b32_e32 v9, 0x1000, v3
	v_cmp_ne_u32_e32 vcc, 0, v3
	v_lshl_or_b32 v10, v8, 12, v3
	v_cndmask_b32_e32 v3, v5, v6, vcc
	v_lshrrev_b32_e32 v6, v7, v9
	v_lshlrev_b32_e32 v7, v7, v6
	v_cmp_ne_u32_e32 vcc, v7, v9
	v_cndmask_b32_e64 v7, 0, 1, vcc
	v_or_b32_e32 v6, v6, v7
	v_cmp_gt_i32_e32 vcc, 1, v8
	v_cndmask_b32_e32 v6, v10, v6, vcc
	v_and_b32_e32 v7, 7, v6
	v_cmp_lt_i32_e32 vcc, 5, v7
	v_cndmask_b32_e64 v9, 0, 1, vcc
	v_cmp_eq_u32_e32 vcc, 3, v7
	v_cndmask_b32_e64 v7, 0, 1, vcc
	v_lshrrev_b32_e32 v6, 2, v6
	v_or_b32_e32 v7, v7, v9
	v_add_u32_e32 v6, v6, v7
	v_cmp_gt_i32_e32 vcc, 31, v8
	v_cndmask_b32_e32 v5, v5, v6, vcc
	v_cmp_eq_u32_e32 vcc, s2, v8
	v_lshrrev_b32_e32 v4, 16, v4
	v_cndmask_b32_e32 v3, v5, v3, vcc
	v_and_or_b32 v3, v4, s3, v3
	s_mov_b64 s[0:1], 0
	s_branch .LBB153_261
.LBB153_259:
	s_mov_b64 s[0:1], -1
                                        ; implicit-def: $vgpr3
	s_branch .LBB153_264
.LBB153_260:
	s_mov_b64 s[0:1], -1
                                        ; implicit-def: $vgpr3
.LBB153_261:
	s_andn2_b64 vcc, exec, s[0:1]
	s_cbranch_vccnz .LBB153_263
; %bb.262:
	global_load_dword v3, v[0:1], off
	s_waitcnt vmcnt(0)
	v_cvt_f16_f32_e32 v3, v3
.LBB153_263:
	s_mov_b64 s[0:1], 0
.LBB153_264:
	s_andn2_b64 vcc, exec, s[0:1]
	s_cbranch_vccnz .LBB153_266
; %bb.265:
	global_load_ushort v3, v[0:1], off
.LBB153_266:
	s_cbranch_execnz .LBB153_286
.LBB153_267:
	s_cmp_lt_i32 s20, 2
	s_cbranch_scc1 .LBB153_271
; %bb.268:
	s_cmp_lt_i32 s20, 3
	s_cbranch_scc1 .LBB153_272
; %bb.269:
	s_cmp_gt_i32 s20, 3
	s_cbranch_scc0 .LBB153_273
; %bb.270:
	global_load_dwordx2 v[3:4], v[0:1], off
	s_mov_b64 s[0:1], 0
	s_waitcnt vmcnt(0)
	v_xor_b32_e32 v6, v3, v4
	v_ffbh_i32_e32 v5, v4
	v_ashrrev_i32_e32 v6, 31, v6
	v_add_u32_e32 v5, -1, v5
	v_add_u32_e32 v6, 32, v6
	v_min_u32_e32 v5, v5, v6
	v_lshlrev_b64 v[3:4], v5, v[3:4]
	v_min_u32_e32 v3, 1, v3
	v_or_b32_e32 v3, v4, v3
	v_cvt_f32_i32_e32 v3, v3
	v_sub_u32_e32 v4, 32, v5
	v_ldexp_f32 v3, v3, v4
	v_cvt_f16_f32_e32 v3, v3
	s_branch .LBB153_274
.LBB153_271:
	s_mov_b64 s[0:1], -1
                                        ; implicit-def: $vgpr3
	s_branch .LBB153_280
.LBB153_272:
	s_mov_b64 s[0:1], -1
                                        ; implicit-def: $vgpr3
	s_branch .LBB153_277
.LBB153_273:
	s_mov_b64 s[0:1], -1
                                        ; implicit-def: $vgpr3
.LBB153_274:
	s_andn2_b64 vcc, exec, s[0:1]
	s_cbranch_vccnz .LBB153_276
; %bb.275:
	global_load_dword v3, v[0:1], off
	s_waitcnt vmcnt(0)
	v_cvt_f32_i32_e32 v3, v3
	v_cvt_f16_f32_e32 v3, v3
.LBB153_276:
	s_mov_b64 s[0:1], 0
.LBB153_277:
	s_andn2_b64 vcc, exec, s[0:1]
	s_cbranch_vccnz .LBB153_279
; %bb.278:
	global_load_ushort v3, v[0:1], off
	s_waitcnt vmcnt(0)
	v_cvt_f16_i16_e32 v3, v3
.LBB153_279:
	s_mov_b64 s[0:1], 0
.LBB153_280:
	s_andn2_b64 vcc, exec, s[0:1]
	s_cbranch_vccnz .LBB153_286
; %bb.281:
	s_cmp_gt_i32 s20, 0
	s_cbranch_scc0 .LBB153_283
; %bb.282:
	global_load_sbyte v3, v[0:1], off
	s_mov_b64 s[0:1], 0
	s_waitcnt vmcnt(0)
	v_cvt_f16_i16_e32 v3, v3
	s_branch .LBB153_284
.LBB153_283:
	s_mov_b64 s[0:1], -1
                                        ; implicit-def: $vgpr3
.LBB153_284:
	s_andn2_b64 vcc, exec, s[0:1]
	s_cbranch_vccnz .LBB153_286
; %bb.285:
	global_load_ubyte v0, v[0:1], off
	s_waitcnt vmcnt(0)
	v_cvt_f16_u16_e32 v3, v0
.LBB153_286:
	s_branch .LBB153_11
.LBB153_287:
	s_mov_b64 s[0:1], 0
                                        ; implicit-def: $vgpr2
	s_mov_b64 s[2:3], 0
.LBB153_288:
	s_and_b64 s[6:7], s[0:1], exec
	s_and_b64 s[16:17], s[16:17], exec
	s_orn2_b64 s[2:3], s[2:3], exec
.LBB153_289:
	s_or_b64 exec, exec, s[18:19]
	s_mov_b64 s[24:25], 0
	s_mov_b64 s[0:1], 0
                                        ; implicit-def: $vgpr0_vgpr1
                                        ; implicit-def: $vgpr3
	s_and_saveexec_b64 s[18:19], s[2:3]
	s_cbranch_execz .LBB153_298
; %bb.290:
	v_cmp_gt_i32_e32 vcc, s38, v2
	s_mov_b64 s[0:1], -1
	s_mov_b64 s[20:21], s[16:17]
	s_mov_b64 s[22:23], s[6:7]
	s_and_saveexec_b64 s[24:25], vcc
	s_cbranch_execz .LBB153_588
; %bb.291:
	v_mul_lo_u32 v0, v2, s11
	v_mov_b32_e32 v1, s15
	s_and_b32 s26, 0xffff, s42
	s_cmp_lt_i32 s26, 11
	s_waitcnt vmcnt(0)
	v_ashrrev_i32_e32 v3, 31, v0
	v_add_co_u32_e32 v0, vcc, s14, v0
	v_addc_co_u32_e32 v1, vcc, v1, v3, vcc
	s_cbranch_scc1 .LBB153_301
; %bb.292:
	s_cmp_gt_i32 s26, 25
	s_cbranch_scc0 .LBB153_348
; %bb.293:
	s_cmp_gt_i32 s26, 28
	s_cbranch_scc0 .LBB153_350
	;; [unrolled: 3-line block ×4, first 2 shown]
; %bb.296:
	s_cmp_eq_u32 s26, 46
	s_mov_b64 s[2:3], 0
	s_cbranch_scc0 .LBB153_360
; %bb.297:
	global_load_dword v3, v[0:1], off
	s_mov_b64 s[20:21], 0
	s_waitcnt vmcnt(0)
	v_lshlrev_b32_e32 v3, 16, v3
	v_cvt_f16_f32_e32 v3, v3
	s_branch .LBB153_361
.LBB153_298:
	s_or_b64 exec, exec, s[18:19]
	s_mov_b64 s[18:19], 0
	s_and_saveexec_b64 s[2:3], s[16:17]
	s_cbranch_execnz .LBB153_972
.LBB153_299:
	s_or_b64 exec, exec, s[2:3]
	s_and_saveexec_b64 s[2:3], s[22:23]
	s_xor_b64 s[2:3], exec, s[2:3]
	s_cbranch_execz .LBB153_973
.LBB153_300:
	global_load_ubyte v3, v[0:1], off
	v_mov_b32_e32 v4, 0x3c00
	s_or_b64 s[0:1], s[0:1], exec
	s_waitcnt vmcnt(0)
	v_cmp_ne_u16_e32 vcc, 0, v3
	v_cndmask_b32_e32 v3, 0, v4, vcc
	s_or_b64 exec, exec, s[2:3]
	s_and_saveexec_b64 s[2:3], s[24:25]
	s_cbranch_execz .LBB153_1019
	s_branch .LBB153_974
.LBB153_301:
	s_mov_b64 s[0:1], 0
                                        ; implicit-def: $vgpr3
	s_mov_b64 s[20:21], s[16:17]
	s_cbranch_execnz .LBB153_538
.LBB153_302:
	s_andn2_b64 vcc, exec, s[0:1]
	s_cbranch_vccnz .LBB153_586
.LBB153_303:
	s_waitcnt vmcnt(0)
	v_cvt_f32_f16_e32 v0, v3
	s_mov_b32 s0, 0x3c800000
                                        ; implicit-def: $vgpr4
	v_and_b32_e32 v1, 0x7fffffff, v0
	v_cmp_nlt_f32_e64 s[0:1], |v0|, s0
	s_and_saveexec_b64 s[2:3], s[0:1]
	s_xor_b64 s[2:3], exec, s[2:3]
	s_cbranch_execz .LBB153_333
; %bb.304:
	v_cmp_nlt_f32_e64 s[0:1], |v0|, 2.0
                                        ; implicit-def: $vgpr4
	s_and_saveexec_b64 s[22:23], s[0:1]
	s_xor_b64 s[22:23], exec, s[22:23]
	s_cbranch_execz .LBB153_314
; %bb.305:
	s_mov_b32 s0, 0x41000000
	v_cmp_nlt_f32_e64 s[0:1], |v0|, s0
                                        ; implicit-def: $vgpr4
	s_and_saveexec_b64 s[26:27], s[0:1]
	s_xor_b64 s[26:27], exec, s[26:27]
	s_cbranch_execz .LBB153_311
; %bb.306:
	s_mov_b32 s0, 0x5c800000
	v_cmp_nlt_f32_e64 s[0:1], |v0|, s0
                                        ; implicit-def: $vgpr4
	s_and_saveexec_b64 s[28:29], s[0:1]
	s_xor_b64 s[28:29], exec, s[28:29]
	s_cbranch_execz .LBB153_308
; %bb.307:
	s_mov_b32 s0, 0x800000
	v_cmp_lt_f32_e64 vcc, |v0|, s0
	v_cndmask_b32_e64 v4, 0, 32, vcc
	v_ldexp_f32 v4, |v0|, v4
	v_log_f32_e32 v4, v4
	s_mov_b32 s0, 0x3f317217
	s_mov_b32 s1, 0x7f800000
	v_mul_f32_e32 v5, 0x3f317217, v4
	v_fma_f32 v6, v4, s0, -v5
	v_fmac_f32_e32 v6, 0x3377d1cf, v4
	v_add_f32_e32 v5, v5, v6
	v_cmp_lt_f32_e64 s[0:1], |v4|, s1
	v_cndmask_b32_e64 v4, v4, v5, s[0:1]
	v_mov_b32_e32 v5, 0x41b17218
	v_cndmask_b32_e32 v5, 0, v5, vcc
	v_sub_f32_e32 v4, v4, v5
	v_fma_f32 v4, |v0|, v4, -|v0|
.LBB153_308:
	s_andn2_saveexec_b64 s[28:29], s[28:29]
	s_cbranch_execz .LBB153_310
; %bb.309:
	v_rcp_f32_e64 v5, |v0|
	v_mov_b32_e32 v4, 0x3a5b3dd2
	v_mov_b32_e32 v6, 0xba1c065c
	;; [unrolled: 1-line block ×3, first 2 shown]
	v_mul_f32_e32 v8, v5, v5
	v_fmac_f32_e32 v4, 0xbad5c4e8, v8
	v_fmac_f32_e32 v6, v8, v4
	s_mov_b32 s0, 0x800000
	v_fmac_f32_e32 v7, v8, v6
	v_mov_b32_e32 v4, 0xbb360b61
	v_cmp_lt_f32_e64 vcc, |v0|, s0
	v_fmac_f32_e32 v4, v8, v7
	v_cndmask_b32_e64 v7, 0, 32, vcc
	v_ldexp_f32 v7, |v0|, v7
	v_log_f32_e32 v7, v7
	v_mov_b32_e32 v6, 0x3daaaaab
	v_fmac_f32_e32 v6, v8, v4
	v_mov_b32_e32 v4, 0x3ed67f1d
	v_fmac_f32_e32 v4, v5, v6
	s_mov_b32 s0, 0x3f317217
	v_mul_f32_e32 v6, 0x3f317217, v7
	v_fma_f32 v8, v7, s0, -v6
	v_fmac_f32_e32 v8, 0x3377d1cf, v7
	s_mov_b32 s0, 0x7f800000
	v_add_f32_e32 v6, v6, v8
	v_cmp_lt_f32_e64 s[0:1], |v7|, s0
	v_cndmask_b32_e64 v6, v7, v6, s[0:1]
	v_mov_b32_e32 v7, 0x41b17218
	v_cndmask_b32_e32 v7, 0, v7, vcc
	v_sub_f32_e32 v6, v6, v7
	v_add_f32_e64 v5, |v0|, -0.5
	v_add_f32_e32 v6, -1.0, v6
	v_fmac_f32_e32 v4, v5, v6
.LBB153_310:
	s_or_b64 exec, exec, s[28:29]
.LBB153_311:
	s_andn2_saveexec_b64 s[26:27], s[26:27]
	s_cbranch_execz .LBB153_313
; %bb.312:
	v_cvt_i32_f32_e32 v4, v1
	v_mov_b32_e32 v5, 0x3af135b4
	v_mov_b32_e32 v6, 0x3cda40e4
	;; [unrolled: 1-line block ×3, first 2 shown]
	v_cvt_f32_i32_e32 v8, v4
	v_mov_b32_e32 v9, 0x3ea6cc7a
	v_mov_b32_e32 v10, 0x3e5c245a
	v_cmp_lt_i32_e32 vcc, 2, v4
	v_sub_f32_e64 v8, |v0|, v8
	v_fmac_f32_e32 v5, 0x3805ff67, v8
	v_fmac_f32_e32 v6, v8, v5
	;; [unrolled: 1-line block ×3, first 2 shown]
	v_mov_b32_e32 v6, 0x3a4beed6
	v_fmac_f32_e32 v9, v8, v7
	v_fmac_f32_e32 v6, 0x36f5d7bd, v8
	v_mov_b32_e32 v7, 0x3c98bf54
	v_fmac_f32_e32 v7, v8, v6
	v_mov_b32_e32 v6, 0x3e300f6e
	;; [unrolled: 2-line block ×4, first 2 shown]
	v_fmac_f32_e32 v6, v8, v7
	v_add_f32_e32 v7, 2.0, v8
	v_mov_b32_e32 v11, 0xbd9e233f
	v_fmac_f32_e32 v10, v8, v9
	v_add_f32_e32 v9, 0x40400000, v8
	v_cndmask_b32_e32 v7, 1.0, v7, vcc
	v_cmp_lt_i32_e32 vcc, 3, v4
	v_fmac_f32_e32 v11, v8, v10
	v_add_f32_e32 v10, 4.0, v8
	v_cndmask_b32_e32 v9, 1.0, v9, vcc
	v_cmp_lt_i32_e32 vcc, 4, v4
	v_mul_f32_e32 v5, v8, v11
	v_add_f32_e32 v11, 0x40a00000, v8
	v_mul_f32_e32 v7, v7, v9
	v_cndmask_b32_e32 v9, 1.0, v10, vcc
	v_cmp_lt_i32_e32 vcc, 5, v4
	v_add_f32_e32 v12, 0x40c00000, v8
	v_mul_f32_e32 v7, v9, v7
	v_cndmask_b32_e32 v9, 1.0, v11, vcc
	v_cmp_lt_i32_e32 vcc, 6, v4
	v_mul_f32_e32 v7, v9, v7
	v_cndmask_b32_e32 v4, 1.0, v12, vcc
	v_mul_f32_e32 v4, v4, v7
	s_mov_b32 s0, 0x800000
	v_cmp_gt_f32_e32 vcc, s0, v4
	v_cndmask_b32_e64 v7, 0, 32, vcc
	v_fma_f32 v6, v8, v6, 1.0
	v_ldexp_f32 v4, v4, v7
	v_rcp_f32_e32 v6, v6
	v_log_f32_e32 v4, v4
	s_mov_b32 s0, 0x3f317217
	v_mul_f32_e32 v5, v5, v6
	v_mul_f32_e32 v6, 0x3f317217, v4
	v_fma_f32 v7, v4, s0, -v6
	v_fmac_f32_e32 v7, 0x3377d1cf, v4
	s_mov_b32 s0, 0x7f800000
	v_add_f32_e32 v6, v6, v7
	v_cmp_lt_f32_e64 s[0:1], |v4|, s0
	v_cndmask_b32_e64 v4, v4, v6, s[0:1]
	v_mov_b32_e32 v6, 0x41b17218
	v_cndmask_b32_e32 v6, 0, v6, vcc
	v_fmac_f32_e32 v5, 0.5, v8
	v_sub_f32_e32 v4, v4, v6
	v_add_f32_e32 v4, v4, v5
.LBB153_313:
	s_or_b64 exec, exec, s[26:27]
.LBB153_314:
	s_andn2_saveexec_b64 s[22:23], s[22:23]
	s_cbranch_execz .LBB153_332
; %bb.315:
	s_mov_b32 s0, 0x3f666666
	v_cmp_le_f32_e64 s[0:1], |v0|, s0
                                        ; implicit-def: $vgpr4
                                        ; implicit-def: $vgpr6
                                        ; implicit-def: $vgpr5
	s_and_saveexec_b64 s[26:27], s[0:1]
	s_xor_b64 s[26:27], exec, s[26:27]
	s_cbranch_execz .LBB153_317
; %bb.316:
	s_mov_b32 s0, 0x800000
	v_cmp_lt_f32_e64 vcc, |v0|, s0
	v_cndmask_b32_e64 v4, 0, 32, vcc
	v_ldexp_f32 v4, |v0|, v4
	v_log_f32_e32 v4, v4
	s_mov_b32 s0, 0x3f317217
	s_mov_b32 s1, 0x7f800000
	v_mul_f32_e32 v5, 0x3f317217, v4
	v_fma_f32 v6, v4, s0, -v5
	v_fmac_f32_e32 v6, 0x3377d1cf, v4
	v_add_f32_e32 v5, v5, v6
	v_cmp_lt_f32_e64 s[0:1], |v4|, s1
	v_cndmask_b32_e64 v4, v4, v5, s[0:1]
	v_mov_b32_e32 v5, 0x41b17218
	v_cndmask_b32_e32 v5, 0, v5, vcc
	s_mov_b32 s0, 0x3f3b4a23
	s_mov_b32 s1, 0xbeec5b0c
	v_sub_f32_e32 v4, v4, v5
	v_sub_f32_e64 v5, 1.0, |v0|
	v_add_f32_e64 v6, |v0|, s1
	v_cmp_lt_f32_e64 vcc, |v0|, s0
	s_mov_b32 s0, 0x3e6d3309
	v_cndmask_b32_e32 v5, v5, v6, vcc
	v_cndmask_b32_e64 v6, 0, 1, vcc
	v_cmp_lt_f32_e64 s[0:1], |v0|, s0
	v_xor_b32_e32 v4, 0x80000000, v4
	v_cndmask_b32_e64 v5, v5, |v0|, s[0:1]
	v_cndmask_b32_e64 v6, v6, 2, s[0:1]
.LBB153_317:
	s_andn2_saveexec_b64 s[0:1], s[26:27]
	s_cbranch_execz .LBB153_319
; %bb.318:
	s_mov_b32 s26, 0x3fdda512
	s_mov_b32 s27, 0xbfbb16c3
	v_sub_f32_e64 v4, 2.0, |v0|
	v_add_f32_e64 v5, |v0|, s27
	v_cmp_lt_f32_e64 vcc, |v0|, s26
	v_cndmask_b32_e32 v5, v4, v5, vcc
	v_cndmask_b32_e64 v4, v4, 1.0, vcc
	v_cvt_i32_f32_e32 v4, v4
	s_mov_b32 s26, 0x3f9d70a4
	v_add_f32_e64 v6, |v0|, -1.0
	v_cmp_lt_f32_e64 vcc, |v0|, s26
	v_cndmask_b32_e32 v5, v5, v6, vcc
	v_cndmask_b32_e64 v6, v4, 2, vcc
	v_mov_b32_e32 v4, 0
.LBB153_319:
	s_or_b64 exec, exec, s[0:1]
	v_cmp_lt_i32_e32 vcc, 0, v6
	s_and_saveexec_b64 s[0:1], vcc
	s_xor_b64 s[0:1], exec, s[0:1]
	s_cbranch_execz .LBB153_327
; %bb.320:
	v_cmp_lt_i32_e32 vcc, 1, v6
	s_and_saveexec_b64 s[26:27], vcc
	s_xor_b64 s[26:27], exec, s[26:27]
	s_cbranch_execz .LBB153_324
; %bb.321:
	v_cmp_eq_u32_e32 vcc, 2, v6
	s_and_saveexec_b64 s[28:29], vcc
	s_cbranch_execz .LBB153_323
; %bb.322:
	v_mov_b32_e32 v6, 0x3e6a7578
	v_fmac_f32_e32 v6, 0x3c5b3c5e, v5
	v_mov_b32_e32 v7, 0x3f7a4bb2
	v_fmac_f32_e32 v7, v5, v6
	;; [unrolled: 2-line block ×8, first 2 shown]
	v_fma_f32 v6, v5, v8, 1.0
	v_rcp_f32_e32 v6, v6
	v_mov_b32_e32 v8, 0xbd9e233f
	v_fmac_f32_e32 v8, v5, v7
	v_mul_f32_e32 v7, v5, v8
	v_mul_f32_e32 v6, v7, v6
	v_fmac_f32_e32 v6, -0.5, v5
	v_add_f32_e32 v4, v4, v6
.LBB153_323:
	s_or_b64 exec, exec, s[28:29]
                                        ; implicit-def: $vgpr5
.LBB153_324:
	s_andn2_saveexec_b64 s[26:27], s[26:27]
	s_cbranch_execz .LBB153_326
; %bb.325:
	v_mul_f32_e32 v6, v5, v5
	v_mul_f32_e32 v7, v5, v6
	v_mov_b32_e32 v8, 0xbab7f476
	v_fmac_f32_e32 v8, 0x39a57b6b, v7
	v_mov_b32_e32 v9, 0x3bc7e707
	v_fmac_f32_e32 v9, v7, v8
	;; [unrolled: 2-line block ×12, first 2 shown]
	v_fmac_f32_e32 v10, v5, v11
	s_mov_b32 s28, 0xa2863e55
	v_fma_f32 v5, v7, -v10, s28
	v_fma_f32 v5, v6, v9, -v5
	v_add_f32_e32 v5, 0xbdf8cdce, v5
	v_add_f32_e32 v4, v4, v5
.LBB153_326:
	s_or_b64 exec, exec, s[26:27]
                                        ; implicit-def: $vgpr6
                                        ; implicit-def: $vgpr5
.LBB153_327:
	s_andn2_saveexec_b64 s[0:1], s[0:1]
	s_cbranch_execz .LBB153_331
; %bb.328:
	v_cmp_eq_u32_e32 vcc, 0, v6
	s_and_saveexec_b64 s[26:27], vcc
	s_cbranch_execz .LBB153_330
; %bb.329:
	v_mul_f32_e32 v6, v5, v5
	v_mov_b32_e32 v7, 0x39679767
	v_fmac_f32_e32 v7, 0x37d383a2, v6
	v_mov_b32_e32 v8, 0x3a9c54a1
	v_fmac_f32_e32 v8, v6, v7
	;; [unrolled: 2-line block ×10, first 2 shown]
	v_mul_f32_e32 v6, v6, v8
	v_fmac_f32_e32 v6, v5, v7
	v_fmac_f32_e32 v6, -0.5, v5
	v_add_f32_e32 v4, v4, v6
.LBB153_330:
	s_or_b64 exec, exec, s[26:27]
.LBB153_331:
	s_or_b64 exec, exec, s[0:1]
.LBB153_332:
	s_or_b64 exec, exec, s[22:23]
.LBB153_333:
	s_andn2_saveexec_b64 s[2:3], s[2:3]
	s_cbranch_execz .LBB153_335
; %bb.334:
	s_mov_b32 s0, 0x3e8a8991
	v_mov_b32_e32 v4, 0xbecd26ab
	v_fma_f32 v4, |v0|, s0, v4
	s_mov_b32 s0, 0x3f528d33
	v_fma_f32 v4, |v0|, v4, s0
	s_mov_b32 s0, 0x800000
	v_cmp_lt_f32_e64 vcc, |v0|, s0
	v_cndmask_b32_e64 v5, 0, 32, vcc
	v_ldexp_f32 v5, |v0|, v5
	v_log_f32_e32 v5, v5
	s_mov_b32 s0, 0xbf13c468
	v_fma_f32 v4, |v0|, v4, s0
	s_mov_b32 s0, 0x3f317217
	v_mul_f32_e32 v6, 0x3f317217, v5
	v_fma_f32 v7, v5, s0, -v6
	v_fmac_f32_e32 v7, 0x3377d1cf, v5
	s_mov_b32 s0, 0x7f800000
	v_add_f32_e32 v6, v6, v7
	v_cmp_lt_f32_e64 s[0:1], |v5|, s0
	v_cndmask_b32_e64 v5, v5, v6, s[0:1]
	v_mov_b32_e32 v6, 0x41b17218
	v_cndmask_b32_e32 v6, 0, v6, vcc
	v_sub_f32_e32 v5, v5, v6
	v_fma_f32 v4, |v0|, v4, -v5
.LBB153_335:
	s_or_b64 exec, exec, s[2:3]
	v_cmp_le_f16_e32 vcc, 0, v3
	v_cmp_nle_f16_e64 s[0:1], 0, v3
	s_and_saveexec_b64 s[2:3], s[0:1]
	s_xor_b64 s[22:23], exec, s[2:3]
	s_cbranch_execz .LBB153_339
; %bb.336:
	s_mov_b32 s0, 0x4b000000
	s_mov_b32 s2, 0x35000000
	v_cmp_lt_f32_e64 s[0:1], |v0|, s0
	v_cmp_gt_f32_e64 s[2:3], |v0|, s2
	s_and_b64 s[0:1], s[0:1], s[2:3]
	s_and_saveexec_b64 s[26:27], s[0:1]
	s_cbranch_execz .LBB153_338
; %bb.337:
	v_mul_f32_e64 v5, |v0|, 0.5
	v_floor_f32_e32 v6, v5
	v_sub_f32_e32 v6, v5, v6
	v_min_f32_e32 v6, 0x3f7fffff, v6
	s_mov_b32 s2, 0x7f800000
	v_add_f32_e32 v6, v6, v6
	v_cmp_neq_f32_e64 s[0:1], s2, v5
	v_cndmask_b32_e64 v5, 0, v6, s[0:1]
	v_cmp_gt_f32_e64 s[0:1], |v0|, 1.0
	v_cndmask_b32_e64 v5, |v0|, v5, s[0:1]
	v_add_f32_e32 v6, v5, v5
	v_rndne_f32_e32 v6, v6
	v_fmac_f32_e32 v5, -0.5, v6
	v_mul_f32_e32 v7, v5, v5
	v_mov_b32_e32 v8, 0xbf1f24be
	v_fmac_f32_e32 v8, 0x3e75aa41, v7
	v_mov_b32_e32 v9, 0x40234736
	v_fmac_f32_e32 v9, v7, v8
	;; [unrolled: 2-line block ×3, first 2 shown]
	v_mul_f32_e32 v9, v5, v7
	v_mul_f32_e32 v8, v9, v8
	v_fmac_f32_e32 v8, 0x40490fdb, v5
	v_mov_b32_e32 v5, 0x3e642e9d
	v_cvt_i32_f32_e32 v6, v6
	v_fmac_f32_e32 v5, 0x3d4be544, v7
	v_mov_b32_e32 v9, 0xbfaad1da
	v_fmac_f32_e32 v9, v7, v5
	v_mov_b32_e32 v5, 0x4081e0d3
	;; [unrolled: 2-line block ×3, first 2 shown]
	v_fmac_f32_e32 v9, v7, v5
	v_fma_f32 v5, v7, v9, 1.0
	v_and_b32_e32 v7, 1, v6
	v_lshlrev_b32_e32 v6, 30, v6
	v_cmp_eq_u32_e64 s[0:1], 0, v7
	v_and_b32_e32 v6, 0x80000000, v6
	v_xor_b32_e32 v1, v1, v0
	v_cndmask_b32_e64 v5, v5, v8, s[0:1]
	v_xor_b32_e32 v1, v1, v6
	v_xor_b32_e32 v1, v1, v5
	v_mul_f32_e32 v1, v0, v1
	v_frexp_mant_f32_e64 v5, |v1|
	v_rcp_f32_e32 v5, v5
	v_frexp_exp_i32_f32_e32 v1, v1
	v_sub_u32_e32 v1, 2, v1
	s_mov_b32 s0, 0x800000
	v_mul_f32_e32 v5, 0x3f490fdb, v5
	v_ldexp_f32 v1, v5, v1
	v_cmp_gt_f32_e64 s[0:1], s0, v1
	v_cndmask_b32_e64 v5, 0, 32, s[0:1]
	v_ldexp_f32 v1, v1, v5
	v_log_f32_e32 v1, v1
	s_mov_b32 s3, 0x3f317217
	v_mul_f32_e32 v5, 0x3f317217, v1
	v_fma_f32 v6, v1, s3, -v5
	v_fmac_f32_e32 v6, 0x3377d1cf, v1
	v_add_f32_e32 v5, v5, v6
	v_cmp_lt_f32_e64 s[2:3], |v1|, s2
	v_cndmask_b32_e64 v1, v1, v5, s[2:3]
	v_mov_b32_e32 v5, 0x41b17218
	v_cndmask_b32_e64 v5, 0, v5, s[0:1]
	v_sub_f32_e32 v1, v1, v5
	v_sub_f32_e32 v1, v1, v4
	v_floor_f32_e32 v4, v0
	v_sub_f32_e32 v4, v0, v4
	v_min_f32_e32 v4, 0x3f7fffff, v4
	v_mov_b32_e32 v5, 0x7f800000
	v_cmp_neq_f32_e64 s[0:1], 0, v4
	v_cndmask_b32_e64 v4, v5, v1, s[0:1]
.LBB153_338:
	s_or_b64 exec, exec, s[26:27]
.LBB153_339:
	s_andn2_saveexec_b64 s[22:23], s[22:23]
; %bb.340:
	v_cmp_eq_f16_e64 s[0:1], 1.0, v3
	v_cmp_eq_f16_e64 s[2:3], 2.0, v3
	s_or_b64 s[0:1], s[0:1], s[2:3]
	v_cndmask_b32_e64 v4, v4, 0, s[0:1]
; %bb.341:
	s_or_b64 exec, exec, s[22:23]
	v_cvt_f16_f32_e32 v4, v4
	s_mov_b32 s0, 0x4b000000
	v_cmp_lt_f32_e64 s[0:1], |v0|, s0
	v_mul_lo_u32 v6, v2, s10
	v_mov_b32_e32 v1, 0x264
	v_mov_b32_e32 v5, 0x7c00
	s_or_b64 vcc, vcc, s[0:1]
	v_cndmask_b32_e32 v4, v5, v4, vcc
	v_cmp_class_f32_e32 vcc, v0, v1
	v_cndmask_b32_e32 v0, v4, v5, vcc
	v_cmp_u_f16_e32 vcc, v3, v3
	v_cndmask_b32_e32 v3, v0, v3, vcc
	v_ashrrev_i32_e32 v1, 31, v6
	v_mov_b32_e32 v4, s13
	s_and_b32 s28, s33, 0xff
	v_add_co_u32_e32 v0, vcc, s12, v6
	s_cmp_lt_i32 s28, 11
	v_addc_co_u32_e32 v1, vcc, v4, v1, vcc
	s_cbranch_scc1 .LBB153_349
; %bb.342:
	s_and_b32 s29, 0xffff, s28
	s_cmp_gt_i32 s29, 25
	s_cbranch_scc0 .LBB153_351
; %bb.343:
	s_cmp_gt_i32 s29, 28
	s_cbranch_scc0 .LBB153_353
; %bb.344:
	;; [unrolled: 3-line block ×4, first 2 shown]
	s_mov_b64 s[22:23], 0
	s_mov_b64 s[0:1], -1
	s_cmp_eq_u32 s29, 46
	s_mov_b64 s[2:3], 0
	s_cbranch_scc0 .LBB153_365
; %bb.347:
	v_cvt_f32_f16_e32 v4, v3
	s_movk_i32 s0, 0x7fff
	v_cmp_o_f16_e32 vcc, v3, v3
	v_mov_b32_e32 v5, 0x7fc0
	v_bfe_u32 v6, v4, 16, 1
	v_add3_u32 v4, v4, v6, s0
	v_cndmask_b32_sdwa v4, v5, v4, vcc dst_sel:DWORD dst_unused:UNUSED_PAD src0_sel:DWORD src1_sel:WORD_1
	global_store_dword v[0:1], v4, off
	s_mov_b64 s[2:3], -1
	s_mov_b64 s[0:1], 0
	s_branch .LBB153_365
.LBB153_348:
	s_mov_b64 s[2:3], -1
	s_mov_b64 s[0:1], 0
	s_mov_b64 s[20:21], s[16:17]
                                        ; implicit-def: $vgpr3
	s_branch .LBB153_502
.LBB153_349:
	s_mov_b64 s[22:23], -1
	s_mov_b64 s[2:3], 0
	s_mov_b64 s[0:1], s[6:7]
	s_branch .LBB153_434
.LBB153_350:
	s_mov_b64 s[2:3], -1
	s_mov_b64 s[0:1], 0
	s_mov_b64 s[20:21], s[16:17]
                                        ; implicit-def: $vgpr3
	s_branch .LBB153_483
.LBB153_351:
	s_mov_b64 s[22:23], -1
	s_mov_b64 s[2:3], 0
	s_mov_b64 s[0:1], s[6:7]
	s_branch .LBB153_392
.LBB153_352:
	s_mov_b64 s[2:3], -1
	s_mov_b64 s[0:1], 0
	s_mov_b64 s[20:21], s[16:17]
                                        ; implicit-def: $vgpr3
	s_branch .LBB153_478
.LBB153_353:
	s_mov_b64 s[22:23], -1
	s_mov_b64 s[2:3], 0
	s_mov_b64 s[0:1], s[6:7]
	s_branch .LBB153_375
.LBB153_354:
	s_andn2_saveexec_b64 s[20:21], s[20:21]
	s_cbranch_execz .LBB153_92
.LBB153_355:
	s_mov_b32 s26, 0x46000000
	v_add_f32_e64 v5, |v4|, s26
	v_and_b32_e32 v5, 0xff, v5
	v_cmp_ne_u32_e32 vcc, 0, v5
	s_andn2_b64 s[6:7], s[6:7], exec
	s_and_b64 s[26:27], vcc, exec
	s_or_b64 s[6:7], s[6:7], s[26:27]
	s_or_b64 exec, exec, s[20:21]
	v_mov_b32_e32 v6, 0
	s_and_saveexec_b64 s[20:21], s[6:7]
	s_cbranch_execnz .LBB153_93
	s_branch .LBB153_94
.LBB153_356:
	s_mov_b64 s[2:3], -1
	s_mov_b64 s[0:1], 0
	s_mov_b64 s[20:21], s[16:17]
                                        ; implicit-def: $vgpr3
	s_branch .LBB153_361
.LBB153_357:
	s_mov_b64 s[22:23], -1
	s_mov_b64 s[2:3], 0
	s_mov_b64 s[0:1], s[6:7]
	s_branch .LBB153_371
.LBB153_358:
	s_andn2_saveexec_b64 s[20:21], s[20:21]
	s_cbranch_execz .LBB153_105
.LBB153_359:
	s_mov_b32 s26, 0x42800000
	v_add_f32_e64 v5, |v4|, s26
	v_and_b32_e32 v5, 0xff, v5
	v_cmp_ne_u32_e32 vcc, 0, v5
	s_andn2_b64 s[6:7], s[6:7], exec
	s_and_b64 s[26:27], vcc, exec
	s_or_b64 s[6:7], s[6:7], s[26:27]
	s_or_b64 exec, exec, s[20:21]
	v_mov_b32_e32 v6, 0
	s_and_saveexec_b64 s[20:21], s[6:7]
	s_cbranch_execnz .LBB153_106
	s_branch .LBB153_107
.LBB153_360:
	s_mov_b64 s[20:21], -1
                                        ; implicit-def: $vgpr3
	s_mov_b64 s[0:1], 0
.LBB153_361:
	s_and_b64 vcc, exec, s[2:3]
	s_cbranch_vccz .LBB153_477
; %bb.362:
	s_cmp_eq_u32 s26, 44
	s_cbranch_scc0 .LBB153_476
; %bb.363:
	global_load_ubyte v3, v[0:1], off
	s_movk_i32 s2, 0xff
	v_mov_b32_e32 v5, 0x7e00
	s_mov_b64 s[0:1], -1
	s_mov_b64 s[20:21], 0
	s_waitcnt vmcnt(0)
	v_lshlrev_b32_e32 v4, 23, v3
	v_cvt_f16_f32_e32 v4, v4
	v_cmp_ne_u32_e32 vcc, s2, v3
	v_cndmask_b32_e32 v4, v5, v4, vcc
	v_cmp_ne_u32_e32 vcc, 0, v3
	v_cndmask_b32_e32 v3, 0, v4, vcc
	s_branch .LBB153_477
.LBB153_364:
	s_mov_b64 s[22:23], -1
	s_mov_b64 s[2:3], 0
	s_mov_b64 s[0:1], s[6:7]
.LBB153_365:
	s_and_b64 vcc, exec, s[22:23]
	s_cbranch_vccz .LBB153_370
; %bb.366:
	s_cmp_eq_u32 s29, 44
	s_mov_b64 s[0:1], -1
	s_cbranch_scc0 .LBB153_370
; %bb.367:
	v_cvt_f32_f16_e32 v4, v3
	s_movk_i32 s0, 0xff
	v_mov_b32_e32 v6, 0xff
	v_bfe_u32 v5, v4, 23, 8
	v_cmp_ne_u32_e32 vcc, s0, v5
	s_and_saveexec_b64 s[2:3], vcc
; %bb.368:
	s_mov_b32 s0, 0x3fffff
	v_lshrrev_b32_e32 v6, 23, v4
	v_and_b32_e32 v7, 0x400000, v4
	v_and_or_b32 v4, v4, s0, v5
	v_cmp_ne_u32_e32 vcc, 0, v7
	v_cmp_ne_u32_e64 s[0:1], 0, v4
	s_and_b64 s[0:1], vcc, s[0:1]
	v_cndmask_b32_e64 v4, 0, 1, s[0:1]
	v_add_u32_e32 v6, v6, v4
; %bb.369:
	s_or_b64 exec, exec, s[2:3]
	s_mov_b64 s[2:3], -1
	s_mov_b64 s[0:1], 0
	global_store_byte v[0:1], v6, off
.LBB153_370:
	s_mov_b64 s[22:23], 0
.LBB153_371:
	s_and_b64 vcc, exec, s[22:23]
	s_cbranch_vccz .LBB153_374
; %bb.372:
	s_cmp_eq_u32 s29, 29
	s_mov_b64 s[0:1], -1
	s_cbranch_scc0 .LBB153_374
; %bb.373:
	v_cvt_f32_f16_e32 v4, v3
	v_mov_b32_e32 v5, 0
	s_mov_b64 s[2:3], -1
	s_mov_b64 s[0:1], 0
	v_cvt_u32_f32_e32 v4, v4
	s_mov_b64 s[22:23], 0
	global_store_dwordx2 v[0:1], v[4:5], off
	s_branch .LBB153_375
.LBB153_374:
	s_mov_b64 s[22:23], 0
.LBB153_375:
	s_and_b64 vcc, exec, s[22:23]
	s_cbranch_vccz .LBB153_391
; %bb.376:
	s_cmp_lt_i32 s29, 27
	s_mov_b64 s[2:3], -1
	s_cbranch_scc1 .LBB153_382
; %bb.377:
	s_cmp_gt_i32 s29, 27
	s_cbranch_scc0 .LBB153_379
; %bb.378:
	v_cvt_f32_f16_e32 v4, v3
	s_mov_b64 s[2:3], 0
	v_cvt_u32_f32_e32 v4, v4
	global_store_dword v[0:1], v4, off
.LBB153_379:
	s_andn2_b64 vcc, exec, s[2:3]
	s_cbranch_vccnz .LBB153_381
; %bb.380:
	v_cvt_u16_f16_e32 v4, v3
	global_store_short v[0:1], v4, off
.LBB153_381:
	s_mov_b64 s[2:3], 0
.LBB153_382:
	s_andn2_b64 vcc, exec, s[2:3]
	s_cbranch_vccnz .LBB153_390
; %bb.383:
	v_cvt_f32_f16_e32 v4, v3
	s_mov_b32 s2, 0x43800000
	v_mov_b32_e32 v6, 0x80
	v_and_b32_e32 v5, 0x7fffffff, v4
	v_cmp_gt_u32_e32 vcc, s2, v5
	s_and_saveexec_b64 s[2:3], vcc
	s_cbranch_execz .LBB153_389
; %bb.384:
	s_mov_b32 s22, 0x3bffffff
	v_cmp_lt_u32_e32 vcc, s22, v5
	s_mov_b64 s[22:23], 0
                                        ; implicit-def: $vgpr5
	s_and_saveexec_b64 s[26:27], vcc
	s_xor_b64 s[26:27], exec, s[26:27]
	s_cbranch_execz .LBB153_601
; %bb.385:
	v_bfe_u32 v5, v4, 20, 1
	s_mov_b32 s30, 0x487ffff
	v_add3_u32 v5, v4, v5, s30
	s_mov_b64 s[22:23], exec
	v_lshrrev_b32_e32 v5, 20, v5
	s_andn2_saveexec_b64 s[26:27], s[26:27]
	s_cbranch_execnz .LBB153_602
.LBB153_386:
	s_or_b64 exec, exec, s[26:27]
	v_mov_b32_e32 v6, 0
	s_and_saveexec_b64 s[26:27], s[22:23]
.LBB153_387:
	v_lshrrev_b32_e32 v4, 24, v4
	s_movk_i32 s22, 0x80
	v_and_or_b32 v6, v4, s22, v5
.LBB153_388:
	s_or_b64 exec, exec, s[26:27]
.LBB153_389:
	s_or_b64 exec, exec, s[2:3]
	global_store_byte v[0:1], v6, off
.LBB153_390:
	s_mov_b64 s[2:3], -1
.LBB153_391:
	s_mov_b64 s[22:23], 0
.LBB153_392:
	s_and_b64 vcc, exec, s[22:23]
	s_cbranch_vccz .LBB153_433
; %bb.393:
	s_cmp_gt_i32 s29, 22
	s_mov_b64 s[22:23], -1
	s_cbranch_scc0 .LBB153_425
; %bb.394:
	s_cmp_lt_i32 s29, 24
	s_mov_b64 s[2:3], -1
	s_cbranch_scc1 .LBB153_414
; %bb.395:
	s_cmp_gt_i32 s29, 24
	s_cbranch_scc0 .LBB153_403
; %bb.396:
	v_cvt_f32_f16_e32 v4, v3
	s_mov_b32 s2, 0x47800000
	v_mov_b32_e32 v6, 0x80
	v_and_b32_e32 v5, 0x7fffffff, v4
	v_cmp_gt_u32_e32 vcc, s2, v5
	s_and_saveexec_b64 s[2:3], vcc
	s_cbranch_execz .LBB153_402
; %bb.397:
	s_mov_b32 s22, 0x37ffffff
	v_cmp_lt_u32_e32 vcc, s22, v5
	s_mov_b64 s[22:23], 0
                                        ; implicit-def: $vgpr5
	s_and_saveexec_b64 s[26:27], vcc
	s_xor_b64 s[26:27], exec, s[26:27]
	s_cbranch_execz .LBB153_604
; %bb.398:
	v_bfe_u32 v5, v4, 21, 1
	s_mov_b32 s30, 0x88fffff
	v_add3_u32 v5, v4, v5, s30
	s_mov_b64 s[22:23], exec
	v_lshrrev_b32_e32 v5, 21, v5
	s_andn2_saveexec_b64 s[26:27], s[26:27]
	s_cbranch_execnz .LBB153_605
.LBB153_399:
	s_or_b64 exec, exec, s[26:27]
	v_mov_b32_e32 v6, 0
	s_and_saveexec_b64 s[26:27], s[22:23]
.LBB153_400:
	v_lshrrev_b32_e32 v4, 24, v4
	s_movk_i32 s22, 0x80
	v_and_or_b32 v6, v4, s22, v5
.LBB153_401:
	s_or_b64 exec, exec, s[26:27]
.LBB153_402:
	s_or_b64 exec, exec, s[2:3]
	s_mov_b64 s[2:3], 0
	global_store_byte v[0:1], v6, off
.LBB153_403:
	s_and_b64 vcc, exec, s[2:3]
	s_cbranch_vccz .LBB153_413
; %bb.404:
	v_cvt_f32_f16_e32 v4, v3
	s_mov_b32 s2, 0x43f00000
                                        ; implicit-def: $vgpr5
	v_and_b32_e32 v6, 0x7fffffff, v4
	v_cmp_gt_u32_e32 vcc, s2, v6
	s_and_saveexec_b64 s[2:3], vcc
	s_xor_b64 s[2:3], exec, s[2:3]
	s_cbranch_execz .LBB153_410
; %bb.405:
	s_mov_b32 s22, 0x3c7fffff
	v_cmp_lt_u32_e32 vcc, s22, v6
                                        ; implicit-def: $vgpr5
	s_and_saveexec_b64 s[22:23], vcc
	s_xor_b64 s[22:23], exec, s[22:23]
; %bb.406:
	v_bfe_u32 v5, v4, 20, 1
	s_mov_b32 s26, 0x407ffff
	v_add3_u32 v5, v4, v5, s26
	v_lshrrev_b32_e32 v6, 20, v5
	v_and_b32_e32 v5, 0xff00000, v5
	s_mov_b32 s26, 0x7f00000
	v_mov_b32_e32 v7, 0x7e
	v_cmp_ne_u32_e32 vcc, s26, v5
	v_cndmask_b32_e32 v5, v7, v6, vcc
; %bb.407:
	s_andn2_saveexec_b64 s[22:23], s[22:23]
; %bb.408:
	s_mov_b32 s26, 0x46800000
	v_add_f32_e64 v5, |v4|, s26
; %bb.409:
	s_or_b64 exec, exec, s[22:23]
                                        ; implicit-def: $vgpr6
.LBB153_410:
	s_andn2_saveexec_b64 s[2:3], s[2:3]
; %bb.411:
	s_mov_b32 s22, 0x7f800000
	v_mov_b32_e32 v5, 0x7e
	v_mov_b32_e32 v7, 0x7f
	v_cmp_lt_u32_e32 vcc, s22, v6
	v_cndmask_b32_e32 v5, v5, v7, vcc
; %bb.412:
	s_or_b64 exec, exec, s[2:3]
	v_lshrrev_b32_e32 v4, 24, v4
	s_movk_i32 s2, 0x80
	v_and_or_b32 v4, v4, s2, v5
	global_store_byte v[0:1], v4, off
.LBB153_413:
	s_mov_b64 s[2:3], 0
.LBB153_414:
	s_andn2_b64 vcc, exec, s[2:3]
	s_cbranch_vccnz .LBB153_424
; %bb.415:
	v_cvt_f32_f16_e32 v4, v3
	s_mov_b32 s2, 0x47800000
                                        ; implicit-def: $vgpr5
	v_and_b32_e32 v6, 0x7fffffff, v4
	v_cmp_gt_u32_e32 vcc, s2, v6
	s_and_saveexec_b64 s[2:3], vcc
	s_xor_b64 s[2:3], exec, s[2:3]
	s_cbranch_execz .LBB153_421
; %bb.416:
	s_mov_b32 s22, 0x387fffff
	v_cmp_lt_u32_e32 vcc, s22, v6
                                        ; implicit-def: $vgpr5
	s_and_saveexec_b64 s[22:23], vcc
	s_xor_b64 s[22:23], exec, s[22:23]
; %bb.417:
	v_bfe_u32 v5, v4, 21, 1
	s_mov_b32 s26, 0x80fffff
	v_add3_u32 v5, v4, v5, s26
	v_lshrrev_b32_e32 v5, 21, v5
; %bb.418:
	s_andn2_saveexec_b64 s[22:23], s[22:23]
; %bb.419:
	s_mov_b32 s26, 0x43000000
	v_add_f32_e64 v5, |v4|, s26
; %bb.420:
	s_or_b64 exec, exec, s[22:23]
                                        ; implicit-def: $vgpr6
.LBB153_421:
	s_andn2_saveexec_b64 s[2:3], s[2:3]
; %bb.422:
	s_mov_b32 s22, 0x7f800000
	v_mov_b32_e32 v5, 0x7c
	v_mov_b32_e32 v7, 0x7f
	v_cmp_lt_u32_e32 vcc, s22, v6
	v_cndmask_b32_e32 v5, v5, v7, vcc
; %bb.423:
	s_or_b64 exec, exec, s[2:3]
	v_lshrrev_b32_e32 v4, 24, v4
	s_movk_i32 s2, 0x80
	v_and_or_b32 v4, v4, s2, v5
	global_store_byte v[0:1], v4, off
.LBB153_424:
	s_mov_b64 s[22:23], 0
	s_mov_b64 s[2:3], -1
.LBB153_425:
	s_andn2_b64 vcc, exec, s[22:23]
	s_cbranch_vccnz .LBB153_433
; %bb.426:
	s_cmp_gt_i32 s29, 14
	s_mov_b64 s[22:23], -1
	s_cbranch_scc0 .LBB153_430
; %bb.427:
	s_cmp_eq_u32 s29, 15
	s_mov_b64 s[0:1], -1
	s_cbranch_scc0 .LBB153_429
; %bb.428:
	v_cvt_f32_f16_e32 v4, v3
	s_movk_i32 s0, 0x7fff
	v_cmp_o_f16_e32 vcc, v3, v3
	v_mov_b32_e32 v5, 0x7fc0
	v_bfe_u32 v6, v4, 16, 1
	v_add3_u32 v4, v4, v6, s0
	v_cndmask_b32_sdwa v4, v5, v4, vcc dst_sel:DWORD dst_unused:UNUSED_PAD src0_sel:DWORD src1_sel:WORD_1
	global_store_short v[0:1], v4, off
	s_mov_b64 s[2:3], -1
	s_mov_b64 s[0:1], 0
.LBB153_429:
	s_mov_b64 s[22:23], 0
.LBB153_430:
	s_and_b64 vcc, exec, s[22:23]
	s_cbranch_vccz .LBB153_433
; %bb.431:
	s_cmp_eq_u32 s29, 11
	s_mov_b64 s[0:1], -1
	s_cbranch_scc0 .LBB153_433
; %bb.432:
	v_cmp_neq_f16_e32 vcc, 0, v3
	v_cndmask_b32_e64 v4, 0, 1, vcc
	s_mov_b64 s[2:3], -1
	s_mov_b64 s[0:1], 0
	global_store_byte v[0:1], v4, off
.LBB153_433:
	s_mov_b64 s[22:23], 0
.LBB153_434:
	s_and_b64 vcc, exec, s[22:23]
	s_cbranch_vccz .LBB153_473
; %bb.435:
	s_and_b32 s22, 0xffff, s28
	s_cmp_lt_i32 s22, 5
	s_mov_b64 s[2:3], -1
	s_cbranch_scc1 .LBB153_456
; %bb.436:
	s_cmp_lt_i32 s22, 8
	s_cbranch_scc1 .LBB153_446
; %bb.437:
	s_cmp_lt_i32 s22, 9
	s_cbranch_scc1 .LBB153_443
; %bb.438:
	s_cmp_gt_i32 s22, 9
	s_cbranch_scc0 .LBB153_440
; %bb.439:
	v_cvt_f32_f16_e32 v4, v3
	v_mov_b32_e32 v6, 0
	v_mov_b32_e32 v7, v6
	s_mov_b64 s[2:3], 0
	v_cvt_f64_f32_e32 v[4:5], v4
	global_store_dwordx4 v[0:1], v[4:7], off
.LBB153_440:
	s_andn2_b64 vcc, exec, s[2:3]
	s_cbranch_vccnz .LBB153_442
; %bb.441:
	v_cvt_f32_f16_e32 v4, v3
	v_mov_b32_e32 v5, 0
	global_store_dwordx2 v[0:1], v[4:5], off
.LBB153_442:
	s_mov_b64 s[2:3], 0
.LBB153_443:
	s_andn2_b64 vcc, exec, s[2:3]
	s_cbranch_vccnz .LBB153_445
; %bb.444:
	v_and_b32_e32 v4, 0xffff, v3
	global_store_dword v[0:1], v4, off
.LBB153_445:
	s_mov_b64 s[2:3], 0
.LBB153_446:
	s_andn2_b64 vcc, exec, s[2:3]
	s_cbranch_vccnz .LBB153_455
; %bb.447:
	s_cmp_lt_i32 s22, 6
	s_mov_b64 s[2:3], -1
	s_cbranch_scc1 .LBB153_453
; %bb.448:
	s_cmp_gt_i32 s22, 6
	s_cbranch_scc0 .LBB153_450
; %bb.449:
	v_cvt_f32_f16_e32 v4, v3
	s_mov_b64 s[2:3], 0
	v_cvt_f64_f32_e32 v[4:5], v4
	global_store_dwordx2 v[0:1], v[4:5], off
.LBB153_450:
	s_andn2_b64 vcc, exec, s[2:3]
	s_cbranch_vccnz .LBB153_452
; %bb.451:
	v_cvt_f32_f16_e32 v4, v3
	global_store_dword v[0:1], v4, off
.LBB153_452:
	s_mov_b64 s[2:3], 0
.LBB153_453:
	s_andn2_b64 vcc, exec, s[2:3]
	s_cbranch_vccnz .LBB153_455
; %bb.454:
	global_store_short v[0:1], v3, off
.LBB153_455:
	s_mov_b64 s[2:3], 0
.LBB153_456:
	s_andn2_b64 vcc, exec, s[2:3]
	s_cbranch_vccnz .LBB153_472
; %bb.457:
	s_cmp_lt_i32 s22, 2
	s_mov_b64 s[2:3], -1
	s_cbranch_scc1 .LBB153_467
; %bb.458:
	s_cmp_lt_i32 s22, 3
	s_cbranch_scc1 .LBB153_464
; %bb.459:
	s_cmp_gt_i32 s22, 3
	s_cbranch_scc0 .LBB153_461
; %bb.460:
	v_cvt_f32_f16_e32 v4, v3
	s_mov_b64 s[2:3], 0
	v_cvt_i32_f32_e32 v4, v4
	v_ashrrev_i32_e32 v5, 31, v4
	global_store_dwordx2 v[0:1], v[4:5], off
.LBB153_461:
	s_andn2_b64 vcc, exec, s[2:3]
	s_cbranch_vccnz .LBB153_463
; %bb.462:
	v_cvt_f32_f16_e32 v4, v3
	v_cvt_i32_f32_e32 v4, v4
	global_store_dword v[0:1], v4, off
.LBB153_463:
	s_mov_b64 s[2:3], 0
.LBB153_464:
	s_andn2_b64 vcc, exec, s[2:3]
	s_cbranch_vccnz .LBB153_466
; %bb.465:
	v_cvt_i16_f16_e32 v4, v3
	global_store_short v[0:1], v4, off
.LBB153_466:
	s_mov_b64 s[2:3], 0
.LBB153_467:
	s_andn2_b64 vcc, exec, s[2:3]
	s_cbranch_vccnz .LBB153_472
; %bb.468:
	s_cmp_gt_i32 s22, 0
	s_mov_b64 s[2:3], -1
	s_cbranch_scc0 .LBB153_470
; %bb.469:
	v_cvt_i16_f16_e32 v4, v3
	s_mov_b64 s[2:3], 0
	global_store_byte v[0:1], v4, off
.LBB153_470:
	s_andn2_b64 vcc, exec, s[2:3]
	s_cbranch_vccnz .LBB153_472
; %bb.471:
	v_cvt_f32_f16_e32 v3, v3
	v_cvt_i32_f32_e32 v3, v3
	global_store_byte v[0:1], v3, off
.LBB153_472:
	s_mov_b64 s[2:3], -1
.LBB153_473:
	s_andn2_b64 vcc, exec, s[2:3]
	s_cbranch_vccnz .LBB153_475
; %bb.474:
	v_add_u32_e32 v2, 0x80, v2
	s_mov_b64 s[2:3], -1
	s_branch .LBB153_587
.LBB153_475:
	s_mov_b64 s[2:3], 0
                                        ; implicit-def: $vgpr2
	s_branch .LBB153_587
.LBB153_476:
	s_mov_b64 s[20:21], -1
                                        ; implicit-def: $vgpr3
.LBB153_477:
	s_mov_b64 s[2:3], 0
.LBB153_478:
	s_and_b64 vcc, exec, s[2:3]
	s_cbranch_vccz .LBB153_482
; %bb.479:
	s_cmp_eq_u32 s26, 29
	s_cbranch_scc0 .LBB153_481
; %bb.480:
	global_load_dwordx2 v[3:4], v[0:1], off
	s_mov_b64 s[0:1], -1
	s_mov_b64 s[20:21], 0
	s_mov_b64 s[2:3], 0
	s_waitcnt vmcnt(0)
	v_ffbh_u32_e32 v5, v4
	v_min_u32_e32 v5, 32, v5
	v_lshlrev_b64 v[3:4], v5, v[3:4]
	v_min_u32_e32 v3, 1, v3
	v_or_b32_e32 v3, v4, v3
	v_cvt_f32_u32_e32 v3, v3
	v_sub_u32_e32 v4, 32, v5
	v_ldexp_f32 v3, v3, v4
	v_cvt_f16_f32_e32 v3, v3
	s_branch .LBB153_483
.LBB153_481:
	s_mov_b64 s[20:21], -1
                                        ; implicit-def: $vgpr3
.LBB153_482:
	s_mov_b64 s[2:3], 0
.LBB153_483:
	s_and_b64 vcc, exec, s[2:3]
	s_cbranch_vccz .LBB153_501
; %bb.484:
	s_cmp_lt_i32 s26, 27
	s_cbranch_scc1 .LBB153_487
; %bb.485:
	s_cmp_gt_i32 s26, 27
	s_cbranch_scc0 .LBB153_488
; %bb.486:
	global_load_dword v3, v[0:1], off
	s_mov_b64 s[0:1], 0
	s_waitcnt vmcnt(0)
	v_cvt_f32_u32_e32 v3, v3
	v_cvt_f16_f32_e32 v3, v3
	s_branch .LBB153_489
.LBB153_487:
	s_mov_b64 s[0:1], -1
                                        ; implicit-def: $vgpr3
	s_branch .LBB153_492
.LBB153_488:
	s_mov_b64 s[0:1], -1
                                        ; implicit-def: $vgpr3
.LBB153_489:
	s_andn2_b64 vcc, exec, s[0:1]
	s_cbranch_vccnz .LBB153_491
; %bb.490:
	global_load_ushort v3, v[0:1], off
	s_waitcnt vmcnt(0)
	v_cvt_f16_u16_e32 v3, v3
.LBB153_491:
	s_mov_b64 s[0:1], 0
.LBB153_492:
	s_andn2_b64 vcc, exec, s[0:1]
	s_cbranch_vccnz .LBB153_500
; %bb.493:
	global_load_ubyte v4, v[0:1], off
	s_movk_i32 s0, 0x7f
	s_waitcnt vmcnt(0)
	v_cmp_lt_i16_e32 vcc, s0, v4
	s_mov_b64 s[0:1], 0
	s_and_saveexec_b64 s[2:3], vcc
	s_xor_b64 s[2:3], exec, s[2:3]
	s_cbranch_execz .LBB153_514
; %bb.494:
	s_movk_i32 s0, 0x80
	v_cmp_eq_u16_e32 vcc, s0, v4
	s_mov_b64 s[0:1], -1
	s_and_saveexec_b64 s[22:23], vcc
; %bb.495:
	s_xor_b64 s[0:1], exec, -1
; %bb.496:
	s_or_b64 exec, exec, s[22:23]
	s_and_b64 s[0:1], s[0:1], exec
	s_or_saveexec_b64 s[2:3], s[2:3]
	v_mov_b32_e32 v3, 0x7e00
	s_xor_b64 exec, exec, s[2:3]
	s_cbranch_execnz .LBB153_515
.LBB153_497:
	s_or_b64 exec, exec, s[2:3]
	s_and_saveexec_b64 s[2:3], s[0:1]
	s_cbranch_execz .LBB153_499
.LBB153_498:
	v_lshlrev_b32_e32 v3, 24, v4
	v_and_b32_e32 v4, 0xffff, v4
	v_and_b32_e32 v5, 7, v4
	v_ffbh_u32_e32 v7, v5
	v_min_u32_e32 v7, 32, v7
	v_subrev_u32_e32 v8, 28, v7
	v_bfe_u32 v6, v4, 3, 4
	v_lshlrev_b32_e32 v4, v8, v4
	v_sub_u32_e32 v7, 29, v7
	v_and_b32_e32 v4, 7, v4
	v_cmp_eq_u32_e32 vcc, 0, v6
	v_cndmask_b32_e32 v6, v6, v7, vcc
	v_cndmask_b32_e32 v4, v5, v4, vcc
	v_mov_b32_e32 v5, 0x3b800000
	v_lshlrev_b32_e32 v4, 20, v4
	v_and_b32_e32 v3, 0x80000000, v3
	v_lshl_add_u32 v5, v6, 23, v5
	v_or3_b32 v3, v3, v5, v4
	v_cvt_f16_f32_e32 v3, v3
.LBB153_499:
	s_or_b64 exec, exec, s[2:3]
.LBB153_500:
	s_mov_b64 s[0:1], -1
.LBB153_501:
	s_mov_b64 s[2:3], 0
.LBB153_502:
	s_and_b64 vcc, exec, s[2:3]
	s_cbranch_vccz .LBB153_537
; %bb.503:
	s_cmp_gt_i32 s26, 22
	s_cbranch_scc0 .LBB153_513
; %bb.504:
	s_cmp_lt_i32 s26, 24
	s_cbranch_scc1 .LBB153_516
; %bb.505:
	s_cmp_gt_i32 s26, 24
	s_cbranch_scc0 .LBB153_517
; %bb.506:
	global_load_ubyte v4, v[0:1], off
	s_movk_i32 s0, 0x7f
	s_waitcnt vmcnt(0)
	v_cmp_lt_i16_e32 vcc, s0, v4
	s_mov_b64 s[0:1], 0
	s_and_saveexec_b64 s[2:3], vcc
	s_xor_b64 s[2:3], exec, s[2:3]
	s_cbranch_execz .LBB153_529
; %bb.507:
	s_movk_i32 s0, 0x80
	v_cmp_eq_u16_e32 vcc, s0, v4
	s_mov_b64 s[0:1], -1
	s_and_saveexec_b64 s[22:23], vcc
; %bb.508:
	s_xor_b64 s[0:1], exec, -1
; %bb.509:
	s_or_b64 exec, exec, s[22:23]
	s_and_b64 s[0:1], s[0:1], exec
	s_or_saveexec_b64 s[2:3], s[2:3]
	v_mov_b32_e32 v3, 0x7e00
	s_xor_b64 exec, exec, s[2:3]
	s_cbranch_execnz .LBB153_530
.LBB153_510:
	s_or_b64 exec, exec, s[2:3]
	s_and_saveexec_b64 s[2:3], s[0:1]
	s_cbranch_execz .LBB153_512
.LBB153_511:
	v_lshlrev_b32_e32 v3, 24, v4
	v_and_b32_e32 v4, 0xffff, v4
	v_and_b32_e32 v5, 3, v4
	v_ffbh_u32_e32 v7, v5
	v_min_u32_e32 v7, 32, v7
	v_subrev_u32_e32 v8, 29, v7
	v_bfe_u32 v6, v4, 2, 5
	v_lshlrev_b32_e32 v4, v8, v4
	v_sub_u32_e32 v7, 30, v7
	v_and_b32_e32 v4, 3, v4
	v_cmp_eq_u32_e32 vcc, 0, v6
	v_cndmask_b32_e32 v6, v6, v7, vcc
	v_cndmask_b32_e32 v4, v5, v4, vcc
	v_mov_b32_e32 v5, 0x37800000
	v_lshlrev_b32_e32 v4, 21, v4
	v_and_b32_e32 v3, 0x80000000, v3
	v_lshl_add_u32 v5, v6, 23, v5
	v_or3_b32 v3, v3, v5, v4
	v_cvt_f16_f32_e32 v3, v3
.LBB153_512:
	s_or_b64 exec, exec, s[2:3]
	s_mov_b64 s[0:1], 0
	s_branch .LBB153_518
.LBB153_513:
	s_mov_b64 s[2:3], -1
                                        ; implicit-def: $vgpr3
	s_branch .LBB153_524
.LBB153_514:
	s_or_saveexec_b64 s[2:3], s[2:3]
	v_mov_b32_e32 v3, 0x7e00
	s_xor_b64 exec, exec, s[2:3]
	s_cbranch_execz .LBB153_497
.LBB153_515:
	v_cmp_ne_u16_e32 vcc, 0, v4
	s_andn2_b64 s[0:1], s[0:1], exec
	s_and_b64 s[22:23], vcc, exec
	s_or_b64 s[0:1], s[0:1], s[22:23]
	v_mov_b32_e32 v3, v4
	s_or_b64 exec, exec, s[2:3]
	s_and_saveexec_b64 s[2:3], s[0:1]
	s_cbranch_execnz .LBB153_498
	s_branch .LBB153_499
.LBB153_516:
	s_mov_b64 s[0:1], -1
                                        ; implicit-def: $vgpr3
	s_branch .LBB153_521
.LBB153_517:
	s_mov_b64 s[0:1], -1
                                        ; implicit-def: $vgpr3
.LBB153_518:
	s_and_b64 vcc, exec, s[0:1]
	s_cbranch_vccz .LBB153_520
; %bb.519:
	global_load_ubyte v3, v[0:1], off
	s_mov_b32 s0, 0x7f800000
	s_waitcnt vmcnt(0)
	v_lshlrev_b32_e32 v3, 24, v3
	v_and_b32_e32 v4, 0x7f000000, v3
	v_ffbh_u32_e32 v5, v4
	v_min_u32_e32 v5, 32, v5
	v_sub_u32_e64 v5, v5, 4 clamp
	v_lshlrev_b32_e32 v7, v5, v4
	v_lshlrev_b32_e32 v5, 23, v5
	v_lshrrev_b32_e32 v7, 4, v7
	v_add_u32_e32 v6, 0x1000000, v4
	v_sub_u32_e32 v5, v7, v5
	v_ashrrev_i32_e32 v6, 8, v6
	v_add_u32_e32 v5, 0x3c000000, v5
	v_and_or_b32 v5, v6, s0, v5
	v_cmp_ne_u32_e32 vcc, 0, v4
	v_cndmask_b32_e32 v4, 0, v5, vcc
	s_brev_b32 s0, 1
	v_and_or_b32 v3, v3, s0, v4
	v_cvt_f16_f32_e32 v3, v3
.LBB153_520:
	s_mov_b64 s[0:1], 0
.LBB153_521:
	s_andn2_b64 vcc, exec, s[0:1]
	s_cbranch_vccnz .LBB153_523
; %bb.522:
	global_load_ubyte v3, v[0:1], off
	s_movk_i32 s0, 0x7f00
	s_brev_b32 s1, 16
	s_waitcnt vmcnt(0)
	v_lshlrev_b16_e32 v4, 8, v3
	v_lshlrev_b32_e32 v3, 25, v3
	v_lshrrev_b32_e32 v5, 4, v3
	v_and_or_b32 v6, v4, s0, 0.5
	v_or_b32_e32 v5, 0x70000000, v5
	v_add_f32_e32 v6, -0.5, v6
	v_mul_f32_e32 v5, 0x7800000, v5
	v_cmp_gt_u32_e32 vcc, s1, v3
	v_bfe_i32 v4, v4, 0, 16
	v_cndmask_b32_e32 v3, v5, v6, vcc
	s_brev_b32 s0, 1
	v_and_or_b32 v3, v4, s0, v3
	v_cvt_f16_f32_e32 v3, v3
.LBB153_523:
	s_mov_b64 s[2:3], 0
	s_mov_b64 s[0:1], -1
.LBB153_524:
	s_andn2_b64 vcc, exec, s[2:3]
	s_cbranch_vccnz .LBB153_537
; %bb.525:
	s_cmp_gt_i32 s26, 14
	s_cbranch_scc0 .LBB153_528
; %bb.526:
	s_cmp_eq_u32 s26, 15
	s_cbranch_scc0 .LBB153_531
; %bb.527:
	global_load_ushort v3, v[0:1], off
	s_mov_b64 s[0:1], -1
	s_mov_b64 s[20:21], 0
	s_waitcnt vmcnt(0)
	v_lshlrev_b32_e32 v3, 16, v3
	v_cvt_f16_f32_e32 v3, v3
	s_branch .LBB153_532
.LBB153_528:
	s_mov_b64 s[2:3], -1
                                        ; implicit-def: $vgpr3
	s_branch .LBB153_533
.LBB153_529:
	s_or_saveexec_b64 s[2:3], s[2:3]
	v_mov_b32_e32 v3, 0x7e00
	s_xor_b64 exec, exec, s[2:3]
	s_cbranch_execz .LBB153_510
.LBB153_530:
	v_cmp_ne_u16_e32 vcc, 0, v4
	s_andn2_b64 s[0:1], s[0:1], exec
	s_and_b64 s[22:23], vcc, exec
	s_or_b64 s[0:1], s[0:1], s[22:23]
	v_mov_b32_e32 v3, v4
	s_or_b64 exec, exec, s[2:3]
	s_and_saveexec_b64 s[2:3], s[0:1]
	s_cbranch_execnz .LBB153_511
	s_branch .LBB153_512
.LBB153_531:
	s_mov_b64 s[20:21], -1
                                        ; implicit-def: $vgpr3
.LBB153_532:
	s_mov_b64 s[2:3], 0
.LBB153_533:
	s_and_b64 vcc, exec, s[2:3]
	s_cbranch_vccz .LBB153_537
; %bb.534:
	s_cmp_eq_u32 s26, 11
	s_cbranch_scc0 .LBB153_536
; %bb.535:
	global_load_ubyte v3, v[0:1], off
	v_mov_b32_e32 v4, 0x3c00
	s_mov_b64 s[0:1], -1
	s_mov_b64 s[20:21], 0
	s_waitcnt vmcnt(0)
	v_cmp_ne_u16_e32 vcc, 0, v3
	v_cndmask_b32_e32 v3, 0, v4, vcc
	s_branch .LBB153_537
.LBB153_536:
	s_mov_b64 s[20:21], -1
                                        ; implicit-def: $vgpr3
.LBB153_537:
	s_branch .LBB153_302
.LBB153_538:
	s_cmp_lt_i32 s26, 5
	s_cbranch_scc1 .LBB153_543
; %bb.539:
	s_cmp_lt_i32 s26, 8
	s_cbranch_scc1 .LBB153_544
; %bb.540:
	;; [unrolled: 3-line block ×3, first 2 shown]
	s_cmp_gt_i32 s26, 9
	s_cbranch_scc0 .LBB153_546
; %bb.542:
	global_load_dwordx2 v[3:4], v[0:1], off
	s_movk_i32 s0, 0x1ff
	s_movk_i32 s1, 0xffe
	v_mov_b32_e32 v5, 0x7c00
	v_mov_b32_e32 v6, 0x7e00
	s_movk_i32 s2, 0x40f
	s_mov_b32 s3, 0x8000
	s_waitcnt vmcnt(0)
	v_and_or_b32 v3, v4, s0, v3
	v_cmp_ne_u32_e32 vcc, 0, v3
	v_lshrrev_b32_e32 v7, 8, v4
	v_bfe_u32 v8, v4, 20, 11
	v_cndmask_b32_e64 v3, 0, 1, vcc
	v_sub_u32_e32 v9, 0x3f1, v8
	v_and_or_b32 v3, v7, s1, v3
	v_add_u32_e32 v8, 0xfffffc10, v8
	v_med3_i32 v7, v9, 0, 13
	v_or_b32_e32 v9, 0x1000, v3
	v_cmp_ne_u32_e32 vcc, 0, v3
	v_lshl_or_b32 v10, v8, 12, v3
	v_cndmask_b32_e32 v3, v5, v6, vcc
	v_lshrrev_b32_e32 v6, v7, v9
	v_lshlrev_b32_e32 v7, v7, v6
	v_cmp_ne_u32_e32 vcc, v7, v9
	v_cndmask_b32_e64 v7, 0, 1, vcc
	v_or_b32_e32 v6, v6, v7
	v_cmp_gt_i32_e32 vcc, 1, v8
	v_cndmask_b32_e32 v6, v10, v6, vcc
	v_and_b32_e32 v7, 7, v6
	v_cmp_lt_i32_e32 vcc, 5, v7
	v_cndmask_b32_e64 v9, 0, 1, vcc
	v_cmp_eq_u32_e32 vcc, 3, v7
	v_cndmask_b32_e64 v7, 0, 1, vcc
	v_lshrrev_b32_e32 v6, 2, v6
	v_or_b32_e32 v7, v7, v9
	v_add_u32_e32 v6, v6, v7
	v_cmp_gt_i32_e32 vcc, 31, v8
	v_cndmask_b32_e32 v5, v5, v6, vcc
	v_cmp_eq_u32_e32 vcc, s2, v8
	v_lshrrev_b32_e32 v4, 16, v4
	v_cndmask_b32_e32 v3, v5, v3, vcc
	v_and_or_b32 v3, v4, s3, v3
	s_mov_b64 s[0:1], 0
	s_branch .LBB153_547
.LBB153_543:
	s_mov_b64 s[0:1], -1
                                        ; implicit-def: $vgpr3
	s_branch .LBB153_565
.LBB153_544:
	s_mov_b64 s[0:1], -1
                                        ; implicit-def: $vgpr3
	s_branch .LBB153_553
.LBB153_545:
	s_mov_b64 s[0:1], -1
                                        ; implicit-def: $vgpr3
	s_branch .LBB153_550
.LBB153_546:
	s_mov_b64 s[0:1], -1
                                        ; implicit-def: $vgpr3
.LBB153_547:
	s_andn2_b64 vcc, exec, s[0:1]
	s_cbranch_vccnz .LBB153_549
; %bb.548:
	global_load_dword v3, v[0:1], off
	s_waitcnt vmcnt(0)
	v_cvt_f16_f32_e32 v3, v3
.LBB153_549:
	s_mov_b64 s[0:1], 0
.LBB153_550:
	s_andn2_b64 vcc, exec, s[0:1]
	s_cbranch_vccnz .LBB153_552
; %bb.551:
	global_load_dword v3, v[0:1], off
.LBB153_552:
	s_mov_b64 s[0:1], 0
.LBB153_553:
	s_andn2_b64 vcc, exec, s[0:1]
	s_cbranch_vccnz .LBB153_564
; %bb.554:
	s_cmp_lt_i32 s26, 6
	s_cbranch_scc1 .LBB153_557
; %bb.555:
	s_cmp_gt_i32 s26, 6
	s_cbranch_scc0 .LBB153_558
; %bb.556:
	global_load_dwordx2 v[3:4], v[0:1], off
	s_movk_i32 s0, 0x1ff
	s_movk_i32 s1, 0xffe
	v_mov_b32_e32 v5, 0x7c00
	v_mov_b32_e32 v6, 0x7e00
	s_movk_i32 s2, 0x40f
	s_mov_b32 s3, 0x8000
	s_waitcnt vmcnt(0)
	v_and_or_b32 v3, v4, s0, v3
	v_cmp_ne_u32_e32 vcc, 0, v3
	v_lshrrev_b32_e32 v7, 8, v4
	v_bfe_u32 v8, v4, 20, 11
	v_cndmask_b32_e64 v3, 0, 1, vcc
	v_sub_u32_e32 v9, 0x3f1, v8
	v_and_or_b32 v3, v7, s1, v3
	v_add_u32_e32 v8, 0xfffffc10, v8
	v_med3_i32 v7, v9, 0, 13
	v_or_b32_e32 v9, 0x1000, v3
	v_cmp_ne_u32_e32 vcc, 0, v3
	v_lshl_or_b32 v10, v8, 12, v3
	v_cndmask_b32_e32 v3, v5, v6, vcc
	v_lshrrev_b32_e32 v6, v7, v9
	v_lshlrev_b32_e32 v7, v7, v6
	v_cmp_ne_u32_e32 vcc, v7, v9
	v_cndmask_b32_e64 v7, 0, 1, vcc
	v_or_b32_e32 v6, v6, v7
	v_cmp_gt_i32_e32 vcc, 1, v8
	v_cndmask_b32_e32 v6, v10, v6, vcc
	v_and_b32_e32 v7, 7, v6
	v_cmp_lt_i32_e32 vcc, 5, v7
	v_cndmask_b32_e64 v9, 0, 1, vcc
	v_cmp_eq_u32_e32 vcc, 3, v7
	v_cndmask_b32_e64 v7, 0, 1, vcc
	v_lshrrev_b32_e32 v6, 2, v6
	v_or_b32_e32 v7, v7, v9
	v_add_u32_e32 v6, v6, v7
	v_cmp_gt_i32_e32 vcc, 31, v8
	v_cndmask_b32_e32 v5, v5, v6, vcc
	v_cmp_eq_u32_e32 vcc, s2, v8
	v_lshrrev_b32_e32 v4, 16, v4
	v_cndmask_b32_e32 v3, v5, v3, vcc
	v_and_or_b32 v3, v4, s3, v3
	s_mov_b64 s[0:1], 0
	s_branch .LBB153_559
.LBB153_557:
	s_mov_b64 s[0:1], -1
                                        ; implicit-def: $vgpr3
	s_branch .LBB153_562
.LBB153_558:
	s_mov_b64 s[0:1], -1
                                        ; implicit-def: $vgpr3
.LBB153_559:
	s_andn2_b64 vcc, exec, s[0:1]
	s_cbranch_vccnz .LBB153_561
; %bb.560:
	global_load_dword v3, v[0:1], off
	s_waitcnt vmcnt(0)
	v_cvt_f16_f32_e32 v3, v3
.LBB153_561:
	s_mov_b64 s[0:1], 0
.LBB153_562:
	s_andn2_b64 vcc, exec, s[0:1]
	s_cbranch_vccnz .LBB153_564
; %bb.563:
	global_load_ushort v3, v[0:1], off
.LBB153_564:
	s_mov_b64 s[0:1], 0
.LBB153_565:
	s_andn2_b64 vcc, exec, s[0:1]
	s_cbranch_vccnz .LBB153_585
; %bb.566:
	s_cmp_lt_i32 s26, 2
	s_cbranch_scc1 .LBB153_570
; %bb.567:
	s_cmp_lt_i32 s26, 3
	s_cbranch_scc1 .LBB153_571
; %bb.568:
	s_cmp_gt_i32 s26, 3
	s_cbranch_scc0 .LBB153_572
; %bb.569:
	global_load_dwordx2 v[3:4], v[0:1], off
	s_mov_b64 s[0:1], 0
	s_waitcnt vmcnt(0)
	v_xor_b32_e32 v6, v3, v4
	v_ffbh_i32_e32 v5, v4
	v_ashrrev_i32_e32 v6, 31, v6
	v_add_u32_e32 v5, -1, v5
	v_add_u32_e32 v6, 32, v6
	v_min_u32_e32 v5, v5, v6
	v_lshlrev_b64 v[3:4], v5, v[3:4]
	v_min_u32_e32 v3, 1, v3
	v_or_b32_e32 v3, v4, v3
	v_cvt_f32_i32_e32 v3, v3
	v_sub_u32_e32 v4, 32, v5
	v_ldexp_f32 v3, v3, v4
	v_cvt_f16_f32_e32 v3, v3
	s_branch .LBB153_573
.LBB153_570:
	s_mov_b64 s[0:1], -1
                                        ; implicit-def: $vgpr3
	s_branch .LBB153_579
.LBB153_571:
	s_mov_b64 s[0:1], -1
                                        ; implicit-def: $vgpr3
	s_branch .LBB153_576
.LBB153_572:
	s_mov_b64 s[0:1], -1
                                        ; implicit-def: $vgpr3
.LBB153_573:
	s_andn2_b64 vcc, exec, s[0:1]
	s_cbranch_vccnz .LBB153_575
; %bb.574:
	global_load_dword v3, v[0:1], off
	s_waitcnt vmcnt(0)
	v_cvt_f32_i32_e32 v3, v3
	v_cvt_f16_f32_e32 v3, v3
.LBB153_575:
	s_mov_b64 s[0:1], 0
.LBB153_576:
	s_andn2_b64 vcc, exec, s[0:1]
	s_cbranch_vccnz .LBB153_578
; %bb.577:
	global_load_ushort v3, v[0:1], off
	s_waitcnt vmcnt(0)
	v_cvt_f16_i16_e32 v3, v3
.LBB153_578:
	s_mov_b64 s[0:1], 0
.LBB153_579:
	s_andn2_b64 vcc, exec, s[0:1]
	s_cbranch_vccnz .LBB153_585
; %bb.580:
	s_cmp_gt_i32 s26, 0
	s_cbranch_scc0 .LBB153_582
; %bb.581:
	global_load_sbyte v3, v[0:1], off
	s_mov_b64 s[0:1], 0
	s_waitcnt vmcnt(0)
	v_cvt_f16_i16_e32 v3, v3
	s_branch .LBB153_583
.LBB153_582:
	s_mov_b64 s[0:1], -1
                                        ; implicit-def: $vgpr3
.LBB153_583:
	s_andn2_b64 vcc, exec, s[0:1]
	s_cbranch_vccnz .LBB153_585
; %bb.584:
	global_load_ubyte v0, v[0:1], off
	s_waitcnt vmcnt(0)
	v_cvt_f16_u16_e32 v3, v0
.LBB153_585:
	s_branch .LBB153_303
.LBB153_586:
	s_mov_b64 s[2:3], 0
                                        ; implicit-def: $vgpr2
	s_mov_b64 s[0:1], s[6:7]
.LBB153_587:
	s_andn2_b64 s[22:23], s[6:7], exec
	s_and_b64 s[0:1], s[0:1], exec
	s_or_b64 s[22:23], s[22:23], s[0:1]
	s_andn2_b64 s[0:1], s[16:17], exec
	s_and_b64 s[20:21], s[20:21], exec
	s_or_b64 s[20:21], s[0:1], s[20:21]
	s_orn2_b64 s[0:1], s[2:3], exec
.LBB153_588:
	s_or_b64 exec, exec, s[24:25]
	s_mov_b64 s[2:3], 0
	s_mov_b64 s[26:27], 0
	;; [unrolled: 1-line block ×3, first 2 shown]
                                        ; implicit-def: $vgpr0_vgpr1
                                        ; implicit-def: $vgpr3
	s_and_saveexec_b64 s[24:25], s[0:1]
	s_cbranch_execz .LBB153_971
; %bb.589:
	v_cmp_gt_i32_e32 vcc, s38, v2
	s_mov_b64 s[34:35], -1
	s_mov_b64 s[0:1], s[20:21]
	s_mov_b64 s[2:3], s[22:23]
	s_and_saveexec_b64 s[26:27], vcc
	s_cbranch_execz .LBB153_885
; %bb.590:
	v_mul_lo_u32 v0, v2, s11
	v_mov_b32_e32 v1, s15
	s_and_b32 s34, 0xffff, s42
	s_cmp_lt_i32 s34, 11
	s_waitcnt vmcnt(0)
	v_ashrrev_i32_e32 v3, 31, v0
	v_add_co_u32_e32 v0, vcc, s14, v0
	v_addc_co_u32_e32 v1, vcc, v1, v3, vcc
	s_cbranch_scc1 .LBB153_597
; %bb.591:
	s_cmp_gt_i32 s34, 25
	s_cbranch_scc0 .LBB153_598
; %bb.592:
	s_cmp_gt_i32 s34, 28
	s_cbranch_scc0 .LBB153_599
	;; [unrolled: 3-line block ×4, first 2 shown]
; %bb.595:
	s_cmp_eq_u32 s34, 46
	s_mov_b64 s[2:3], 0
	s_cbranch_scc0 .LBB153_606
; %bb.596:
	global_load_dword v3, v[0:1], off
	s_mov_b64 s[0:1], -1
	s_waitcnt vmcnt(0)
	v_lshlrev_b32_e32 v3, 16, v3
	v_cvt_f16_f32_e32 v3, v3
	s_branch .LBB153_607
.LBB153_597:
	s_mov_b64 s[2:3], -1
	s_mov_b64 s[0:1], 0
                                        ; implicit-def: $vgpr3
	s_mov_b64 s[28:29], s[20:21]
	s_branch .LBB153_672
.LBB153_598:
	s_mov_b64 s[2:3], -1
	s_mov_b64 s[0:1], 0
	s_mov_b64 s[28:29], s[20:21]
                                        ; implicit-def: $vgpr3
	s_branch .LBB153_636
.LBB153_599:
	s_mov_b64 s[2:3], -1
	s_mov_b64 s[0:1], 0
	s_mov_b64 s[28:29], s[20:21]
                                        ; implicit-def: $vgpr3
	s_branch .LBB153_617
.LBB153_600:
	s_mov_b64 s[2:3], -1
	s_mov_b64 s[0:1], 0
	s_mov_b64 s[28:29], s[20:21]
                                        ; implicit-def: $vgpr3
	s_branch .LBB153_612
.LBB153_601:
	s_andn2_saveexec_b64 s[26:27], s[26:27]
	s_cbranch_execz .LBB153_386
.LBB153_602:
	s_mov_b32 s30, 0x46000000
	v_add_f32_e64 v5, |v4|, s30
	v_and_b32_e32 v5, 0xff, v5
	v_cmp_ne_u32_e32 vcc, 0, v5
	s_andn2_b64 s[22:23], s[22:23], exec
	s_and_b64 s[30:31], vcc, exec
	s_or_b64 s[22:23], s[22:23], s[30:31]
	s_or_b64 exec, exec, s[26:27]
	v_mov_b32_e32 v6, 0
	s_and_saveexec_b64 s[26:27], s[22:23]
	s_cbranch_execnz .LBB153_387
	s_branch .LBB153_388
.LBB153_603:
	s_mov_b64 s[2:3], -1
	s_mov_b64 s[0:1], 0
	s_mov_b64 s[28:29], s[20:21]
                                        ; implicit-def: $vgpr3
	s_branch .LBB153_607
.LBB153_604:
	s_andn2_saveexec_b64 s[26:27], s[26:27]
	s_cbranch_execz .LBB153_399
.LBB153_605:
	s_mov_b32 s30, 0x42800000
	v_add_f32_e64 v5, |v4|, s30
	v_and_b32_e32 v5, 0xff, v5
	v_cmp_ne_u32_e32 vcc, 0, v5
	s_andn2_b64 s[22:23], s[22:23], exec
	s_and_b64 s[30:31], vcc, exec
	s_or_b64 s[22:23], s[22:23], s[30:31]
	s_or_b64 exec, exec, s[26:27]
	v_mov_b32_e32 v6, 0
	s_and_saveexec_b64 s[26:27], s[22:23]
	s_cbranch_execnz .LBB153_400
	s_branch .LBB153_401
.LBB153_606:
	s_mov_b64 s[28:29], -1
                                        ; implicit-def: $vgpr3
	s_mov_b64 s[0:1], 0
.LBB153_607:
	s_and_b64 vcc, exec, s[2:3]
	s_cbranch_vccz .LBB153_611
; %bb.608:
	s_cmp_eq_u32 s34, 44
	s_cbranch_scc0 .LBB153_610
; %bb.609:
	global_load_ubyte v3, v[0:1], off
	s_movk_i32 s2, 0xff
	v_mov_b32_e32 v5, 0x7e00
	s_mov_b64 s[0:1], -1
	s_mov_b64 s[28:29], 0
	s_waitcnt vmcnt(0)
	v_lshlrev_b32_e32 v4, 23, v3
	v_cvt_f16_f32_e32 v4, v4
	v_cmp_ne_u32_e32 vcc, s2, v3
	v_cndmask_b32_e32 v4, v5, v4, vcc
	v_cmp_ne_u32_e32 vcc, 0, v3
	v_cndmask_b32_e32 v3, 0, v4, vcc
	s_branch .LBB153_611
.LBB153_610:
	s_mov_b64 s[28:29], -1
                                        ; implicit-def: $vgpr3
.LBB153_611:
	s_mov_b64 s[2:3], 0
.LBB153_612:
	s_and_b64 vcc, exec, s[2:3]
	s_cbranch_vccz .LBB153_616
; %bb.613:
	s_cmp_eq_u32 s34, 29
	s_cbranch_scc0 .LBB153_615
; %bb.614:
	global_load_dwordx2 v[3:4], v[0:1], off
	s_mov_b64 s[0:1], -1
	s_mov_b64 s[28:29], 0
	s_mov_b64 s[2:3], 0
	s_waitcnt vmcnt(0)
	v_ffbh_u32_e32 v5, v4
	v_min_u32_e32 v5, 32, v5
	v_lshlrev_b64 v[3:4], v5, v[3:4]
	v_min_u32_e32 v3, 1, v3
	v_or_b32_e32 v3, v4, v3
	v_cvt_f32_u32_e32 v3, v3
	v_sub_u32_e32 v4, 32, v5
	v_ldexp_f32 v3, v3, v4
	v_cvt_f16_f32_e32 v3, v3
	s_branch .LBB153_617
.LBB153_615:
	s_mov_b64 s[28:29], -1
                                        ; implicit-def: $vgpr3
.LBB153_616:
	s_mov_b64 s[2:3], 0
.LBB153_617:
	s_and_b64 vcc, exec, s[2:3]
	s_cbranch_vccz .LBB153_635
; %bb.618:
	s_cmp_lt_i32 s34, 27
	s_cbranch_scc1 .LBB153_621
; %bb.619:
	s_cmp_gt_i32 s34, 27
	s_cbranch_scc0 .LBB153_622
; %bb.620:
	global_load_dword v3, v[0:1], off
	s_mov_b64 s[0:1], 0
	s_waitcnt vmcnt(0)
	v_cvt_f32_u32_e32 v3, v3
	v_cvt_f16_f32_e32 v3, v3
	s_branch .LBB153_623
.LBB153_621:
	s_mov_b64 s[0:1], -1
                                        ; implicit-def: $vgpr3
	s_branch .LBB153_626
.LBB153_622:
	s_mov_b64 s[0:1], -1
                                        ; implicit-def: $vgpr3
.LBB153_623:
	s_andn2_b64 vcc, exec, s[0:1]
	s_cbranch_vccnz .LBB153_625
; %bb.624:
	global_load_ushort v3, v[0:1], off
	s_waitcnt vmcnt(0)
	v_cvt_f16_u16_e32 v3, v3
.LBB153_625:
	s_mov_b64 s[0:1], 0
.LBB153_626:
	s_andn2_b64 vcc, exec, s[0:1]
	s_cbranch_vccnz .LBB153_634
; %bb.627:
	global_load_ubyte v4, v[0:1], off
	s_movk_i32 s0, 0x7f
	s_waitcnt vmcnt(0)
	v_cmp_lt_i16_e32 vcc, s0, v4
	s_mov_b64 s[0:1], 0
	s_and_saveexec_b64 s[2:3], vcc
	s_xor_b64 s[2:3], exec, s[2:3]
	s_cbranch_execz .LBB153_648
; %bb.628:
	s_movk_i32 s0, 0x80
	v_cmp_eq_u16_e32 vcc, s0, v4
	s_mov_b64 s[0:1], -1
	s_and_saveexec_b64 s[30:31], vcc
; %bb.629:
	s_xor_b64 s[0:1], exec, -1
; %bb.630:
	s_or_b64 exec, exec, s[30:31]
	s_and_b64 s[0:1], s[0:1], exec
	s_or_saveexec_b64 s[2:3], s[2:3]
	v_mov_b32_e32 v3, 0x7e00
	s_xor_b64 exec, exec, s[2:3]
	s_cbranch_execnz .LBB153_649
.LBB153_631:
	s_or_b64 exec, exec, s[2:3]
	s_and_saveexec_b64 s[2:3], s[0:1]
	s_cbranch_execz .LBB153_633
.LBB153_632:
	v_lshlrev_b32_e32 v3, 24, v4
	v_and_b32_e32 v4, 0xffff, v4
	v_and_b32_e32 v5, 7, v4
	v_ffbh_u32_e32 v7, v5
	v_min_u32_e32 v7, 32, v7
	v_subrev_u32_e32 v8, 28, v7
	v_bfe_u32 v6, v4, 3, 4
	v_lshlrev_b32_e32 v4, v8, v4
	v_sub_u32_e32 v7, 29, v7
	v_and_b32_e32 v4, 7, v4
	v_cmp_eq_u32_e32 vcc, 0, v6
	v_cndmask_b32_e32 v6, v6, v7, vcc
	v_cndmask_b32_e32 v4, v5, v4, vcc
	v_mov_b32_e32 v5, 0x3b800000
	v_lshlrev_b32_e32 v4, 20, v4
	v_and_b32_e32 v3, 0x80000000, v3
	v_lshl_add_u32 v5, v6, 23, v5
	v_or3_b32 v3, v3, v5, v4
	v_cvt_f16_f32_e32 v3, v3
.LBB153_633:
	s_or_b64 exec, exec, s[2:3]
.LBB153_634:
	s_mov_b64 s[0:1], -1
.LBB153_635:
	s_mov_b64 s[2:3], 0
.LBB153_636:
	s_and_b64 vcc, exec, s[2:3]
	s_cbranch_vccz .LBB153_671
; %bb.637:
	s_cmp_gt_i32 s34, 22
	s_cbranch_scc0 .LBB153_647
; %bb.638:
	s_cmp_lt_i32 s34, 24
	s_cbranch_scc1 .LBB153_650
; %bb.639:
	s_cmp_gt_i32 s34, 24
	s_cbranch_scc0 .LBB153_651
; %bb.640:
	global_load_ubyte v4, v[0:1], off
	s_movk_i32 s0, 0x7f
	s_waitcnt vmcnt(0)
	v_cmp_lt_i16_e32 vcc, s0, v4
	s_mov_b64 s[0:1], 0
	s_and_saveexec_b64 s[2:3], vcc
	s_xor_b64 s[2:3], exec, s[2:3]
	s_cbranch_execz .LBB153_663
; %bb.641:
	s_movk_i32 s0, 0x80
	v_cmp_eq_u16_e32 vcc, s0, v4
	s_mov_b64 s[0:1], -1
	s_and_saveexec_b64 s[30:31], vcc
; %bb.642:
	s_xor_b64 s[0:1], exec, -1
; %bb.643:
	s_or_b64 exec, exec, s[30:31]
	s_and_b64 s[0:1], s[0:1], exec
	s_or_saveexec_b64 s[2:3], s[2:3]
	v_mov_b32_e32 v3, 0x7e00
	s_xor_b64 exec, exec, s[2:3]
	s_cbranch_execnz .LBB153_664
.LBB153_644:
	s_or_b64 exec, exec, s[2:3]
	s_and_saveexec_b64 s[2:3], s[0:1]
	s_cbranch_execz .LBB153_646
.LBB153_645:
	v_lshlrev_b32_e32 v3, 24, v4
	v_and_b32_e32 v4, 0xffff, v4
	v_and_b32_e32 v5, 3, v4
	v_ffbh_u32_e32 v7, v5
	v_min_u32_e32 v7, 32, v7
	v_subrev_u32_e32 v8, 29, v7
	v_bfe_u32 v6, v4, 2, 5
	v_lshlrev_b32_e32 v4, v8, v4
	v_sub_u32_e32 v7, 30, v7
	v_and_b32_e32 v4, 3, v4
	v_cmp_eq_u32_e32 vcc, 0, v6
	v_cndmask_b32_e32 v6, v6, v7, vcc
	v_cndmask_b32_e32 v4, v5, v4, vcc
	v_mov_b32_e32 v5, 0x37800000
	v_lshlrev_b32_e32 v4, 21, v4
	v_and_b32_e32 v3, 0x80000000, v3
	v_lshl_add_u32 v5, v6, 23, v5
	v_or3_b32 v3, v3, v5, v4
	v_cvt_f16_f32_e32 v3, v3
.LBB153_646:
	s_or_b64 exec, exec, s[2:3]
	s_mov_b64 s[0:1], 0
	s_branch .LBB153_652
.LBB153_647:
	s_mov_b64 s[2:3], -1
                                        ; implicit-def: $vgpr3
	s_branch .LBB153_658
.LBB153_648:
	s_or_saveexec_b64 s[2:3], s[2:3]
	v_mov_b32_e32 v3, 0x7e00
	s_xor_b64 exec, exec, s[2:3]
	s_cbranch_execz .LBB153_631
.LBB153_649:
	v_cmp_ne_u16_e32 vcc, 0, v4
	s_andn2_b64 s[0:1], s[0:1], exec
	s_and_b64 s[30:31], vcc, exec
	s_or_b64 s[0:1], s[0:1], s[30:31]
	v_mov_b32_e32 v3, v4
	s_or_b64 exec, exec, s[2:3]
	s_and_saveexec_b64 s[2:3], s[0:1]
	s_cbranch_execnz .LBB153_632
	s_branch .LBB153_633
.LBB153_650:
	s_mov_b64 s[0:1], -1
                                        ; implicit-def: $vgpr3
	s_branch .LBB153_655
.LBB153_651:
	s_mov_b64 s[0:1], -1
                                        ; implicit-def: $vgpr3
.LBB153_652:
	s_and_b64 vcc, exec, s[0:1]
	s_cbranch_vccz .LBB153_654
; %bb.653:
	global_load_ubyte v3, v[0:1], off
	s_mov_b32 s0, 0x7f800000
	s_waitcnt vmcnt(0)
	v_lshlrev_b32_e32 v3, 24, v3
	v_and_b32_e32 v4, 0x7f000000, v3
	v_ffbh_u32_e32 v5, v4
	v_min_u32_e32 v5, 32, v5
	v_sub_u32_e64 v5, v5, 4 clamp
	v_lshlrev_b32_e32 v7, v5, v4
	v_lshlrev_b32_e32 v5, 23, v5
	v_lshrrev_b32_e32 v7, 4, v7
	v_add_u32_e32 v6, 0x1000000, v4
	v_sub_u32_e32 v5, v7, v5
	v_ashrrev_i32_e32 v6, 8, v6
	v_add_u32_e32 v5, 0x3c000000, v5
	v_and_or_b32 v5, v6, s0, v5
	v_cmp_ne_u32_e32 vcc, 0, v4
	v_cndmask_b32_e32 v4, 0, v5, vcc
	s_brev_b32 s0, 1
	v_and_or_b32 v3, v3, s0, v4
	v_cvt_f16_f32_e32 v3, v3
.LBB153_654:
	s_mov_b64 s[0:1], 0
.LBB153_655:
	s_andn2_b64 vcc, exec, s[0:1]
	s_cbranch_vccnz .LBB153_657
; %bb.656:
	global_load_ubyte v3, v[0:1], off
	s_movk_i32 s0, 0x7f00
	s_brev_b32 s1, 16
	s_waitcnt vmcnt(0)
	v_lshlrev_b16_e32 v4, 8, v3
	v_lshlrev_b32_e32 v3, 25, v3
	v_lshrrev_b32_e32 v5, 4, v3
	v_and_or_b32 v6, v4, s0, 0.5
	v_or_b32_e32 v5, 0x70000000, v5
	v_add_f32_e32 v6, -0.5, v6
	v_mul_f32_e32 v5, 0x7800000, v5
	v_cmp_gt_u32_e32 vcc, s1, v3
	v_bfe_i32 v4, v4, 0, 16
	v_cndmask_b32_e32 v3, v5, v6, vcc
	s_brev_b32 s0, 1
	v_and_or_b32 v3, v4, s0, v3
	v_cvt_f16_f32_e32 v3, v3
.LBB153_657:
	s_mov_b64 s[2:3], 0
	s_mov_b64 s[0:1], -1
.LBB153_658:
	s_andn2_b64 vcc, exec, s[2:3]
	s_cbranch_vccnz .LBB153_671
; %bb.659:
	s_cmp_gt_i32 s34, 14
	s_cbranch_scc0 .LBB153_662
; %bb.660:
	s_cmp_eq_u32 s34, 15
	s_cbranch_scc0 .LBB153_665
; %bb.661:
	global_load_ushort v3, v[0:1], off
	s_mov_b64 s[0:1], -1
	s_mov_b64 s[28:29], 0
	s_waitcnt vmcnt(0)
	v_lshlrev_b32_e32 v3, 16, v3
	v_cvt_f16_f32_e32 v3, v3
	s_branch .LBB153_666
.LBB153_662:
	s_mov_b64 s[2:3], -1
                                        ; implicit-def: $vgpr3
	s_branch .LBB153_667
.LBB153_663:
	s_or_saveexec_b64 s[2:3], s[2:3]
	v_mov_b32_e32 v3, 0x7e00
	s_xor_b64 exec, exec, s[2:3]
	s_cbranch_execz .LBB153_644
.LBB153_664:
	v_cmp_ne_u16_e32 vcc, 0, v4
	s_andn2_b64 s[0:1], s[0:1], exec
	s_and_b64 s[30:31], vcc, exec
	s_or_b64 s[0:1], s[0:1], s[30:31]
	v_mov_b32_e32 v3, v4
	s_or_b64 exec, exec, s[2:3]
	s_and_saveexec_b64 s[2:3], s[0:1]
	s_cbranch_execnz .LBB153_645
	s_branch .LBB153_646
.LBB153_665:
	s_mov_b64 s[28:29], -1
                                        ; implicit-def: $vgpr3
.LBB153_666:
	s_mov_b64 s[2:3], 0
.LBB153_667:
	s_and_b64 vcc, exec, s[2:3]
	s_cbranch_vccz .LBB153_671
; %bb.668:
	s_cmp_eq_u32 s34, 11
	s_cbranch_scc0 .LBB153_670
; %bb.669:
	global_load_ubyte v3, v[0:1], off
	v_mov_b32_e32 v4, 0x3c00
	s_mov_b64 s[0:1], -1
	s_mov_b64 s[28:29], 0
	s_waitcnt vmcnt(0)
	v_cmp_ne_u16_e32 vcc, 0, v3
	v_cndmask_b32_e32 v3, 0, v4, vcc
	s_branch .LBB153_671
.LBB153_670:
	s_mov_b64 s[28:29], -1
                                        ; implicit-def: $vgpr3
.LBB153_671:
	s_mov_b64 s[2:3], 0
.LBB153_672:
	s_and_b64 vcc, exec, s[2:3]
	s_cbranch_vccz .LBB153_721
; %bb.673:
	s_cmp_lt_i32 s34, 5
	s_cbranch_scc1 .LBB153_678
; %bb.674:
	s_cmp_lt_i32 s34, 8
	s_cbranch_scc1 .LBB153_679
	;; [unrolled: 3-line block ×3, first 2 shown]
; %bb.676:
	s_cmp_gt_i32 s34, 9
	s_cbranch_scc0 .LBB153_681
; %bb.677:
	global_load_dwordx2 v[3:4], v[0:1], off
	s_movk_i32 s0, 0x1ff
	s_movk_i32 s1, 0xffe
	v_mov_b32_e32 v5, 0x7c00
	v_mov_b32_e32 v6, 0x7e00
	s_movk_i32 s2, 0x40f
	s_mov_b32 s3, 0x8000
	s_waitcnt vmcnt(0)
	v_and_or_b32 v3, v4, s0, v3
	v_cmp_ne_u32_e32 vcc, 0, v3
	v_lshrrev_b32_e32 v7, 8, v4
	v_bfe_u32 v8, v4, 20, 11
	v_cndmask_b32_e64 v3, 0, 1, vcc
	v_sub_u32_e32 v9, 0x3f1, v8
	v_and_or_b32 v3, v7, s1, v3
	v_add_u32_e32 v8, 0xfffffc10, v8
	v_med3_i32 v7, v9, 0, 13
	v_or_b32_e32 v9, 0x1000, v3
	v_cmp_ne_u32_e32 vcc, 0, v3
	v_lshl_or_b32 v10, v8, 12, v3
	v_cndmask_b32_e32 v3, v5, v6, vcc
	v_lshrrev_b32_e32 v6, v7, v9
	v_lshlrev_b32_e32 v7, v7, v6
	v_cmp_ne_u32_e32 vcc, v7, v9
	v_cndmask_b32_e64 v7, 0, 1, vcc
	v_or_b32_e32 v6, v6, v7
	v_cmp_gt_i32_e32 vcc, 1, v8
	v_cndmask_b32_e32 v6, v10, v6, vcc
	v_and_b32_e32 v7, 7, v6
	v_cmp_lt_i32_e32 vcc, 5, v7
	v_cndmask_b32_e64 v9, 0, 1, vcc
	v_cmp_eq_u32_e32 vcc, 3, v7
	v_cndmask_b32_e64 v7, 0, 1, vcc
	v_lshrrev_b32_e32 v6, 2, v6
	v_or_b32_e32 v7, v7, v9
	v_add_u32_e32 v6, v6, v7
	v_cmp_gt_i32_e32 vcc, 31, v8
	v_cndmask_b32_e32 v5, v5, v6, vcc
	v_cmp_eq_u32_e32 vcc, s2, v8
	v_lshrrev_b32_e32 v4, 16, v4
	v_cndmask_b32_e32 v3, v5, v3, vcc
	v_and_or_b32 v3, v4, s3, v3
	s_mov_b64 s[0:1], 0
	s_branch .LBB153_682
.LBB153_678:
	s_mov_b64 s[0:1], -1
                                        ; implicit-def: $vgpr3
	s_branch .LBB153_700
.LBB153_679:
	s_mov_b64 s[0:1], -1
                                        ; implicit-def: $vgpr3
	s_branch .LBB153_688
.LBB153_680:
	s_mov_b64 s[0:1], -1
                                        ; implicit-def: $vgpr3
	s_branch .LBB153_685
.LBB153_681:
	s_mov_b64 s[0:1], -1
                                        ; implicit-def: $vgpr3
.LBB153_682:
	s_andn2_b64 vcc, exec, s[0:1]
	s_cbranch_vccnz .LBB153_684
; %bb.683:
	global_load_dword v3, v[0:1], off
	s_waitcnt vmcnt(0)
	v_cvt_f16_f32_e32 v3, v3
.LBB153_684:
	s_mov_b64 s[0:1], 0
.LBB153_685:
	s_andn2_b64 vcc, exec, s[0:1]
	s_cbranch_vccnz .LBB153_687
; %bb.686:
	global_load_dword v3, v[0:1], off
.LBB153_687:
	s_mov_b64 s[0:1], 0
.LBB153_688:
	s_andn2_b64 vcc, exec, s[0:1]
	s_cbranch_vccnz .LBB153_699
; %bb.689:
	s_cmp_lt_i32 s34, 6
	s_cbranch_scc1 .LBB153_692
; %bb.690:
	s_cmp_gt_i32 s34, 6
	s_cbranch_scc0 .LBB153_693
; %bb.691:
	global_load_dwordx2 v[3:4], v[0:1], off
	s_movk_i32 s0, 0x1ff
	s_movk_i32 s1, 0xffe
	v_mov_b32_e32 v5, 0x7c00
	v_mov_b32_e32 v6, 0x7e00
	s_movk_i32 s2, 0x40f
	s_mov_b32 s3, 0x8000
	s_waitcnt vmcnt(0)
	v_and_or_b32 v3, v4, s0, v3
	v_cmp_ne_u32_e32 vcc, 0, v3
	v_lshrrev_b32_e32 v7, 8, v4
	v_bfe_u32 v8, v4, 20, 11
	v_cndmask_b32_e64 v3, 0, 1, vcc
	v_sub_u32_e32 v9, 0x3f1, v8
	v_and_or_b32 v3, v7, s1, v3
	v_add_u32_e32 v8, 0xfffffc10, v8
	v_med3_i32 v7, v9, 0, 13
	v_or_b32_e32 v9, 0x1000, v3
	v_cmp_ne_u32_e32 vcc, 0, v3
	v_lshl_or_b32 v10, v8, 12, v3
	v_cndmask_b32_e32 v3, v5, v6, vcc
	v_lshrrev_b32_e32 v6, v7, v9
	v_lshlrev_b32_e32 v7, v7, v6
	v_cmp_ne_u32_e32 vcc, v7, v9
	v_cndmask_b32_e64 v7, 0, 1, vcc
	v_or_b32_e32 v6, v6, v7
	v_cmp_gt_i32_e32 vcc, 1, v8
	v_cndmask_b32_e32 v6, v10, v6, vcc
	v_and_b32_e32 v7, 7, v6
	v_cmp_lt_i32_e32 vcc, 5, v7
	v_cndmask_b32_e64 v9, 0, 1, vcc
	v_cmp_eq_u32_e32 vcc, 3, v7
	v_cndmask_b32_e64 v7, 0, 1, vcc
	v_lshrrev_b32_e32 v6, 2, v6
	v_or_b32_e32 v7, v7, v9
	v_add_u32_e32 v6, v6, v7
	v_cmp_gt_i32_e32 vcc, 31, v8
	v_cndmask_b32_e32 v5, v5, v6, vcc
	v_cmp_eq_u32_e32 vcc, s2, v8
	v_lshrrev_b32_e32 v4, 16, v4
	v_cndmask_b32_e32 v3, v5, v3, vcc
	v_and_or_b32 v3, v4, s3, v3
	s_mov_b64 s[0:1], 0
	s_branch .LBB153_694
.LBB153_692:
	s_mov_b64 s[0:1], -1
                                        ; implicit-def: $vgpr3
	s_branch .LBB153_697
.LBB153_693:
	s_mov_b64 s[0:1], -1
                                        ; implicit-def: $vgpr3
.LBB153_694:
	s_andn2_b64 vcc, exec, s[0:1]
	s_cbranch_vccnz .LBB153_696
; %bb.695:
	global_load_dword v3, v[0:1], off
	s_waitcnt vmcnt(0)
	v_cvt_f16_f32_e32 v3, v3
.LBB153_696:
	s_mov_b64 s[0:1], 0
.LBB153_697:
	s_andn2_b64 vcc, exec, s[0:1]
	s_cbranch_vccnz .LBB153_699
; %bb.698:
	global_load_ushort v3, v[0:1], off
.LBB153_699:
	s_mov_b64 s[0:1], 0
.LBB153_700:
	s_andn2_b64 vcc, exec, s[0:1]
	s_cbranch_vccnz .LBB153_720
; %bb.701:
	s_cmp_lt_i32 s34, 2
	s_cbranch_scc1 .LBB153_705
; %bb.702:
	s_cmp_lt_i32 s34, 3
	s_cbranch_scc1 .LBB153_706
; %bb.703:
	s_cmp_gt_i32 s34, 3
	s_cbranch_scc0 .LBB153_707
; %bb.704:
	global_load_dwordx2 v[3:4], v[0:1], off
	s_mov_b64 s[0:1], 0
	s_waitcnt vmcnt(0)
	v_xor_b32_e32 v6, v3, v4
	v_ffbh_i32_e32 v5, v4
	v_ashrrev_i32_e32 v6, 31, v6
	v_add_u32_e32 v5, -1, v5
	v_add_u32_e32 v6, 32, v6
	v_min_u32_e32 v5, v5, v6
	v_lshlrev_b64 v[3:4], v5, v[3:4]
	v_min_u32_e32 v3, 1, v3
	v_or_b32_e32 v3, v4, v3
	v_cvt_f32_i32_e32 v3, v3
	v_sub_u32_e32 v4, 32, v5
	v_ldexp_f32 v3, v3, v4
	v_cvt_f16_f32_e32 v3, v3
	s_branch .LBB153_708
.LBB153_705:
	s_mov_b64 s[0:1], -1
                                        ; implicit-def: $vgpr3
	s_branch .LBB153_714
.LBB153_706:
	s_mov_b64 s[0:1], -1
                                        ; implicit-def: $vgpr3
	s_branch .LBB153_711
.LBB153_707:
	s_mov_b64 s[0:1], -1
                                        ; implicit-def: $vgpr3
.LBB153_708:
	s_andn2_b64 vcc, exec, s[0:1]
	s_cbranch_vccnz .LBB153_710
; %bb.709:
	global_load_dword v3, v[0:1], off
	s_waitcnt vmcnt(0)
	v_cvt_f32_i32_e32 v3, v3
	v_cvt_f16_f32_e32 v3, v3
.LBB153_710:
	s_mov_b64 s[0:1], 0
.LBB153_711:
	s_andn2_b64 vcc, exec, s[0:1]
	s_cbranch_vccnz .LBB153_713
; %bb.712:
	global_load_ushort v3, v[0:1], off
	s_waitcnt vmcnt(0)
	v_cvt_f16_i16_e32 v3, v3
.LBB153_713:
	s_mov_b64 s[0:1], 0
.LBB153_714:
	s_andn2_b64 vcc, exec, s[0:1]
	s_cbranch_vccnz .LBB153_720
; %bb.715:
	s_cmp_gt_i32 s34, 0
	s_cbranch_scc0 .LBB153_717
; %bb.716:
	global_load_sbyte v3, v[0:1], off
	s_mov_b64 s[0:1], 0
	s_waitcnt vmcnt(0)
	v_cvt_f16_i16_e32 v3, v3
	s_branch .LBB153_718
.LBB153_717:
	s_mov_b64 s[0:1], -1
                                        ; implicit-def: $vgpr3
.LBB153_718:
	s_andn2_b64 vcc, exec, s[0:1]
	s_cbranch_vccnz .LBB153_720
; %bb.719:
	global_load_ubyte v0, v[0:1], off
	s_waitcnt vmcnt(0)
	v_cvt_f16_u16_e32 v3, v0
.LBB153_720:
	s_mov_b64 s[0:1], -1
.LBB153_721:
	s_andn2_b64 vcc, exec, s[0:1]
	s_cbranch_vccnz .LBB153_767
; %bb.722:
	s_waitcnt vmcnt(0)
	v_cvt_f32_f16_e32 v0, v3
	s_mov_b32 s0, 0x3c800000
                                        ; implicit-def: $vgpr4
	v_and_b32_e32 v1, 0x7fffffff, v0
	v_cmp_nlt_f32_e64 s[0:1], |v0|, s0
	s_and_saveexec_b64 s[2:3], s[0:1]
	s_xor_b64 s[2:3], exec, s[2:3]
	s_cbranch_execz .LBB153_752
; %bb.723:
	v_cmp_nlt_f32_e64 s[0:1], |v0|, 2.0
                                        ; implicit-def: $vgpr4
	s_and_saveexec_b64 s[30:31], s[0:1]
	s_xor_b64 s[30:31], exec, s[30:31]
	s_cbranch_execz .LBB153_733
; %bb.724:
	s_mov_b32 s0, 0x41000000
	v_cmp_nlt_f32_e64 s[0:1], |v0|, s0
                                        ; implicit-def: $vgpr4
	s_and_saveexec_b64 s[34:35], s[0:1]
	s_xor_b64 s[34:35], exec, s[34:35]
	s_cbranch_execz .LBB153_730
; %bb.725:
	s_mov_b32 s0, 0x5c800000
	v_cmp_nlt_f32_e64 s[0:1], |v0|, s0
                                        ; implicit-def: $vgpr4
	s_and_saveexec_b64 s[36:37], s[0:1]
	s_xor_b64 s[36:37], exec, s[36:37]
	s_cbranch_execz .LBB153_727
; %bb.726:
	s_mov_b32 s0, 0x800000
	v_cmp_lt_f32_e64 vcc, |v0|, s0
	v_cndmask_b32_e64 v4, 0, 32, vcc
	v_ldexp_f32 v4, |v0|, v4
	v_log_f32_e32 v4, v4
	s_mov_b32 s0, 0x3f317217
	s_mov_b32 s1, 0x7f800000
	v_mul_f32_e32 v5, 0x3f317217, v4
	v_fma_f32 v6, v4, s0, -v5
	v_fmac_f32_e32 v6, 0x3377d1cf, v4
	v_add_f32_e32 v5, v5, v6
	v_cmp_lt_f32_e64 s[0:1], |v4|, s1
	v_cndmask_b32_e64 v4, v4, v5, s[0:1]
	v_mov_b32_e32 v5, 0x41b17218
	v_cndmask_b32_e32 v5, 0, v5, vcc
	v_sub_f32_e32 v4, v4, v5
	v_fma_f32 v4, |v0|, v4, -|v0|
.LBB153_727:
	s_andn2_saveexec_b64 s[36:37], s[36:37]
	s_cbranch_execz .LBB153_729
; %bb.728:
	v_rcp_f32_e64 v5, |v0|
	v_mov_b32_e32 v4, 0x3a5b3dd2
	v_mov_b32_e32 v6, 0xba1c065c
	;; [unrolled: 1-line block ×3, first 2 shown]
	v_mul_f32_e32 v8, v5, v5
	v_fmac_f32_e32 v4, 0xbad5c4e8, v8
	v_fmac_f32_e32 v6, v8, v4
	s_mov_b32 s0, 0x800000
	v_fmac_f32_e32 v7, v8, v6
	v_mov_b32_e32 v4, 0xbb360b61
	v_cmp_lt_f32_e64 vcc, |v0|, s0
	v_fmac_f32_e32 v4, v8, v7
	v_cndmask_b32_e64 v7, 0, 32, vcc
	v_ldexp_f32 v7, |v0|, v7
	v_log_f32_e32 v7, v7
	v_mov_b32_e32 v6, 0x3daaaaab
	v_fmac_f32_e32 v6, v8, v4
	v_mov_b32_e32 v4, 0x3ed67f1d
	v_fmac_f32_e32 v4, v5, v6
	s_mov_b32 s0, 0x3f317217
	v_mul_f32_e32 v6, 0x3f317217, v7
	v_fma_f32 v8, v7, s0, -v6
	v_fmac_f32_e32 v8, 0x3377d1cf, v7
	s_mov_b32 s0, 0x7f800000
	v_add_f32_e32 v6, v6, v8
	v_cmp_lt_f32_e64 s[0:1], |v7|, s0
	v_cndmask_b32_e64 v6, v7, v6, s[0:1]
	v_mov_b32_e32 v7, 0x41b17218
	v_cndmask_b32_e32 v7, 0, v7, vcc
	v_sub_f32_e32 v6, v6, v7
	v_add_f32_e64 v5, |v0|, -0.5
	v_add_f32_e32 v6, -1.0, v6
	v_fmac_f32_e32 v4, v5, v6
.LBB153_729:
	s_or_b64 exec, exec, s[36:37]
.LBB153_730:
	s_andn2_saveexec_b64 s[34:35], s[34:35]
	s_cbranch_execz .LBB153_732
; %bb.731:
	v_cvt_i32_f32_e32 v4, v1
	v_mov_b32_e32 v5, 0x3af135b4
	v_mov_b32_e32 v6, 0x3cda40e4
	;; [unrolled: 1-line block ×3, first 2 shown]
	v_cvt_f32_i32_e32 v8, v4
	v_mov_b32_e32 v9, 0x3ea6cc7a
	v_mov_b32_e32 v10, 0x3e5c245a
	v_cmp_lt_i32_e32 vcc, 2, v4
	v_sub_f32_e64 v8, |v0|, v8
	v_fmac_f32_e32 v5, 0x3805ff67, v8
	v_fmac_f32_e32 v6, v8, v5
	v_fmac_f32_e32 v7, v8, v6
	v_mov_b32_e32 v6, 0x3a4beed6
	v_fmac_f32_e32 v9, v8, v7
	v_fmac_f32_e32 v6, 0x36f5d7bd, v8
	v_mov_b32_e32 v7, 0x3c98bf54
	v_fmac_f32_e32 v7, v8, v6
	v_mov_b32_e32 v6, 0x3e300f6e
	;; [unrolled: 2-line block ×4, first 2 shown]
	v_fmac_f32_e32 v6, v8, v7
	v_add_f32_e32 v7, 2.0, v8
	v_mov_b32_e32 v11, 0xbd9e233f
	v_fmac_f32_e32 v10, v8, v9
	v_add_f32_e32 v9, 0x40400000, v8
	v_cndmask_b32_e32 v7, 1.0, v7, vcc
	v_cmp_lt_i32_e32 vcc, 3, v4
	v_fmac_f32_e32 v11, v8, v10
	v_add_f32_e32 v10, 4.0, v8
	v_cndmask_b32_e32 v9, 1.0, v9, vcc
	v_cmp_lt_i32_e32 vcc, 4, v4
	v_mul_f32_e32 v5, v8, v11
	v_add_f32_e32 v11, 0x40a00000, v8
	v_mul_f32_e32 v7, v7, v9
	v_cndmask_b32_e32 v9, 1.0, v10, vcc
	v_cmp_lt_i32_e32 vcc, 5, v4
	v_add_f32_e32 v12, 0x40c00000, v8
	v_mul_f32_e32 v7, v9, v7
	v_cndmask_b32_e32 v9, 1.0, v11, vcc
	v_cmp_lt_i32_e32 vcc, 6, v4
	v_mul_f32_e32 v7, v9, v7
	v_cndmask_b32_e32 v4, 1.0, v12, vcc
	v_mul_f32_e32 v4, v4, v7
	s_mov_b32 s0, 0x800000
	v_cmp_gt_f32_e32 vcc, s0, v4
	v_cndmask_b32_e64 v7, 0, 32, vcc
	v_fma_f32 v6, v8, v6, 1.0
	v_ldexp_f32 v4, v4, v7
	v_rcp_f32_e32 v6, v6
	v_log_f32_e32 v4, v4
	s_mov_b32 s0, 0x3f317217
	v_mul_f32_e32 v5, v5, v6
	v_mul_f32_e32 v6, 0x3f317217, v4
	v_fma_f32 v7, v4, s0, -v6
	v_fmac_f32_e32 v7, 0x3377d1cf, v4
	s_mov_b32 s0, 0x7f800000
	v_add_f32_e32 v6, v6, v7
	v_cmp_lt_f32_e64 s[0:1], |v4|, s0
	v_cndmask_b32_e64 v4, v4, v6, s[0:1]
	v_mov_b32_e32 v6, 0x41b17218
	v_cndmask_b32_e32 v6, 0, v6, vcc
	v_fmac_f32_e32 v5, 0.5, v8
	v_sub_f32_e32 v4, v4, v6
	v_add_f32_e32 v4, v4, v5
.LBB153_732:
	s_or_b64 exec, exec, s[34:35]
.LBB153_733:
	s_andn2_saveexec_b64 s[30:31], s[30:31]
	s_cbranch_execz .LBB153_751
; %bb.734:
	s_mov_b32 s0, 0x3f666666
	v_cmp_le_f32_e64 s[0:1], |v0|, s0
                                        ; implicit-def: $vgpr4
                                        ; implicit-def: $vgpr6
                                        ; implicit-def: $vgpr5
	s_and_saveexec_b64 s[34:35], s[0:1]
	s_xor_b64 s[34:35], exec, s[34:35]
	s_cbranch_execz .LBB153_736
; %bb.735:
	s_mov_b32 s0, 0x800000
	v_cmp_lt_f32_e64 vcc, |v0|, s0
	v_cndmask_b32_e64 v4, 0, 32, vcc
	v_ldexp_f32 v4, |v0|, v4
	v_log_f32_e32 v4, v4
	s_mov_b32 s0, 0x3f317217
	s_mov_b32 s1, 0x7f800000
	v_mul_f32_e32 v5, 0x3f317217, v4
	v_fma_f32 v6, v4, s0, -v5
	v_fmac_f32_e32 v6, 0x3377d1cf, v4
	v_add_f32_e32 v5, v5, v6
	v_cmp_lt_f32_e64 s[0:1], |v4|, s1
	v_cndmask_b32_e64 v4, v4, v5, s[0:1]
	v_mov_b32_e32 v5, 0x41b17218
	v_cndmask_b32_e32 v5, 0, v5, vcc
	s_mov_b32 s0, 0x3f3b4a23
	s_mov_b32 s1, 0xbeec5b0c
	v_sub_f32_e32 v4, v4, v5
	v_sub_f32_e64 v5, 1.0, |v0|
	v_add_f32_e64 v6, |v0|, s1
	v_cmp_lt_f32_e64 vcc, |v0|, s0
	s_mov_b32 s0, 0x3e6d3309
	v_cndmask_b32_e32 v5, v5, v6, vcc
	v_cndmask_b32_e64 v6, 0, 1, vcc
	v_cmp_lt_f32_e64 s[0:1], |v0|, s0
	v_xor_b32_e32 v4, 0x80000000, v4
	v_cndmask_b32_e64 v5, v5, |v0|, s[0:1]
	v_cndmask_b32_e64 v6, v6, 2, s[0:1]
.LBB153_736:
	s_andn2_saveexec_b64 s[0:1], s[34:35]
	s_cbranch_execz .LBB153_738
; %bb.737:
	s_mov_b32 s34, 0x3fdda512
	s_mov_b32 s35, 0xbfbb16c3
	v_sub_f32_e64 v4, 2.0, |v0|
	v_add_f32_e64 v5, |v0|, s35
	v_cmp_lt_f32_e64 vcc, |v0|, s34
	v_cndmask_b32_e32 v5, v4, v5, vcc
	v_cndmask_b32_e64 v4, v4, 1.0, vcc
	v_cvt_i32_f32_e32 v4, v4
	s_mov_b32 s34, 0x3f9d70a4
	v_add_f32_e64 v6, |v0|, -1.0
	v_cmp_lt_f32_e64 vcc, |v0|, s34
	v_cndmask_b32_e32 v5, v5, v6, vcc
	v_cndmask_b32_e64 v6, v4, 2, vcc
	v_mov_b32_e32 v4, 0
.LBB153_738:
	s_or_b64 exec, exec, s[0:1]
	v_cmp_lt_i32_e32 vcc, 0, v6
	s_and_saveexec_b64 s[0:1], vcc
	s_xor_b64 s[0:1], exec, s[0:1]
	s_cbranch_execz .LBB153_746
; %bb.739:
	v_cmp_lt_i32_e32 vcc, 1, v6
	s_and_saveexec_b64 s[34:35], vcc
	s_xor_b64 s[34:35], exec, s[34:35]
	s_cbranch_execz .LBB153_743
; %bb.740:
	v_cmp_eq_u32_e32 vcc, 2, v6
	s_and_saveexec_b64 s[36:37], vcc
	s_cbranch_execz .LBB153_742
; %bb.741:
	v_mov_b32_e32 v6, 0x3e6a7578
	v_fmac_f32_e32 v6, 0x3c5b3c5e, v5
	v_mov_b32_e32 v7, 0x3f7a4bb2
	v_fmac_f32_e32 v7, v5, v6
	;; [unrolled: 2-line block ×8, first 2 shown]
	v_fma_f32 v6, v5, v8, 1.0
	v_rcp_f32_e32 v6, v6
	v_mov_b32_e32 v8, 0xbd9e233f
	v_fmac_f32_e32 v8, v5, v7
	v_mul_f32_e32 v7, v5, v8
	v_mul_f32_e32 v6, v7, v6
	v_fmac_f32_e32 v6, -0.5, v5
	v_add_f32_e32 v4, v4, v6
.LBB153_742:
	s_or_b64 exec, exec, s[36:37]
                                        ; implicit-def: $vgpr5
.LBB153_743:
	s_andn2_saveexec_b64 s[34:35], s[34:35]
	s_cbranch_execz .LBB153_745
; %bb.744:
	v_mul_f32_e32 v6, v5, v5
	v_mul_f32_e32 v7, v5, v6
	v_mov_b32_e32 v8, 0xbab7f476
	v_fmac_f32_e32 v8, 0x39a57b6b, v7
	v_mov_b32_e32 v9, 0x3bc7e707
	v_fmac_f32_e32 v9, v7, v8
	;; [unrolled: 2-line block ×12, first 2 shown]
	v_fmac_f32_e32 v10, v5, v11
	s_mov_b32 s36, 0xa2863e55
	v_fma_f32 v5, v7, -v10, s36
	v_fma_f32 v5, v6, v9, -v5
	v_add_f32_e32 v5, 0xbdf8cdce, v5
	v_add_f32_e32 v4, v4, v5
.LBB153_745:
	s_or_b64 exec, exec, s[34:35]
                                        ; implicit-def: $vgpr6
                                        ; implicit-def: $vgpr5
.LBB153_746:
	s_andn2_saveexec_b64 s[0:1], s[0:1]
	s_cbranch_execz .LBB153_750
; %bb.747:
	v_cmp_eq_u32_e32 vcc, 0, v6
	s_and_saveexec_b64 s[34:35], vcc
	s_cbranch_execz .LBB153_749
; %bb.748:
	v_mul_f32_e32 v6, v5, v5
	v_mov_b32_e32 v7, 0x39679767
	v_fmac_f32_e32 v7, 0x37d383a2, v6
	v_mov_b32_e32 v8, 0x3a9c54a1
	v_fmac_f32_e32 v8, v6, v7
	;; [unrolled: 2-line block ×10, first 2 shown]
	v_mul_f32_e32 v6, v6, v8
	v_fmac_f32_e32 v6, v5, v7
	v_fmac_f32_e32 v6, -0.5, v5
	v_add_f32_e32 v4, v4, v6
.LBB153_749:
	s_or_b64 exec, exec, s[34:35]
.LBB153_750:
	s_or_b64 exec, exec, s[0:1]
.LBB153_751:
	s_or_b64 exec, exec, s[30:31]
.LBB153_752:
	s_andn2_saveexec_b64 s[2:3], s[2:3]
	s_cbranch_execz .LBB153_754
; %bb.753:
	s_mov_b32 s0, 0x3e8a8991
	v_mov_b32_e32 v4, 0xbecd26ab
	v_fma_f32 v4, |v0|, s0, v4
	s_mov_b32 s0, 0x3f528d33
	v_fma_f32 v4, |v0|, v4, s0
	s_mov_b32 s0, 0x800000
	v_cmp_lt_f32_e64 vcc, |v0|, s0
	v_cndmask_b32_e64 v5, 0, 32, vcc
	v_ldexp_f32 v5, |v0|, v5
	v_log_f32_e32 v5, v5
	s_mov_b32 s0, 0xbf13c468
	v_fma_f32 v4, |v0|, v4, s0
	s_mov_b32 s0, 0x3f317217
	v_mul_f32_e32 v6, 0x3f317217, v5
	v_fma_f32 v7, v5, s0, -v6
	v_fmac_f32_e32 v7, 0x3377d1cf, v5
	s_mov_b32 s0, 0x7f800000
	v_add_f32_e32 v6, v6, v7
	v_cmp_lt_f32_e64 s[0:1], |v5|, s0
	v_cndmask_b32_e64 v5, v5, v6, s[0:1]
	v_mov_b32_e32 v6, 0x41b17218
	v_cndmask_b32_e32 v6, 0, v6, vcc
	v_sub_f32_e32 v5, v5, v6
	v_fma_f32 v4, |v0|, v4, -v5
.LBB153_754:
	s_or_b64 exec, exec, s[2:3]
	v_cmp_le_f16_e32 vcc, 0, v3
	v_cmp_nle_f16_e64 s[0:1], 0, v3
	s_and_saveexec_b64 s[2:3], s[0:1]
	s_xor_b64 s[30:31], exec, s[2:3]
	s_cbranch_execz .LBB153_758
; %bb.755:
	s_mov_b32 s0, 0x4b000000
	s_mov_b32 s2, 0x35000000
	v_cmp_lt_f32_e64 s[0:1], |v0|, s0
	v_cmp_gt_f32_e64 s[2:3], |v0|, s2
	s_and_b64 s[0:1], s[0:1], s[2:3]
	s_and_saveexec_b64 s[34:35], s[0:1]
	s_cbranch_execz .LBB153_757
; %bb.756:
	v_mul_f32_e64 v5, |v0|, 0.5
	v_floor_f32_e32 v6, v5
	v_sub_f32_e32 v6, v5, v6
	v_min_f32_e32 v6, 0x3f7fffff, v6
	s_mov_b32 s2, 0x7f800000
	v_add_f32_e32 v6, v6, v6
	v_cmp_neq_f32_e64 s[0:1], s2, v5
	v_cndmask_b32_e64 v5, 0, v6, s[0:1]
	v_cmp_gt_f32_e64 s[0:1], |v0|, 1.0
	v_cndmask_b32_e64 v5, |v0|, v5, s[0:1]
	v_add_f32_e32 v6, v5, v5
	v_rndne_f32_e32 v6, v6
	v_fmac_f32_e32 v5, -0.5, v6
	v_mul_f32_e32 v7, v5, v5
	v_mov_b32_e32 v8, 0xbf1f24be
	v_fmac_f32_e32 v8, 0x3e75aa41, v7
	v_mov_b32_e32 v9, 0x40234736
	v_fmac_f32_e32 v9, v7, v8
	;; [unrolled: 2-line block ×3, first 2 shown]
	v_mul_f32_e32 v9, v5, v7
	v_mul_f32_e32 v8, v9, v8
	v_fmac_f32_e32 v8, 0x40490fdb, v5
	v_mov_b32_e32 v5, 0x3e642e9d
	v_cvt_i32_f32_e32 v6, v6
	v_fmac_f32_e32 v5, 0x3d4be544, v7
	v_mov_b32_e32 v9, 0xbfaad1da
	v_fmac_f32_e32 v9, v7, v5
	v_mov_b32_e32 v5, 0x4081e0d3
	;; [unrolled: 2-line block ×3, first 2 shown]
	v_fmac_f32_e32 v9, v7, v5
	v_fma_f32 v5, v7, v9, 1.0
	v_and_b32_e32 v7, 1, v6
	v_lshlrev_b32_e32 v6, 30, v6
	v_cmp_eq_u32_e64 s[0:1], 0, v7
	v_and_b32_e32 v6, 0x80000000, v6
	v_xor_b32_e32 v1, v1, v0
	v_cndmask_b32_e64 v5, v5, v8, s[0:1]
	v_xor_b32_e32 v1, v1, v6
	v_xor_b32_e32 v1, v1, v5
	v_mul_f32_e32 v1, v0, v1
	v_frexp_mant_f32_e64 v5, |v1|
	v_rcp_f32_e32 v5, v5
	v_frexp_exp_i32_f32_e32 v1, v1
	v_sub_u32_e32 v1, 2, v1
	s_mov_b32 s0, 0x800000
	v_mul_f32_e32 v5, 0x3f490fdb, v5
	v_ldexp_f32 v1, v5, v1
	v_cmp_gt_f32_e64 s[0:1], s0, v1
	v_cndmask_b32_e64 v5, 0, 32, s[0:1]
	v_ldexp_f32 v1, v1, v5
	v_log_f32_e32 v1, v1
	s_mov_b32 s3, 0x3f317217
	v_mul_f32_e32 v5, 0x3f317217, v1
	v_fma_f32 v6, v1, s3, -v5
	v_fmac_f32_e32 v6, 0x3377d1cf, v1
	v_add_f32_e32 v5, v5, v6
	v_cmp_lt_f32_e64 s[2:3], |v1|, s2
	v_cndmask_b32_e64 v1, v1, v5, s[2:3]
	v_mov_b32_e32 v5, 0x41b17218
	v_cndmask_b32_e64 v5, 0, v5, s[0:1]
	v_sub_f32_e32 v1, v1, v5
	v_sub_f32_e32 v1, v1, v4
	v_floor_f32_e32 v4, v0
	v_sub_f32_e32 v4, v0, v4
	v_min_f32_e32 v4, 0x3f7fffff, v4
	v_mov_b32_e32 v5, 0x7f800000
	v_cmp_neq_f32_e64 s[0:1], 0, v4
	v_cndmask_b32_e64 v4, v5, v1, s[0:1]
.LBB153_757:
	s_or_b64 exec, exec, s[34:35]
.LBB153_758:
	s_andn2_saveexec_b64 s[30:31], s[30:31]
; %bb.759:
	v_cmp_eq_f16_e64 s[0:1], 1.0, v3
	v_cmp_eq_f16_e64 s[2:3], 2.0, v3
	s_or_b64 s[0:1], s[0:1], s[2:3]
	v_cndmask_b32_e64 v4, v4, 0, s[0:1]
; %bb.760:
	s_or_b64 exec, exec, s[30:31]
	v_cvt_f16_f32_e32 v4, v4
	s_mov_b32 s0, 0x4b000000
	v_cmp_lt_f32_e64 s[0:1], |v0|, s0
	v_mul_lo_u32 v6, v2, s10
	v_mov_b32_e32 v1, 0x264
	v_mov_b32_e32 v5, 0x7c00
	s_or_b64 vcc, vcc, s[0:1]
	v_cndmask_b32_e32 v4, v5, v4, vcc
	v_cmp_class_f32_e32 vcc, v0, v1
	v_cndmask_b32_e32 v0, v4, v5, vcc
	v_cmp_u_f16_e32 vcc, v3, v3
	v_cndmask_b32_e32 v3, v0, v3, vcc
	v_ashrrev_i32_e32 v1, 31, v6
	v_mov_b32_e32 v4, s13
	s_and_b32 s36, s33, 0xff
	v_add_co_u32_e32 v0, vcc, s12, v6
	s_cmp_lt_i32 s36, 11
	v_addc_co_u32_e32 v1, vcc, v4, v1, vcc
	s_cbranch_scc1 .LBB153_768
; %bb.761:
	s_and_b32 s37, 0xffff, s36
	s_cmp_gt_i32 s37, 25
	s_cbranch_scc0 .LBB153_769
; %bb.762:
	s_cmp_gt_i32 s37, 28
	s_cbranch_scc0 .LBB153_770
; %bb.763:
	;; [unrolled: 3-line block ×4, first 2 shown]
	s_mov_b64 s[30:31], 0
	s_mov_b64 s[0:1], -1
	s_cmp_eq_u32 s37, 46
	s_mov_b64 s[2:3], 0
	s_cbranch_scc0 .LBB153_773
; %bb.766:
	v_cvt_f32_f16_e32 v4, v3
	s_movk_i32 s0, 0x7fff
	v_cmp_o_f16_e32 vcc, v3, v3
	v_mov_b32_e32 v5, 0x7fc0
	v_bfe_u32 v6, v4, 16, 1
	v_add3_u32 v4, v4, v6, s0
	v_cndmask_b32_sdwa v4, v5, v4, vcc dst_sel:DWORD dst_unused:UNUSED_PAD src0_sel:DWORD src1_sel:WORD_1
	global_store_dword v[0:1], v4, off
	s_mov_b64 s[2:3], -1
	s_mov_b64 s[0:1], 0
	s_branch .LBB153_773
.LBB153_767:
	s_mov_b64 s[30:31], 0
                                        ; implicit-def: $vgpr2
	s_mov_b64 s[0:1], s[22:23]
	s_branch .LBB153_884
.LBB153_768:
	s_mov_b64 s[30:31], -1
	s_mov_b64 s[2:3], 0
	s_mov_b64 s[0:1], s[22:23]
	s_branch .LBB153_842
.LBB153_769:
	s_mov_b64 s[30:31], -1
	s_mov_b64 s[2:3], 0
	s_mov_b64 s[0:1], s[22:23]
	s_branch .LBB153_800
.LBB153_770:
	s_mov_b64 s[30:31], -1
	s_mov_b64 s[2:3], 0
	s_mov_b64 s[0:1], s[22:23]
	s_branch .LBB153_783
.LBB153_771:
	s_mov_b64 s[30:31], -1
	s_mov_b64 s[2:3], 0
	s_mov_b64 s[0:1], s[22:23]
	s_branch .LBB153_779
.LBB153_772:
	s_mov_b64 s[30:31], -1
	s_mov_b64 s[2:3], 0
	s_mov_b64 s[0:1], s[22:23]
.LBB153_773:
	s_and_b64 vcc, exec, s[30:31]
	s_cbranch_vccz .LBB153_778
; %bb.774:
	s_cmp_eq_u32 s37, 44
	s_mov_b64 s[0:1], -1
	s_cbranch_scc0 .LBB153_778
; %bb.775:
	v_cvt_f32_f16_e32 v4, v3
	s_movk_i32 s0, 0xff
	v_mov_b32_e32 v6, 0xff
	v_bfe_u32 v5, v4, 23, 8
	v_cmp_ne_u32_e32 vcc, s0, v5
	s_and_saveexec_b64 s[2:3], vcc
; %bb.776:
	s_mov_b32 s0, 0x3fffff
	v_lshrrev_b32_e32 v6, 23, v4
	v_and_b32_e32 v7, 0x400000, v4
	v_and_or_b32 v4, v4, s0, v5
	v_cmp_ne_u32_e32 vcc, 0, v7
	v_cmp_ne_u32_e64 s[0:1], 0, v4
	s_and_b64 s[0:1], vcc, s[0:1]
	v_cndmask_b32_e64 v4, 0, 1, s[0:1]
	v_add_u32_e32 v6, v6, v4
; %bb.777:
	s_or_b64 exec, exec, s[2:3]
	s_mov_b64 s[2:3], -1
	s_mov_b64 s[0:1], 0
	global_store_byte v[0:1], v6, off
.LBB153_778:
	s_mov_b64 s[30:31], 0
.LBB153_779:
	s_and_b64 vcc, exec, s[30:31]
	s_cbranch_vccz .LBB153_782
; %bb.780:
	s_cmp_eq_u32 s37, 29
	s_mov_b64 s[0:1], -1
	s_cbranch_scc0 .LBB153_782
; %bb.781:
	v_cvt_f32_f16_e32 v4, v3
	v_mov_b32_e32 v5, 0
	s_mov_b64 s[2:3], -1
	s_mov_b64 s[0:1], 0
	v_cvt_u32_f32_e32 v4, v4
	s_mov_b64 s[30:31], 0
	global_store_dwordx2 v[0:1], v[4:5], off
	s_branch .LBB153_783
.LBB153_782:
	s_mov_b64 s[30:31], 0
.LBB153_783:
	s_and_b64 vcc, exec, s[30:31]
	s_cbranch_vccz .LBB153_799
; %bb.784:
	s_cmp_lt_i32 s37, 27
	s_mov_b64 s[2:3], -1
	s_cbranch_scc1 .LBB153_790
; %bb.785:
	s_cmp_gt_i32 s37, 27
	s_cbranch_scc0 .LBB153_787
; %bb.786:
	v_cvt_f32_f16_e32 v4, v3
	s_mov_b64 s[2:3], 0
	v_cvt_u32_f32_e32 v4, v4
	global_store_dword v[0:1], v4, off
.LBB153_787:
	s_andn2_b64 vcc, exec, s[2:3]
	s_cbranch_vccnz .LBB153_789
; %bb.788:
	v_cvt_u16_f16_e32 v4, v3
	global_store_short v[0:1], v4, off
.LBB153_789:
	s_mov_b64 s[2:3], 0
.LBB153_790:
	s_andn2_b64 vcc, exec, s[2:3]
	s_cbranch_vccnz .LBB153_798
; %bb.791:
	v_cvt_f32_f16_e32 v4, v3
	s_mov_b32 s2, 0x43800000
	v_mov_b32_e32 v6, 0x80
	v_and_b32_e32 v5, 0x7fffffff, v4
	v_cmp_gt_u32_e32 vcc, s2, v5
	s_and_saveexec_b64 s[2:3], vcc
	s_cbranch_execz .LBB153_797
; %bb.792:
	s_mov_b32 s30, 0x3bffffff
	v_cmp_lt_u32_e32 vcc, s30, v5
	s_mov_b64 s[30:31], 0
                                        ; implicit-def: $vgpr5
	s_and_saveexec_b64 s[34:35], vcc
	s_xor_b64 s[34:35], exec, s[34:35]
	s_cbranch_execz .LBB153_898
; %bb.793:
	v_bfe_u32 v5, v4, 20, 1
	s_mov_b32 s39, 0x487ffff
	v_add3_u32 v5, v4, v5, s39
	s_mov_b64 s[30:31], exec
	v_lshrrev_b32_e32 v5, 20, v5
	s_andn2_saveexec_b64 s[34:35], s[34:35]
	s_cbranch_execnz .LBB153_899
.LBB153_794:
	s_or_b64 exec, exec, s[34:35]
	v_mov_b32_e32 v6, 0
	s_and_saveexec_b64 s[34:35], s[30:31]
.LBB153_795:
	v_lshrrev_b32_e32 v4, 24, v4
	s_movk_i32 s30, 0x80
	v_and_or_b32 v6, v4, s30, v5
.LBB153_796:
	s_or_b64 exec, exec, s[34:35]
.LBB153_797:
	s_or_b64 exec, exec, s[2:3]
	global_store_byte v[0:1], v6, off
.LBB153_798:
	s_mov_b64 s[2:3], -1
.LBB153_799:
	s_mov_b64 s[30:31], 0
.LBB153_800:
	s_and_b64 vcc, exec, s[30:31]
	s_cbranch_vccz .LBB153_841
; %bb.801:
	s_cmp_gt_i32 s37, 22
	s_mov_b64 s[30:31], -1
	s_cbranch_scc0 .LBB153_833
; %bb.802:
	s_cmp_lt_i32 s37, 24
	s_mov_b64 s[2:3], -1
	s_cbranch_scc1 .LBB153_822
; %bb.803:
	s_cmp_gt_i32 s37, 24
	s_cbranch_scc0 .LBB153_811
; %bb.804:
	v_cvt_f32_f16_e32 v4, v3
	s_mov_b32 s2, 0x47800000
	v_mov_b32_e32 v6, 0x80
	v_and_b32_e32 v5, 0x7fffffff, v4
	v_cmp_gt_u32_e32 vcc, s2, v5
	s_and_saveexec_b64 s[2:3], vcc
	s_cbranch_execz .LBB153_810
; %bb.805:
	s_mov_b32 s30, 0x37ffffff
	v_cmp_lt_u32_e32 vcc, s30, v5
	s_mov_b64 s[30:31], 0
                                        ; implicit-def: $vgpr5
	s_and_saveexec_b64 s[34:35], vcc
	s_xor_b64 s[34:35], exec, s[34:35]
	s_cbranch_execz .LBB153_901
; %bb.806:
	v_bfe_u32 v5, v4, 21, 1
	s_mov_b32 s39, 0x88fffff
	v_add3_u32 v5, v4, v5, s39
	s_mov_b64 s[30:31], exec
	v_lshrrev_b32_e32 v5, 21, v5
	s_andn2_saveexec_b64 s[34:35], s[34:35]
	s_cbranch_execnz .LBB153_902
.LBB153_807:
	s_or_b64 exec, exec, s[34:35]
	v_mov_b32_e32 v6, 0
	s_and_saveexec_b64 s[34:35], s[30:31]
.LBB153_808:
	v_lshrrev_b32_e32 v4, 24, v4
	s_movk_i32 s30, 0x80
	v_and_or_b32 v6, v4, s30, v5
.LBB153_809:
	s_or_b64 exec, exec, s[34:35]
.LBB153_810:
	s_or_b64 exec, exec, s[2:3]
	s_mov_b64 s[2:3], 0
	global_store_byte v[0:1], v6, off
.LBB153_811:
	s_and_b64 vcc, exec, s[2:3]
	s_cbranch_vccz .LBB153_821
; %bb.812:
	v_cvt_f32_f16_e32 v4, v3
	s_mov_b32 s2, 0x43f00000
                                        ; implicit-def: $vgpr5
	v_and_b32_e32 v6, 0x7fffffff, v4
	v_cmp_gt_u32_e32 vcc, s2, v6
	s_and_saveexec_b64 s[2:3], vcc
	s_xor_b64 s[2:3], exec, s[2:3]
	s_cbranch_execz .LBB153_818
; %bb.813:
	s_mov_b32 s30, 0x3c7fffff
	v_cmp_lt_u32_e32 vcc, s30, v6
                                        ; implicit-def: $vgpr5
	s_and_saveexec_b64 s[30:31], vcc
	s_xor_b64 s[30:31], exec, s[30:31]
; %bb.814:
	v_bfe_u32 v5, v4, 20, 1
	s_mov_b32 s34, 0x407ffff
	v_add3_u32 v5, v4, v5, s34
	v_lshrrev_b32_e32 v6, 20, v5
	v_and_b32_e32 v5, 0xff00000, v5
	s_mov_b32 s34, 0x7f00000
	v_mov_b32_e32 v7, 0x7e
	v_cmp_ne_u32_e32 vcc, s34, v5
	v_cndmask_b32_e32 v5, v7, v6, vcc
; %bb.815:
	s_andn2_saveexec_b64 s[30:31], s[30:31]
; %bb.816:
	s_mov_b32 s34, 0x46800000
	v_add_f32_e64 v5, |v4|, s34
; %bb.817:
	s_or_b64 exec, exec, s[30:31]
                                        ; implicit-def: $vgpr6
.LBB153_818:
	s_andn2_saveexec_b64 s[2:3], s[2:3]
; %bb.819:
	s_mov_b32 s30, 0x7f800000
	v_mov_b32_e32 v5, 0x7e
	v_mov_b32_e32 v7, 0x7f
	v_cmp_lt_u32_e32 vcc, s30, v6
	v_cndmask_b32_e32 v5, v5, v7, vcc
; %bb.820:
	s_or_b64 exec, exec, s[2:3]
	v_lshrrev_b32_e32 v4, 24, v4
	s_movk_i32 s2, 0x80
	v_and_or_b32 v4, v4, s2, v5
	global_store_byte v[0:1], v4, off
.LBB153_821:
	s_mov_b64 s[2:3], 0
.LBB153_822:
	s_andn2_b64 vcc, exec, s[2:3]
	s_cbranch_vccnz .LBB153_832
; %bb.823:
	v_cvt_f32_f16_e32 v4, v3
	s_mov_b32 s2, 0x47800000
                                        ; implicit-def: $vgpr5
	v_and_b32_e32 v6, 0x7fffffff, v4
	v_cmp_gt_u32_e32 vcc, s2, v6
	s_and_saveexec_b64 s[2:3], vcc
	s_xor_b64 s[2:3], exec, s[2:3]
	s_cbranch_execz .LBB153_829
; %bb.824:
	s_mov_b32 s30, 0x387fffff
	v_cmp_lt_u32_e32 vcc, s30, v6
                                        ; implicit-def: $vgpr5
	s_and_saveexec_b64 s[30:31], vcc
	s_xor_b64 s[30:31], exec, s[30:31]
; %bb.825:
	v_bfe_u32 v5, v4, 21, 1
	s_mov_b32 s34, 0x80fffff
	v_add3_u32 v5, v4, v5, s34
	v_lshrrev_b32_e32 v5, 21, v5
; %bb.826:
	s_andn2_saveexec_b64 s[30:31], s[30:31]
; %bb.827:
	s_mov_b32 s34, 0x43000000
	v_add_f32_e64 v5, |v4|, s34
; %bb.828:
	s_or_b64 exec, exec, s[30:31]
                                        ; implicit-def: $vgpr6
.LBB153_829:
	s_andn2_saveexec_b64 s[2:3], s[2:3]
; %bb.830:
	s_mov_b32 s30, 0x7f800000
	v_mov_b32_e32 v5, 0x7c
	v_mov_b32_e32 v7, 0x7f
	v_cmp_lt_u32_e32 vcc, s30, v6
	v_cndmask_b32_e32 v5, v5, v7, vcc
; %bb.831:
	s_or_b64 exec, exec, s[2:3]
	v_lshrrev_b32_e32 v4, 24, v4
	s_movk_i32 s2, 0x80
	v_and_or_b32 v4, v4, s2, v5
	global_store_byte v[0:1], v4, off
.LBB153_832:
	s_mov_b64 s[30:31], 0
	s_mov_b64 s[2:3], -1
.LBB153_833:
	s_andn2_b64 vcc, exec, s[30:31]
	s_cbranch_vccnz .LBB153_841
; %bb.834:
	s_cmp_gt_i32 s37, 14
	s_mov_b64 s[30:31], -1
	s_cbranch_scc0 .LBB153_838
; %bb.835:
	s_cmp_eq_u32 s37, 15
	s_mov_b64 s[0:1], -1
	s_cbranch_scc0 .LBB153_837
; %bb.836:
	v_cvt_f32_f16_e32 v4, v3
	s_movk_i32 s0, 0x7fff
	v_cmp_o_f16_e32 vcc, v3, v3
	v_mov_b32_e32 v5, 0x7fc0
	v_bfe_u32 v6, v4, 16, 1
	v_add3_u32 v4, v4, v6, s0
	v_cndmask_b32_sdwa v4, v5, v4, vcc dst_sel:DWORD dst_unused:UNUSED_PAD src0_sel:DWORD src1_sel:WORD_1
	global_store_short v[0:1], v4, off
	s_mov_b64 s[2:3], -1
	s_mov_b64 s[0:1], 0
.LBB153_837:
	s_mov_b64 s[30:31], 0
.LBB153_838:
	s_and_b64 vcc, exec, s[30:31]
	s_cbranch_vccz .LBB153_841
; %bb.839:
	s_cmp_eq_u32 s37, 11
	s_mov_b64 s[0:1], -1
	s_cbranch_scc0 .LBB153_841
; %bb.840:
	v_cmp_neq_f16_e32 vcc, 0, v3
	v_cndmask_b32_e64 v4, 0, 1, vcc
	s_mov_b64 s[2:3], -1
	s_mov_b64 s[0:1], 0
	global_store_byte v[0:1], v4, off
.LBB153_841:
	s_mov_b64 s[30:31], 0
.LBB153_842:
	s_and_b64 vcc, exec, s[30:31]
	s_cbranch_vccz .LBB153_881
; %bb.843:
	s_and_b32 s30, 0xffff, s36
	s_cmp_lt_i32 s30, 5
	s_mov_b64 s[2:3], -1
	s_cbranch_scc1 .LBB153_864
; %bb.844:
	s_cmp_lt_i32 s30, 8
	s_cbranch_scc1 .LBB153_854
; %bb.845:
	s_cmp_lt_i32 s30, 9
	s_cbranch_scc1 .LBB153_851
; %bb.846:
	s_cmp_gt_i32 s30, 9
	s_cbranch_scc0 .LBB153_848
; %bb.847:
	v_cvt_f32_f16_e32 v4, v3
	v_mov_b32_e32 v6, 0
	v_mov_b32_e32 v7, v6
	s_mov_b64 s[2:3], 0
	v_cvt_f64_f32_e32 v[4:5], v4
	global_store_dwordx4 v[0:1], v[4:7], off
.LBB153_848:
	s_andn2_b64 vcc, exec, s[2:3]
	s_cbranch_vccnz .LBB153_850
; %bb.849:
	v_cvt_f32_f16_e32 v4, v3
	v_mov_b32_e32 v5, 0
	global_store_dwordx2 v[0:1], v[4:5], off
.LBB153_850:
	s_mov_b64 s[2:3], 0
.LBB153_851:
	s_andn2_b64 vcc, exec, s[2:3]
	s_cbranch_vccnz .LBB153_853
; %bb.852:
	v_and_b32_e32 v4, 0xffff, v3
	global_store_dword v[0:1], v4, off
.LBB153_853:
	s_mov_b64 s[2:3], 0
.LBB153_854:
	s_andn2_b64 vcc, exec, s[2:3]
	s_cbranch_vccnz .LBB153_863
; %bb.855:
	s_cmp_lt_i32 s30, 6
	s_mov_b64 s[2:3], -1
	s_cbranch_scc1 .LBB153_861
; %bb.856:
	s_cmp_gt_i32 s30, 6
	s_cbranch_scc0 .LBB153_858
; %bb.857:
	v_cvt_f32_f16_e32 v4, v3
	s_mov_b64 s[2:3], 0
	v_cvt_f64_f32_e32 v[4:5], v4
	global_store_dwordx2 v[0:1], v[4:5], off
.LBB153_858:
	s_andn2_b64 vcc, exec, s[2:3]
	s_cbranch_vccnz .LBB153_860
; %bb.859:
	v_cvt_f32_f16_e32 v4, v3
	global_store_dword v[0:1], v4, off
.LBB153_860:
	s_mov_b64 s[2:3], 0
.LBB153_861:
	s_andn2_b64 vcc, exec, s[2:3]
	s_cbranch_vccnz .LBB153_863
; %bb.862:
	global_store_short v[0:1], v3, off
.LBB153_863:
	s_mov_b64 s[2:3], 0
.LBB153_864:
	s_andn2_b64 vcc, exec, s[2:3]
	s_cbranch_vccnz .LBB153_880
; %bb.865:
	s_cmp_lt_i32 s30, 2
	s_mov_b64 s[2:3], -1
	s_cbranch_scc1 .LBB153_875
; %bb.866:
	s_cmp_lt_i32 s30, 3
	s_cbranch_scc1 .LBB153_872
; %bb.867:
	s_cmp_gt_i32 s30, 3
	s_cbranch_scc0 .LBB153_869
; %bb.868:
	v_cvt_f32_f16_e32 v4, v3
	s_mov_b64 s[2:3], 0
	v_cvt_i32_f32_e32 v4, v4
	v_ashrrev_i32_e32 v5, 31, v4
	global_store_dwordx2 v[0:1], v[4:5], off
.LBB153_869:
	s_andn2_b64 vcc, exec, s[2:3]
	s_cbranch_vccnz .LBB153_871
; %bb.870:
	v_cvt_f32_f16_e32 v4, v3
	v_cvt_i32_f32_e32 v4, v4
	global_store_dword v[0:1], v4, off
.LBB153_871:
	s_mov_b64 s[2:3], 0
.LBB153_872:
	s_andn2_b64 vcc, exec, s[2:3]
	s_cbranch_vccnz .LBB153_874
; %bb.873:
	v_cvt_i16_f16_e32 v4, v3
	global_store_short v[0:1], v4, off
.LBB153_874:
	s_mov_b64 s[2:3], 0
.LBB153_875:
	s_andn2_b64 vcc, exec, s[2:3]
	s_cbranch_vccnz .LBB153_880
; %bb.876:
	s_cmp_gt_i32 s30, 0
	s_mov_b64 s[2:3], -1
	s_cbranch_scc0 .LBB153_878
; %bb.877:
	v_cvt_i16_f16_e32 v4, v3
	s_mov_b64 s[2:3], 0
	global_store_byte v[0:1], v4, off
.LBB153_878:
	s_andn2_b64 vcc, exec, s[2:3]
	s_cbranch_vccnz .LBB153_880
; %bb.879:
	v_cvt_f32_f16_e32 v3, v3
	v_cvt_i32_f32_e32 v3, v3
	global_store_byte v[0:1], v3, off
.LBB153_880:
	s_mov_b64 s[2:3], -1
.LBB153_881:
	s_andn2_b64 vcc, exec, s[2:3]
	s_cbranch_vccnz .LBB153_883
; %bb.882:
	v_add_u32_e32 v2, 0x80, v2
	s_mov_b64 s[30:31], -1
	s_branch .LBB153_884
.LBB153_883:
	s_mov_b64 s[30:31], 0
                                        ; implicit-def: $vgpr2
.LBB153_884:
	s_andn2_b64 s[2:3], s[22:23], exec
	s_and_b64 s[0:1], s[0:1], exec
	s_or_b64 s[2:3], s[2:3], s[0:1]
	s_andn2_b64 s[0:1], s[20:21], exec
	s_and_b64 s[28:29], s[28:29], exec
	s_or_b64 s[0:1], s[0:1], s[28:29]
	s_orn2_b64 s[34:35], s[30:31], exec
.LBB153_885:
	s_or_b64 exec, exec, s[26:27]
	s_mov_b64 s[30:31], 0
	s_mov_b64 s[36:37], 0
	;; [unrolled: 1-line block ×3, first 2 shown]
                                        ; implicit-def: $vgpr0_vgpr1
                                        ; implicit-def: $vgpr3
	s_and_saveexec_b64 s[26:27], s[34:35]
	s_cbranch_execz .LBB153_970
; %bb.886:
	v_cmp_gt_i32_e32 vcc, s38, v2
	s_mov_b64 s[34:35], 0
	s_mov_b64 s[38:39], s[0:1]
	;; [unrolled: 1-line block ×3, first 2 shown]
                                        ; implicit-def: $vgpr0_vgpr1
                                        ; implicit-def: $vgpr3
	s_and_saveexec_b64 s[28:29], vcc
	s_cbranch_execz .LBB153_969
; %bb.887:
	v_mul_lo_u32 v0, v2, s11
	v_mov_b32_e32 v1, s15
	s_and_b32 s43, 0xffff, s42
	s_cmp_lt_i32 s43, 11
	s_waitcnt vmcnt(0)
	v_ashrrev_i32_e32 v3, 31, v0
	v_add_co_u32_e32 v0, vcc, s14, v0
	v_addc_co_u32_e32 v1, vcc, v1, v3, vcc
	s_cbranch_scc1 .LBB153_894
; %bb.888:
	s_cmp_gt_i32 s43, 25
	s_cbranch_scc0 .LBB153_895
; %bb.889:
	s_cmp_gt_i32 s43, 28
	s_cbranch_scc0 .LBB153_896
	;; [unrolled: 3-line block ×4, first 2 shown]
; %bb.892:
	s_cmp_eq_u32 s43, 46
	s_mov_b64 s[38:39], 0
	s_cbranch_scc0 .LBB153_903
; %bb.893:
	global_load_dword v3, v[0:1], off
	s_mov_b64 s[36:37], -1
	s_waitcnt vmcnt(0)
	v_lshlrev_b32_e32 v3, 16, v3
	v_cvt_f16_f32_e32 v3, v3
	s_branch .LBB153_905
.LBB153_894:
	s_mov_b64 s[38:39], -1
                                        ; implicit-def: $vgpr3
	s_mov_b64 s[30:31], s[0:1]
	s_branch .LBB153_968
.LBB153_895:
	s_mov_b64 s[38:39], -1
	s_mov_b64 s[30:31], s[0:1]
                                        ; implicit-def: $vgpr3
	s_branch .LBB153_934
.LBB153_896:
	s_mov_b64 s[38:39], -1
	s_mov_b64 s[30:31], s[0:1]
                                        ; implicit-def: $vgpr3
	s_branch .LBB153_915
.LBB153_897:
	s_mov_b64 s[38:39], -1
	s_mov_b64 s[30:31], s[0:1]
                                        ; implicit-def: $vgpr3
	s_branch .LBB153_910
.LBB153_898:
	s_andn2_saveexec_b64 s[34:35], s[34:35]
	s_cbranch_execz .LBB153_794
.LBB153_899:
	s_mov_b32 s39, 0x46000000
	v_add_f32_e64 v5, |v4|, s39
	v_and_b32_e32 v5, 0xff, v5
	v_cmp_ne_u32_e32 vcc, 0, v5
	s_andn2_b64 s[30:31], s[30:31], exec
	s_and_b64 s[40:41], vcc, exec
	s_or_b64 s[30:31], s[30:31], s[40:41]
	s_or_b64 exec, exec, s[34:35]
	v_mov_b32_e32 v6, 0
	s_and_saveexec_b64 s[34:35], s[30:31]
	s_cbranch_execnz .LBB153_795
	s_branch .LBB153_796
.LBB153_900:
	s_mov_b64 s[38:39], -1
	s_mov_b64 s[30:31], s[0:1]
	s_branch .LBB153_904
.LBB153_901:
	s_andn2_saveexec_b64 s[34:35], s[34:35]
	s_cbranch_execz .LBB153_807
.LBB153_902:
	s_mov_b32 s39, 0x42800000
	v_add_f32_e64 v5, |v4|, s39
	v_and_b32_e32 v5, 0xff, v5
	v_cmp_ne_u32_e32 vcc, 0, v5
	s_andn2_b64 s[30:31], s[30:31], exec
	s_and_b64 s[40:41], vcc, exec
	s_or_b64 s[30:31], s[30:31], s[40:41]
	s_or_b64 exec, exec, s[34:35]
	v_mov_b32_e32 v6, 0
	s_and_saveexec_b64 s[34:35], s[30:31]
	s_cbranch_execnz .LBB153_808
	s_branch .LBB153_809
.LBB153_903:
	s_mov_b64 s[30:31], -1
.LBB153_904:
                                        ; implicit-def: $vgpr3
.LBB153_905:
	s_and_b64 vcc, exec, s[38:39]
	s_cbranch_vccz .LBB153_909
; %bb.906:
	s_cmp_eq_u32 s43, 44
	s_cbranch_scc0 .LBB153_908
; %bb.907:
	global_load_ubyte v3, v[0:1], off
	s_movk_i32 s36, 0xff
	v_mov_b32_e32 v5, 0x7e00
	s_mov_b64 s[30:31], 0
	s_waitcnt vmcnt(0)
	v_lshlrev_b32_e32 v4, 23, v3
	v_cvt_f16_f32_e32 v4, v4
	v_cmp_ne_u32_e32 vcc, s36, v3
	s_mov_b64 s[36:37], -1
	v_cndmask_b32_e32 v4, v5, v4, vcc
	v_cmp_ne_u32_e32 vcc, 0, v3
	v_cndmask_b32_e32 v3, 0, v4, vcc
	s_branch .LBB153_909
.LBB153_908:
	s_mov_b64 s[30:31], -1
                                        ; implicit-def: $vgpr3
.LBB153_909:
	s_mov_b64 s[38:39], 0
.LBB153_910:
	s_and_b64 vcc, exec, s[38:39]
	s_cbranch_vccz .LBB153_914
; %bb.911:
	s_cmp_eq_u32 s43, 29
	s_cbranch_scc0 .LBB153_913
; %bb.912:
	global_load_dwordx2 v[3:4], v[0:1], off
	s_mov_b64 s[30:31], 0
	s_mov_b64 s[36:37], -1
	s_mov_b64 s[38:39], 0
	s_waitcnt vmcnt(0)
	v_ffbh_u32_e32 v5, v4
	v_min_u32_e32 v5, 32, v5
	v_lshlrev_b64 v[3:4], v5, v[3:4]
	v_min_u32_e32 v3, 1, v3
	v_or_b32_e32 v3, v4, v3
	v_cvt_f32_u32_e32 v3, v3
	v_sub_u32_e32 v4, 32, v5
	v_ldexp_f32 v3, v3, v4
	v_cvt_f16_f32_e32 v3, v3
	s_branch .LBB153_915
.LBB153_913:
	s_mov_b64 s[30:31], -1
                                        ; implicit-def: $vgpr3
.LBB153_914:
	s_mov_b64 s[38:39], 0
.LBB153_915:
	s_and_b64 vcc, exec, s[38:39]
	s_cbranch_vccz .LBB153_933
; %bb.916:
	s_cmp_lt_i32 s43, 27
	s_cbranch_scc1 .LBB153_919
; %bb.917:
	s_cmp_gt_i32 s43, 27
	s_cbranch_scc0 .LBB153_920
; %bb.918:
	global_load_dword v3, v[0:1], off
	s_mov_b64 s[36:37], 0
	s_waitcnt vmcnt(0)
	v_cvt_f32_u32_e32 v3, v3
	v_cvt_f16_f32_e32 v3, v3
	s_branch .LBB153_921
.LBB153_919:
	s_mov_b64 s[36:37], -1
                                        ; implicit-def: $vgpr3
	s_branch .LBB153_924
.LBB153_920:
	s_mov_b64 s[36:37], -1
                                        ; implicit-def: $vgpr3
.LBB153_921:
	s_andn2_b64 vcc, exec, s[36:37]
	s_cbranch_vccnz .LBB153_923
; %bb.922:
	global_load_ushort v3, v[0:1], off
	s_waitcnt vmcnt(0)
	v_cvt_f16_u16_e32 v3, v3
.LBB153_923:
	s_mov_b64 s[36:37], 0
.LBB153_924:
	s_andn2_b64 vcc, exec, s[36:37]
	s_cbranch_vccnz .LBB153_932
; %bb.925:
	global_load_ubyte v4, v[0:1], off
	s_movk_i32 s36, 0x7f
	s_waitcnt vmcnt(0)
	v_cmp_lt_i16_e32 vcc, s36, v4
	s_mov_b64 s[36:37], 0
	s_and_saveexec_b64 s[38:39], vcc
	s_xor_b64 s[38:39], exec, s[38:39]
	s_cbranch_execz .LBB153_946
; %bb.926:
	s_movk_i32 s36, 0x80
	v_cmp_eq_u16_e32 vcc, s36, v4
	s_mov_b64 s[36:37], -1
	s_and_saveexec_b64 s[40:41], vcc
; %bb.927:
	s_xor_b64 s[36:37], exec, -1
; %bb.928:
	s_or_b64 exec, exec, s[40:41]
	s_and_b64 s[36:37], s[36:37], exec
	s_or_saveexec_b64 s[38:39], s[38:39]
	v_mov_b32_e32 v3, 0x7e00
	s_xor_b64 exec, exec, s[38:39]
	s_cbranch_execnz .LBB153_947
.LBB153_929:
	s_or_b64 exec, exec, s[38:39]
	s_and_saveexec_b64 s[38:39], s[36:37]
	s_cbranch_execz .LBB153_931
.LBB153_930:
	v_lshlrev_b32_e32 v3, 24, v4
	v_and_b32_e32 v4, 0xffff, v4
	v_and_b32_e32 v5, 7, v4
	v_ffbh_u32_e32 v7, v5
	v_min_u32_e32 v7, 32, v7
	v_subrev_u32_e32 v8, 28, v7
	v_bfe_u32 v6, v4, 3, 4
	v_lshlrev_b32_e32 v4, v8, v4
	v_sub_u32_e32 v7, 29, v7
	v_and_b32_e32 v4, 7, v4
	v_cmp_eq_u32_e32 vcc, 0, v6
	v_cndmask_b32_e32 v6, v6, v7, vcc
	v_cndmask_b32_e32 v4, v5, v4, vcc
	v_mov_b32_e32 v5, 0x3b800000
	v_lshlrev_b32_e32 v4, 20, v4
	v_and_b32_e32 v3, 0x80000000, v3
	v_lshl_add_u32 v5, v6, 23, v5
	v_or3_b32 v3, v3, v5, v4
	v_cvt_f16_f32_e32 v3, v3
.LBB153_931:
	s_or_b64 exec, exec, s[38:39]
.LBB153_932:
	s_mov_b64 s[36:37], -1
.LBB153_933:
	s_mov_b64 s[38:39], 0
.LBB153_934:
	s_and_b64 vcc, exec, s[38:39]
	s_cbranch_vccz .LBB153_967
; %bb.935:
	s_cmp_gt_i32 s43, 22
	s_cbranch_scc0 .LBB153_945
; %bb.936:
	s_cmp_lt_i32 s43, 24
	s_cbranch_scc1 .LBB153_948
; %bb.937:
	s_cmp_gt_i32 s43, 24
	s_cbranch_scc0 .LBB153_949
; %bb.938:
	global_load_ubyte v4, v[0:1], off
	s_movk_i32 s34, 0x7f
	s_waitcnt vmcnt(0)
	v_cmp_lt_i16_e32 vcc, s34, v4
	s_mov_b64 s[34:35], 0
	s_and_saveexec_b64 s[36:37], vcc
	s_xor_b64 s[36:37], exec, s[36:37]
	s_cbranch_execz .LBB153_961
; %bb.939:
	s_movk_i32 s34, 0x80
	v_cmp_eq_u16_e32 vcc, s34, v4
	s_mov_b64 s[34:35], -1
	s_and_saveexec_b64 s[38:39], vcc
; %bb.940:
	s_xor_b64 s[34:35], exec, -1
; %bb.941:
	s_or_b64 exec, exec, s[38:39]
	s_and_b64 s[34:35], s[34:35], exec
	s_or_saveexec_b64 s[36:37], s[36:37]
	v_mov_b32_e32 v3, 0x7e00
	s_xor_b64 exec, exec, s[36:37]
	s_cbranch_execnz .LBB153_962
.LBB153_942:
	s_or_b64 exec, exec, s[36:37]
	s_and_saveexec_b64 s[36:37], s[34:35]
	s_cbranch_execz .LBB153_944
.LBB153_943:
	v_lshlrev_b32_e32 v3, 24, v4
	v_and_b32_e32 v4, 0xffff, v4
	v_and_b32_e32 v5, 3, v4
	v_ffbh_u32_e32 v7, v5
	v_min_u32_e32 v7, 32, v7
	v_subrev_u32_e32 v8, 29, v7
	v_bfe_u32 v6, v4, 2, 5
	v_lshlrev_b32_e32 v4, v8, v4
	v_sub_u32_e32 v7, 30, v7
	v_and_b32_e32 v4, 3, v4
	v_cmp_eq_u32_e32 vcc, 0, v6
	v_cndmask_b32_e32 v6, v6, v7, vcc
	v_cndmask_b32_e32 v4, v5, v4, vcc
	v_mov_b32_e32 v5, 0x37800000
	v_lshlrev_b32_e32 v4, 21, v4
	v_and_b32_e32 v3, 0x80000000, v3
	v_lshl_add_u32 v5, v6, 23, v5
	v_or3_b32 v3, v3, v5, v4
	v_cvt_f16_f32_e32 v3, v3
.LBB153_944:
	s_or_b64 exec, exec, s[36:37]
	s_mov_b64 s[34:35], 0
	s_branch .LBB153_950
.LBB153_945:
	s_mov_b64 s[34:35], -1
                                        ; implicit-def: $vgpr3
	s_branch .LBB153_956
.LBB153_946:
	s_or_saveexec_b64 s[38:39], s[38:39]
	v_mov_b32_e32 v3, 0x7e00
	s_xor_b64 exec, exec, s[38:39]
	s_cbranch_execz .LBB153_929
.LBB153_947:
	v_cmp_ne_u16_e32 vcc, 0, v4
	s_andn2_b64 s[36:37], s[36:37], exec
	s_and_b64 s[40:41], vcc, exec
	s_or_b64 s[36:37], s[36:37], s[40:41]
	v_mov_b32_e32 v3, v4
	s_or_b64 exec, exec, s[38:39]
	s_and_saveexec_b64 s[38:39], s[36:37]
	s_cbranch_execnz .LBB153_930
	s_branch .LBB153_931
.LBB153_948:
	s_mov_b64 s[34:35], -1
                                        ; implicit-def: $vgpr3
	s_branch .LBB153_953
.LBB153_949:
	s_mov_b64 s[34:35], -1
                                        ; implicit-def: $vgpr3
.LBB153_950:
	s_and_b64 vcc, exec, s[34:35]
	s_cbranch_vccz .LBB153_952
; %bb.951:
	global_load_ubyte v3, v[0:1], off
	s_mov_b32 s34, 0x7f800000
	s_waitcnt vmcnt(0)
	v_lshlrev_b32_e32 v3, 24, v3
	v_and_b32_e32 v4, 0x7f000000, v3
	v_ffbh_u32_e32 v5, v4
	v_min_u32_e32 v5, 32, v5
	v_sub_u32_e64 v5, v5, 4 clamp
	v_lshlrev_b32_e32 v7, v5, v4
	v_lshlrev_b32_e32 v5, 23, v5
	v_lshrrev_b32_e32 v7, 4, v7
	v_add_u32_e32 v6, 0x1000000, v4
	v_sub_u32_e32 v5, v7, v5
	v_ashrrev_i32_e32 v6, 8, v6
	v_add_u32_e32 v5, 0x3c000000, v5
	v_and_or_b32 v5, v6, s34, v5
	v_cmp_ne_u32_e32 vcc, 0, v4
	v_cndmask_b32_e32 v4, 0, v5, vcc
	s_brev_b32 s34, 1
	v_and_or_b32 v3, v3, s34, v4
	v_cvt_f16_f32_e32 v3, v3
.LBB153_952:
	s_mov_b64 s[34:35], 0
.LBB153_953:
	s_andn2_b64 vcc, exec, s[34:35]
	s_cbranch_vccnz .LBB153_955
; %bb.954:
	global_load_ubyte v3, v[0:1], off
	s_movk_i32 s34, 0x7f00
	s_brev_b32 s35, 16
	s_waitcnt vmcnt(0)
	v_lshlrev_b16_e32 v4, 8, v3
	v_lshlrev_b32_e32 v3, 25, v3
	v_lshrrev_b32_e32 v5, 4, v3
	v_and_or_b32 v6, v4, s34, 0.5
	v_or_b32_e32 v5, 0x70000000, v5
	v_add_f32_e32 v6, -0.5, v6
	v_mul_f32_e32 v5, 0x7800000, v5
	v_cmp_gt_u32_e32 vcc, s35, v3
	v_bfe_i32 v4, v4, 0, 16
	v_cndmask_b32_e32 v3, v5, v6, vcc
	s_brev_b32 s34, 1
	v_and_or_b32 v3, v4, s34, v3
	v_cvt_f16_f32_e32 v3, v3
.LBB153_955:
	s_mov_b64 s[34:35], 0
	s_mov_b64 s[36:37], -1
.LBB153_956:
	s_andn2_b64 vcc, exec, s[34:35]
	s_mov_b64 s[34:35], 0
	s_cbranch_vccnz .LBB153_967
; %bb.957:
	s_cmp_gt_i32 s43, 14
	s_cbranch_scc0 .LBB153_960
; %bb.958:
	s_cmp_eq_u32 s43, 15
	s_cbranch_scc0 .LBB153_963
; %bb.959:
	global_load_ushort v3, v[0:1], off
	s_mov_b64 s[30:31], 0
	s_mov_b64 s[36:37], -1
	s_waitcnt vmcnt(0)
	v_lshlrev_b32_e32 v3, 16, v3
	v_cvt_f16_f32_e32 v3, v3
	s_branch .LBB153_964
.LBB153_960:
	s_mov_b64 s[38:39], -1
                                        ; implicit-def: $vgpr3
	s_branch .LBB153_965
.LBB153_961:
	s_or_saveexec_b64 s[36:37], s[36:37]
	v_mov_b32_e32 v3, 0x7e00
	s_xor_b64 exec, exec, s[36:37]
	s_cbranch_execz .LBB153_942
.LBB153_962:
	v_cmp_ne_u16_e32 vcc, 0, v4
	s_andn2_b64 s[34:35], s[34:35], exec
	s_and_b64 s[38:39], vcc, exec
	s_or_b64 s[34:35], s[34:35], s[38:39]
	v_mov_b32_e32 v3, v4
	s_or_b64 exec, exec, s[36:37]
	s_and_saveexec_b64 s[36:37], s[34:35]
	s_cbranch_execnz .LBB153_943
	s_branch .LBB153_944
.LBB153_963:
	s_mov_b64 s[30:31], -1
                                        ; implicit-def: $vgpr3
.LBB153_964:
	s_mov_b64 s[38:39], 0
.LBB153_965:
	s_and_b64 vcc, exec, s[38:39]
	s_cbranch_vccz .LBB153_967
; %bb.966:
	s_cmp_lg_u32 s43, 11
	s_cselect_b64 s[38:39], -1, 0
	s_andn2_b64 s[30:31], s[30:31], exec
	s_and_b64 s[38:39], s[38:39], exec
	s_mov_b64 s[34:35], -1
	s_or_b64 s[30:31], s[30:31], s[38:39]
.LBB153_967:
	s_mov_b64 s[38:39], 0
.LBB153_968:
	s_and_b64 s[40:41], s[36:37], exec
	s_and_b64 s[36:37], s[38:39], exec
	s_andn2_b64 s[38:39], s[0:1], exec
	s_and_b64 s[30:31], s[30:31], exec
	s_and_b64 s[34:35], s[34:35], exec
	s_or_b64 s[38:39], s[38:39], s[30:31]
.LBB153_969:
	s_or_b64 exec, exec, s[28:29]
	s_and_b64 s[30:31], s[34:35], exec
	s_andn2_b64 s[0:1], s[0:1], exec
	s_and_b64 s[34:35], s[38:39], exec
	s_and_b64 s[28:29], s[40:41], exec
	;; [unrolled: 1-line block ×3, first 2 shown]
	s_or_b64 s[0:1], s[0:1], s[34:35]
.LBB153_970:
	s_or_b64 exec, exec, s[26:27]
	s_andn2_b64 s[22:23], s[22:23], exec
	s_and_b64 s[2:3], s[2:3], exec
	s_andn2_b64 s[20:21], s[20:21], exec
	s_and_b64 s[0:1], s[0:1], exec
	s_or_b64 s[22:23], s[22:23], s[2:3]
	s_and_b64 s[28:29], s[28:29], exec
	s_and_b64 s[26:27], s[36:37], exec
	;; [unrolled: 1-line block ×3, first 2 shown]
	s_or_b64 s[20:21], s[20:21], s[0:1]
.LBB153_971:
	s_or_b64 exec, exec, s[24:25]
	s_andn2_b64 s[0:1], s[6:7], exec
	s_and_b64 s[6:7], s[22:23], exec
	s_and_b64 s[22:23], s[2:3], exec
	s_andn2_b64 s[2:3], s[16:17], exec
	s_and_b64 s[16:17], s[20:21], exec
	s_or_b64 s[6:7], s[0:1], s[6:7]
	s_and_b64 s[0:1], s[28:29], exec
	s_and_b64 s[24:25], s[26:27], exec
	s_or_b64 s[16:17], s[2:3], s[16:17]
	s_or_b64 exec, exec, s[18:19]
	s_mov_b64 s[18:19], 0
	s_and_saveexec_b64 s[2:3], s[16:17]
	s_cbranch_execz .LBB153_299
.LBB153_972:
	s_mov_b64 s[18:19], exec
	s_andn2_b64 s[22:23], s[22:23], exec
	s_trap 2
	s_or_b64 exec, exec, s[2:3]
	s_and_saveexec_b64 s[2:3], s[22:23]
	s_xor_b64 s[2:3], exec, s[2:3]
	s_cbranch_execnz .LBB153_300
.LBB153_973:
	s_or_b64 exec, exec, s[2:3]
	s_and_saveexec_b64 s[2:3], s[24:25]
	s_cbranch_execz .LBB153_1019
.LBB153_974:
	s_sext_i32_i16 s16, s42
	s_cmp_lt_i32 s16, 5
	s_cbranch_scc1 .LBB153_979
; %bb.975:
	s_cmp_lt_i32 s16, 8
	s_cbranch_scc1 .LBB153_980
; %bb.976:
	;; [unrolled: 3-line block ×3, first 2 shown]
	s_cmp_gt_i32 s16, 9
	s_cbranch_scc0 .LBB153_982
; %bb.978:
	global_load_dwordx2 v[3:4], v[0:1], off
	s_movk_i32 s16, 0x1ff
	s_movk_i32 s17, 0xffe
	v_mov_b32_e32 v5, 0x7c00
	v_mov_b32_e32 v6, 0x7e00
	s_movk_i32 s20, 0x40f
	s_mov_b32 s21, 0x8000
	s_waitcnt vmcnt(0)
	v_and_or_b32 v3, v4, s16, v3
	v_cmp_ne_u32_e32 vcc, 0, v3
	v_lshrrev_b32_e32 v7, 8, v4
	v_bfe_u32 v8, v4, 20, 11
	v_cndmask_b32_e64 v3, 0, 1, vcc
	v_sub_u32_e32 v9, 0x3f1, v8
	v_and_or_b32 v3, v7, s17, v3
	v_add_u32_e32 v8, 0xfffffc10, v8
	v_med3_i32 v7, v9, 0, 13
	v_or_b32_e32 v9, 0x1000, v3
	v_cmp_ne_u32_e32 vcc, 0, v3
	v_lshl_or_b32 v10, v8, 12, v3
	v_cndmask_b32_e32 v3, v5, v6, vcc
	v_lshrrev_b32_e32 v6, v7, v9
	v_lshlrev_b32_e32 v7, v7, v6
	v_cmp_ne_u32_e32 vcc, v7, v9
	v_cndmask_b32_e64 v7, 0, 1, vcc
	v_or_b32_e32 v6, v6, v7
	v_cmp_gt_i32_e32 vcc, 1, v8
	v_cndmask_b32_e32 v6, v10, v6, vcc
	v_and_b32_e32 v7, 7, v6
	v_cmp_lt_i32_e32 vcc, 5, v7
	v_cndmask_b32_e64 v9, 0, 1, vcc
	v_cmp_eq_u32_e32 vcc, 3, v7
	v_cndmask_b32_e64 v7, 0, 1, vcc
	v_lshrrev_b32_e32 v6, 2, v6
	v_or_b32_e32 v7, v7, v9
	v_add_u32_e32 v6, v6, v7
	v_cmp_gt_i32_e32 vcc, 31, v8
	v_cndmask_b32_e32 v5, v5, v6, vcc
	v_cmp_eq_u32_e32 vcc, s20, v8
	v_lshrrev_b32_e32 v4, 16, v4
	v_cndmask_b32_e32 v3, v5, v3, vcc
	v_and_or_b32 v3, v4, s21, v3
	s_mov_b64 s[16:17], 0
	s_branch .LBB153_983
.LBB153_979:
                                        ; implicit-def: $vgpr3
	s_branch .LBB153_1000
.LBB153_980:
                                        ; implicit-def: $vgpr3
	s_branch .LBB153_989
.LBB153_981:
	s_mov_b64 s[16:17], -1
                                        ; implicit-def: $vgpr3
	s_branch .LBB153_986
.LBB153_982:
	s_mov_b64 s[16:17], -1
                                        ; implicit-def: $vgpr3
.LBB153_983:
	s_andn2_b64 vcc, exec, s[16:17]
	s_cbranch_vccnz .LBB153_985
; %bb.984:
	global_load_dword v3, v[0:1], off
	s_waitcnt vmcnt(0)
	v_cvt_f16_f32_e32 v3, v3
.LBB153_985:
	s_mov_b64 s[16:17], 0
.LBB153_986:
	s_andn2_b64 vcc, exec, s[16:17]
	s_cbranch_vccnz .LBB153_988
; %bb.987:
	global_load_dword v3, v[0:1], off
.LBB153_988:
	s_cbranch_execnz .LBB153_999
.LBB153_989:
	s_sext_i32_i16 s16, s42
	s_cmp_lt_i32 s16, 6
	s_cbranch_scc1 .LBB153_992
; %bb.990:
	s_cmp_gt_i32 s16, 6
	s_cbranch_scc0 .LBB153_993
; %bb.991:
	global_load_dwordx2 v[3:4], v[0:1], off
	s_movk_i32 s16, 0x1ff
	s_movk_i32 s17, 0xffe
	v_mov_b32_e32 v5, 0x7c00
	v_mov_b32_e32 v6, 0x7e00
	s_movk_i32 s20, 0x40f
	s_mov_b32 s21, 0x8000
	s_waitcnt vmcnt(0)
	v_and_or_b32 v3, v4, s16, v3
	v_cmp_ne_u32_e32 vcc, 0, v3
	v_lshrrev_b32_e32 v7, 8, v4
	v_bfe_u32 v8, v4, 20, 11
	v_cndmask_b32_e64 v3, 0, 1, vcc
	v_sub_u32_e32 v9, 0x3f1, v8
	v_and_or_b32 v3, v7, s17, v3
	v_add_u32_e32 v8, 0xfffffc10, v8
	v_med3_i32 v7, v9, 0, 13
	v_or_b32_e32 v9, 0x1000, v3
	v_cmp_ne_u32_e32 vcc, 0, v3
	v_lshl_or_b32 v10, v8, 12, v3
	v_cndmask_b32_e32 v3, v5, v6, vcc
	v_lshrrev_b32_e32 v6, v7, v9
	v_lshlrev_b32_e32 v7, v7, v6
	v_cmp_ne_u32_e32 vcc, v7, v9
	v_cndmask_b32_e64 v7, 0, 1, vcc
	v_or_b32_e32 v6, v6, v7
	v_cmp_gt_i32_e32 vcc, 1, v8
	v_cndmask_b32_e32 v6, v10, v6, vcc
	v_and_b32_e32 v7, 7, v6
	v_cmp_lt_i32_e32 vcc, 5, v7
	v_cndmask_b32_e64 v9, 0, 1, vcc
	v_cmp_eq_u32_e32 vcc, 3, v7
	v_cndmask_b32_e64 v7, 0, 1, vcc
	v_lshrrev_b32_e32 v6, 2, v6
	v_or_b32_e32 v7, v7, v9
	v_add_u32_e32 v6, v6, v7
	v_cmp_gt_i32_e32 vcc, 31, v8
	v_cndmask_b32_e32 v5, v5, v6, vcc
	v_cmp_eq_u32_e32 vcc, s20, v8
	v_lshrrev_b32_e32 v4, 16, v4
	v_cndmask_b32_e32 v3, v5, v3, vcc
	v_and_or_b32 v3, v4, s21, v3
	s_mov_b64 s[16:17], 0
	s_branch .LBB153_994
.LBB153_992:
	s_mov_b64 s[16:17], -1
                                        ; implicit-def: $vgpr3
	s_branch .LBB153_997
.LBB153_993:
	s_mov_b64 s[16:17], -1
                                        ; implicit-def: $vgpr3
.LBB153_994:
	s_andn2_b64 vcc, exec, s[16:17]
	s_cbranch_vccnz .LBB153_996
; %bb.995:
	global_load_dword v3, v[0:1], off
	s_waitcnt vmcnt(0)
	v_cvt_f16_f32_e32 v3, v3
.LBB153_996:
	s_mov_b64 s[16:17], 0
.LBB153_997:
	s_andn2_b64 vcc, exec, s[16:17]
	s_cbranch_vccnz .LBB153_999
; %bb.998:
	global_load_ushort v3, v[0:1], off
.LBB153_999:
	s_cbranch_execnz .LBB153_1018
.LBB153_1000:
	s_sext_i32_i16 s16, s42
	s_cmp_lt_i32 s16, 2
	s_cbranch_scc1 .LBB153_1004
; %bb.1001:
	s_cmp_lt_i32 s16, 3
	s_cbranch_scc1 .LBB153_1005
; %bb.1002:
	s_cmp_gt_i32 s16, 3
	s_cbranch_scc0 .LBB153_1006
; %bb.1003:
	global_load_dwordx2 v[3:4], v[0:1], off
	s_mov_b64 s[16:17], 0
	s_waitcnt vmcnt(0)
	v_xor_b32_e32 v6, v3, v4
	v_ffbh_i32_e32 v5, v4
	v_ashrrev_i32_e32 v6, 31, v6
	v_add_u32_e32 v5, -1, v5
	v_add_u32_e32 v6, 32, v6
	v_min_u32_e32 v5, v5, v6
	v_lshlrev_b64 v[3:4], v5, v[3:4]
	v_min_u32_e32 v3, 1, v3
	v_or_b32_e32 v3, v4, v3
	v_cvt_f32_i32_e32 v3, v3
	v_sub_u32_e32 v4, 32, v5
	v_ldexp_f32 v3, v3, v4
	v_cvt_f16_f32_e32 v3, v3
	s_branch .LBB153_1007
.LBB153_1004:
                                        ; implicit-def: $vgpr3
	s_branch .LBB153_1013
.LBB153_1005:
	s_mov_b64 s[16:17], -1
                                        ; implicit-def: $vgpr3
	s_branch .LBB153_1010
.LBB153_1006:
	s_mov_b64 s[16:17], -1
                                        ; implicit-def: $vgpr3
.LBB153_1007:
	s_andn2_b64 vcc, exec, s[16:17]
	s_cbranch_vccnz .LBB153_1009
; %bb.1008:
	global_load_dword v3, v[0:1], off
	s_waitcnt vmcnt(0)
	v_cvt_f32_i32_e32 v3, v3
	v_cvt_f16_f32_e32 v3, v3
.LBB153_1009:
	s_mov_b64 s[16:17], 0
.LBB153_1010:
	s_andn2_b64 vcc, exec, s[16:17]
	s_cbranch_vccnz .LBB153_1012
; %bb.1011:
	global_load_ushort v3, v[0:1], off
	s_waitcnt vmcnt(0)
	v_cvt_f16_i16_e32 v3, v3
.LBB153_1012:
	s_cbranch_execnz .LBB153_1018
.LBB153_1013:
	s_sext_i32_i16 s16, s42
	s_cmp_gt_i32 s16, 0
	s_cbranch_scc0 .LBB153_1015
; %bb.1014:
	global_load_sbyte v3, v[0:1], off
	s_mov_b64 s[16:17], 0
	s_waitcnt vmcnt(0)
	v_cvt_f16_i16_e32 v3, v3
	s_branch .LBB153_1016
.LBB153_1015:
	s_mov_b64 s[16:17], -1
                                        ; implicit-def: $vgpr3
.LBB153_1016:
	s_andn2_b64 vcc, exec, s[16:17]
	s_cbranch_vccnz .LBB153_1018
; %bb.1017:
	global_load_ubyte v0, v[0:1], off
	s_waitcnt vmcnt(0)
	v_cvt_f16_u16_e32 v3, v0
.LBB153_1018:
	s_or_b64 s[0:1], s[0:1], exec
.LBB153_1019:
	s_or_b64 exec, exec, s[2:3]
	s_mov_b64 s[20:21], 0
	s_mov_b64 s[2:3], 0
                                        ; implicit-def: $sgpr26
                                        ; implicit-def: $vgpr0_vgpr1
                                        ; implicit-def: $vgpr4
	s_and_saveexec_b64 s[16:17], s[0:1]
	s_cbranch_execz .LBB153_1075
; %bb.1020:
	s_waitcnt vmcnt(0)
	v_cvt_f32_f16_e32 v0, v3
	s_mov_b32 s0, 0x3c800000
                                        ; implicit-def: $vgpr4
	v_and_b32_e32 v1, 0x7fffffff, v0
	v_cmp_nlt_f32_e64 s[0:1], |v0|, s0
	s_and_saveexec_b64 s[2:3], s[0:1]
	s_xor_b64 s[2:3], exec, s[2:3]
	s_cbranch_execz .LBB153_1050
; %bb.1021:
	v_cmp_nlt_f32_e64 s[0:1], |v0|, 2.0
                                        ; implicit-def: $vgpr4
	s_and_saveexec_b64 s[20:21], s[0:1]
	s_xor_b64 s[20:21], exec, s[20:21]
	s_cbranch_execz .LBB153_1031
; %bb.1022:
	s_mov_b32 s0, 0x41000000
	v_cmp_nlt_f32_e64 s[0:1], |v0|, s0
                                        ; implicit-def: $vgpr4
	s_and_saveexec_b64 s[22:23], s[0:1]
	s_xor_b64 s[22:23], exec, s[22:23]
	s_cbranch_execz .LBB153_1028
; %bb.1023:
	s_mov_b32 s0, 0x5c800000
	v_cmp_nlt_f32_e64 s[0:1], |v0|, s0
                                        ; implicit-def: $vgpr4
	s_and_saveexec_b64 s[24:25], s[0:1]
	s_xor_b64 s[24:25], exec, s[24:25]
	s_cbranch_execz .LBB153_1025
; %bb.1024:
	s_mov_b32 s0, 0x800000
	v_cmp_lt_f32_e64 vcc, |v0|, s0
	v_cndmask_b32_e64 v4, 0, 32, vcc
	v_ldexp_f32 v4, |v0|, v4
	v_log_f32_e32 v4, v4
	s_mov_b32 s0, 0x3f317217
	s_mov_b32 s1, 0x7f800000
	v_mul_f32_e32 v5, 0x3f317217, v4
	v_fma_f32 v6, v4, s0, -v5
	v_fmac_f32_e32 v6, 0x3377d1cf, v4
	v_add_f32_e32 v5, v5, v6
	v_cmp_lt_f32_e64 s[0:1], |v4|, s1
	v_cndmask_b32_e64 v4, v4, v5, s[0:1]
	v_mov_b32_e32 v5, 0x41b17218
	v_cndmask_b32_e32 v5, 0, v5, vcc
	v_sub_f32_e32 v4, v4, v5
	v_fma_f32 v4, |v0|, v4, -|v0|
.LBB153_1025:
	s_andn2_saveexec_b64 s[24:25], s[24:25]
	s_cbranch_execz .LBB153_1027
; %bb.1026:
	v_rcp_f32_e64 v5, |v0|
	v_mov_b32_e32 v4, 0x3a5b3dd2
	v_mov_b32_e32 v6, 0xba1c065c
	;; [unrolled: 1-line block ×3, first 2 shown]
	v_mul_f32_e32 v8, v5, v5
	v_fmac_f32_e32 v4, 0xbad5c4e8, v8
	v_fmac_f32_e32 v6, v8, v4
	s_mov_b32 s0, 0x800000
	v_fmac_f32_e32 v7, v8, v6
	v_mov_b32_e32 v4, 0xbb360b61
	v_cmp_lt_f32_e64 vcc, |v0|, s0
	v_fmac_f32_e32 v4, v8, v7
	v_cndmask_b32_e64 v7, 0, 32, vcc
	v_ldexp_f32 v7, |v0|, v7
	v_log_f32_e32 v7, v7
	v_mov_b32_e32 v6, 0x3daaaaab
	v_fmac_f32_e32 v6, v8, v4
	v_mov_b32_e32 v4, 0x3ed67f1d
	v_fmac_f32_e32 v4, v5, v6
	s_mov_b32 s0, 0x3f317217
	v_mul_f32_e32 v6, 0x3f317217, v7
	v_fma_f32 v8, v7, s0, -v6
	v_fmac_f32_e32 v8, 0x3377d1cf, v7
	s_mov_b32 s0, 0x7f800000
	v_add_f32_e32 v6, v6, v8
	v_cmp_lt_f32_e64 s[0:1], |v7|, s0
	v_cndmask_b32_e64 v6, v7, v6, s[0:1]
	v_mov_b32_e32 v7, 0x41b17218
	v_cndmask_b32_e32 v7, 0, v7, vcc
	v_sub_f32_e32 v6, v6, v7
	v_add_f32_e64 v5, |v0|, -0.5
	v_add_f32_e32 v6, -1.0, v6
	v_fmac_f32_e32 v4, v5, v6
.LBB153_1027:
	s_or_b64 exec, exec, s[24:25]
.LBB153_1028:
	s_andn2_saveexec_b64 s[22:23], s[22:23]
	s_cbranch_execz .LBB153_1030
; %bb.1029:
	v_cvt_i32_f32_e32 v4, v1
	v_mov_b32_e32 v5, 0x3af135b4
	v_mov_b32_e32 v6, 0x3cda40e4
	v_mov_b32_e32 v7, 0x3e15dce6
	v_cvt_f32_i32_e32 v8, v4
	v_mov_b32_e32 v9, 0x3ea6cc7a
	v_mov_b32_e32 v10, 0x3e5c245a
	v_cmp_lt_i32_e32 vcc, 2, v4
	v_sub_f32_e64 v8, |v0|, v8
	v_fmac_f32_e32 v5, 0x3805ff67, v8
	v_fmac_f32_e32 v6, v8, v5
	;; [unrolled: 1-line block ×3, first 2 shown]
	v_mov_b32_e32 v6, 0x3a4beed6
	v_fmac_f32_e32 v9, v8, v7
	v_fmac_f32_e32 v6, 0x36f5d7bd, v8
	v_mov_b32_e32 v7, 0x3c98bf54
	v_fmac_f32_e32 v7, v8, v6
	v_mov_b32_e32 v6, 0x3e300f6e
	;; [unrolled: 2-line block ×4, first 2 shown]
	v_fmac_f32_e32 v6, v8, v7
	v_add_f32_e32 v7, 2.0, v8
	v_mov_b32_e32 v11, 0xbd9e233f
	v_fmac_f32_e32 v10, v8, v9
	v_add_f32_e32 v9, 0x40400000, v8
	v_cndmask_b32_e32 v7, 1.0, v7, vcc
	v_cmp_lt_i32_e32 vcc, 3, v4
	v_fmac_f32_e32 v11, v8, v10
	v_add_f32_e32 v10, 4.0, v8
	v_cndmask_b32_e32 v9, 1.0, v9, vcc
	v_cmp_lt_i32_e32 vcc, 4, v4
	v_mul_f32_e32 v5, v8, v11
	v_add_f32_e32 v11, 0x40a00000, v8
	v_mul_f32_e32 v7, v7, v9
	v_cndmask_b32_e32 v9, 1.0, v10, vcc
	v_cmp_lt_i32_e32 vcc, 5, v4
	v_add_f32_e32 v12, 0x40c00000, v8
	v_mul_f32_e32 v7, v9, v7
	v_cndmask_b32_e32 v9, 1.0, v11, vcc
	v_cmp_lt_i32_e32 vcc, 6, v4
	v_mul_f32_e32 v7, v9, v7
	v_cndmask_b32_e32 v4, 1.0, v12, vcc
	v_mul_f32_e32 v4, v4, v7
	s_mov_b32 s0, 0x800000
	v_cmp_gt_f32_e32 vcc, s0, v4
	v_cndmask_b32_e64 v7, 0, 32, vcc
	v_fma_f32 v6, v8, v6, 1.0
	v_ldexp_f32 v4, v4, v7
	v_rcp_f32_e32 v6, v6
	v_log_f32_e32 v4, v4
	s_mov_b32 s0, 0x3f317217
	v_mul_f32_e32 v5, v5, v6
	v_mul_f32_e32 v6, 0x3f317217, v4
	v_fma_f32 v7, v4, s0, -v6
	v_fmac_f32_e32 v7, 0x3377d1cf, v4
	s_mov_b32 s0, 0x7f800000
	v_add_f32_e32 v6, v6, v7
	v_cmp_lt_f32_e64 s[0:1], |v4|, s0
	v_cndmask_b32_e64 v4, v4, v6, s[0:1]
	v_mov_b32_e32 v6, 0x41b17218
	v_cndmask_b32_e32 v6, 0, v6, vcc
	v_fmac_f32_e32 v5, 0.5, v8
	v_sub_f32_e32 v4, v4, v6
	v_add_f32_e32 v4, v4, v5
.LBB153_1030:
	s_or_b64 exec, exec, s[22:23]
.LBB153_1031:
	s_andn2_saveexec_b64 s[20:21], s[20:21]
	s_cbranch_execz .LBB153_1049
; %bb.1032:
	s_mov_b32 s0, 0x3f666666
	v_cmp_le_f32_e64 s[0:1], |v0|, s0
                                        ; implicit-def: $vgpr4
                                        ; implicit-def: $vgpr6
                                        ; implicit-def: $vgpr5
	s_and_saveexec_b64 s[22:23], s[0:1]
	s_xor_b64 s[22:23], exec, s[22:23]
	s_cbranch_execz .LBB153_1034
; %bb.1033:
	s_mov_b32 s0, 0x800000
	v_cmp_lt_f32_e64 vcc, |v0|, s0
	v_cndmask_b32_e64 v4, 0, 32, vcc
	v_ldexp_f32 v4, |v0|, v4
	v_log_f32_e32 v4, v4
	s_mov_b32 s0, 0x3f317217
	s_mov_b32 s1, 0x7f800000
	v_mul_f32_e32 v5, 0x3f317217, v4
	v_fma_f32 v6, v4, s0, -v5
	v_fmac_f32_e32 v6, 0x3377d1cf, v4
	v_add_f32_e32 v5, v5, v6
	v_cmp_lt_f32_e64 s[0:1], |v4|, s1
	v_cndmask_b32_e64 v4, v4, v5, s[0:1]
	v_mov_b32_e32 v5, 0x41b17218
	v_cndmask_b32_e32 v5, 0, v5, vcc
	s_mov_b32 s0, 0x3f3b4a23
	s_mov_b32 s1, 0xbeec5b0c
	v_sub_f32_e32 v4, v4, v5
	v_sub_f32_e64 v5, 1.0, |v0|
	v_add_f32_e64 v6, |v0|, s1
	v_cmp_lt_f32_e64 vcc, |v0|, s0
	s_mov_b32 s0, 0x3e6d3309
	v_cndmask_b32_e32 v5, v5, v6, vcc
	v_cndmask_b32_e64 v6, 0, 1, vcc
	v_cmp_lt_f32_e64 s[0:1], |v0|, s0
	v_xor_b32_e32 v4, 0x80000000, v4
	v_cndmask_b32_e64 v5, v5, |v0|, s[0:1]
	v_cndmask_b32_e64 v6, v6, 2, s[0:1]
.LBB153_1034:
	s_andn2_saveexec_b64 s[0:1], s[22:23]
	s_cbranch_execz .LBB153_1036
; %bb.1035:
	s_mov_b32 s22, 0x3fdda512
	s_mov_b32 s23, 0xbfbb16c3
	v_sub_f32_e64 v4, 2.0, |v0|
	v_add_f32_e64 v5, |v0|, s23
	v_cmp_lt_f32_e64 vcc, |v0|, s22
	v_cndmask_b32_e32 v5, v4, v5, vcc
	v_cndmask_b32_e64 v4, v4, 1.0, vcc
	v_cvt_i32_f32_e32 v4, v4
	s_mov_b32 s22, 0x3f9d70a4
	v_add_f32_e64 v6, |v0|, -1.0
	v_cmp_lt_f32_e64 vcc, |v0|, s22
	v_cndmask_b32_e32 v5, v5, v6, vcc
	v_cndmask_b32_e64 v6, v4, 2, vcc
	v_mov_b32_e32 v4, 0
.LBB153_1036:
	s_or_b64 exec, exec, s[0:1]
	v_cmp_lt_i32_e32 vcc, 0, v6
	s_and_saveexec_b64 s[0:1], vcc
	s_xor_b64 s[0:1], exec, s[0:1]
	s_cbranch_execz .LBB153_1044
; %bb.1037:
	v_cmp_lt_i32_e32 vcc, 1, v6
	s_and_saveexec_b64 s[22:23], vcc
	s_xor_b64 s[22:23], exec, s[22:23]
	s_cbranch_execz .LBB153_1041
; %bb.1038:
	v_cmp_eq_u32_e32 vcc, 2, v6
	s_and_saveexec_b64 s[24:25], vcc
	s_cbranch_execz .LBB153_1040
; %bb.1039:
	v_mov_b32_e32 v6, 0x3e6a7578
	v_fmac_f32_e32 v6, 0x3c5b3c5e, v5
	v_mov_b32_e32 v7, 0x3f7a4bb2
	v_fmac_f32_e32 v7, v5, v6
	;; [unrolled: 2-line block ×8, first 2 shown]
	v_fma_f32 v6, v5, v8, 1.0
	v_rcp_f32_e32 v6, v6
	v_mov_b32_e32 v8, 0xbd9e233f
	v_fmac_f32_e32 v8, v5, v7
	v_mul_f32_e32 v7, v5, v8
	v_mul_f32_e32 v6, v7, v6
	v_fmac_f32_e32 v6, -0.5, v5
	v_add_f32_e32 v4, v4, v6
.LBB153_1040:
	s_or_b64 exec, exec, s[24:25]
                                        ; implicit-def: $vgpr5
.LBB153_1041:
	s_andn2_saveexec_b64 s[22:23], s[22:23]
	s_cbranch_execz .LBB153_1043
; %bb.1042:
	v_mul_f32_e32 v6, v5, v5
	v_mul_f32_e32 v7, v5, v6
	v_mov_b32_e32 v8, 0xbab7f476
	v_fmac_f32_e32 v8, 0x39a57b6b, v7
	v_mov_b32_e32 v9, 0x3bc7e707
	v_fmac_f32_e32 v9, v7, v8
	v_mov_b32_e32 v8, 0xbd064d47
	v_fmac_f32_e32 v8, v7, v9
	v_mov_b32_e32 v9, 0x3ef7b95e
	v_fmac_f32_e32 v9, v7, v8
	v_mov_b32_e32 v8, 0x3a66f867
	v_fmac_f32_e32 v8, 0xb9a3f927, v7
	v_mov_b32_e32 v10, 0xbb7177fe
	v_fmac_f32_e32 v10, v7, v8
	v_mov_b32_e32 v8, 0x3c93373d
	v_fmac_f32_e32 v8, v7, v10
	v_mov_b32_e32 v10, 0xbe17213c
	v_fmac_f32_e32 v10, v7, v8
	v_mov_b32_e32 v8, 0xba0d3085
	v_fmac_f32_e32 v8, 0x39afe9f7, v7
	v_mov_b32_e32 v11, 0x3b141699
	v_fmac_f32_e32 v11, v7, v8
	v_mov_b32_e32 v8, 0xbc28fcfe
	v_fmac_f32_e32 v8, v7, v11
	v_mov_b32_e32 v11, 0x3d845a15
	v_fmac_f32_e32 v11, v7, v8
	v_fmac_f32_e32 v10, v5, v11
	s_mov_b32 s24, 0xa2863e55
	v_fma_f32 v5, v7, -v10, s24
	v_fma_f32 v5, v6, v9, -v5
	v_add_f32_e32 v5, 0xbdf8cdce, v5
	v_add_f32_e32 v4, v4, v5
.LBB153_1043:
	s_or_b64 exec, exec, s[22:23]
                                        ; implicit-def: $vgpr6
                                        ; implicit-def: $vgpr5
.LBB153_1044:
	s_andn2_saveexec_b64 s[0:1], s[0:1]
	s_cbranch_execz .LBB153_1048
; %bb.1045:
	v_cmp_eq_u32_e32 vcc, 0, v6
	s_and_saveexec_b64 s[22:23], vcc
	s_cbranch_execz .LBB153_1047
; %bb.1046:
	v_mul_f32_e32 v6, v5, v5
	v_mov_b32_e32 v7, 0x39679767
	v_fmac_f32_e32 v7, 0x37d383a2, v6
	v_mov_b32_e32 v8, 0x3a9c54a1
	v_fmac_f32_e32 v8, v6, v7
	;; [unrolled: 2-line block ×10, first 2 shown]
	v_mul_f32_e32 v6, v6, v8
	v_fmac_f32_e32 v6, v5, v7
	v_fmac_f32_e32 v6, -0.5, v5
	v_add_f32_e32 v4, v4, v6
.LBB153_1047:
	s_or_b64 exec, exec, s[22:23]
.LBB153_1048:
	s_or_b64 exec, exec, s[0:1]
.LBB153_1049:
	s_or_b64 exec, exec, s[20:21]
.LBB153_1050:
	s_andn2_saveexec_b64 s[2:3], s[2:3]
	s_cbranch_execz .LBB153_1052
; %bb.1051:
	s_mov_b32 s0, 0x3e8a8991
	v_mov_b32_e32 v4, 0xbecd26ab
	v_fma_f32 v4, |v0|, s0, v4
	s_mov_b32 s0, 0x3f528d33
	v_fma_f32 v4, |v0|, v4, s0
	s_mov_b32 s0, 0x800000
	v_cmp_lt_f32_e64 vcc, |v0|, s0
	v_cndmask_b32_e64 v5, 0, 32, vcc
	v_ldexp_f32 v5, |v0|, v5
	v_log_f32_e32 v5, v5
	s_mov_b32 s0, 0xbf13c468
	v_fma_f32 v4, |v0|, v4, s0
	s_mov_b32 s0, 0x3f317217
	v_mul_f32_e32 v6, 0x3f317217, v5
	v_fma_f32 v7, v5, s0, -v6
	v_fmac_f32_e32 v7, 0x3377d1cf, v5
	s_mov_b32 s0, 0x7f800000
	v_add_f32_e32 v6, v6, v7
	v_cmp_lt_f32_e64 s[0:1], |v5|, s0
	v_cndmask_b32_e64 v5, v5, v6, s[0:1]
	v_mov_b32_e32 v6, 0x41b17218
	v_cndmask_b32_e32 v6, 0, v6, vcc
	v_sub_f32_e32 v5, v5, v6
	v_fma_f32 v4, |v0|, v4, -v5
.LBB153_1052:
	s_or_b64 exec, exec, s[2:3]
	v_cmp_le_f16_e32 vcc, 0, v3
	v_cmp_nle_f16_e64 s[0:1], 0, v3
	s_and_saveexec_b64 s[2:3], s[0:1]
	s_xor_b64 s[20:21], exec, s[2:3]
	s_cbranch_execz .LBB153_1056
; %bb.1053:
	s_mov_b32 s0, 0x4b000000
	s_mov_b32 s2, 0x35000000
	v_cmp_lt_f32_e64 s[0:1], |v0|, s0
	v_cmp_gt_f32_e64 s[2:3], |v0|, s2
	s_and_b64 s[0:1], s[0:1], s[2:3]
	s_and_saveexec_b64 s[22:23], s[0:1]
	s_cbranch_execz .LBB153_1055
; %bb.1054:
	v_mul_f32_e64 v5, |v0|, 0.5
	v_floor_f32_e32 v6, v5
	v_sub_f32_e32 v6, v5, v6
	v_min_f32_e32 v6, 0x3f7fffff, v6
	s_mov_b32 s2, 0x7f800000
	v_add_f32_e32 v6, v6, v6
	v_cmp_neq_f32_e64 s[0:1], s2, v5
	v_cndmask_b32_e64 v5, 0, v6, s[0:1]
	v_cmp_gt_f32_e64 s[0:1], |v0|, 1.0
	v_cndmask_b32_e64 v5, |v0|, v5, s[0:1]
	v_add_f32_e32 v6, v5, v5
	v_rndne_f32_e32 v6, v6
	v_fmac_f32_e32 v5, -0.5, v6
	v_mul_f32_e32 v7, v5, v5
	v_mov_b32_e32 v8, 0xbf1f24be
	v_fmac_f32_e32 v8, 0x3e75aa41, v7
	v_mov_b32_e32 v9, 0x40234736
	v_fmac_f32_e32 v9, v7, v8
	v_mov_b32_e32 v8, 0xc0a55e0e
	v_fmac_f32_e32 v8, v7, v9
	v_mul_f32_e32 v9, v5, v7
	v_mul_f32_e32 v8, v9, v8
	v_fmac_f32_e32 v8, 0x40490fdb, v5
	v_mov_b32_e32 v5, 0x3e642e9d
	v_cvt_i32_f32_e32 v6, v6
	v_fmac_f32_e32 v5, 0x3d4be544, v7
	v_mov_b32_e32 v9, 0xbfaad1da
	v_fmac_f32_e32 v9, v7, v5
	v_mov_b32_e32 v5, 0x4081e0d3
	;; [unrolled: 2-line block ×3, first 2 shown]
	v_fmac_f32_e32 v9, v7, v5
	v_fma_f32 v5, v7, v9, 1.0
	v_and_b32_e32 v7, 1, v6
	v_lshlrev_b32_e32 v6, 30, v6
	v_cmp_eq_u32_e64 s[0:1], 0, v7
	v_and_b32_e32 v6, 0x80000000, v6
	v_xor_b32_e32 v1, v1, v0
	v_cndmask_b32_e64 v5, v5, v8, s[0:1]
	v_xor_b32_e32 v1, v1, v6
	v_xor_b32_e32 v1, v1, v5
	v_mul_f32_e32 v1, v0, v1
	v_frexp_mant_f32_e64 v5, |v1|
	v_rcp_f32_e32 v5, v5
	v_frexp_exp_i32_f32_e32 v1, v1
	v_sub_u32_e32 v1, 2, v1
	s_mov_b32 s0, 0x800000
	v_mul_f32_e32 v5, 0x3f490fdb, v5
	v_ldexp_f32 v1, v5, v1
	v_cmp_gt_f32_e64 s[0:1], s0, v1
	v_cndmask_b32_e64 v5, 0, 32, s[0:1]
	v_ldexp_f32 v1, v1, v5
	v_log_f32_e32 v1, v1
	s_mov_b32 s3, 0x3f317217
	v_mul_f32_e32 v5, 0x3f317217, v1
	v_fma_f32 v6, v1, s3, -v5
	v_fmac_f32_e32 v6, 0x3377d1cf, v1
	v_add_f32_e32 v5, v5, v6
	v_cmp_lt_f32_e64 s[2:3], |v1|, s2
	v_cndmask_b32_e64 v1, v1, v5, s[2:3]
	v_mov_b32_e32 v5, 0x41b17218
	v_cndmask_b32_e64 v5, 0, v5, s[0:1]
	v_sub_f32_e32 v1, v1, v5
	v_sub_f32_e32 v1, v1, v4
	v_floor_f32_e32 v4, v0
	v_sub_f32_e32 v4, v0, v4
	v_min_f32_e32 v4, 0x3f7fffff, v4
	v_mov_b32_e32 v5, 0x7f800000
	v_cmp_neq_f32_e64 s[0:1], 0, v4
	v_cndmask_b32_e64 v4, v5, v1, s[0:1]
.LBB153_1055:
	s_or_b64 exec, exec, s[22:23]
.LBB153_1056:
	s_andn2_saveexec_b64 s[20:21], s[20:21]
; %bb.1057:
	v_cmp_eq_f16_e64 s[0:1], 1.0, v3
	v_cmp_eq_f16_e64 s[2:3], 2.0, v3
	s_or_b64 s[0:1], s[0:1], s[2:3]
	v_cndmask_b32_e64 v4, v4, 0, s[0:1]
; %bb.1058:
	s_or_b64 exec, exec, s[20:21]
	v_cvt_f16_f32_e32 v4, v4
	s_mov_b32 s0, 0x4b000000
	v_cmp_lt_f32_e64 s[0:1], |v0|, s0
	v_mul_lo_u32 v2, v2, s10
	v_mov_b32_e32 v1, 0x264
	v_mov_b32_e32 v5, 0x7c00
	s_or_b64 vcc, vcc, s[0:1]
	v_cndmask_b32_e32 v4, v5, v4, vcc
	v_cmp_class_f32_e32 vcc, v0, v1
	v_cndmask_b32_e32 v0, v4, v5, vcc
	v_cmp_u_f16_e32 vcc, v3, v3
	v_cndmask_b32_e32 v4, v0, v3, vcc
	v_ashrrev_i32_e32 v1, 31, v2
	v_mov_b32_e32 v3, s13
	s_and_b32 s26, s33, 0xff
	v_add_co_u32_e32 v0, vcc, s12, v2
	s_cmp_lt_i32 s26, 11
	v_addc_co_u32_e32 v1, vcc, v3, v1, vcc
	s_cbranch_scc1 .LBB153_1078
; %bb.1059:
	s_and_b32 s27, 0xffff, s26
	s_mov_b64 s[20:21], -1
	s_cmp_gt_i32 s27, 25
	s_mov_b64 s[0:1], s[6:7]
	s_cbranch_scc0 .LBB153_1096
; %bb.1060:
	s_mov_b64 s[2:3], -1
	s_cmp_gt_i32 s27, 28
	s_mov_b64 s[0:1], s[6:7]
	s_cbranch_scc0 .LBB153_1080
; %bb.1061:
	s_cmp_gt_i32 s27, 43
	s_mov_b64 s[0:1], s[6:7]
	s_cbranch_scc0 .LBB153_1072
; %bb.1062:
	;; [unrolled: 4-line block ×3, first 2 shown]
	s_cmp_eq_u32 s27, 46
	s_mov_b64 s[0:1], -1
	s_cbranch_scc0 .LBB153_1065
; %bb.1064:
	v_cvt_f32_f16_e32 v2, v4
	s_movk_i32 s0, 0x7fff
	v_cmp_o_f16_e32 vcc, v4, v4
	v_mov_b32_e32 v3, 0x7fc0
	v_bfe_u32 v5, v2, 16, 1
	v_add3_u32 v2, v2, v5, s0
	v_cndmask_b32_sdwa v2, v3, v2, vcc dst_sel:DWORD dst_unused:UNUSED_PAD src0_sel:DWORD src1_sel:WORD_1
	global_store_dword v[0:1], v2, off
	s_mov_b64 s[0:1], 0
.LBB153_1065:
	s_mov_b64 s[2:3], 0
.LBB153_1066:
	s_and_b64 vcc, exec, s[2:3]
	s_cbranch_vccz .LBB153_1071
; %bb.1067:
	s_cmp_eq_u32 s27, 44
	s_mov_b64 s[0:1], -1
	s_cbranch_scc0 .LBB153_1071
; %bb.1068:
	v_cvt_f32_f16_e32 v2, v4
	s_movk_i32 s0, 0xff
	v_mov_b32_e32 v5, 0xff
	v_bfe_u32 v3, v2, 23, 8
	v_cmp_ne_u32_e32 vcc, s0, v3
	s_and_saveexec_b64 s[2:3], vcc
; %bb.1069:
	s_mov_b32 s0, 0x3fffff
	v_lshrrev_b32_e32 v5, 23, v2
	v_and_b32_e32 v6, 0x400000, v2
	v_and_or_b32 v2, v2, s0, v3
	v_cmp_ne_u32_e32 vcc, 0, v6
	v_cmp_ne_u32_e64 s[0:1], 0, v2
	s_and_b64 s[0:1], vcc, s[0:1]
	v_cndmask_b32_e64 v2, 0, 1, s[0:1]
	v_add_u32_e32 v5, v5, v2
; %bb.1070:
	s_or_b64 exec, exec, s[2:3]
	s_mov_b64 s[0:1], 0
	global_store_byte v[0:1], v5, off
.LBB153_1071:
	s_mov_b64 s[2:3], 0
.LBB153_1072:
	s_and_b64 vcc, exec, s[2:3]
	s_cbranch_vccz .LBB153_1079
; %bb.1073:
	s_cmp_eq_u32 s27, 29
	s_mov_b64 s[0:1], -1
	s_cbranch_scc0 .LBB153_1079
; %bb.1074:
	v_cvt_f32_f16_e32 v2, v4
	v_mov_b32_e32 v3, 0
	s_mov_b64 s[0:1], 0
	s_mov_b64 s[2:3], 0
	v_cvt_u32_f32_e32 v2, v2
	global_store_dwordx2 v[0:1], v[2:3], off
	s_branch .LBB153_1080
.LBB153_1075:
	s_or_b64 exec, exec, s[16:17]
	s_and_saveexec_b64 s[0:1], s[6:7]
	s_cbranch_execnz .LBB153_1138
.LBB153_1076:
	s_or_b64 exec, exec, s[0:1]
	s_and_saveexec_b64 s[0:1], s[20:21]
	s_xor_b64 s[0:1], exec, s[0:1]
	s_cbranch_execz .LBB153_1139
.LBB153_1077:
	v_cmp_neq_f16_e32 vcc, 0, v4
	v_cndmask_b32_e64 v2, 0, 1, vcc
	global_store_byte v[0:1], v2, off
	s_or_b64 exec, exec, s[0:1]
	s_and_saveexec_b64 s[0:1], s[2:3]
	s_xor_b64 s[0:1], exec, s[0:1]
	s_cbranch_execz .LBB153_1177
	s_branch .LBB153_1140
.LBB153_1078:
	s_mov_b64 s[20:21], 0
	s_mov_b64 s[2:3], -1
	s_mov_b64 s[0:1], s[6:7]
	s_branch .LBB153_1137
.LBB153_1079:
	s_mov_b64 s[2:3], 0
.LBB153_1080:
	s_and_b64 vcc, exec, s[2:3]
	s_cbranch_vccz .LBB153_1095
; %bb.1081:
	s_cmp_lt_i32 s27, 27
	s_mov_b64 s[2:3], -1
	s_cbranch_scc1 .LBB153_1087
; %bb.1082:
	s_cmp_gt_i32 s27, 27
	s_cbranch_scc0 .LBB153_1084
; %bb.1083:
	v_cvt_f32_f16_e32 v2, v4
	s_mov_b64 s[2:3], 0
	v_cvt_u32_f32_e32 v2, v2
	global_store_dword v[0:1], v2, off
.LBB153_1084:
	s_andn2_b64 vcc, exec, s[2:3]
	s_cbranch_vccnz .LBB153_1086
; %bb.1085:
	v_cvt_u16_f16_e32 v2, v4
	global_store_short v[0:1], v2, off
.LBB153_1086:
	s_mov_b64 s[2:3], 0
.LBB153_1087:
	s_andn2_b64 vcc, exec, s[2:3]
	s_cbranch_vccnz .LBB153_1095
; %bb.1088:
	v_cvt_f32_f16_e32 v2, v4
	s_mov_b32 s2, 0x43800000
	v_mov_b32_e32 v5, 0x80
	v_and_b32_e32 v3, 0x7fffffff, v2
	v_cmp_gt_u32_e32 vcc, s2, v3
	s_and_saveexec_b64 s[2:3], vcc
	s_cbranch_execz .LBB153_1094
; %bb.1089:
	s_mov_b32 s20, 0x3bffffff
	v_cmp_lt_u32_e32 vcc, s20, v3
	s_mov_b64 s[20:21], 0
                                        ; implicit-def: $vgpr3
	s_and_saveexec_b64 s[22:23], vcc
	s_xor_b64 s[22:23], exec, s[22:23]
	s_cbranch_execz .LBB153_1192
; %bb.1090:
	v_bfe_u32 v3, v2, 20, 1
	s_mov_b32 s24, 0x487ffff
	v_add3_u32 v3, v2, v3, s24
	s_mov_b64 s[20:21], exec
	v_lshrrev_b32_e32 v3, 20, v3
	s_andn2_saveexec_b64 s[22:23], s[22:23]
	s_cbranch_execnz .LBB153_1193
.LBB153_1091:
	s_or_b64 exec, exec, s[22:23]
	v_mov_b32_e32 v5, 0
	s_and_saveexec_b64 s[22:23], s[20:21]
.LBB153_1092:
	v_lshrrev_b32_e32 v2, 24, v2
	s_movk_i32 s20, 0x80
	v_and_or_b32 v5, v2, s20, v3
.LBB153_1093:
	s_or_b64 exec, exec, s[22:23]
.LBB153_1094:
	s_or_b64 exec, exec, s[2:3]
	global_store_byte v[0:1], v5, off
.LBB153_1095:
	s_mov_b64 s[20:21], 0
.LBB153_1096:
	s_mov_b64 s[2:3], 0
	s_and_b64 vcc, exec, s[20:21]
	s_cbranch_vccz .LBB153_1136
; %bb.1097:
	s_cmp_gt_i32 s27, 22
	s_mov_b64 s[20:21], -1
	s_cbranch_scc0 .LBB153_1129
; %bb.1098:
	s_cmp_lt_i32 s27, 24
	s_cbranch_scc1 .LBB153_1118
; %bb.1099:
	s_cmp_gt_i32 s27, 24
	s_cbranch_scc0 .LBB153_1107
; %bb.1100:
	v_cvt_f32_f16_e32 v2, v4
	s_mov_b32 s20, 0x47800000
	v_mov_b32_e32 v5, 0x80
	v_and_b32_e32 v3, 0x7fffffff, v2
	v_cmp_gt_u32_e32 vcc, s20, v3
	s_and_saveexec_b64 s[20:21], vcc
	s_cbranch_execz .LBB153_1106
; %bb.1101:
	s_mov_b32 s22, 0x37ffffff
	v_cmp_lt_u32_e32 vcc, s22, v3
	s_mov_b64 s[22:23], 0
                                        ; implicit-def: $vgpr3
	s_and_saveexec_b64 s[24:25], vcc
	s_xor_b64 s[24:25], exec, s[24:25]
	s_cbranch_execz .LBB153_1355
; %bb.1102:
	v_bfe_u32 v3, v2, 21, 1
	s_mov_b32 s28, 0x88fffff
	v_add3_u32 v3, v2, v3, s28
	s_mov_b64 s[22:23], exec
	v_lshrrev_b32_e32 v3, 21, v3
	s_andn2_saveexec_b64 s[24:25], s[24:25]
	s_cbranch_execnz .LBB153_1356
.LBB153_1103:
	s_or_b64 exec, exec, s[24:25]
	v_mov_b32_e32 v5, 0
	s_and_saveexec_b64 s[24:25], s[22:23]
.LBB153_1104:
	v_lshrrev_b32_e32 v2, 24, v2
	s_movk_i32 s22, 0x80
	v_and_or_b32 v5, v2, s22, v3
.LBB153_1105:
	s_or_b64 exec, exec, s[24:25]
.LBB153_1106:
	s_or_b64 exec, exec, s[20:21]
	s_mov_b64 s[20:21], 0
	global_store_byte v[0:1], v5, off
.LBB153_1107:
	s_and_b64 vcc, exec, s[20:21]
	s_cbranch_vccz .LBB153_1117
; %bb.1108:
	v_cvt_f32_f16_e32 v2, v4
	s_mov_b32 s20, 0x43f00000
                                        ; implicit-def: $vgpr3
	v_and_b32_e32 v5, 0x7fffffff, v2
	v_cmp_gt_u32_e32 vcc, s20, v5
	s_and_saveexec_b64 s[20:21], vcc
	s_xor_b64 s[20:21], exec, s[20:21]
	s_cbranch_execz .LBB153_1114
; %bb.1109:
	s_mov_b32 s22, 0x3c7fffff
	v_cmp_lt_u32_e32 vcc, s22, v5
                                        ; implicit-def: $vgpr3
	s_and_saveexec_b64 s[22:23], vcc
	s_xor_b64 s[22:23], exec, s[22:23]
; %bb.1110:
	v_bfe_u32 v3, v2, 20, 1
	s_mov_b32 s24, 0x407ffff
	v_add3_u32 v3, v2, v3, s24
	v_lshrrev_b32_e32 v5, 20, v3
	v_and_b32_e32 v3, 0xff00000, v3
	s_mov_b32 s24, 0x7f00000
	v_mov_b32_e32 v6, 0x7e
	v_cmp_ne_u32_e32 vcc, s24, v3
	v_cndmask_b32_e32 v3, v6, v5, vcc
; %bb.1111:
	s_andn2_saveexec_b64 s[22:23], s[22:23]
; %bb.1112:
	s_mov_b32 s24, 0x46800000
	v_add_f32_e64 v3, |v2|, s24
; %bb.1113:
	s_or_b64 exec, exec, s[22:23]
                                        ; implicit-def: $vgpr5
.LBB153_1114:
	s_andn2_saveexec_b64 s[20:21], s[20:21]
; %bb.1115:
	s_mov_b32 s22, 0x7f800000
	v_mov_b32_e32 v3, 0x7e
	v_mov_b32_e32 v6, 0x7f
	v_cmp_lt_u32_e32 vcc, s22, v5
	v_cndmask_b32_e32 v3, v3, v6, vcc
; %bb.1116:
	s_or_b64 exec, exec, s[20:21]
	v_lshrrev_b32_e32 v2, 24, v2
	s_movk_i32 s20, 0x80
	v_and_or_b32 v2, v2, s20, v3
	global_store_byte v[0:1], v2, off
.LBB153_1117:
	s_mov_b64 s[20:21], 0
.LBB153_1118:
	s_andn2_b64 vcc, exec, s[20:21]
	s_cbranch_vccnz .LBB153_1128
; %bb.1119:
	v_cvt_f32_f16_e32 v2, v4
	s_mov_b32 s20, 0x47800000
                                        ; implicit-def: $vgpr3
	v_and_b32_e32 v5, 0x7fffffff, v2
	v_cmp_gt_u32_e32 vcc, s20, v5
	s_and_saveexec_b64 s[20:21], vcc
	s_xor_b64 s[20:21], exec, s[20:21]
	s_cbranch_execz .LBB153_1125
; %bb.1120:
	s_mov_b32 s22, 0x387fffff
	v_cmp_lt_u32_e32 vcc, s22, v5
                                        ; implicit-def: $vgpr3
	s_and_saveexec_b64 s[22:23], vcc
	s_xor_b64 s[22:23], exec, s[22:23]
; %bb.1121:
	v_bfe_u32 v3, v2, 21, 1
	s_mov_b32 s24, 0x80fffff
	v_add3_u32 v3, v2, v3, s24
	v_lshrrev_b32_e32 v3, 21, v3
; %bb.1122:
	s_andn2_saveexec_b64 s[22:23], s[22:23]
; %bb.1123:
	s_mov_b32 s24, 0x43000000
	v_add_f32_e64 v3, |v2|, s24
; %bb.1124:
	s_or_b64 exec, exec, s[22:23]
                                        ; implicit-def: $vgpr5
.LBB153_1125:
	s_andn2_saveexec_b64 s[20:21], s[20:21]
; %bb.1126:
	s_mov_b32 s22, 0x7f800000
	v_mov_b32_e32 v3, 0x7c
	v_mov_b32_e32 v6, 0x7f
	v_cmp_lt_u32_e32 vcc, s22, v5
	v_cndmask_b32_e32 v3, v3, v6, vcc
; %bb.1127:
	s_or_b64 exec, exec, s[20:21]
	v_lshrrev_b32_e32 v2, 24, v2
	s_movk_i32 s20, 0x80
	v_and_or_b32 v2, v2, s20, v3
	global_store_byte v[0:1], v2, off
.LBB153_1128:
	s_mov_b64 s[20:21], 0
.LBB153_1129:
	s_andn2_b64 vcc, exec, s[20:21]
	s_mov_b64 s[20:21], 0
	s_cbranch_vccnz .LBB153_1137
; %bb.1130:
	s_cmp_gt_i32 s27, 14
	s_mov_b64 s[22:23], -1
	s_cbranch_scc0 .LBB153_1134
; %bb.1131:
	s_cmp_eq_u32 s27, 15
	s_mov_b64 s[0:1], -1
	s_cbranch_scc0 .LBB153_1133
; %bb.1132:
	v_cvt_f32_f16_e32 v2, v4
	s_movk_i32 s0, 0x7fff
	v_cmp_o_f16_e32 vcc, v4, v4
	v_mov_b32_e32 v3, 0x7fc0
	v_bfe_u32 v5, v2, 16, 1
	v_add3_u32 v2, v2, v5, s0
	v_cndmask_b32_sdwa v2, v3, v2, vcc dst_sel:DWORD dst_unused:UNUSED_PAD src0_sel:DWORD src1_sel:WORD_1
	global_store_short v[0:1], v2, off
	s_mov_b64 s[0:1], 0
.LBB153_1133:
	s_mov_b64 s[22:23], 0
.LBB153_1134:
	s_and_b64 vcc, exec, s[22:23]
	s_cbranch_vccz .LBB153_1137
; %bb.1135:
	s_cmp_lg_u32 s27, 11
	s_cselect_b64 s[22:23], -1, 0
	s_andn2_b64 s[0:1], s[0:1], exec
	s_and_b64 s[22:23], s[22:23], exec
	s_mov_b64 s[20:21], -1
	s_or_b64 s[0:1], s[0:1], s[22:23]
	s_branch .LBB153_1137
.LBB153_1136:
	s_mov_b64 s[20:21], 0
.LBB153_1137:
	s_andn2_b64 s[6:7], s[6:7], exec
	s_and_b64 s[0:1], s[0:1], exec
	s_and_b64 s[2:3], s[2:3], exec
	;; [unrolled: 1-line block ×3, first 2 shown]
	s_or_b64 s[6:7], s[6:7], s[0:1]
	s_or_b64 exec, exec, s[16:17]
	s_and_saveexec_b64 s[0:1], s[6:7]
	s_cbranch_execz .LBB153_1076
.LBB153_1138:
	s_or_b64 s[18:19], s[18:19], exec
	s_andn2_b64 s[20:21], s[20:21], exec
	s_trap 2
	s_or_b64 exec, exec, s[0:1]
	s_and_saveexec_b64 s[0:1], s[20:21]
	s_xor_b64 s[0:1], exec, s[0:1]
	s_cbranch_execnz .LBB153_1077
.LBB153_1139:
	s_or_b64 exec, exec, s[0:1]
	s_and_saveexec_b64 s[0:1], s[2:3]
	s_xor_b64 s[0:1], exec, s[0:1]
	s_cbranch_execz .LBB153_1177
.LBB153_1140:
	s_sext_i32_i16 s6, s26
	s_cmp_lt_i32 s6, 5
	s_mov_b64 s[2:3], -1
	s_cbranch_scc1 .LBB153_1161
; %bb.1141:
	s_cmp_lt_i32 s6, 8
	s_cbranch_scc1 .LBB153_1151
; %bb.1142:
	s_cmp_lt_i32 s6, 9
	s_cbranch_scc1 .LBB153_1148
; %bb.1143:
	s_cmp_gt_i32 s6, 9
	s_cbranch_scc0 .LBB153_1145
; %bb.1144:
	v_cvt_f32_f16_e32 v2, v4
	v_mov_b32_e32 v7, 0
	v_mov_b32_e32 v8, v7
	s_mov_b64 s[2:3], 0
	v_cvt_f64_f32_e32 v[5:6], v2
	global_store_dwordx4 v[0:1], v[5:8], off
.LBB153_1145:
	s_andn2_b64 vcc, exec, s[2:3]
	s_cbranch_vccnz .LBB153_1147
; %bb.1146:
	v_cvt_f32_f16_e32 v2, v4
	s_waitcnt vmcnt(0)
	v_mov_b32_e32 v3, 0
	global_store_dwordx2 v[0:1], v[2:3], off
.LBB153_1147:
	s_mov_b64 s[2:3], 0
.LBB153_1148:
	s_andn2_b64 vcc, exec, s[2:3]
	s_cbranch_vccnz .LBB153_1150
; %bb.1149:
	v_and_b32_e32 v2, 0xffff, v4
	global_store_dword v[0:1], v2, off
.LBB153_1150:
	s_mov_b64 s[2:3], 0
.LBB153_1151:
	s_andn2_b64 vcc, exec, s[2:3]
	s_cbranch_vccnz .LBB153_1160
; %bb.1152:
	s_sext_i32_i16 s6, s26
	s_cmp_lt_i32 s6, 6
	s_mov_b64 s[2:3], -1
	s_cbranch_scc1 .LBB153_1158
; %bb.1153:
	s_cmp_gt_i32 s6, 6
	s_cbranch_scc0 .LBB153_1155
; %bb.1154:
	v_cvt_f32_f16_e32 v2, v4
	s_mov_b64 s[2:3], 0
	s_waitcnt vmcnt(0)
	v_cvt_f64_f32_e32 v[2:3], v2
	global_store_dwordx2 v[0:1], v[2:3], off
.LBB153_1155:
	s_andn2_b64 vcc, exec, s[2:3]
	s_cbranch_vccnz .LBB153_1157
; %bb.1156:
	v_cvt_f32_f16_e32 v2, v4
	global_store_dword v[0:1], v2, off
.LBB153_1157:
	s_mov_b64 s[2:3], 0
.LBB153_1158:
	s_andn2_b64 vcc, exec, s[2:3]
	s_cbranch_vccnz .LBB153_1160
; %bb.1159:
	global_store_short v[0:1], v4, off
.LBB153_1160:
	s_mov_b64 s[2:3], 0
.LBB153_1161:
	s_andn2_b64 vcc, exec, s[2:3]
	s_cbranch_vccnz .LBB153_1177
; %bb.1162:
	s_sext_i32_i16 s6, s26
	s_cmp_lt_i32 s6, 2
	s_mov_b64 s[2:3], -1
	s_cbranch_scc1 .LBB153_1172
; %bb.1163:
	s_cmp_lt_i32 s6, 3
	s_cbranch_scc1 .LBB153_1169
; %bb.1164:
	s_cmp_gt_i32 s6, 3
	s_cbranch_scc0 .LBB153_1166
; %bb.1165:
	v_cvt_f32_f16_e32 v2, v4
	s_mov_b64 s[2:3], 0
	v_cvt_i32_f32_e32 v2, v2
	s_waitcnt vmcnt(0)
	v_ashrrev_i32_e32 v3, 31, v2
	global_store_dwordx2 v[0:1], v[2:3], off
.LBB153_1166:
	s_andn2_b64 vcc, exec, s[2:3]
	s_cbranch_vccnz .LBB153_1168
; %bb.1167:
	v_cvt_f32_f16_e32 v2, v4
	v_cvt_i32_f32_e32 v2, v2
	global_store_dword v[0:1], v2, off
.LBB153_1168:
	s_mov_b64 s[2:3], 0
.LBB153_1169:
	s_andn2_b64 vcc, exec, s[2:3]
	s_cbranch_vccnz .LBB153_1171
; %bb.1170:
	v_cvt_i16_f16_e32 v2, v4
	global_store_short v[0:1], v2, off
.LBB153_1171:
	s_mov_b64 s[2:3], 0
.LBB153_1172:
	s_andn2_b64 vcc, exec, s[2:3]
	s_cbranch_vccnz .LBB153_1177
; %bb.1173:
	s_sext_i32_i16 s2, s26
	s_cmp_gt_i32 s2, 0
	s_mov_b64 s[2:3], -1
	s_cbranch_scc0 .LBB153_1175
; %bb.1174:
	v_cvt_i16_f16_e32 v2, v4
	s_mov_b64 s[2:3], 0
	global_store_byte v[0:1], v2, off
.LBB153_1175:
	s_andn2_b64 vcc, exec, s[2:3]
	s_cbranch_vccnz .LBB153_1177
; %bb.1176:
	v_cvt_f32_f16_e32 v2, v4
	v_cvt_i32_f32_e32 v2, v2
	global_store_byte v[0:1], v2, off
.LBB153_1177:
	s_or_b64 exec, exec, s[0:1]
	s_and_b64 s[16:17], s[18:19], exec
                                        ; implicit-def: $vgpr2
.LBB153_1178:
	s_or_saveexec_b64 s[18:19], s[4:5]
	s_mov_b64 s[0:1], 0
                                        ; implicit-def: $sgpr26
                                        ; implicit-def: $vgpr0_vgpr1
                                        ; implicit-def: $vgpr3
	s_xor_b64 exec, exec, s[18:19]
	s_cbranch_execz .LBB153_2278
; %bb.1179:
	v_mul_lo_u32 v5, s11, v2
	v_mov_b32_e32 v1, s15
	s_and_b32 s26, 0xffff, s42
	s_cmp_lt_i32 s26, 11
	s_waitcnt vmcnt(0)
	v_ashrrev_i32_e32 v3, 31, v5
	v_add_co_u32_e32 v0, vcc, s14, v5
	v_addc_co_u32_e32 v1, vcc, v1, v3, vcc
	s_cbranch_scc1 .LBB153_1186
; %bb.1180:
	s_cmp_gt_i32 s26, 25
	s_mov_b64 s[2:3], 0
	s_cbranch_scc0 .LBB153_1188
; %bb.1181:
	s_cmp_gt_i32 s26, 28
	s_cbranch_scc0 .LBB153_1189
; %bb.1182:
	s_cmp_gt_i32 s26, 43
	;; [unrolled: 3-line block ×3, first 2 shown]
	s_cbranch_scc0 .LBB153_1191
; %bb.1184:
	s_cmp_eq_u32 s26, 46
	s_mov_b64 s[6:7], 0
	s_cbranch_scc0 .LBB153_1194
; %bb.1185:
	global_load_dword v3, v[0:1], off
	s_mov_b64 s[4:5], -1
	s_waitcnt vmcnt(0)
	v_lshlrev_b32_e32 v3, 16, v3
	v_cvt_f16_f32_e32 v3, v3
	s_branch .LBB153_1195
.LBB153_1186:
	s_mov_b64 s[4:5], 0
                                        ; implicit-def: $vgpr3
	s_mov_b64 s[20:21], s[16:17]
	s_cbranch_execnz .LBB153_1258
.LBB153_1187:
	s_andn2_b64 vcc, exec, s[4:5]
	s_cbranch_vccz .LBB153_1303
	s_branch .LBB153_2276
.LBB153_1188:
	s_mov_b64 s[4:5], 0
                                        ; implicit-def: $vgpr3
	s_cbranch_execnz .LBB153_1223
	s_branch .LBB153_1254
.LBB153_1189:
	s_mov_b64 s[6:7], -1
	s_mov_b64 s[4:5], 0
                                        ; implicit-def: $vgpr3
	s_branch .LBB153_1204
.LBB153_1190:
	s_mov_b64 s[4:5], 0
                                        ; implicit-def: $vgpr3
	s_cbranch_execnz .LBB153_1200
	s_branch .LBB153_1203
.LBB153_1191:
	s_mov_b64 s[6:7], -1
	s_mov_b64 s[4:5], 0
                                        ; implicit-def: $vgpr3
	s_branch .LBB153_1195
.LBB153_1192:
	s_andn2_saveexec_b64 s[22:23], s[22:23]
	s_cbranch_execz .LBB153_1091
.LBB153_1193:
	s_mov_b32 s24, 0x46000000
	v_add_f32_e64 v3, |v2|, s24
	v_and_b32_e32 v3, 0xff, v3
	v_cmp_ne_u32_e32 vcc, 0, v3
	s_andn2_b64 s[20:21], s[20:21], exec
	s_and_b64 s[24:25], vcc, exec
	s_or_b64 s[20:21], s[20:21], s[24:25]
	s_or_b64 exec, exec, s[22:23]
	v_mov_b32_e32 v5, 0
	s_and_saveexec_b64 s[22:23], s[20:21]
	s_cbranch_execnz .LBB153_1092
	s_branch .LBB153_1093
.LBB153_1194:
	s_mov_b64 s[0:1], -1
                                        ; implicit-def: $vgpr3
	s_mov_b64 s[4:5], 0
.LBB153_1195:
	s_and_b64 vcc, exec, s[6:7]
	s_cbranch_vccz .LBB153_1198
; %bb.1196:
	s_cmp_eq_u32 s26, 44
	s_cbranch_scc0 .LBB153_1199
; %bb.1197:
	global_load_ubyte v3, v[0:1], off
	s_movk_i32 s4, 0xff
	v_mov_b32_e32 v6, 0x7e00
	s_mov_b64 s[0:1], 0
	s_waitcnt vmcnt(0)
	v_lshlrev_b32_e32 v4, 23, v3
	v_cvt_f16_f32_e32 v4, v4
	v_cmp_ne_u32_e32 vcc, s4, v3
	s_mov_b64 s[4:5], -1
	v_cndmask_b32_e32 v4, v6, v4, vcc
	v_cmp_ne_u32_e32 vcc, 0, v3
	v_cndmask_b32_e32 v3, 0, v4, vcc
.LBB153_1198:
	s_branch .LBB153_1203
.LBB153_1199:
	s_mov_b64 s[0:1], -1
                                        ; implicit-def: $vgpr3
	s_branch .LBB153_1203
.LBB153_1200:
	s_cmp_eq_u32 s26, 29
	s_cbranch_scc0 .LBB153_1202
; %bb.1201:
	global_load_dwordx2 v[3:4], v[0:1], off
	s_mov_b64 s[0:1], 0
	s_mov_b64 s[4:5], -1
	s_mov_b64 s[6:7], 0
	s_waitcnt vmcnt(0)
	v_ffbh_u32_e32 v6, v4
	v_min_u32_e32 v6, 32, v6
	v_lshlrev_b64 v[3:4], v6, v[3:4]
	v_min_u32_e32 v3, 1, v3
	v_or_b32_e32 v3, v4, v3
	v_cvt_f32_u32_e32 v3, v3
	v_sub_u32_e32 v4, 32, v6
	v_ldexp_f32 v3, v3, v4
	v_cvt_f16_f32_e32 v3, v3
	s_branch .LBB153_1204
.LBB153_1202:
	s_mov_b64 s[0:1], -1
                                        ; implicit-def: $vgpr3
.LBB153_1203:
	s_mov_b64 s[6:7], 0
.LBB153_1204:
	s_and_b64 vcc, exec, s[6:7]
	s_cbranch_vccz .LBB153_1222
; %bb.1205:
	s_cmp_lt_i32 s26, 27
	s_cbranch_scc1 .LBB153_1208
; %bb.1206:
	s_cmp_gt_i32 s26, 27
	s_cbranch_scc0 .LBB153_1209
; %bb.1207:
	global_load_dword v3, v[0:1], off
	s_mov_b64 s[4:5], 0
	s_waitcnt vmcnt(0)
	v_cvt_f32_u32_e32 v3, v3
	v_cvt_f16_f32_e32 v3, v3
	s_branch .LBB153_1210
.LBB153_1208:
	s_mov_b64 s[4:5], -1
                                        ; implicit-def: $vgpr3
	s_branch .LBB153_1213
.LBB153_1209:
	s_mov_b64 s[4:5], -1
                                        ; implicit-def: $vgpr3
.LBB153_1210:
	s_andn2_b64 vcc, exec, s[4:5]
	s_cbranch_vccnz .LBB153_1212
; %bb.1211:
	global_load_ushort v3, v[0:1], off
	s_waitcnt vmcnt(0)
	v_cvt_f16_u16_e32 v3, v3
.LBB153_1212:
	s_mov_b64 s[4:5], 0
.LBB153_1213:
	s_andn2_b64 vcc, exec, s[4:5]
	s_cbranch_vccnz .LBB153_1221
; %bb.1214:
	global_load_ubyte v4, v[0:1], off
	s_movk_i32 s4, 0x7f
	s_waitcnt vmcnt(0)
	v_cmp_lt_i16_e32 vcc, s4, v4
	s_mov_b64 s[4:5], 0
	s_and_saveexec_b64 s[6:7], vcc
	s_xor_b64 s[6:7], exec, s[6:7]
	s_cbranch_execz .LBB153_1234
; %bb.1215:
	s_movk_i32 s4, 0x80
	v_cmp_eq_u16_e32 vcc, s4, v4
	s_mov_b64 s[4:5], -1
	s_and_saveexec_b64 s[8:9], vcc
; %bb.1216:
	s_xor_b64 s[4:5], exec, -1
; %bb.1217:
	s_or_b64 exec, exec, s[8:9]
	s_and_b64 s[4:5], s[4:5], exec
	s_or_saveexec_b64 s[6:7], s[6:7]
	v_mov_b32_e32 v3, 0x7e00
	s_xor_b64 exec, exec, s[6:7]
	s_cbranch_execnz .LBB153_1235
.LBB153_1218:
	s_or_b64 exec, exec, s[6:7]
	s_and_saveexec_b64 s[6:7], s[4:5]
	s_cbranch_execz .LBB153_1220
.LBB153_1219:
	v_lshlrev_b32_e32 v3, 24, v4
	v_and_b32_e32 v4, 0xffff, v4
	v_and_b32_e32 v6, 7, v4
	v_ffbh_u32_e32 v8, v6
	v_min_u32_e32 v8, 32, v8
	v_subrev_u32_e32 v9, 28, v8
	v_bfe_u32 v7, v4, 3, 4
	v_lshlrev_b32_e32 v4, v9, v4
	v_sub_u32_e32 v8, 29, v8
	v_and_b32_e32 v4, 7, v4
	v_cmp_eq_u32_e32 vcc, 0, v7
	v_cndmask_b32_e32 v7, v7, v8, vcc
	v_cndmask_b32_e32 v4, v6, v4, vcc
	v_mov_b32_e32 v6, 0x3b800000
	v_lshlrev_b32_e32 v4, 20, v4
	v_and_b32_e32 v3, 0x80000000, v3
	v_lshl_add_u32 v6, v7, 23, v6
	v_or3_b32 v3, v3, v6, v4
	v_cvt_f16_f32_e32 v3, v3
.LBB153_1220:
	s_or_b64 exec, exec, s[6:7]
.LBB153_1221:
	s_mov_b64 s[4:5], -1
.LBB153_1222:
	s_branch .LBB153_1254
.LBB153_1223:
	s_cmp_gt_i32 s26, 22
	s_cbranch_scc0 .LBB153_1233
; %bb.1224:
	s_cmp_lt_i32 s26, 24
	s_cbranch_scc1 .LBB153_1236
; %bb.1225:
	s_cmp_gt_i32 s26, 24
	s_cbranch_scc0 .LBB153_1237
; %bb.1226:
	global_load_ubyte v4, v[0:1], off
	s_movk_i32 s2, 0x7f
	s_waitcnt vmcnt(0)
	v_cmp_lt_i16_e32 vcc, s2, v4
	s_mov_b64 s[2:3], 0
	s_and_saveexec_b64 s[4:5], vcc
	s_xor_b64 s[4:5], exec, s[4:5]
	s_cbranch_execz .LBB153_1248
; %bb.1227:
	s_movk_i32 s2, 0x80
	v_cmp_eq_u16_e32 vcc, s2, v4
	s_mov_b64 s[2:3], -1
	s_and_saveexec_b64 s[6:7], vcc
; %bb.1228:
	s_xor_b64 s[2:3], exec, -1
; %bb.1229:
	s_or_b64 exec, exec, s[6:7]
	s_and_b64 s[2:3], s[2:3], exec
	s_or_saveexec_b64 s[4:5], s[4:5]
	v_mov_b32_e32 v3, 0x7e00
	s_xor_b64 exec, exec, s[4:5]
	s_cbranch_execnz .LBB153_1249
.LBB153_1230:
	s_or_b64 exec, exec, s[4:5]
	s_and_saveexec_b64 s[4:5], s[2:3]
	s_cbranch_execz .LBB153_1232
.LBB153_1231:
	v_lshlrev_b32_e32 v3, 24, v4
	v_and_b32_e32 v4, 0xffff, v4
	v_and_b32_e32 v6, 3, v4
	v_ffbh_u32_e32 v8, v6
	v_min_u32_e32 v8, 32, v8
	v_subrev_u32_e32 v9, 29, v8
	v_bfe_u32 v7, v4, 2, 5
	v_lshlrev_b32_e32 v4, v9, v4
	v_sub_u32_e32 v8, 30, v8
	v_and_b32_e32 v4, 3, v4
	v_cmp_eq_u32_e32 vcc, 0, v7
	v_cndmask_b32_e32 v7, v7, v8, vcc
	v_cndmask_b32_e32 v4, v6, v4, vcc
	v_mov_b32_e32 v6, 0x37800000
	v_lshlrev_b32_e32 v4, 21, v4
	v_and_b32_e32 v3, 0x80000000, v3
	v_lshl_add_u32 v6, v7, 23, v6
	v_or3_b32 v3, v3, v6, v4
	v_cvt_f16_f32_e32 v3, v3
.LBB153_1232:
	s_or_b64 exec, exec, s[4:5]
	s_mov_b64 s[2:3], 0
	s_branch .LBB153_1238
.LBB153_1233:
                                        ; implicit-def: $vgpr3
	s_mov_b64 s[2:3], 0
	s_branch .LBB153_1244
.LBB153_1234:
	s_or_saveexec_b64 s[6:7], s[6:7]
	v_mov_b32_e32 v3, 0x7e00
	s_xor_b64 exec, exec, s[6:7]
	s_cbranch_execz .LBB153_1218
.LBB153_1235:
	v_cmp_ne_u16_e32 vcc, 0, v4
	s_andn2_b64 s[4:5], s[4:5], exec
	s_and_b64 s[8:9], vcc, exec
	s_or_b64 s[4:5], s[4:5], s[8:9]
	v_mov_b32_e32 v3, v4
	s_or_b64 exec, exec, s[6:7]
	s_and_saveexec_b64 s[6:7], s[4:5]
	s_cbranch_execnz .LBB153_1219
	s_branch .LBB153_1220
.LBB153_1236:
	s_mov_b64 s[2:3], -1
                                        ; implicit-def: $vgpr3
	s_branch .LBB153_1241
.LBB153_1237:
	s_mov_b64 s[2:3], -1
                                        ; implicit-def: $vgpr3
.LBB153_1238:
	s_and_b64 vcc, exec, s[2:3]
	s_cbranch_vccz .LBB153_1240
; %bb.1239:
	global_load_ubyte v3, v[0:1], off
	s_mov_b32 s2, 0x7f800000
	s_waitcnt vmcnt(0)
	v_lshlrev_b32_e32 v3, 24, v3
	v_and_b32_e32 v4, 0x7f000000, v3
	v_ffbh_u32_e32 v6, v4
	v_min_u32_e32 v6, 32, v6
	v_sub_u32_e64 v6, v6, 4 clamp
	v_lshlrev_b32_e32 v8, v6, v4
	v_lshlrev_b32_e32 v6, 23, v6
	v_lshrrev_b32_e32 v8, 4, v8
	v_add_u32_e32 v7, 0x1000000, v4
	v_sub_u32_e32 v6, v8, v6
	v_ashrrev_i32_e32 v7, 8, v7
	v_add_u32_e32 v6, 0x3c000000, v6
	v_and_or_b32 v6, v7, s2, v6
	v_cmp_ne_u32_e32 vcc, 0, v4
	v_cndmask_b32_e32 v4, 0, v6, vcc
	s_brev_b32 s2, 1
	v_and_or_b32 v3, v3, s2, v4
	v_cvt_f16_f32_e32 v3, v3
.LBB153_1240:
	s_mov_b64 s[2:3], 0
.LBB153_1241:
	s_andn2_b64 vcc, exec, s[2:3]
	s_cbranch_vccnz .LBB153_1243
; %bb.1242:
	global_load_ubyte v3, v[0:1], off
	s_movk_i32 s2, 0x7f00
	s_brev_b32 s3, 16
	s_waitcnt vmcnt(0)
	v_lshlrev_b16_e32 v4, 8, v3
	v_lshlrev_b32_e32 v3, 25, v3
	v_lshrrev_b32_e32 v6, 4, v3
	v_and_or_b32 v7, v4, s2, 0.5
	v_or_b32_e32 v6, 0x70000000, v6
	v_add_f32_e32 v7, -0.5, v7
	v_mul_f32_e32 v6, 0x7800000, v6
	v_cmp_gt_u32_e32 vcc, s3, v3
	v_bfe_i32 v4, v4, 0, 16
	v_cndmask_b32_e32 v3, v6, v7, vcc
	s_brev_b32 s2, 1
	v_and_or_b32 v3, v4, s2, v3
	v_cvt_f16_f32_e32 v3, v3
.LBB153_1243:
	s_mov_b64 s[4:5], -1
	s_mov_b64 s[2:3], 0
	s_cbranch_execnz .LBB153_1254
.LBB153_1244:
	s_cmp_gt_i32 s26, 14
	s_cbranch_scc0 .LBB153_1247
; %bb.1245:
	s_cmp_eq_u32 s26, 15
	s_cbranch_scc0 .LBB153_1250
; %bb.1246:
	global_load_ushort v3, v[0:1], off
	s_mov_b64 s[0:1], 0
	s_mov_b64 s[4:5], -1
	s_waitcnt vmcnt(0)
	v_lshlrev_b32_e32 v3, 16, v3
	v_cvt_f16_f32_e32 v3, v3
	s_branch .LBB153_1251
.LBB153_1247:
	s_mov_b64 s[6:7], -1
                                        ; implicit-def: $vgpr3
	s_branch .LBB153_1252
.LBB153_1248:
	s_or_saveexec_b64 s[4:5], s[4:5]
	v_mov_b32_e32 v3, 0x7e00
	s_xor_b64 exec, exec, s[4:5]
	s_cbranch_execz .LBB153_1230
.LBB153_1249:
	v_cmp_ne_u16_e32 vcc, 0, v4
	s_andn2_b64 s[2:3], s[2:3], exec
	s_and_b64 s[6:7], vcc, exec
	s_or_b64 s[2:3], s[2:3], s[6:7]
	v_mov_b32_e32 v3, v4
	s_or_b64 exec, exec, s[4:5]
	s_and_saveexec_b64 s[4:5], s[2:3]
	s_cbranch_execnz .LBB153_1231
	s_branch .LBB153_1232
.LBB153_1250:
	s_mov_b64 s[0:1], -1
                                        ; implicit-def: $vgpr3
.LBB153_1251:
	s_mov_b64 s[6:7], 0
.LBB153_1252:
	s_and_b64 vcc, exec, s[6:7]
	s_cbranch_vccz .LBB153_1254
; %bb.1253:
	s_cmp_lg_u32 s26, 11
	s_mov_b64 s[2:3], -1
	s_cselect_b64 s[0:1], -1, 0
.LBB153_1254:
	s_and_b64 vcc, exec, s[0:1]
	s_mov_b64 s[20:21], s[16:17]
	s_cbranch_vccnz .LBB153_1353
; %bb.1255:
	s_andn2_b64 vcc, exec, s[2:3]
	s_cbranch_vccnz .LBB153_1257
.LBB153_1256:
	global_load_ubyte v3, v[0:1], off
	v_mov_b32_e32 v4, 0x3c00
	s_mov_b64 s[4:5], -1
	s_waitcnt vmcnt(0)
	v_cmp_ne_u16_e32 vcc, 0, v3
	v_cndmask_b32_e32 v3, 0, v4, vcc
.LBB153_1257:
	s_branch .LBB153_1187
.LBB153_1258:
	s_cmp_lt_i32 s26, 5
	s_cbranch_scc1 .LBB153_1263
; %bb.1259:
	s_cmp_lt_i32 s26, 8
	s_cbranch_scc1 .LBB153_1264
; %bb.1260:
	;; [unrolled: 3-line block ×3, first 2 shown]
	s_cmp_gt_i32 s26, 9
	s_cbranch_scc0 .LBB153_1266
; %bb.1262:
	global_load_dwordx2 v[3:4], v[0:1], off
	s_movk_i32 s0, 0x1ff
	s_movk_i32 s1, 0xffe
	v_mov_b32_e32 v6, 0x7c00
	v_mov_b32_e32 v7, 0x7e00
	s_movk_i32 s2, 0x40f
	s_mov_b32 s3, 0x8000
	s_waitcnt vmcnt(0)
	v_and_or_b32 v3, v4, s0, v3
	v_cmp_ne_u32_e32 vcc, 0, v3
	v_lshrrev_b32_e32 v8, 8, v4
	v_bfe_u32 v9, v4, 20, 11
	v_cndmask_b32_e64 v3, 0, 1, vcc
	v_sub_u32_e32 v10, 0x3f1, v9
	v_and_or_b32 v3, v8, s1, v3
	v_add_u32_e32 v9, 0xfffffc10, v9
	v_med3_i32 v8, v10, 0, 13
	v_or_b32_e32 v10, 0x1000, v3
	v_cmp_ne_u32_e32 vcc, 0, v3
	v_lshl_or_b32 v11, v9, 12, v3
	v_cndmask_b32_e32 v3, v6, v7, vcc
	v_lshrrev_b32_e32 v7, v8, v10
	v_lshlrev_b32_e32 v8, v8, v7
	v_cmp_ne_u32_e32 vcc, v8, v10
	v_cndmask_b32_e64 v8, 0, 1, vcc
	v_or_b32_e32 v7, v7, v8
	v_cmp_gt_i32_e32 vcc, 1, v9
	v_cndmask_b32_e32 v7, v11, v7, vcc
	v_and_b32_e32 v8, 7, v7
	v_cmp_lt_i32_e32 vcc, 5, v8
	v_cndmask_b32_e64 v10, 0, 1, vcc
	v_cmp_eq_u32_e32 vcc, 3, v8
	v_cndmask_b32_e64 v8, 0, 1, vcc
	v_lshrrev_b32_e32 v7, 2, v7
	v_or_b32_e32 v8, v8, v10
	v_add_u32_e32 v7, v7, v8
	v_cmp_gt_i32_e32 vcc, 31, v9
	v_cndmask_b32_e32 v6, v6, v7, vcc
	v_cmp_eq_u32_e32 vcc, s2, v9
	v_lshrrev_b32_e32 v4, 16, v4
	v_cndmask_b32_e32 v3, v6, v3, vcc
	v_and_or_b32 v3, v4, s3, v3
	s_mov_b64 s[0:1], 0
	s_branch .LBB153_1267
.LBB153_1263:
                                        ; implicit-def: $vgpr3
	s_branch .LBB153_1284
.LBB153_1264:
                                        ; implicit-def: $vgpr3
	s_branch .LBB153_1273
.LBB153_1265:
	s_mov_b64 s[0:1], -1
                                        ; implicit-def: $vgpr3
	s_branch .LBB153_1270
.LBB153_1266:
	s_mov_b64 s[0:1], -1
                                        ; implicit-def: $vgpr3
.LBB153_1267:
	s_andn2_b64 vcc, exec, s[0:1]
	s_cbranch_vccnz .LBB153_1269
; %bb.1268:
	global_load_dword v3, v[0:1], off
	s_waitcnt vmcnt(0)
	v_cvt_f16_f32_e32 v3, v3
.LBB153_1269:
	s_mov_b64 s[0:1], 0
.LBB153_1270:
	s_andn2_b64 vcc, exec, s[0:1]
	s_cbranch_vccnz .LBB153_1272
; %bb.1271:
	global_load_dword v3, v[0:1], off
.LBB153_1272:
	s_cbranch_execnz .LBB153_1283
.LBB153_1273:
	s_cmp_lt_i32 s26, 6
	s_cbranch_scc1 .LBB153_1276
; %bb.1274:
	s_cmp_gt_i32 s26, 6
	s_cbranch_scc0 .LBB153_1277
; %bb.1275:
	global_load_dwordx2 v[3:4], v[0:1], off
	s_movk_i32 s0, 0x1ff
	s_movk_i32 s1, 0xffe
	v_mov_b32_e32 v6, 0x7c00
	v_mov_b32_e32 v7, 0x7e00
	s_movk_i32 s2, 0x40f
	s_mov_b32 s3, 0x8000
	s_waitcnt vmcnt(0)
	v_and_or_b32 v3, v4, s0, v3
	v_cmp_ne_u32_e32 vcc, 0, v3
	v_lshrrev_b32_e32 v8, 8, v4
	v_bfe_u32 v9, v4, 20, 11
	v_cndmask_b32_e64 v3, 0, 1, vcc
	v_sub_u32_e32 v10, 0x3f1, v9
	v_and_or_b32 v3, v8, s1, v3
	v_add_u32_e32 v9, 0xfffffc10, v9
	v_med3_i32 v8, v10, 0, 13
	v_or_b32_e32 v10, 0x1000, v3
	v_cmp_ne_u32_e32 vcc, 0, v3
	v_lshl_or_b32 v11, v9, 12, v3
	v_cndmask_b32_e32 v3, v6, v7, vcc
	v_lshrrev_b32_e32 v7, v8, v10
	v_lshlrev_b32_e32 v8, v8, v7
	v_cmp_ne_u32_e32 vcc, v8, v10
	v_cndmask_b32_e64 v8, 0, 1, vcc
	v_or_b32_e32 v7, v7, v8
	v_cmp_gt_i32_e32 vcc, 1, v9
	v_cndmask_b32_e32 v7, v11, v7, vcc
	v_and_b32_e32 v8, 7, v7
	v_cmp_lt_i32_e32 vcc, 5, v8
	v_cndmask_b32_e64 v10, 0, 1, vcc
	v_cmp_eq_u32_e32 vcc, 3, v8
	v_cndmask_b32_e64 v8, 0, 1, vcc
	v_lshrrev_b32_e32 v7, 2, v7
	v_or_b32_e32 v8, v8, v10
	v_add_u32_e32 v7, v7, v8
	v_cmp_gt_i32_e32 vcc, 31, v9
	v_cndmask_b32_e32 v6, v6, v7, vcc
	v_cmp_eq_u32_e32 vcc, s2, v9
	v_lshrrev_b32_e32 v4, 16, v4
	v_cndmask_b32_e32 v3, v6, v3, vcc
	v_and_or_b32 v3, v4, s3, v3
	s_mov_b64 s[0:1], 0
	s_branch .LBB153_1278
.LBB153_1276:
	s_mov_b64 s[0:1], -1
                                        ; implicit-def: $vgpr3
	s_branch .LBB153_1281
.LBB153_1277:
	s_mov_b64 s[0:1], -1
                                        ; implicit-def: $vgpr3
.LBB153_1278:
	s_andn2_b64 vcc, exec, s[0:1]
	s_cbranch_vccnz .LBB153_1280
; %bb.1279:
	global_load_dword v3, v[0:1], off
	s_waitcnt vmcnt(0)
	v_cvt_f16_f32_e32 v3, v3
.LBB153_1280:
	s_mov_b64 s[0:1], 0
.LBB153_1281:
	s_andn2_b64 vcc, exec, s[0:1]
	s_cbranch_vccnz .LBB153_1283
; %bb.1282:
	global_load_ushort v3, v[0:1], off
.LBB153_1283:
	s_cbranch_execnz .LBB153_1302
.LBB153_1284:
	s_cmp_lt_i32 s26, 2
	s_cbranch_scc1 .LBB153_1288
; %bb.1285:
	s_cmp_lt_i32 s26, 3
	s_cbranch_scc1 .LBB153_1289
; %bb.1286:
	s_cmp_gt_i32 s26, 3
	s_cbranch_scc0 .LBB153_1290
; %bb.1287:
	global_load_dwordx2 v[3:4], v[0:1], off
	s_mov_b64 s[0:1], 0
	s_waitcnt vmcnt(0)
	v_xor_b32_e32 v7, v3, v4
	v_ffbh_i32_e32 v6, v4
	v_ashrrev_i32_e32 v7, 31, v7
	v_add_u32_e32 v6, -1, v6
	v_add_u32_e32 v7, 32, v7
	v_min_u32_e32 v6, v6, v7
	v_lshlrev_b64 v[3:4], v6, v[3:4]
	v_min_u32_e32 v3, 1, v3
	v_or_b32_e32 v3, v4, v3
	v_cvt_f32_i32_e32 v3, v3
	v_sub_u32_e32 v4, 32, v6
	v_ldexp_f32 v3, v3, v4
	v_cvt_f16_f32_e32 v3, v3
	s_branch .LBB153_1291
.LBB153_1288:
                                        ; implicit-def: $vgpr3
	s_branch .LBB153_1297
.LBB153_1289:
	s_mov_b64 s[0:1], -1
                                        ; implicit-def: $vgpr3
	s_branch .LBB153_1294
.LBB153_1290:
	s_mov_b64 s[0:1], -1
                                        ; implicit-def: $vgpr3
.LBB153_1291:
	s_andn2_b64 vcc, exec, s[0:1]
	s_cbranch_vccnz .LBB153_1293
; %bb.1292:
	global_load_dword v3, v[0:1], off
	s_waitcnt vmcnt(0)
	v_cvt_f32_i32_e32 v3, v3
	v_cvt_f16_f32_e32 v3, v3
.LBB153_1293:
	s_mov_b64 s[0:1], 0
.LBB153_1294:
	s_andn2_b64 vcc, exec, s[0:1]
	s_cbranch_vccnz .LBB153_1296
; %bb.1295:
	global_load_ushort v3, v[0:1], off
	s_waitcnt vmcnt(0)
	v_cvt_f16_i16_e32 v3, v3
.LBB153_1296:
	s_cbranch_execnz .LBB153_1302
.LBB153_1297:
	s_cmp_gt_i32 s26, 0
	s_cbranch_scc0 .LBB153_1299
; %bb.1298:
	global_load_sbyte v3, v[0:1], off
	s_mov_b64 s[0:1], 0
	s_waitcnt vmcnt(0)
	v_cvt_f16_i16_e32 v3, v3
	s_branch .LBB153_1300
.LBB153_1299:
	s_mov_b64 s[0:1], -1
                                        ; implicit-def: $vgpr3
.LBB153_1300:
	s_andn2_b64 vcc, exec, s[0:1]
	s_cbranch_vccnz .LBB153_1302
; %bb.1301:
	global_load_ubyte v0, v[0:1], off
	s_waitcnt vmcnt(0)
	v_cvt_f16_u16_e32 v3, v0
.LBB153_1302:
.LBB153_1303:
	s_waitcnt vmcnt(0)
	v_cvt_f32_f16_e32 v4, v3
	s_mov_b32 s0, 0x3c800000
                                        ; implicit-def: $vgpr6
	v_and_b32_e32 v0, 0x7fffffff, v4
	v_cmp_nlt_f32_e64 s[0:1], |v4|, s0
	s_and_saveexec_b64 s[2:3], s[0:1]
	s_xor_b64 s[2:3], exec, s[2:3]
	s_cbranch_execz .LBB153_1333
; %bb.1304:
	v_cmp_nlt_f32_e64 s[0:1], |v4|, 2.0
                                        ; implicit-def: $vgpr6
	s_and_saveexec_b64 s[4:5], s[0:1]
	s_xor_b64 s[4:5], exec, s[4:5]
	s_cbranch_execz .LBB153_1314
; %bb.1305:
	s_mov_b32 s0, 0x41000000
	v_cmp_nlt_f32_e64 s[0:1], |v4|, s0
                                        ; implicit-def: $vgpr6
	s_and_saveexec_b64 s[6:7], s[0:1]
	s_xor_b64 s[6:7], exec, s[6:7]
	s_cbranch_execz .LBB153_1311
; %bb.1306:
	s_mov_b32 s0, 0x5c800000
	v_cmp_nlt_f32_e64 s[0:1], |v4|, s0
                                        ; implicit-def: $vgpr6
	s_and_saveexec_b64 s[8:9], s[0:1]
	s_xor_b64 s[8:9], exec, s[8:9]
	s_cbranch_execz .LBB153_1308
; %bb.1307:
	s_mov_b32 s0, 0x800000
	v_cmp_lt_f32_e64 vcc, |v4|, s0
	v_cndmask_b32_e64 v1, 0, 32, vcc
	v_ldexp_f32 v1, |v4|, v1
	v_log_f32_e32 v1, v1
	s_mov_b32 s0, 0x3f317217
	s_mov_b32 s1, 0x7f800000
	v_mul_f32_e32 v6, 0x3f317217, v1
	v_fma_f32 v7, v1, s0, -v6
	v_fmac_f32_e32 v7, 0x3377d1cf, v1
	v_add_f32_e32 v6, v6, v7
	v_cmp_lt_f32_e64 s[0:1], |v1|, s1
	v_cndmask_b32_e64 v1, v1, v6, s[0:1]
	v_mov_b32_e32 v6, 0x41b17218
	v_cndmask_b32_e32 v6, 0, v6, vcc
	v_sub_f32_e32 v1, v1, v6
	v_fma_f32 v6, |v4|, v1, -|v4|
.LBB153_1308:
	s_andn2_saveexec_b64 s[8:9], s[8:9]
	s_cbranch_execz .LBB153_1310
; %bb.1309:
	v_rcp_f32_e64 v1, |v4|
	v_mov_b32_e32 v6, 0x3a5b3dd2
	v_mov_b32_e32 v7, 0xba1c065c
	;; [unrolled: 1-line block ×3, first 2 shown]
	v_mul_f32_e32 v9, v1, v1
	v_fmac_f32_e32 v6, 0xbad5c4e8, v9
	v_fmac_f32_e32 v7, v9, v6
	s_mov_b32 s0, 0x800000
	v_fmac_f32_e32 v8, v9, v7
	v_mov_b32_e32 v6, 0xbb360b61
	v_cmp_lt_f32_e64 vcc, |v4|, s0
	v_fmac_f32_e32 v6, v9, v8
	v_cndmask_b32_e64 v8, 0, 32, vcc
	v_ldexp_f32 v8, |v4|, v8
	v_log_f32_e32 v8, v8
	v_mov_b32_e32 v7, 0x3daaaaab
	v_fmac_f32_e32 v7, v9, v6
	v_mov_b32_e32 v6, 0x3ed67f1d
	v_fmac_f32_e32 v6, v1, v7
	s_mov_b32 s0, 0x3f317217
	v_mul_f32_e32 v7, 0x3f317217, v8
	v_fma_f32 v9, v8, s0, -v7
	v_fmac_f32_e32 v9, 0x3377d1cf, v8
	s_mov_b32 s0, 0x7f800000
	v_add_f32_e32 v7, v7, v9
	v_cmp_lt_f32_e64 s[0:1], |v8|, s0
	v_cndmask_b32_e64 v7, v8, v7, s[0:1]
	v_mov_b32_e32 v8, 0x41b17218
	v_cndmask_b32_e32 v8, 0, v8, vcc
	v_sub_f32_e32 v7, v7, v8
	v_add_f32_e64 v1, |v4|, -0.5
	v_add_f32_e32 v7, -1.0, v7
	v_fmac_f32_e32 v6, v1, v7
.LBB153_1310:
	s_or_b64 exec, exec, s[8:9]
.LBB153_1311:
	s_andn2_saveexec_b64 s[6:7], s[6:7]
	s_cbranch_execz .LBB153_1313
; %bb.1312:
	v_cvt_i32_f32_e32 v1, v0
	v_mov_b32_e32 v6, 0x3af135b4
	v_mov_b32_e32 v7, 0x3cda40e4
	;; [unrolled: 1-line block ×3, first 2 shown]
	v_cvt_f32_i32_e32 v9, v1
	v_mov_b32_e32 v10, 0x3ea6cc7a
	v_mov_b32_e32 v11, 0x3e5c245a
	v_cmp_lt_i32_e32 vcc, 2, v1
	v_sub_f32_e64 v9, |v4|, v9
	v_fmac_f32_e32 v6, 0x3805ff67, v9
	v_fmac_f32_e32 v7, v9, v6
	v_fmac_f32_e32 v8, v9, v7
	v_mov_b32_e32 v7, 0x3a4beed6
	v_fmac_f32_e32 v10, v9, v8
	v_fmac_f32_e32 v7, 0x36f5d7bd, v9
	v_mov_b32_e32 v8, 0x3c98bf54
	v_fmac_f32_e32 v8, v9, v7
	v_mov_b32_e32 v7, 0x3e300f6e
	v_fmac_f32_e32 v7, v9, v8
	v_mov_b32_e32 v8, 0x3f38d0c5
	v_fmac_f32_e32 v8, v9, v7
	v_mov_b32_e32 v7, 0x3fb22d3b
	v_fmac_f32_e32 v7, v9, v8
	v_add_f32_e32 v8, 2.0, v9
	v_mov_b32_e32 v12, 0xbd9e233f
	v_fmac_f32_e32 v11, v9, v10
	v_add_f32_e32 v10, 0x40400000, v9
	v_cndmask_b32_e32 v8, 1.0, v8, vcc
	v_cmp_lt_i32_e32 vcc, 3, v1
	v_fmac_f32_e32 v12, v9, v11
	v_add_f32_e32 v11, 4.0, v9
	v_cndmask_b32_e32 v10, 1.0, v10, vcc
	v_cmp_lt_i32_e32 vcc, 4, v1
	v_mul_f32_e32 v6, v9, v12
	v_add_f32_e32 v12, 0x40a00000, v9
	v_mul_f32_e32 v8, v8, v10
	v_cndmask_b32_e32 v10, 1.0, v11, vcc
	v_cmp_lt_i32_e32 vcc, 5, v1
	v_add_f32_e32 v13, 0x40c00000, v9
	v_mul_f32_e32 v8, v10, v8
	v_cndmask_b32_e32 v10, 1.0, v12, vcc
	v_cmp_lt_i32_e32 vcc, 6, v1
	v_mul_f32_e32 v8, v10, v8
	v_cndmask_b32_e32 v1, 1.0, v13, vcc
	v_mul_f32_e32 v1, v1, v8
	s_mov_b32 s0, 0x800000
	v_cmp_gt_f32_e32 vcc, s0, v1
	v_cndmask_b32_e64 v8, 0, 32, vcc
	v_fma_f32 v7, v9, v7, 1.0
	v_ldexp_f32 v1, v1, v8
	v_rcp_f32_e32 v7, v7
	v_log_f32_e32 v1, v1
	s_mov_b32 s0, 0x3f317217
	v_mul_f32_e32 v6, v6, v7
	v_mul_f32_e32 v7, 0x3f317217, v1
	v_fma_f32 v8, v1, s0, -v7
	v_fmac_f32_e32 v8, 0x3377d1cf, v1
	s_mov_b32 s0, 0x7f800000
	v_add_f32_e32 v7, v7, v8
	v_cmp_lt_f32_e64 s[0:1], |v1|, s0
	v_cndmask_b32_e64 v1, v1, v7, s[0:1]
	v_mov_b32_e32 v7, 0x41b17218
	v_cndmask_b32_e32 v7, 0, v7, vcc
	v_fmac_f32_e32 v6, 0.5, v9
	v_sub_f32_e32 v1, v1, v7
	v_add_f32_e32 v6, v1, v6
.LBB153_1313:
	s_or_b64 exec, exec, s[6:7]
.LBB153_1314:
	s_andn2_saveexec_b64 s[4:5], s[4:5]
	s_cbranch_execz .LBB153_1332
; %bb.1315:
	s_mov_b32 s0, 0x3f666666
	v_cmp_le_f32_e64 s[0:1], |v4|, s0
                                        ; implicit-def: $vgpr6
                                        ; implicit-def: $vgpr7
                                        ; implicit-def: $vgpr1
	s_and_saveexec_b64 s[6:7], s[0:1]
	s_xor_b64 s[6:7], exec, s[6:7]
	s_cbranch_execz .LBB153_1317
; %bb.1316:
	s_mov_b32 s0, 0x800000
	v_cmp_lt_f32_e64 vcc, |v4|, s0
	v_cndmask_b32_e64 v1, 0, 32, vcc
	v_ldexp_f32 v1, |v4|, v1
	v_log_f32_e32 v1, v1
	s_mov_b32 s0, 0x3f317217
	s_mov_b32 s1, 0x7f800000
	v_mul_f32_e32 v6, 0x3f317217, v1
	v_fma_f32 v7, v1, s0, -v6
	v_fmac_f32_e32 v7, 0x3377d1cf, v1
	v_add_f32_e32 v6, v6, v7
	v_cmp_lt_f32_e64 s[0:1], |v1|, s1
	v_cndmask_b32_e64 v1, v1, v6, s[0:1]
	v_mov_b32_e32 v6, 0x41b17218
	v_cndmask_b32_e32 v6, 0, v6, vcc
	v_sub_f32_e32 v1, v1, v6
	s_mov_b32 s0, 0x3f3b4a23
	s_mov_b32 s1, 0xbeec5b0c
	v_xor_b32_e32 v6, 0x80000000, v1
	v_sub_f32_e64 v1, 1.0, |v4|
	v_add_f32_e64 v7, |v4|, s1
	v_cmp_lt_f32_e64 vcc, |v4|, s0
	s_mov_b32 s0, 0x3e6d3309
	v_cndmask_b32_e32 v1, v1, v7, vcc
	v_cndmask_b32_e64 v7, 0, 1, vcc
	v_cmp_lt_f32_e64 s[0:1], |v4|, s0
	v_cndmask_b32_e64 v1, v1, |v4|, s[0:1]
	v_cndmask_b32_e64 v7, v7, 2, s[0:1]
.LBB153_1317:
	s_andn2_saveexec_b64 s[0:1], s[6:7]
	s_cbranch_execz .LBB153_1319
; %bb.1318:
	s_mov_b32 s6, 0x3fdda512
	s_mov_b32 s7, 0xbfbb16c3
	v_sub_f32_e64 v1, 2.0, |v4|
	v_add_f32_e64 v6, |v4|, s7
	v_cmp_lt_f32_e64 vcc, |v4|, s6
	v_cndmask_b32_e32 v6, v1, v6, vcc
	v_cndmask_b32_e64 v1, v1, 1.0, vcc
	v_cvt_i32_f32_e32 v7, v1
	s_mov_b32 s6, 0x3f9d70a4
	v_add_f32_e64 v1, |v4|, -1.0
	v_cmp_lt_f32_e64 vcc, |v4|, s6
	v_cndmask_b32_e32 v1, v6, v1, vcc
	v_cndmask_b32_e64 v7, v7, 2, vcc
	v_mov_b32_e32 v6, 0
.LBB153_1319:
	s_or_b64 exec, exec, s[0:1]
	v_cmp_lt_i32_e32 vcc, 0, v7
	s_and_saveexec_b64 s[0:1], vcc
	s_xor_b64 s[0:1], exec, s[0:1]
	s_cbranch_execz .LBB153_1327
; %bb.1320:
	v_cmp_lt_i32_e32 vcc, 1, v7
	s_and_saveexec_b64 s[6:7], vcc
	s_xor_b64 s[6:7], exec, s[6:7]
	s_cbranch_execz .LBB153_1324
; %bb.1321:
	v_cmp_eq_u32_e32 vcc, 2, v7
	s_and_saveexec_b64 s[8:9], vcc
	s_cbranch_execz .LBB153_1323
; %bb.1322:
	v_mov_b32_e32 v7, 0x3e6a7578
	v_fmac_f32_e32 v7, 0x3c5b3c5e, v1
	v_mov_b32_e32 v8, 0x3f7a4bb2
	v_fmac_f32_e32 v8, v1, v7
	;; [unrolled: 2-line block ×8, first 2 shown]
	v_fma_f32 v7, v1, v9, 1.0
	v_rcp_f32_e32 v7, v7
	v_mov_b32_e32 v9, 0xbd9e233f
	v_fmac_f32_e32 v9, v1, v8
	v_mul_f32_e32 v8, v1, v9
	v_mul_f32_e32 v7, v8, v7
	v_fmac_f32_e32 v7, -0.5, v1
	v_add_f32_e32 v6, v6, v7
.LBB153_1323:
	s_or_b64 exec, exec, s[8:9]
                                        ; implicit-def: $vgpr1
.LBB153_1324:
	s_andn2_saveexec_b64 s[6:7], s[6:7]
	s_cbranch_execz .LBB153_1326
; %bb.1325:
	v_mul_f32_e32 v7, v1, v1
	v_mul_f32_e32 v8, v1, v7
	v_mov_b32_e32 v9, 0xbab7f476
	v_fmac_f32_e32 v9, 0x39a57b6b, v8
	v_mov_b32_e32 v10, 0x3bc7e707
	v_fmac_f32_e32 v10, v8, v9
	;; [unrolled: 2-line block ×12, first 2 shown]
	v_fmac_f32_e32 v11, v1, v12
	s_mov_b32 s8, 0xa2863e55
	v_fma_f32 v1, v8, -v11, s8
	v_fma_f32 v1, v7, v10, -v1
	v_add_f32_e32 v1, 0xbdf8cdce, v1
	v_add_f32_e32 v6, v6, v1
.LBB153_1326:
	s_or_b64 exec, exec, s[6:7]
                                        ; implicit-def: $vgpr7
                                        ; implicit-def: $vgpr1
.LBB153_1327:
	s_andn2_saveexec_b64 s[0:1], s[0:1]
	s_cbranch_execz .LBB153_1331
; %bb.1328:
	v_cmp_eq_u32_e32 vcc, 0, v7
	s_and_saveexec_b64 s[6:7], vcc
	s_cbranch_execz .LBB153_1330
; %bb.1329:
	v_mul_f32_e32 v7, v1, v1
	v_mov_b32_e32 v8, 0x39679767
	v_fmac_f32_e32 v8, 0x37d383a2, v7
	v_mov_b32_e32 v9, 0x3a9c54a1
	v_fmac_f32_e32 v9, v7, v8
	;; [unrolled: 2-line block ×10, first 2 shown]
	v_mul_f32_e32 v7, v7, v9
	v_fmac_f32_e32 v7, v1, v8
	v_fmac_f32_e32 v7, -0.5, v1
	v_add_f32_e32 v6, v6, v7
.LBB153_1330:
	s_or_b64 exec, exec, s[6:7]
.LBB153_1331:
	s_or_b64 exec, exec, s[0:1]
.LBB153_1332:
	s_or_b64 exec, exec, s[4:5]
.LBB153_1333:
	s_andn2_saveexec_b64 s[2:3], s[2:3]
	s_cbranch_execz .LBB153_1335
; %bb.1334:
	s_mov_b32 s0, 0x3e8a8991
	v_mov_b32_e32 v1, 0xbecd26ab
	v_fma_f32 v1, |v4|, s0, v1
	s_mov_b32 s0, 0x3f528d33
	v_fma_f32 v1, |v4|, v1, s0
	s_mov_b32 s0, 0x800000
	v_cmp_lt_f32_e64 vcc, |v4|, s0
	v_cndmask_b32_e64 v6, 0, 32, vcc
	v_ldexp_f32 v6, |v4|, v6
	v_log_f32_e32 v6, v6
	s_mov_b32 s0, 0xbf13c468
	v_fma_f32 v1, |v4|, v1, s0
	s_mov_b32 s0, 0x3f317217
	v_mul_f32_e32 v7, 0x3f317217, v6
	v_fma_f32 v8, v6, s0, -v7
	v_fmac_f32_e32 v8, 0x3377d1cf, v6
	s_mov_b32 s0, 0x7f800000
	v_add_f32_e32 v7, v7, v8
	v_cmp_lt_f32_e64 s[0:1], |v6|, s0
	v_cndmask_b32_e64 v6, v6, v7, s[0:1]
	v_mov_b32_e32 v7, 0x41b17218
	v_cndmask_b32_e32 v7, 0, v7, vcc
	v_sub_f32_e32 v6, v6, v7
	v_fma_f32 v6, |v4|, v1, -v6
.LBB153_1335:
	s_or_b64 exec, exec, s[2:3]
	v_cmp_le_f16_e64 s[0:1], 0, v3
	v_cmp_nle_f16_e32 vcc, 0, v3
	s_and_saveexec_b64 s[2:3], vcc
	s_xor_b64 s[4:5], exec, s[2:3]
	s_cbranch_execz .LBB153_1339
; %bb.1336:
	s_mov_b32 s2, 0x4b000000
	s_mov_b32 s6, 0x35000000
	v_cmp_lt_f32_e64 s[2:3], |v4|, s2
	v_cmp_gt_f32_e64 s[6:7], |v4|, s6
	s_and_b64 s[2:3], s[2:3], s[6:7]
	s_and_saveexec_b64 s[6:7], s[2:3]
	s_cbranch_execz .LBB153_1338
; %bb.1337:
	v_mul_f32_e64 v1, |v4|, 0.5
	v_floor_f32_e32 v7, v1
	v_sub_f32_e32 v7, v1, v7
	v_min_f32_e32 v7, 0x3f7fffff, v7
	s_mov_b32 s8, 0x7f800000
	v_add_f32_e32 v7, v7, v7
	v_cmp_neq_f32_e32 vcc, s8, v1
	v_cndmask_b32_e32 v1, 0, v7, vcc
	v_cmp_gt_f32_e64 s[2:3], |v4|, 1.0
	v_cndmask_b32_e64 v1, |v4|, v1, s[2:3]
	v_add_f32_e32 v7, v1, v1
	v_rndne_f32_e32 v7, v7
	v_fmac_f32_e32 v1, -0.5, v7
	v_mul_f32_e32 v8, v1, v1
	v_mov_b32_e32 v9, 0xbf1f24be
	v_fmac_f32_e32 v9, 0x3e75aa41, v8
	v_mov_b32_e32 v10, 0x40234736
	v_fmac_f32_e32 v10, v8, v9
	;; [unrolled: 2-line block ×3, first 2 shown]
	v_mul_f32_e32 v10, v1, v8
	v_mul_f32_e32 v9, v10, v9
	v_fmac_f32_e32 v9, 0x40490fdb, v1
	v_mov_b32_e32 v1, 0x3e642e9d
	v_cvt_i32_f32_e32 v7, v7
	v_fmac_f32_e32 v1, 0x3d4be544, v8
	v_mov_b32_e32 v10, 0xbfaad1da
	v_fmac_f32_e32 v10, v8, v1
	v_mov_b32_e32 v1, 0x4081e0d3
	v_fmac_f32_e32 v1, v8, v10
	v_mov_b32_e32 v10, 0xc09de9e6
	v_fmac_f32_e32 v10, v8, v1
	v_fma_f32 v1, v8, v10, 1.0
	v_and_b32_e32 v8, 1, v7
	v_lshlrev_b32_e32 v7, 30, v7
	v_cmp_eq_u32_e32 vcc, 0, v8
	v_and_b32_e32 v7, 0x80000000, v7
	v_xor_b32_e32 v0, v0, v4
	v_cndmask_b32_e32 v1, v1, v9, vcc
	v_xor_b32_e32 v0, v0, v7
	v_xor_b32_e32 v0, v0, v1
	v_mul_f32_e32 v0, v4, v0
	v_frexp_mant_f32_e64 v1, |v0|
	v_rcp_f32_e32 v1, v1
	v_frexp_exp_i32_f32_e32 v0, v0
	v_sub_u32_e32 v0, 2, v0
	s_mov_b32 s2, 0x800000
	v_mul_f32_e32 v1, 0x3f490fdb, v1
	v_ldexp_f32 v0, v1, v0
	v_cmp_gt_f32_e32 vcc, s2, v0
	v_cndmask_b32_e64 v1, 0, 32, vcc
	v_ldexp_f32 v0, v0, v1
	v_log_f32_e32 v0, v0
	s_mov_b32 s2, 0x3f317217
	v_mul_f32_e32 v1, 0x3f317217, v0
	v_fma_f32 v7, v0, s2, -v1
	v_fmac_f32_e32 v7, 0x3377d1cf, v0
	v_add_f32_e32 v1, v1, v7
	v_cmp_lt_f32_e64 s[2:3], |v0|, s8
	v_cndmask_b32_e64 v0, v0, v1, s[2:3]
	v_mov_b32_e32 v1, 0x41b17218
	v_cndmask_b32_e32 v1, 0, v1, vcc
	v_sub_f32_e32 v0, v0, v1
	v_floor_f32_e32 v1, v4
	v_sub_f32_e32 v1, v4, v1
	v_min_f32_e32 v1, 0x3f7fffff, v1
	v_sub_f32_e32 v0, v0, v6
	v_mov_b32_e32 v6, 0x7f800000
	v_cmp_neq_f32_e32 vcc, 0, v1
	v_cndmask_b32_e32 v6, v6, v0, vcc
.LBB153_1338:
	s_or_b64 exec, exec, s[6:7]
.LBB153_1339:
	s_andn2_saveexec_b64 s[4:5], s[4:5]
; %bb.1340:
	v_cmp_eq_f16_e32 vcc, 1.0, v3
	v_cmp_eq_f16_e64 s[2:3], 2.0, v3
	s_or_b64 s[2:3], vcc, s[2:3]
	v_cndmask_b32_e64 v6, v6, 0, s[2:3]
; %bb.1341:
	s_or_b64 exec, exec, s[4:5]
	s_lshl_b32 s11, s11, 7
	v_add_u32_e32 v8, s11, v5
	v_ashrrev_i32_e32 v1, 31, v8
	v_mov_b32_e32 v5, s15
	v_add_co_u32_e32 v0, vcc, s14, v8
	s_cmp_lt_i32 s26, 11
	v_addc_co_u32_e32 v1, vcc, v5, v1, vcc
	s_cbranch_scc1 .LBB153_1348
; %bb.1342:
	s_cmp_gt_i32 s26, 25
	s_mov_b64 s[4:5], 0
	s_cbranch_scc0 .LBB153_1350
; %bb.1343:
	s_cmp_gt_i32 s26, 28
	s_cbranch_scc0 .LBB153_1351
; %bb.1344:
	s_cmp_gt_i32 s26, 43
	;; [unrolled: 3-line block ×3, first 2 shown]
	s_cbranch_scc0 .LBB153_1354
; %bb.1346:
	s_cmp_eq_u32 s26, 46
	s_mov_b64 s[8:9], 0
	s_cbranch_scc0 .LBB153_1357
; %bb.1347:
	global_load_dword v5, v[0:1], off
	s_mov_b64 s[2:3], 0
	s_mov_b64 s[6:7], -1
	s_waitcnt vmcnt(0)
	v_lshlrev_b32_e32 v5, 16, v5
	v_cvt_f16_f32_e32 v5, v5
	s_branch .LBB153_1358
.LBB153_1348:
	s_mov_b64 s[6:7], 0
                                        ; implicit-def: $vgpr5
	s_cbranch_execnz .LBB153_1423
.LBB153_1349:
	s_andn2_b64 vcc, exec, s[6:7]
	s_cbranch_vccnz .LBB153_2276
	s_branch .LBB153_1470
.LBB153_1350:
	s_mov_b64 s[6:7], 0
	s_mov_b64 s[2:3], 0
                                        ; implicit-def: $vgpr5
	s_cbranch_execnz .LBB153_1387
	s_branch .LBB153_1419
.LBB153_1351:
	s_mov_b64 s[8:9], -1
	s_mov_b64 s[6:7], 0
	s_mov_b64 s[2:3], 0
                                        ; implicit-def: $vgpr5
	s_branch .LBB153_1368
.LBB153_1352:
	s_mov_b64 s[8:9], -1
	s_mov_b64 s[6:7], 0
	s_mov_b64 s[2:3], 0
                                        ; implicit-def: $vgpr5
	s_branch .LBB153_1363
.LBB153_1353:
	s_or_b64 s[20:21], s[16:17], exec
	s_trap 2
	s_cbranch_execz .LBB153_1256
	s_branch .LBB153_1257
.LBB153_1354:
	s_mov_b64 s[8:9], -1
	s_mov_b64 s[6:7], 0
	s_mov_b64 s[2:3], 0
                                        ; implicit-def: $vgpr5
	s_branch .LBB153_1358
.LBB153_1355:
	s_andn2_saveexec_b64 s[24:25], s[24:25]
	s_cbranch_execz .LBB153_1103
.LBB153_1356:
	s_mov_b32 s28, 0x42800000
	v_add_f32_e64 v3, |v2|, s28
	v_and_b32_e32 v3, 0xff, v3
	v_cmp_ne_u32_e32 vcc, 0, v3
	s_andn2_b64 s[22:23], s[22:23], exec
	s_and_b64 s[28:29], vcc, exec
	s_or_b64 s[22:23], s[22:23], s[28:29]
	s_or_b64 exec, exec, s[24:25]
	v_mov_b32_e32 v5, 0
	s_and_saveexec_b64 s[24:25], s[22:23]
	s_cbranch_execnz .LBB153_1104
	s_branch .LBB153_1105
.LBB153_1357:
	s_mov_b64 s[2:3], -1
                                        ; implicit-def: $vgpr5
	s_mov_b64 s[6:7], 0
.LBB153_1358:
	s_and_b64 vcc, exec, s[8:9]
	s_cbranch_vccz .LBB153_1362
; %bb.1359:
	s_cmp_eq_u32 s26, 44
	s_cbranch_scc0 .LBB153_1361
; %bb.1360:
	global_load_ubyte v5, v[0:1], off
	s_movk_i32 s6, 0xff
	v_mov_b32_e32 v9, 0x7e00
	s_mov_b64 s[2:3], 0
	s_waitcnt vmcnt(0)
	v_lshlrev_b32_e32 v7, 23, v5
	v_cvt_f16_f32_e32 v7, v7
	v_cmp_ne_u32_e32 vcc, s6, v5
	s_mov_b64 s[6:7], -1
	v_cndmask_b32_e32 v7, v9, v7, vcc
	v_cmp_ne_u32_e32 vcc, 0, v5
	v_cndmask_b32_e32 v5, 0, v7, vcc
	s_branch .LBB153_1362
.LBB153_1361:
	s_mov_b64 s[2:3], -1
                                        ; implicit-def: $vgpr5
.LBB153_1362:
	s_mov_b64 s[8:9], 0
.LBB153_1363:
	s_and_b64 vcc, exec, s[8:9]
	s_cbranch_vccz .LBB153_1367
; %bb.1364:
	s_cmp_eq_u32 s26, 29
	s_cbranch_scc0 .LBB153_1366
; %bb.1365:
	global_load_dwordx2 v[9:10], v[0:1], off
	s_mov_b64 s[2:3], 0
	s_mov_b64 s[6:7], -1
	s_mov_b64 s[8:9], 0
	s_waitcnt vmcnt(0)
	v_ffbh_u32_e32 v5, v10
	v_min_u32_e32 v5, 32, v5
	v_lshlrev_b64 v[9:10], v5, v[9:10]
	v_sub_u32_e32 v5, 32, v5
	v_min_u32_e32 v7, 1, v9
	v_or_b32_e32 v7, v10, v7
	v_cvt_f32_u32_e32 v7, v7
	v_ldexp_f32 v5, v7, v5
	v_cvt_f16_f32_e32 v5, v5
	s_branch .LBB153_1368
.LBB153_1366:
	s_mov_b64 s[2:3], -1
                                        ; implicit-def: $vgpr5
.LBB153_1367:
	s_mov_b64 s[8:9], 0
.LBB153_1368:
	s_and_b64 vcc, exec, s[8:9]
	s_cbranch_vccz .LBB153_1386
; %bb.1369:
	s_cmp_lt_i32 s26, 27
	s_cbranch_scc1 .LBB153_1372
; %bb.1370:
	s_cmp_gt_i32 s26, 27
	s_cbranch_scc0 .LBB153_1373
; %bb.1371:
	global_load_dword v5, v[0:1], off
	s_mov_b64 s[6:7], 0
	s_waitcnt vmcnt(0)
	v_cvt_f32_u32_e32 v5, v5
	v_cvt_f16_f32_e32 v5, v5
	s_branch .LBB153_1374
.LBB153_1372:
	s_mov_b64 s[6:7], -1
                                        ; implicit-def: $vgpr5
	s_branch .LBB153_1377
.LBB153_1373:
	s_mov_b64 s[6:7], -1
                                        ; implicit-def: $vgpr5
.LBB153_1374:
	s_andn2_b64 vcc, exec, s[6:7]
	s_cbranch_vccnz .LBB153_1376
; %bb.1375:
	global_load_ushort v5, v[0:1], off
	s_waitcnt vmcnt(0)
	v_cvt_f16_u16_e32 v5, v5
.LBB153_1376:
	s_mov_b64 s[6:7], 0
.LBB153_1377:
	s_andn2_b64 vcc, exec, s[6:7]
	s_cbranch_vccnz .LBB153_1385
; %bb.1378:
	global_load_ubyte v7, v[0:1], off
	s_movk_i32 s6, 0x7f
	s_waitcnt vmcnt(0)
	v_cmp_lt_i16_e32 vcc, s6, v7
	s_mov_b64 s[6:7], 0
	s_and_saveexec_b64 s[8:9], vcc
	s_xor_b64 s[8:9], exec, s[8:9]
	s_cbranch_execz .LBB153_1398
; %bb.1379:
	s_movk_i32 s6, 0x80
	v_cmp_eq_u16_e32 vcc, s6, v7
	s_mov_b64 s[6:7], -1
	s_and_saveexec_b64 s[22:23], vcc
; %bb.1380:
	s_xor_b64 s[6:7], exec, -1
; %bb.1381:
	s_or_b64 exec, exec, s[22:23]
	s_and_b64 s[6:7], s[6:7], exec
	s_or_saveexec_b64 s[8:9], s[8:9]
	v_mov_b32_e32 v5, 0x7e00
	s_xor_b64 exec, exec, s[8:9]
	s_cbranch_execnz .LBB153_1399
.LBB153_1382:
	s_or_b64 exec, exec, s[8:9]
	s_and_saveexec_b64 s[8:9], s[6:7]
	s_cbranch_execz .LBB153_1384
.LBB153_1383:
	v_lshlrev_b32_e32 v5, 24, v7
	v_and_b32_e32 v7, 0xffff, v7
	v_and_b32_e32 v9, 7, v7
	v_ffbh_u32_e32 v11, v9
	v_min_u32_e32 v11, 32, v11
	v_subrev_u32_e32 v12, 28, v11
	v_bfe_u32 v10, v7, 3, 4
	v_lshlrev_b32_e32 v7, v12, v7
	v_sub_u32_e32 v11, 29, v11
	v_and_b32_e32 v7, 7, v7
	v_cmp_eq_u32_e32 vcc, 0, v10
	v_cndmask_b32_e32 v10, v10, v11, vcc
	v_cndmask_b32_e32 v7, v9, v7, vcc
	v_mov_b32_e32 v9, 0x3b800000
	v_lshlrev_b32_e32 v7, 20, v7
	v_and_b32_e32 v5, 0x80000000, v5
	v_lshl_add_u32 v9, v10, 23, v9
	v_or3_b32 v5, v5, v9, v7
	v_cvt_f16_f32_e32 v5, v5
.LBB153_1384:
	s_or_b64 exec, exec, s[8:9]
.LBB153_1385:
	s_mov_b64 s[6:7], -1
.LBB153_1386:
	s_branch .LBB153_1419
.LBB153_1387:
	s_cmp_gt_i32 s26, 22
	s_cbranch_scc0 .LBB153_1397
; %bb.1388:
	s_cmp_lt_i32 s26, 24
	s_cbranch_scc1 .LBB153_1400
; %bb.1389:
	s_cmp_gt_i32 s26, 24
	s_cbranch_scc0 .LBB153_1401
; %bb.1390:
	global_load_ubyte v7, v[0:1], off
	s_movk_i32 s4, 0x7f
	s_waitcnt vmcnt(0)
	v_cmp_lt_i16_e32 vcc, s4, v7
	s_mov_b64 s[4:5], 0
	s_and_saveexec_b64 s[6:7], vcc
	s_xor_b64 s[6:7], exec, s[6:7]
	s_cbranch_execz .LBB153_1413
; %bb.1391:
	s_movk_i32 s4, 0x80
	v_cmp_eq_u16_e32 vcc, s4, v7
	s_mov_b64 s[4:5], -1
	s_and_saveexec_b64 s[8:9], vcc
; %bb.1392:
	s_xor_b64 s[4:5], exec, -1
; %bb.1393:
	s_or_b64 exec, exec, s[8:9]
	s_and_b64 s[4:5], s[4:5], exec
	s_or_saveexec_b64 s[6:7], s[6:7]
	v_mov_b32_e32 v5, 0x7e00
	s_xor_b64 exec, exec, s[6:7]
	s_cbranch_execnz .LBB153_1414
.LBB153_1394:
	s_or_b64 exec, exec, s[6:7]
	s_and_saveexec_b64 s[6:7], s[4:5]
	s_cbranch_execz .LBB153_1396
.LBB153_1395:
	v_lshlrev_b32_e32 v5, 24, v7
	v_and_b32_e32 v7, 0xffff, v7
	v_and_b32_e32 v9, 3, v7
	v_ffbh_u32_e32 v11, v9
	v_min_u32_e32 v11, 32, v11
	v_subrev_u32_e32 v12, 29, v11
	v_bfe_u32 v10, v7, 2, 5
	v_lshlrev_b32_e32 v7, v12, v7
	v_sub_u32_e32 v11, 30, v11
	v_and_b32_e32 v7, 3, v7
	v_cmp_eq_u32_e32 vcc, 0, v10
	v_cndmask_b32_e32 v10, v10, v11, vcc
	v_cndmask_b32_e32 v7, v9, v7, vcc
	v_mov_b32_e32 v9, 0x37800000
	v_lshlrev_b32_e32 v7, 21, v7
	v_and_b32_e32 v5, 0x80000000, v5
	v_lshl_add_u32 v9, v10, 23, v9
	v_or3_b32 v5, v5, v9, v7
	v_cvt_f16_f32_e32 v5, v5
.LBB153_1396:
	s_or_b64 exec, exec, s[6:7]
	s_mov_b64 s[4:5], 0
	s_branch .LBB153_1402
.LBB153_1397:
	s_mov_b64 s[4:5], -1
                                        ; implicit-def: $vgpr5
	s_branch .LBB153_1408
.LBB153_1398:
	s_or_saveexec_b64 s[8:9], s[8:9]
	v_mov_b32_e32 v5, 0x7e00
	s_xor_b64 exec, exec, s[8:9]
	s_cbranch_execz .LBB153_1382
.LBB153_1399:
	v_cmp_ne_u16_e32 vcc, 0, v7
	s_andn2_b64 s[6:7], s[6:7], exec
	s_and_b64 s[22:23], vcc, exec
	s_or_b64 s[6:7], s[6:7], s[22:23]
	v_mov_b32_e32 v5, v7
	s_or_b64 exec, exec, s[8:9]
	s_and_saveexec_b64 s[8:9], s[6:7]
	s_cbranch_execnz .LBB153_1383
	s_branch .LBB153_1384
.LBB153_1400:
	s_mov_b64 s[4:5], -1
                                        ; implicit-def: $vgpr5
	s_branch .LBB153_1405
.LBB153_1401:
	s_mov_b64 s[4:5], -1
                                        ; implicit-def: $vgpr5
.LBB153_1402:
	s_and_b64 vcc, exec, s[4:5]
	s_cbranch_vccz .LBB153_1404
; %bb.1403:
	global_load_ubyte v5, v[0:1], off
	s_mov_b32 s4, 0x7f800000
	s_waitcnt vmcnt(0)
	v_lshlrev_b32_e32 v5, 24, v5
	v_and_b32_e32 v7, 0x7f000000, v5
	v_ffbh_u32_e32 v9, v7
	v_min_u32_e32 v9, 32, v9
	v_sub_u32_e64 v9, v9, 4 clamp
	v_lshlrev_b32_e32 v11, v9, v7
	v_lshlrev_b32_e32 v9, 23, v9
	v_lshrrev_b32_e32 v11, 4, v11
	v_add_u32_e32 v10, 0x1000000, v7
	v_sub_u32_e32 v9, v11, v9
	v_ashrrev_i32_e32 v10, 8, v10
	v_add_u32_e32 v9, 0x3c000000, v9
	v_and_or_b32 v9, v10, s4, v9
	v_cmp_ne_u32_e32 vcc, 0, v7
	v_cndmask_b32_e32 v7, 0, v9, vcc
	s_brev_b32 s4, 1
	v_and_or_b32 v5, v5, s4, v7
	v_cvt_f16_f32_e32 v5, v5
.LBB153_1404:
	s_mov_b64 s[4:5], 0
.LBB153_1405:
	s_andn2_b64 vcc, exec, s[4:5]
	s_cbranch_vccnz .LBB153_1407
; %bb.1406:
	global_load_ubyte v5, v[0:1], off
	s_movk_i32 s4, 0x7f00
	s_brev_b32 s5, 16
	s_waitcnt vmcnt(0)
	v_lshlrev_b16_e32 v7, 8, v5
	v_lshlrev_b32_e32 v5, 25, v5
	v_lshrrev_b32_e32 v9, 4, v5
	v_and_or_b32 v10, v7, s4, 0.5
	v_or_b32_e32 v9, 0x70000000, v9
	v_add_f32_e32 v10, -0.5, v10
	v_mul_f32_e32 v9, 0x7800000, v9
	v_cmp_gt_u32_e32 vcc, s5, v5
	v_bfe_i32 v7, v7, 0, 16
	v_cndmask_b32_e32 v5, v9, v10, vcc
	s_brev_b32 s4, 1
	v_and_or_b32 v5, v7, s4, v5
	v_cvt_f16_f32_e32 v5, v5
.LBB153_1407:
	s_mov_b64 s[4:5], 0
	s_mov_b64 s[6:7], -1
.LBB153_1408:
	s_andn2_b64 vcc, exec, s[4:5]
	s_mov_b64 s[4:5], 0
	s_cbranch_vccnz .LBB153_1419
; %bb.1409:
	s_cmp_gt_i32 s26, 14
	s_cbranch_scc0 .LBB153_1412
; %bb.1410:
	s_cmp_eq_u32 s26, 15
	s_cbranch_scc0 .LBB153_1415
; %bb.1411:
	global_load_ushort v5, v[0:1], off
	s_mov_b64 s[2:3], 0
	s_mov_b64 s[6:7], -1
	s_waitcnt vmcnt(0)
	v_lshlrev_b32_e32 v5, 16, v5
	v_cvt_f16_f32_e32 v5, v5
	s_branch .LBB153_1416
.LBB153_1412:
	s_mov_b64 s[8:9], -1
                                        ; implicit-def: $vgpr5
	s_branch .LBB153_1417
.LBB153_1413:
	s_or_saveexec_b64 s[6:7], s[6:7]
	v_mov_b32_e32 v5, 0x7e00
	s_xor_b64 exec, exec, s[6:7]
	s_cbranch_execz .LBB153_1394
.LBB153_1414:
	v_cmp_ne_u16_e32 vcc, 0, v7
	s_andn2_b64 s[4:5], s[4:5], exec
	s_and_b64 s[8:9], vcc, exec
	s_or_b64 s[4:5], s[4:5], s[8:9]
	v_mov_b32_e32 v5, v7
	s_or_b64 exec, exec, s[6:7]
	s_and_saveexec_b64 s[6:7], s[4:5]
	s_cbranch_execnz .LBB153_1395
	s_branch .LBB153_1396
.LBB153_1415:
	s_mov_b64 s[2:3], -1
                                        ; implicit-def: $vgpr5
.LBB153_1416:
	s_mov_b64 s[8:9], 0
.LBB153_1417:
	s_and_b64 vcc, exec, s[8:9]
	s_cbranch_vccz .LBB153_1419
; %bb.1418:
	s_cmp_lg_u32 s26, 11
	s_mov_b64 s[4:5], -1
	s_cselect_b64 s[2:3], -1, 0
.LBB153_1419:
	s_and_b64 vcc, exec, s[2:3]
	s_cbranch_vccnz .LBB153_1520
; %bb.1420:
	s_andn2_b64 vcc, exec, s[4:5]
	s_cbranch_vccnz .LBB153_1422
.LBB153_1421:
	global_load_ubyte v5, v[0:1], off
	v_mov_b32_e32 v7, 0x3c00
	s_mov_b64 s[6:7], -1
	s_waitcnt vmcnt(0)
	v_cmp_ne_u16_e32 vcc, 0, v5
	v_cndmask_b32_e32 v5, 0, v7, vcc
.LBB153_1422:
	s_branch .LBB153_1349
.LBB153_1423:
	s_cmp_lt_i32 s26, 5
	s_cbranch_scc1 .LBB153_1428
; %bb.1424:
	s_cmp_lt_i32 s26, 8
	s_cbranch_scc1 .LBB153_1429
; %bb.1425:
	;; [unrolled: 3-line block ×3, first 2 shown]
	s_cmp_gt_i32 s26, 9
	s_cbranch_scc0 .LBB153_1431
; %bb.1427:
	global_load_dwordx2 v[9:10], v[0:1], off
	s_movk_i32 s2, 0x1ff
	s_movk_i32 s3, 0xffe
	v_mov_b32_e32 v5, 0x7c00
	v_mov_b32_e32 v7, 0x7e00
	s_movk_i32 s4, 0x40f
	s_mov_b32 s5, 0x8000
	s_waitcnt vmcnt(0)
	v_and_or_b32 v9, v10, s2, v9
	v_cmp_ne_u32_e32 vcc, 0, v9
	v_lshrrev_b32_e32 v11, 8, v10
	v_bfe_u32 v12, v10, 20, 11
	v_cndmask_b32_e64 v9, 0, 1, vcc
	v_sub_u32_e32 v13, 0x3f1, v12
	v_and_or_b32 v9, v11, s3, v9
	v_add_u32_e32 v12, 0xfffffc10, v12
	v_med3_i32 v11, v13, 0, 13
	v_or_b32_e32 v13, 0x1000, v9
	v_lshl_or_b32 v14, v12, 12, v9
	v_cmp_ne_u32_e32 vcc, 0, v9
	v_lshrrev_b32_e32 v9, v11, v13
	v_lshlrev_b32_e32 v11, v11, v9
	v_cndmask_b32_e32 v7, v5, v7, vcc
	v_cmp_ne_u32_e32 vcc, v11, v13
	v_cndmask_b32_e64 v11, 0, 1, vcc
	v_or_b32_e32 v9, v9, v11
	v_cmp_gt_i32_e32 vcc, 1, v12
	v_cndmask_b32_e32 v9, v14, v9, vcc
	v_and_b32_e32 v11, 7, v9
	v_cmp_lt_i32_e32 vcc, 5, v11
	v_cndmask_b32_e64 v13, 0, 1, vcc
	v_cmp_eq_u32_e32 vcc, 3, v11
	v_cndmask_b32_e64 v11, 0, 1, vcc
	v_lshrrev_b32_e32 v9, 2, v9
	v_or_b32_e32 v11, v11, v13
	v_add_u32_e32 v9, v9, v11
	v_cmp_gt_i32_e32 vcc, 31, v12
	v_cndmask_b32_e32 v5, v5, v9, vcc
	v_cmp_eq_u32_e32 vcc, s4, v12
	v_lshrrev_b32_e32 v10, 16, v10
	v_cndmask_b32_e32 v5, v5, v7, vcc
	v_and_or_b32 v5, v10, s5, v5
	s_mov_b64 s[2:3], 0
	s_branch .LBB153_1432
.LBB153_1428:
                                        ; implicit-def: $vgpr5
	s_branch .LBB153_1450
.LBB153_1429:
	s_mov_b64 s[2:3], -1
                                        ; implicit-def: $vgpr5
	s_branch .LBB153_1438
.LBB153_1430:
	s_mov_b64 s[2:3], -1
                                        ; implicit-def: $vgpr5
	s_branch .LBB153_1435
.LBB153_1431:
	s_mov_b64 s[2:3], -1
                                        ; implicit-def: $vgpr5
.LBB153_1432:
	s_andn2_b64 vcc, exec, s[2:3]
	s_cbranch_vccnz .LBB153_1434
; %bb.1433:
	global_load_dword v5, v[0:1], off
	s_waitcnt vmcnt(0)
	v_cvt_f16_f32_e32 v5, v5
.LBB153_1434:
	s_mov_b64 s[2:3], 0
.LBB153_1435:
	s_andn2_b64 vcc, exec, s[2:3]
	s_cbranch_vccnz .LBB153_1437
; %bb.1436:
	global_load_dword v5, v[0:1], off
.LBB153_1437:
	s_mov_b64 s[2:3], 0
.LBB153_1438:
	s_andn2_b64 vcc, exec, s[2:3]
	s_cbranch_vccnz .LBB153_1449
; %bb.1439:
	s_cmp_lt_i32 s26, 6
	s_cbranch_scc1 .LBB153_1442
; %bb.1440:
	s_cmp_gt_i32 s26, 6
	s_cbranch_scc0 .LBB153_1443
; %bb.1441:
	global_load_dwordx2 v[9:10], v[0:1], off
	s_movk_i32 s2, 0x1ff
	s_movk_i32 s3, 0xffe
	s_waitcnt vmcnt(1)
	v_mov_b32_e32 v5, 0x7c00
	v_mov_b32_e32 v7, 0x7e00
	s_movk_i32 s4, 0x40f
	s_mov_b32 s5, 0x8000
	s_waitcnt vmcnt(0)
	v_and_or_b32 v9, v10, s2, v9
	v_cmp_ne_u32_e32 vcc, 0, v9
	v_lshrrev_b32_e32 v11, 8, v10
	v_bfe_u32 v12, v10, 20, 11
	v_cndmask_b32_e64 v9, 0, 1, vcc
	v_sub_u32_e32 v13, 0x3f1, v12
	v_and_or_b32 v9, v11, s3, v9
	v_add_u32_e32 v12, 0xfffffc10, v12
	v_med3_i32 v11, v13, 0, 13
	v_or_b32_e32 v13, 0x1000, v9
	v_lshl_or_b32 v14, v12, 12, v9
	v_cmp_ne_u32_e32 vcc, 0, v9
	v_lshrrev_b32_e32 v9, v11, v13
	v_lshlrev_b32_e32 v11, v11, v9
	v_cndmask_b32_e32 v7, v5, v7, vcc
	v_cmp_ne_u32_e32 vcc, v11, v13
	v_cndmask_b32_e64 v11, 0, 1, vcc
	v_or_b32_e32 v9, v9, v11
	v_cmp_gt_i32_e32 vcc, 1, v12
	v_cndmask_b32_e32 v9, v14, v9, vcc
	v_and_b32_e32 v11, 7, v9
	v_cmp_lt_i32_e32 vcc, 5, v11
	v_cndmask_b32_e64 v13, 0, 1, vcc
	v_cmp_eq_u32_e32 vcc, 3, v11
	v_cndmask_b32_e64 v11, 0, 1, vcc
	v_lshrrev_b32_e32 v9, 2, v9
	v_or_b32_e32 v11, v11, v13
	v_add_u32_e32 v9, v9, v11
	v_cmp_gt_i32_e32 vcc, 31, v12
	v_cndmask_b32_e32 v5, v5, v9, vcc
	v_cmp_eq_u32_e32 vcc, s4, v12
	v_lshrrev_b32_e32 v10, 16, v10
	v_cndmask_b32_e32 v5, v5, v7, vcc
	v_and_or_b32 v5, v10, s5, v5
	s_mov_b64 s[2:3], 0
	s_branch .LBB153_1444
.LBB153_1442:
	s_mov_b64 s[2:3], -1
                                        ; implicit-def: $vgpr5
	s_branch .LBB153_1447
.LBB153_1443:
	s_mov_b64 s[2:3], -1
                                        ; implicit-def: $vgpr5
.LBB153_1444:
	s_andn2_b64 vcc, exec, s[2:3]
	s_cbranch_vccnz .LBB153_1446
; %bb.1445:
	global_load_dword v5, v[0:1], off
	s_waitcnt vmcnt(0)
	v_cvt_f16_f32_e32 v5, v5
.LBB153_1446:
	s_mov_b64 s[2:3], 0
.LBB153_1447:
	s_andn2_b64 vcc, exec, s[2:3]
	s_cbranch_vccnz .LBB153_1449
; %bb.1448:
	global_load_ushort v5, v[0:1], off
.LBB153_1449:
	s_cbranch_execnz .LBB153_1469
.LBB153_1450:
	s_cmp_lt_i32 s26, 2
	s_cbranch_scc1 .LBB153_1454
; %bb.1451:
	s_cmp_lt_i32 s26, 3
	s_cbranch_scc1 .LBB153_1455
; %bb.1452:
	s_cmp_gt_i32 s26, 3
	s_cbranch_scc0 .LBB153_1456
; %bb.1453:
	global_load_dwordx2 v[9:10], v[0:1], off
	s_mov_b64 s[2:3], 0
	s_waitcnt vmcnt(0)
	v_xor_b32_e32 v7, v9, v10
	v_ffbh_i32_e32 v5, v10
	v_ashrrev_i32_e32 v7, 31, v7
	v_add_u32_e32 v5, -1, v5
	v_add_u32_e32 v7, 32, v7
	v_min_u32_e32 v5, v5, v7
	v_lshlrev_b64 v[9:10], v5, v[9:10]
	v_sub_u32_e32 v5, 32, v5
	v_min_u32_e32 v7, 1, v9
	v_or_b32_e32 v7, v10, v7
	v_cvt_f32_i32_e32 v7, v7
	v_ldexp_f32 v5, v7, v5
	v_cvt_f16_f32_e32 v5, v5
	s_branch .LBB153_1457
.LBB153_1454:
	s_mov_b64 s[2:3], -1
                                        ; implicit-def: $vgpr5
	s_branch .LBB153_1463
.LBB153_1455:
	s_mov_b64 s[2:3], -1
                                        ; implicit-def: $vgpr5
	s_branch .LBB153_1460
.LBB153_1456:
	s_mov_b64 s[2:3], -1
                                        ; implicit-def: $vgpr5
.LBB153_1457:
	s_andn2_b64 vcc, exec, s[2:3]
	s_cbranch_vccnz .LBB153_1459
; %bb.1458:
	global_load_dword v5, v[0:1], off
	s_waitcnt vmcnt(0)
	v_cvt_f32_i32_e32 v5, v5
	v_cvt_f16_f32_e32 v5, v5
.LBB153_1459:
	s_mov_b64 s[2:3], 0
.LBB153_1460:
	s_andn2_b64 vcc, exec, s[2:3]
	s_cbranch_vccnz .LBB153_1462
; %bb.1461:
	global_load_ushort v5, v[0:1], off
	s_waitcnt vmcnt(0)
	v_cvt_f16_i16_e32 v5, v5
.LBB153_1462:
	s_mov_b64 s[2:3], 0
.LBB153_1463:
	s_andn2_b64 vcc, exec, s[2:3]
	s_cbranch_vccnz .LBB153_1469
; %bb.1464:
	s_cmp_gt_i32 s26, 0
	s_cbranch_scc0 .LBB153_1466
; %bb.1465:
	global_load_sbyte v5, v[0:1], off
	s_mov_b64 s[2:3], 0
	s_waitcnt vmcnt(0)
	v_cvt_f16_i16_e32 v5, v5
	s_branch .LBB153_1467
.LBB153_1466:
	s_mov_b64 s[2:3], -1
                                        ; implicit-def: $vgpr5
.LBB153_1467:
	s_andn2_b64 vcc, exec, s[2:3]
	s_cbranch_vccnz .LBB153_1469
; %bb.1468:
	global_load_ubyte v0, v[0:1], off
	s_waitcnt vmcnt(0)
	v_cvt_f16_u16_e32 v5, v0
.LBB153_1469:
.LBB153_1470:
	s_waitcnt vmcnt(0)
	v_cvt_f32_f16_e32 v7, v5
	s_mov_b32 s2, 0x3c800000
                                        ; implicit-def: $vgpr9
	v_and_b32_e32 v0, 0x7fffffff, v7
	v_cmp_nlt_f32_e64 s[2:3], |v7|, s2
	s_and_saveexec_b64 s[4:5], s[2:3]
	s_xor_b64 s[4:5], exec, s[4:5]
	s_cbranch_execz .LBB153_1500
; %bb.1471:
	v_cmp_nlt_f32_e64 s[2:3], |v7|, 2.0
                                        ; implicit-def: $vgpr9
	s_and_saveexec_b64 s[6:7], s[2:3]
	s_xor_b64 s[6:7], exec, s[6:7]
	s_cbranch_execz .LBB153_1481
; %bb.1472:
	s_mov_b32 s2, 0x41000000
	v_cmp_nlt_f32_e64 s[2:3], |v7|, s2
                                        ; implicit-def: $vgpr9
	s_and_saveexec_b64 s[8:9], s[2:3]
	s_xor_b64 s[8:9], exec, s[8:9]
	s_cbranch_execz .LBB153_1478
; %bb.1473:
	s_mov_b32 s2, 0x5c800000
	v_cmp_nlt_f32_e64 s[2:3], |v7|, s2
                                        ; implicit-def: $vgpr9
	s_and_saveexec_b64 s[22:23], s[2:3]
	s_xor_b64 s[22:23], exec, s[22:23]
	s_cbranch_execz .LBB153_1475
; %bb.1474:
	s_mov_b32 s2, 0x800000
	v_cmp_lt_f32_e64 vcc, |v7|, s2
	v_cndmask_b32_e64 v1, 0, 32, vcc
	v_ldexp_f32 v1, |v7|, v1
	v_log_f32_e32 v1, v1
	s_mov_b32 s2, 0x3f317217
	s_mov_b32 s3, 0x7f800000
	v_mul_f32_e32 v9, 0x3f317217, v1
	v_fma_f32 v10, v1, s2, -v9
	v_fmac_f32_e32 v10, 0x3377d1cf, v1
	v_add_f32_e32 v9, v9, v10
	v_cmp_lt_f32_e64 s[2:3], |v1|, s3
	v_cndmask_b32_e64 v1, v1, v9, s[2:3]
	v_mov_b32_e32 v9, 0x41b17218
	v_cndmask_b32_e32 v9, 0, v9, vcc
	v_sub_f32_e32 v1, v1, v9
	v_fma_f32 v9, |v7|, v1, -|v7|
.LBB153_1475:
	s_andn2_saveexec_b64 s[22:23], s[22:23]
	s_cbranch_execz .LBB153_1477
; %bb.1476:
	v_rcp_f32_e64 v1, |v7|
	v_mov_b32_e32 v9, 0x3a5b3dd2
	v_mov_b32_e32 v10, 0xba1c065c
	;; [unrolled: 1-line block ×3, first 2 shown]
	v_mul_f32_e32 v12, v1, v1
	v_fmac_f32_e32 v9, 0xbad5c4e8, v12
	v_fmac_f32_e32 v10, v12, v9
	s_mov_b32 s2, 0x800000
	v_fmac_f32_e32 v11, v12, v10
	v_mov_b32_e32 v9, 0xbb360b61
	v_cmp_lt_f32_e64 vcc, |v7|, s2
	v_fmac_f32_e32 v9, v12, v11
	v_cndmask_b32_e64 v11, 0, 32, vcc
	v_ldexp_f32 v11, |v7|, v11
	v_log_f32_e32 v11, v11
	v_mov_b32_e32 v10, 0x3daaaaab
	v_fmac_f32_e32 v10, v12, v9
	v_mov_b32_e32 v9, 0x3ed67f1d
	v_fmac_f32_e32 v9, v1, v10
	s_mov_b32 s2, 0x3f317217
	v_mul_f32_e32 v10, 0x3f317217, v11
	v_fma_f32 v12, v11, s2, -v10
	v_fmac_f32_e32 v12, 0x3377d1cf, v11
	s_mov_b32 s2, 0x7f800000
	v_add_f32_e32 v10, v10, v12
	v_cmp_lt_f32_e64 s[2:3], |v11|, s2
	v_cndmask_b32_e64 v10, v11, v10, s[2:3]
	v_mov_b32_e32 v11, 0x41b17218
	v_cndmask_b32_e32 v11, 0, v11, vcc
	v_sub_f32_e32 v10, v10, v11
	v_add_f32_e64 v1, |v7|, -0.5
	v_add_f32_e32 v10, -1.0, v10
	v_fmac_f32_e32 v9, v1, v10
.LBB153_1477:
	s_or_b64 exec, exec, s[22:23]
.LBB153_1478:
	s_andn2_saveexec_b64 s[8:9], s[8:9]
	s_cbranch_execz .LBB153_1480
; %bb.1479:
	v_cvt_i32_f32_e32 v1, v0
	v_mov_b32_e32 v9, 0x3af135b4
	v_mov_b32_e32 v10, 0x3cda40e4
	;; [unrolled: 1-line block ×3, first 2 shown]
	v_cvt_f32_i32_e32 v12, v1
	v_mov_b32_e32 v13, 0x3ea6cc7a
	v_mov_b32_e32 v14, 0x3e5c245a
	v_cmp_lt_i32_e32 vcc, 2, v1
	v_sub_f32_e64 v12, |v7|, v12
	v_fmac_f32_e32 v9, 0x3805ff67, v12
	v_fmac_f32_e32 v10, v12, v9
	;; [unrolled: 1-line block ×3, first 2 shown]
	v_mov_b32_e32 v10, 0x3a4beed6
	v_fmac_f32_e32 v13, v12, v11
	v_fmac_f32_e32 v10, 0x36f5d7bd, v12
	v_mov_b32_e32 v11, 0x3c98bf54
	v_fmac_f32_e32 v11, v12, v10
	v_mov_b32_e32 v10, 0x3e300f6e
	v_fmac_f32_e32 v10, v12, v11
	v_mov_b32_e32 v11, 0x3f38d0c5
	v_fmac_f32_e32 v11, v12, v10
	v_mov_b32_e32 v10, 0x3fb22d3b
	v_fmac_f32_e32 v10, v12, v11
	v_add_f32_e32 v11, 2.0, v12
	v_mov_b32_e32 v15, 0xbd9e233f
	v_fmac_f32_e32 v14, v12, v13
	v_add_f32_e32 v13, 0x40400000, v12
	v_cndmask_b32_e32 v11, 1.0, v11, vcc
	v_cmp_lt_i32_e32 vcc, 3, v1
	v_fmac_f32_e32 v15, v12, v14
	v_add_f32_e32 v14, 4.0, v12
	v_cndmask_b32_e32 v13, 1.0, v13, vcc
	v_cmp_lt_i32_e32 vcc, 4, v1
	v_mul_f32_e32 v9, v12, v15
	v_add_f32_e32 v15, 0x40a00000, v12
	v_mul_f32_e32 v11, v11, v13
	v_cndmask_b32_e32 v13, 1.0, v14, vcc
	v_cmp_lt_i32_e32 vcc, 5, v1
	v_add_f32_e32 v16, 0x40c00000, v12
	v_mul_f32_e32 v11, v13, v11
	v_cndmask_b32_e32 v13, 1.0, v15, vcc
	v_cmp_lt_i32_e32 vcc, 6, v1
	v_mul_f32_e32 v11, v13, v11
	v_cndmask_b32_e32 v1, 1.0, v16, vcc
	v_mul_f32_e32 v1, v1, v11
	s_mov_b32 s2, 0x800000
	v_cmp_gt_f32_e32 vcc, s2, v1
	v_cndmask_b32_e64 v11, 0, 32, vcc
	v_fma_f32 v10, v12, v10, 1.0
	v_ldexp_f32 v1, v1, v11
	v_rcp_f32_e32 v10, v10
	v_log_f32_e32 v1, v1
	s_mov_b32 s2, 0x3f317217
	v_mul_f32_e32 v9, v9, v10
	v_mul_f32_e32 v10, 0x3f317217, v1
	v_fma_f32 v11, v1, s2, -v10
	v_fmac_f32_e32 v11, 0x3377d1cf, v1
	s_mov_b32 s2, 0x7f800000
	v_add_f32_e32 v10, v10, v11
	v_cmp_lt_f32_e64 s[2:3], |v1|, s2
	v_cndmask_b32_e64 v1, v1, v10, s[2:3]
	v_mov_b32_e32 v10, 0x41b17218
	v_cndmask_b32_e32 v10, 0, v10, vcc
	v_fmac_f32_e32 v9, 0.5, v12
	v_sub_f32_e32 v1, v1, v10
	v_add_f32_e32 v9, v1, v9
.LBB153_1480:
	s_or_b64 exec, exec, s[8:9]
.LBB153_1481:
	s_andn2_saveexec_b64 s[6:7], s[6:7]
	s_cbranch_execz .LBB153_1499
; %bb.1482:
	s_mov_b32 s2, 0x3f666666
	v_cmp_le_f32_e64 s[2:3], |v7|, s2
                                        ; implicit-def: $vgpr9
                                        ; implicit-def: $vgpr10
                                        ; implicit-def: $vgpr1
	s_and_saveexec_b64 s[8:9], s[2:3]
	s_xor_b64 s[8:9], exec, s[8:9]
	s_cbranch_execz .LBB153_1484
; %bb.1483:
	s_mov_b32 s2, 0x800000
	v_cmp_lt_f32_e64 vcc, |v7|, s2
	v_cndmask_b32_e64 v1, 0, 32, vcc
	v_ldexp_f32 v1, |v7|, v1
	v_log_f32_e32 v1, v1
	s_mov_b32 s2, 0x3f317217
	s_mov_b32 s3, 0x7f800000
	v_mul_f32_e32 v9, 0x3f317217, v1
	v_fma_f32 v10, v1, s2, -v9
	v_fmac_f32_e32 v10, 0x3377d1cf, v1
	v_add_f32_e32 v9, v9, v10
	v_cmp_lt_f32_e64 s[2:3], |v1|, s3
	v_cndmask_b32_e64 v1, v1, v9, s[2:3]
	v_mov_b32_e32 v9, 0x41b17218
	v_cndmask_b32_e32 v9, 0, v9, vcc
	v_sub_f32_e32 v1, v1, v9
	s_mov_b32 s2, 0x3f3b4a23
	s_mov_b32 s3, 0xbeec5b0c
	v_xor_b32_e32 v9, 0x80000000, v1
	v_sub_f32_e64 v1, 1.0, |v7|
	v_add_f32_e64 v10, |v7|, s3
	v_cmp_lt_f32_e64 vcc, |v7|, s2
	s_mov_b32 s2, 0x3e6d3309
	v_cndmask_b32_e32 v1, v1, v10, vcc
	v_cndmask_b32_e64 v10, 0, 1, vcc
	v_cmp_lt_f32_e64 s[2:3], |v7|, s2
	v_cndmask_b32_e64 v1, v1, |v7|, s[2:3]
	v_cndmask_b32_e64 v10, v10, 2, s[2:3]
.LBB153_1484:
	s_andn2_saveexec_b64 s[2:3], s[8:9]
	s_cbranch_execz .LBB153_1486
; %bb.1485:
	s_mov_b32 s8, 0x3fdda512
	s_mov_b32 s9, 0xbfbb16c3
	v_sub_f32_e64 v1, 2.0, |v7|
	v_add_f32_e64 v9, |v7|, s9
	v_cmp_lt_f32_e64 vcc, |v7|, s8
	v_cndmask_b32_e32 v9, v1, v9, vcc
	v_cndmask_b32_e64 v1, v1, 1.0, vcc
	v_cvt_i32_f32_e32 v10, v1
	s_mov_b32 s8, 0x3f9d70a4
	v_add_f32_e64 v1, |v7|, -1.0
	v_cmp_lt_f32_e64 vcc, |v7|, s8
	v_cndmask_b32_e32 v1, v9, v1, vcc
	v_cndmask_b32_e64 v10, v10, 2, vcc
	v_mov_b32_e32 v9, 0
.LBB153_1486:
	s_or_b64 exec, exec, s[2:3]
	v_cmp_lt_i32_e32 vcc, 0, v10
	s_and_saveexec_b64 s[2:3], vcc
	s_xor_b64 s[2:3], exec, s[2:3]
	s_cbranch_execz .LBB153_1494
; %bb.1487:
	v_cmp_lt_i32_e32 vcc, 1, v10
	s_and_saveexec_b64 s[8:9], vcc
	s_xor_b64 s[8:9], exec, s[8:9]
	s_cbranch_execz .LBB153_1491
; %bb.1488:
	v_cmp_eq_u32_e32 vcc, 2, v10
	s_and_saveexec_b64 s[22:23], vcc
	s_cbranch_execz .LBB153_1490
; %bb.1489:
	v_mov_b32_e32 v10, 0x3e6a7578
	v_fmac_f32_e32 v10, 0x3c5b3c5e, v1
	v_mov_b32_e32 v11, 0x3f7a4bb2
	v_fmac_f32_e32 v11, v1, v10
	;; [unrolled: 2-line block ×8, first 2 shown]
	v_fma_f32 v10, v1, v12, 1.0
	v_rcp_f32_e32 v10, v10
	v_mov_b32_e32 v12, 0xbd9e233f
	v_fmac_f32_e32 v12, v1, v11
	v_mul_f32_e32 v11, v1, v12
	v_mul_f32_e32 v10, v11, v10
	v_fmac_f32_e32 v10, -0.5, v1
	v_add_f32_e32 v9, v9, v10
.LBB153_1490:
	s_or_b64 exec, exec, s[22:23]
                                        ; implicit-def: $vgpr1
.LBB153_1491:
	s_andn2_saveexec_b64 s[8:9], s[8:9]
	s_cbranch_execz .LBB153_1493
; %bb.1492:
	v_mul_f32_e32 v10, v1, v1
	v_mul_f32_e32 v11, v1, v10
	v_mov_b32_e32 v12, 0xbab7f476
	v_fmac_f32_e32 v12, 0x39a57b6b, v11
	v_mov_b32_e32 v13, 0x3bc7e707
	v_fmac_f32_e32 v13, v11, v12
	;; [unrolled: 2-line block ×12, first 2 shown]
	v_fmac_f32_e32 v14, v1, v15
	s_mov_b32 s22, 0xa2863e55
	v_fma_f32 v1, v11, -v14, s22
	v_fma_f32 v1, v10, v13, -v1
	v_add_f32_e32 v1, 0xbdf8cdce, v1
	v_add_f32_e32 v9, v9, v1
.LBB153_1493:
	s_or_b64 exec, exec, s[8:9]
                                        ; implicit-def: $vgpr10
                                        ; implicit-def: $vgpr1
.LBB153_1494:
	s_andn2_saveexec_b64 s[2:3], s[2:3]
	s_cbranch_execz .LBB153_1498
; %bb.1495:
	v_cmp_eq_u32_e32 vcc, 0, v10
	s_and_saveexec_b64 s[8:9], vcc
	s_cbranch_execz .LBB153_1497
; %bb.1496:
	v_mul_f32_e32 v10, v1, v1
	v_mov_b32_e32 v11, 0x39679767
	v_fmac_f32_e32 v11, 0x37d383a2, v10
	v_mov_b32_e32 v12, 0x3a9c54a1
	v_fmac_f32_e32 v12, v10, v11
	;; [unrolled: 2-line block ×10, first 2 shown]
	v_mul_f32_e32 v10, v10, v12
	v_fmac_f32_e32 v10, v1, v11
	v_fmac_f32_e32 v10, -0.5, v1
	v_add_f32_e32 v9, v9, v10
.LBB153_1497:
	s_or_b64 exec, exec, s[8:9]
.LBB153_1498:
	s_or_b64 exec, exec, s[2:3]
.LBB153_1499:
	s_or_b64 exec, exec, s[6:7]
.LBB153_1500:
	s_andn2_saveexec_b64 s[4:5], s[4:5]
	s_cbranch_execz .LBB153_1502
; %bb.1501:
	s_mov_b32 s2, 0x3e8a8991
	v_mov_b32_e32 v1, 0xbecd26ab
	v_fma_f32 v1, |v7|, s2, v1
	s_mov_b32 s2, 0x3f528d33
	v_fma_f32 v1, |v7|, v1, s2
	s_mov_b32 s2, 0x800000
	v_cmp_lt_f32_e64 vcc, |v7|, s2
	v_cndmask_b32_e64 v9, 0, 32, vcc
	v_ldexp_f32 v9, |v7|, v9
	v_log_f32_e32 v9, v9
	s_mov_b32 s2, 0xbf13c468
	v_fma_f32 v1, |v7|, v1, s2
	s_mov_b32 s2, 0x3f317217
	v_mul_f32_e32 v10, 0x3f317217, v9
	v_fma_f32 v11, v9, s2, -v10
	v_fmac_f32_e32 v11, 0x3377d1cf, v9
	s_mov_b32 s2, 0x7f800000
	v_add_f32_e32 v10, v10, v11
	v_cmp_lt_f32_e64 s[2:3], |v9|, s2
	v_cndmask_b32_e64 v9, v9, v10, s[2:3]
	v_mov_b32_e32 v10, 0x41b17218
	v_cndmask_b32_e32 v10, 0, v10, vcc
	v_sub_f32_e32 v9, v9, v10
	v_fma_f32 v9, |v7|, v1, -v9
.LBB153_1502:
	s_or_b64 exec, exec, s[4:5]
	v_cmp_le_f16_e64 s[2:3], 0, v5
	v_cmp_nle_f16_e32 vcc, 0, v5
	s_and_saveexec_b64 s[4:5], vcc
	s_xor_b64 s[6:7], exec, s[4:5]
	s_cbranch_execz .LBB153_1506
; %bb.1503:
	s_mov_b32 s4, 0x4b000000
	s_mov_b32 s8, 0x35000000
	v_cmp_lt_f32_e64 s[4:5], |v7|, s4
	v_cmp_gt_f32_e64 s[8:9], |v7|, s8
	s_and_b64 s[4:5], s[4:5], s[8:9]
	s_and_saveexec_b64 s[8:9], s[4:5]
	s_cbranch_execz .LBB153_1505
; %bb.1504:
	v_mul_f32_e64 v1, |v7|, 0.5
	v_floor_f32_e32 v10, v1
	v_sub_f32_e32 v10, v1, v10
	v_min_f32_e32 v10, 0x3f7fffff, v10
	s_mov_b32 s22, 0x7f800000
	v_add_f32_e32 v10, v10, v10
	v_cmp_neq_f32_e32 vcc, s22, v1
	v_cndmask_b32_e32 v1, 0, v10, vcc
	v_cmp_gt_f32_e64 s[4:5], |v7|, 1.0
	v_cndmask_b32_e64 v1, |v7|, v1, s[4:5]
	v_add_f32_e32 v10, v1, v1
	v_rndne_f32_e32 v10, v10
	v_fmac_f32_e32 v1, -0.5, v10
	v_mul_f32_e32 v11, v1, v1
	v_mov_b32_e32 v12, 0xbf1f24be
	v_fmac_f32_e32 v12, 0x3e75aa41, v11
	v_mov_b32_e32 v13, 0x40234736
	v_fmac_f32_e32 v13, v11, v12
	;; [unrolled: 2-line block ×3, first 2 shown]
	v_mul_f32_e32 v13, v1, v11
	v_mul_f32_e32 v12, v13, v12
	v_fmac_f32_e32 v12, 0x40490fdb, v1
	v_mov_b32_e32 v1, 0x3e642e9d
	v_cvt_i32_f32_e32 v10, v10
	v_fmac_f32_e32 v1, 0x3d4be544, v11
	v_mov_b32_e32 v13, 0xbfaad1da
	v_fmac_f32_e32 v13, v11, v1
	v_mov_b32_e32 v1, 0x4081e0d3
	;; [unrolled: 2-line block ×3, first 2 shown]
	v_fmac_f32_e32 v13, v11, v1
	v_fma_f32 v1, v11, v13, 1.0
	v_and_b32_e32 v11, 1, v10
	v_lshlrev_b32_e32 v10, 30, v10
	v_cmp_eq_u32_e32 vcc, 0, v11
	v_and_b32_e32 v10, 0x80000000, v10
	v_xor_b32_e32 v0, v0, v7
	v_cndmask_b32_e32 v1, v1, v12, vcc
	v_xor_b32_e32 v0, v0, v10
	v_xor_b32_e32 v0, v0, v1
	v_mul_f32_e32 v0, v7, v0
	v_frexp_mant_f32_e64 v1, |v0|
	v_rcp_f32_e32 v1, v1
	v_frexp_exp_i32_f32_e32 v0, v0
	v_sub_u32_e32 v0, 2, v0
	s_mov_b32 s4, 0x800000
	v_mul_f32_e32 v1, 0x3f490fdb, v1
	v_ldexp_f32 v0, v1, v0
	v_cmp_gt_f32_e32 vcc, s4, v0
	v_cndmask_b32_e64 v1, 0, 32, vcc
	v_ldexp_f32 v0, v0, v1
	v_log_f32_e32 v0, v0
	s_mov_b32 s4, 0x3f317217
	v_mul_f32_e32 v1, 0x3f317217, v0
	v_fma_f32 v10, v0, s4, -v1
	v_fmac_f32_e32 v10, 0x3377d1cf, v0
	v_add_f32_e32 v1, v1, v10
	v_cmp_lt_f32_e64 s[4:5], |v0|, s22
	v_cndmask_b32_e64 v0, v0, v1, s[4:5]
	v_mov_b32_e32 v1, 0x41b17218
	v_cndmask_b32_e32 v1, 0, v1, vcc
	v_sub_f32_e32 v0, v0, v1
	v_floor_f32_e32 v1, v7
	v_sub_f32_e32 v1, v7, v1
	v_min_f32_e32 v1, 0x3f7fffff, v1
	v_sub_f32_e32 v0, v0, v9
	v_mov_b32_e32 v9, 0x7f800000
	v_cmp_neq_f32_e32 vcc, 0, v1
	v_cndmask_b32_e32 v9, v9, v0, vcc
.LBB153_1505:
	s_or_b64 exec, exec, s[8:9]
.LBB153_1506:
	s_andn2_saveexec_b64 s[6:7], s[6:7]
; %bb.1507:
	v_cmp_eq_f16_e32 vcc, 1.0, v5
	v_cmp_eq_f16_e64 s[4:5], 2.0, v5
	s_or_b64 s[4:5], vcc, s[4:5]
	v_cndmask_b32_e64 v9, v9, 0, s[4:5]
; %bb.1508:
	s_or_b64 exec, exec, s[6:7]
	v_add_u32_e32 v11, s11, v8
	v_ashrrev_i32_e32 v1, 31, v11
	v_mov_b32_e32 v8, s15
	v_add_co_u32_e32 v0, vcc, s14, v11
	s_cmp_lt_i32 s26, 11
	v_addc_co_u32_e32 v1, vcc, v8, v1, vcc
	s_cbranch_scc1 .LBB153_1515
; %bb.1509:
	s_cmp_gt_i32 s26, 25
	s_mov_b64 s[6:7], 0
	s_cbranch_scc0 .LBB153_1517
; %bb.1510:
	s_cmp_gt_i32 s26, 28
	s_cbranch_scc0 .LBB153_1518
; %bb.1511:
	s_cmp_gt_i32 s26, 43
	;; [unrolled: 3-line block ×3, first 2 shown]
	s_cbranch_scc0 .LBB153_1521
; %bb.1513:
	s_cmp_eq_u32 s26, 46
	s_mov_b64 s[22:23], 0
	s_cbranch_scc0 .LBB153_1522
; %bb.1514:
	global_load_dword v8, v[0:1], off
	s_mov_b64 s[4:5], 0
	s_mov_b64 s[8:9], -1
	s_waitcnt vmcnt(0)
	v_lshlrev_b32_e32 v8, 16, v8
	v_cvt_f16_f32_e32 v8, v8
	s_branch .LBB153_1523
.LBB153_1515:
	s_mov_b64 s[8:9], 0
                                        ; implicit-def: $vgpr8
	s_cbranch_execnz .LBB153_1589
.LBB153_1516:
	s_andn2_b64 vcc, exec, s[8:9]
	s_cbranch_vccnz .LBB153_2276
	s_branch .LBB153_1637
.LBB153_1517:
	s_mov_b64 s[22:23], -1
	s_mov_b64 s[8:9], 0
	s_mov_b64 s[4:5], 0
                                        ; implicit-def: $vgpr8
	s_branch .LBB153_1552
.LBB153_1518:
	s_mov_b64 s[22:23], -1
	s_mov_b64 s[8:9], 0
	s_mov_b64 s[4:5], 0
                                        ; implicit-def: $vgpr8
	s_branch .LBB153_1533
.LBB153_1519:
	s_mov_b64 s[22:23], -1
	s_mov_b64 s[8:9], 0
	s_mov_b64 s[4:5], 0
                                        ; implicit-def: $vgpr8
	s_branch .LBB153_1528
.LBB153_1520:
	s_trap 2
	s_or_b64 s[20:21], s[20:21], exec
	s_cbranch_execz .LBB153_1421
	s_branch .LBB153_1422
.LBB153_1521:
	s_mov_b64 s[22:23], -1
	s_mov_b64 s[8:9], 0
	s_mov_b64 s[4:5], 0
                                        ; implicit-def: $vgpr8
	s_branch .LBB153_1523
.LBB153_1522:
	s_mov_b64 s[4:5], -1
                                        ; implicit-def: $vgpr8
	s_mov_b64 s[8:9], 0
.LBB153_1523:
	s_and_b64 vcc, exec, s[22:23]
	s_cbranch_vccz .LBB153_1527
; %bb.1524:
	s_cmp_eq_u32 s26, 44
	s_cbranch_scc0 .LBB153_1526
; %bb.1525:
	global_load_ubyte v8, v[0:1], off
	s_movk_i32 s8, 0xff
	v_mov_b32_e32 v12, 0x7e00
	s_mov_b64 s[4:5], 0
	s_waitcnt vmcnt(0)
	v_lshlrev_b32_e32 v10, 23, v8
	v_cvt_f16_f32_e32 v10, v10
	v_cmp_ne_u32_e32 vcc, s8, v8
	s_mov_b64 s[8:9], -1
	v_cndmask_b32_e32 v10, v12, v10, vcc
	v_cmp_ne_u32_e32 vcc, 0, v8
	v_cndmask_b32_e32 v8, 0, v10, vcc
	s_branch .LBB153_1527
.LBB153_1526:
	s_mov_b64 s[4:5], -1
                                        ; implicit-def: $vgpr8
.LBB153_1527:
	s_mov_b64 s[22:23], 0
.LBB153_1528:
	s_and_b64 vcc, exec, s[22:23]
	s_cbranch_vccz .LBB153_1532
; %bb.1529:
	s_cmp_eq_u32 s26, 29
	s_cbranch_scc0 .LBB153_1531
; %bb.1530:
	global_load_dwordx2 v[12:13], v[0:1], off
	s_mov_b64 s[4:5], 0
	s_mov_b64 s[8:9], -1
	s_mov_b64 s[22:23], 0
	s_waitcnt vmcnt(0)
	v_ffbh_u32_e32 v8, v13
	v_min_u32_e32 v8, 32, v8
	v_lshlrev_b64 v[12:13], v8, v[12:13]
	v_sub_u32_e32 v8, 32, v8
	v_min_u32_e32 v10, 1, v12
	v_or_b32_e32 v10, v13, v10
	v_cvt_f32_u32_e32 v10, v10
	v_ldexp_f32 v8, v10, v8
	v_cvt_f16_f32_e32 v8, v8
	s_branch .LBB153_1533
.LBB153_1531:
	s_mov_b64 s[4:5], -1
                                        ; implicit-def: $vgpr8
.LBB153_1532:
	s_mov_b64 s[22:23], 0
.LBB153_1533:
	s_and_b64 vcc, exec, s[22:23]
	s_cbranch_vccz .LBB153_1551
; %bb.1534:
	s_cmp_lt_i32 s26, 27
	s_cbranch_scc1 .LBB153_1537
; %bb.1535:
	s_cmp_gt_i32 s26, 27
	s_cbranch_scc0 .LBB153_1538
; %bb.1536:
	global_load_dword v8, v[0:1], off
	s_mov_b64 s[8:9], 0
	s_waitcnt vmcnt(0)
	v_cvt_f32_u32_e32 v8, v8
	v_cvt_f16_f32_e32 v8, v8
	s_branch .LBB153_1539
.LBB153_1537:
	s_mov_b64 s[8:9], -1
                                        ; implicit-def: $vgpr8
	s_branch .LBB153_1542
.LBB153_1538:
	s_mov_b64 s[8:9], -1
                                        ; implicit-def: $vgpr8
.LBB153_1539:
	s_andn2_b64 vcc, exec, s[8:9]
	s_cbranch_vccnz .LBB153_1541
; %bb.1540:
	global_load_ushort v8, v[0:1], off
	s_waitcnt vmcnt(0)
	v_cvt_f16_u16_e32 v8, v8
.LBB153_1541:
	s_mov_b64 s[8:9], 0
.LBB153_1542:
	s_andn2_b64 vcc, exec, s[8:9]
	s_cbranch_vccnz .LBB153_1550
; %bb.1543:
	global_load_ubyte v10, v[0:1], off
	s_movk_i32 s8, 0x7f
	s_waitcnt vmcnt(0)
	v_cmp_lt_i16_e32 vcc, s8, v10
	s_mov_b64 s[8:9], 0
	s_and_saveexec_b64 s[22:23], vcc
	s_xor_b64 s[22:23], exec, s[22:23]
	s_cbranch_execz .LBB153_1564
; %bb.1544:
	s_movk_i32 s8, 0x80
	v_cmp_eq_u16_e32 vcc, s8, v10
	s_mov_b64 s[8:9], -1
	s_and_saveexec_b64 s[24:25], vcc
; %bb.1545:
	s_xor_b64 s[8:9], exec, -1
; %bb.1546:
	s_or_b64 exec, exec, s[24:25]
	s_and_b64 s[8:9], s[8:9], exec
	s_or_saveexec_b64 s[22:23], s[22:23]
	v_mov_b32_e32 v8, 0x7e00
	s_xor_b64 exec, exec, s[22:23]
	s_cbranch_execnz .LBB153_1565
.LBB153_1547:
	s_or_b64 exec, exec, s[22:23]
	s_and_saveexec_b64 s[22:23], s[8:9]
	s_cbranch_execz .LBB153_1549
.LBB153_1548:
	v_lshlrev_b32_e32 v8, 24, v10
	v_and_b32_e32 v10, 0xffff, v10
	v_and_b32_e32 v12, 7, v10
	v_ffbh_u32_e32 v14, v12
	v_min_u32_e32 v14, 32, v14
	v_subrev_u32_e32 v15, 28, v14
	v_bfe_u32 v13, v10, 3, 4
	v_lshlrev_b32_e32 v10, v15, v10
	v_sub_u32_e32 v14, 29, v14
	v_and_b32_e32 v10, 7, v10
	v_cmp_eq_u32_e32 vcc, 0, v13
	v_cndmask_b32_e32 v13, v13, v14, vcc
	v_cndmask_b32_e32 v10, v12, v10, vcc
	v_mov_b32_e32 v12, 0x3b800000
	v_lshlrev_b32_e32 v10, 20, v10
	v_and_b32_e32 v8, 0x80000000, v8
	v_lshl_add_u32 v12, v13, 23, v12
	v_or3_b32 v8, v8, v12, v10
	v_cvt_f16_f32_e32 v8, v8
.LBB153_1549:
	s_or_b64 exec, exec, s[22:23]
.LBB153_1550:
	s_mov_b64 s[8:9], -1
.LBB153_1551:
	s_mov_b64 s[22:23], 0
.LBB153_1552:
	s_and_b64 vcc, exec, s[22:23]
	s_cbranch_vccz .LBB153_1585
; %bb.1553:
	s_cmp_gt_i32 s26, 22
	s_cbranch_scc0 .LBB153_1563
; %bb.1554:
	s_cmp_lt_i32 s26, 24
	s_cbranch_scc1 .LBB153_1566
; %bb.1555:
	s_cmp_gt_i32 s26, 24
	s_cbranch_scc0 .LBB153_1567
; %bb.1556:
	global_load_ubyte v10, v[0:1], off
	s_movk_i32 s6, 0x7f
	s_waitcnt vmcnt(0)
	v_cmp_lt_i16_e32 vcc, s6, v10
	s_mov_b64 s[6:7], 0
	s_and_saveexec_b64 s[8:9], vcc
	s_xor_b64 s[8:9], exec, s[8:9]
	s_cbranch_execz .LBB153_1579
; %bb.1557:
	s_movk_i32 s6, 0x80
	v_cmp_eq_u16_e32 vcc, s6, v10
	s_mov_b64 s[6:7], -1
	s_and_saveexec_b64 s[22:23], vcc
; %bb.1558:
	s_xor_b64 s[6:7], exec, -1
; %bb.1559:
	s_or_b64 exec, exec, s[22:23]
	s_and_b64 s[6:7], s[6:7], exec
	s_or_saveexec_b64 s[8:9], s[8:9]
	v_mov_b32_e32 v8, 0x7e00
	s_xor_b64 exec, exec, s[8:9]
	s_cbranch_execnz .LBB153_1580
.LBB153_1560:
	s_or_b64 exec, exec, s[8:9]
	s_and_saveexec_b64 s[8:9], s[6:7]
	s_cbranch_execz .LBB153_1562
.LBB153_1561:
	v_lshlrev_b32_e32 v8, 24, v10
	v_and_b32_e32 v10, 0xffff, v10
	v_and_b32_e32 v12, 3, v10
	v_ffbh_u32_e32 v14, v12
	v_min_u32_e32 v14, 32, v14
	v_subrev_u32_e32 v15, 29, v14
	v_bfe_u32 v13, v10, 2, 5
	v_lshlrev_b32_e32 v10, v15, v10
	v_sub_u32_e32 v14, 30, v14
	v_and_b32_e32 v10, 3, v10
	v_cmp_eq_u32_e32 vcc, 0, v13
	v_cndmask_b32_e32 v13, v13, v14, vcc
	v_cndmask_b32_e32 v10, v12, v10, vcc
	v_mov_b32_e32 v12, 0x37800000
	v_lshlrev_b32_e32 v10, 21, v10
	v_and_b32_e32 v8, 0x80000000, v8
	v_lshl_add_u32 v12, v13, 23, v12
	v_or3_b32 v8, v8, v12, v10
	v_cvt_f16_f32_e32 v8, v8
.LBB153_1562:
	s_or_b64 exec, exec, s[8:9]
	s_mov_b64 s[6:7], 0
	s_branch .LBB153_1568
.LBB153_1563:
	s_mov_b64 s[6:7], -1
                                        ; implicit-def: $vgpr8
	s_branch .LBB153_1574
.LBB153_1564:
	s_or_saveexec_b64 s[22:23], s[22:23]
	v_mov_b32_e32 v8, 0x7e00
	s_xor_b64 exec, exec, s[22:23]
	s_cbranch_execz .LBB153_1547
.LBB153_1565:
	v_cmp_ne_u16_e32 vcc, 0, v10
	s_andn2_b64 s[8:9], s[8:9], exec
	s_and_b64 s[24:25], vcc, exec
	s_or_b64 s[8:9], s[8:9], s[24:25]
	v_mov_b32_e32 v8, v10
	s_or_b64 exec, exec, s[22:23]
	s_and_saveexec_b64 s[22:23], s[8:9]
	s_cbranch_execnz .LBB153_1548
	s_branch .LBB153_1549
.LBB153_1566:
	s_mov_b64 s[6:7], -1
                                        ; implicit-def: $vgpr8
	s_branch .LBB153_1571
.LBB153_1567:
	s_mov_b64 s[6:7], -1
                                        ; implicit-def: $vgpr8
.LBB153_1568:
	s_and_b64 vcc, exec, s[6:7]
	s_cbranch_vccz .LBB153_1570
; %bb.1569:
	global_load_ubyte v8, v[0:1], off
	s_mov_b32 s6, 0x7f800000
	s_waitcnt vmcnt(0)
	v_lshlrev_b32_e32 v8, 24, v8
	v_and_b32_e32 v10, 0x7f000000, v8
	v_ffbh_u32_e32 v12, v10
	v_min_u32_e32 v12, 32, v12
	v_sub_u32_e64 v12, v12, 4 clamp
	v_lshlrev_b32_e32 v14, v12, v10
	v_lshlrev_b32_e32 v12, 23, v12
	v_lshrrev_b32_e32 v14, 4, v14
	v_add_u32_e32 v13, 0x1000000, v10
	v_sub_u32_e32 v12, v14, v12
	v_ashrrev_i32_e32 v13, 8, v13
	v_add_u32_e32 v12, 0x3c000000, v12
	v_and_or_b32 v12, v13, s6, v12
	v_cmp_ne_u32_e32 vcc, 0, v10
	v_cndmask_b32_e32 v10, 0, v12, vcc
	s_brev_b32 s6, 1
	v_and_or_b32 v8, v8, s6, v10
	v_cvt_f16_f32_e32 v8, v8
.LBB153_1570:
	s_mov_b64 s[6:7], 0
.LBB153_1571:
	s_andn2_b64 vcc, exec, s[6:7]
	s_cbranch_vccnz .LBB153_1573
; %bb.1572:
	global_load_ubyte v8, v[0:1], off
	s_movk_i32 s6, 0x7f00
	s_brev_b32 s7, 16
	s_waitcnt vmcnt(0)
	v_lshlrev_b16_e32 v10, 8, v8
	v_lshlrev_b32_e32 v8, 25, v8
	v_lshrrev_b32_e32 v12, 4, v8
	v_and_or_b32 v13, v10, s6, 0.5
	v_or_b32_e32 v12, 0x70000000, v12
	v_add_f32_e32 v13, -0.5, v13
	v_mul_f32_e32 v12, 0x7800000, v12
	v_cmp_gt_u32_e32 vcc, s7, v8
	v_bfe_i32 v10, v10, 0, 16
	v_cndmask_b32_e32 v8, v12, v13, vcc
	s_brev_b32 s6, 1
	v_and_or_b32 v8, v10, s6, v8
	v_cvt_f16_f32_e32 v8, v8
.LBB153_1573:
	s_mov_b64 s[6:7], 0
	s_mov_b64 s[8:9], -1
.LBB153_1574:
	s_andn2_b64 vcc, exec, s[6:7]
	s_mov_b64 s[6:7], 0
	s_cbranch_vccnz .LBB153_1585
; %bb.1575:
	s_cmp_gt_i32 s26, 14
	s_cbranch_scc0 .LBB153_1578
; %bb.1576:
	s_cmp_eq_u32 s26, 15
	s_cbranch_scc0 .LBB153_1581
; %bb.1577:
	global_load_ushort v8, v[0:1], off
	s_mov_b64 s[4:5], 0
	s_mov_b64 s[8:9], -1
	s_waitcnt vmcnt(0)
	v_lshlrev_b32_e32 v8, 16, v8
	v_cvt_f16_f32_e32 v8, v8
	s_branch .LBB153_1582
.LBB153_1578:
	s_mov_b64 s[22:23], -1
                                        ; implicit-def: $vgpr8
	s_branch .LBB153_1583
.LBB153_1579:
	s_or_saveexec_b64 s[8:9], s[8:9]
	v_mov_b32_e32 v8, 0x7e00
	s_xor_b64 exec, exec, s[8:9]
	s_cbranch_execz .LBB153_1560
.LBB153_1580:
	v_cmp_ne_u16_e32 vcc, 0, v10
	s_andn2_b64 s[6:7], s[6:7], exec
	s_and_b64 s[22:23], vcc, exec
	s_or_b64 s[6:7], s[6:7], s[22:23]
	v_mov_b32_e32 v8, v10
	s_or_b64 exec, exec, s[8:9]
	s_and_saveexec_b64 s[8:9], s[6:7]
	s_cbranch_execnz .LBB153_1561
	s_branch .LBB153_1562
.LBB153_1581:
	s_mov_b64 s[4:5], -1
                                        ; implicit-def: $vgpr8
.LBB153_1582:
	s_mov_b64 s[22:23], 0
.LBB153_1583:
	s_and_b64 vcc, exec, s[22:23]
	s_cbranch_vccz .LBB153_1585
; %bb.1584:
	s_cmp_lg_u32 s26, 11
	s_mov_b64 s[6:7], -1
	s_cselect_b64 s[4:5], -1, 0
.LBB153_1585:
	s_and_b64 vcc, exec, s[4:5]
	s_cbranch_vccnz .LBB153_1686
; %bb.1586:
	s_andn2_b64 vcc, exec, s[6:7]
	s_cbranch_vccnz .LBB153_1588
.LBB153_1587:
	global_load_ubyte v8, v[0:1], off
	v_mov_b32_e32 v10, 0x3c00
	s_mov_b64 s[8:9], -1
	s_waitcnt vmcnt(0)
	v_cmp_ne_u16_e32 vcc, 0, v8
	v_cndmask_b32_e32 v8, 0, v10, vcc
.LBB153_1588:
	s_branch .LBB153_1516
.LBB153_1589:
	s_cmp_lt_i32 s26, 5
	s_cbranch_scc1 .LBB153_1594
; %bb.1590:
	s_cmp_lt_i32 s26, 8
	s_cbranch_scc1 .LBB153_1595
; %bb.1591:
	;; [unrolled: 3-line block ×3, first 2 shown]
	s_cmp_gt_i32 s26, 9
	s_cbranch_scc0 .LBB153_1597
; %bb.1593:
	global_load_dwordx2 v[12:13], v[0:1], off
	s_movk_i32 s4, 0x1ff
	s_movk_i32 s5, 0xffe
	v_mov_b32_e32 v8, 0x7c00
	v_mov_b32_e32 v10, 0x7e00
	s_movk_i32 s6, 0x40f
	s_mov_b32 s7, 0x8000
	s_waitcnt vmcnt(0)
	v_and_or_b32 v12, v13, s4, v12
	v_cmp_ne_u32_e32 vcc, 0, v12
	v_lshrrev_b32_e32 v14, 8, v13
	v_bfe_u32 v15, v13, 20, 11
	v_cndmask_b32_e64 v12, 0, 1, vcc
	v_sub_u32_e32 v16, 0x3f1, v15
	v_and_or_b32 v12, v14, s5, v12
	v_add_u32_e32 v15, 0xfffffc10, v15
	v_med3_i32 v14, v16, 0, 13
	v_or_b32_e32 v16, 0x1000, v12
	v_lshl_or_b32 v17, v15, 12, v12
	v_cmp_ne_u32_e32 vcc, 0, v12
	v_lshrrev_b32_e32 v12, v14, v16
	v_lshlrev_b32_e32 v14, v14, v12
	v_cndmask_b32_e32 v10, v8, v10, vcc
	v_cmp_ne_u32_e32 vcc, v14, v16
	v_cndmask_b32_e64 v14, 0, 1, vcc
	v_or_b32_e32 v12, v12, v14
	v_cmp_gt_i32_e32 vcc, 1, v15
	v_cndmask_b32_e32 v12, v17, v12, vcc
	v_and_b32_e32 v14, 7, v12
	v_cmp_lt_i32_e32 vcc, 5, v14
	v_cndmask_b32_e64 v16, 0, 1, vcc
	v_cmp_eq_u32_e32 vcc, 3, v14
	v_cndmask_b32_e64 v14, 0, 1, vcc
	v_lshrrev_b32_e32 v12, 2, v12
	v_or_b32_e32 v14, v14, v16
	v_add_u32_e32 v12, v12, v14
	v_cmp_gt_i32_e32 vcc, 31, v15
	v_cndmask_b32_e32 v8, v8, v12, vcc
	v_cmp_eq_u32_e32 vcc, s6, v15
	v_lshrrev_b32_e32 v13, 16, v13
	v_cndmask_b32_e32 v8, v8, v10, vcc
	v_and_or_b32 v8, v13, s7, v8
	s_mov_b64 s[4:5], 0
	s_branch .LBB153_1598
.LBB153_1594:
	s_mov_b64 s[4:5], -1
                                        ; implicit-def: $vgpr8
	s_branch .LBB153_1616
.LBB153_1595:
	s_mov_b64 s[4:5], -1
                                        ; implicit-def: $vgpr8
	s_branch .LBB153_1604
.LBB153_1596:
	s_mov_b64 s[4:5], -1
                                        ; implicit-def: $vgpr8
	s_branch .LBB153_1601
.LBB153_1597:
	s_mov_b64 s[4:5], -1
                                        ; implicit-def: $vgpr8
.LBB153_1598:
	s_andn2_b64 vcc, exec, s[4:5]
	s_cbranch_vccnz .LBB153_1600
; %bb.1599:
	global_load_dword v8, v[0:1], off
	s_waitcnt vmcnt(0)
	v_cvt_f16_f32_e32 v8, v8
.LBB153_1600:
	s_mov_b64 s[4:5], 0
.LBB153_1601:
	s_andn2_b64 vcc, exec, s[4:5]
	s_cbranch_vccnz .LBB153_1603
; %bb.1602:
	global_load_dword v8, v[0:1], off
.LBB153_1603:
	s_mov_b64 s[4:5], 0
.LBB153_1604:
	s_andn2_b64 vcc, exec, s[4:5]
	s_cbranch_vccnz .LBB153_1615
; %bb.1605:
	s_cmp_lt_i32 s26, 6
	s_cbranch_scc1 .LBB153_1608
; %bb.1606:
	s_cmp_gt_i32 s26, 6
	s_cbranch_scc0 .LBB153_1609
; %bb.1607:
	global_load_dwordx2 v[12:13], v[0:1], off
	s_movk_i32 s4, 0x1ff
	s_movk_i32 s5, 0xffe
	s_waitcnt vmcnt(1)
	v_mov_b32_e32 v8, 0x7c00
	v_mov_b32_e32 v10, 0x7e00
	s_movk_i32 s6, 0x40f
	s_mov_b32 s7, 0x8000
	s_waitcnt vmcnt(0)
	v_and_or_b32 v12, v13, s4, v12
	v_cmp_ne_u32_e32 vcc, 0, v12
	v_lshrrev_b32_e32 v14, 8, v13
	v_bfe_u32 v15, v13, 20, 11
	v_cndmask_b32_e64 v12, 0, 1, vcc
	v_sub_u32_e32 v16, 0x3f1, v15
	v_and_or_b32 v12, v14, s5, v12
	v_add_u32_e32 v15, 0xfffffc10, v15
	v_med3_i32 v14, v16, 0, 13
	v_or_b32_e32 v16, 0x1000, v12
	v_lshl_or_b32 v17, v15, 12, v12
	v_cmp_ne_u32_e32 vcc, 0, v12
	v_lshrrev_b32_e32 v12, v14, v16
	v_lshlrev_b32_e32 v14, v14, v12
	v_cndmask_b32_e32 v10, v8, v10, vcc
	v_cmp_ne_u32_e32 vcc, v14, v16
	v_cndmask_b32_e64 v14, 0, 1, vcc
	v_or_b32_e32 v12, v12, v14
	v_cmp_gt_i32_e32 vcc, 1, v15
	v_cndmask_b32_e32 v12, v17, v12, vcc
	v_and_b32_e32 v14, 7, v12
	v_cmp_lt_i32_e32 vcc, 5, v14
	v_cndmask_b32_e64 v16, 0, 1, vcc
	v_cmp_eq_u32_e32 vcc, 3, v14
	v_cndmask_b32_e64 v14, 0, 1, vcc
	v_lshrrev_b32_e32 v12, 2, v12
	v_or_b32_e32 v14, v14, v16
	v_add_u32_e32 v12, v12, v14
	v_cmp_gt_i32_e32 vcc, 31, v15
	v_cndmask_b32_e32 v8, v8, v12, vcc
	v_cmp_eq_u32_e32 vcc, s6, v15
	v_lshrrev_b32_e32 v13, 16, v13
	v_cndmask_b32_e32 v8, v8, v10, vcc
	v_and_or_b32 v8, v13, s7, v8
	s_mov_b64 s[4:5], 0
	s_branch .LBB153_1610
.LBB153_1608:
	s_mov_b64 s[4:5], -1
                                        ; implicit-def: $vgpr8
	s_branch .LBB153_1613
.LBB153_1609:
	s_mov_b64 s[4:5], -1
                                        ; implicit-def: $vgpr8
.LBB153_1610:
	s_andn2_b64 vcc, exec, s[4:5]
	s_cbranch_vccnz .LBB153_1612
; %bb.1611:
	global_load_dword v8, v[0:1], off
	s_waitcnt vmcnt(0)
	v_cvt_f16_f32_e32 v8, v8
.LBB153_1612:
	s_mov_b64 s[4:5], 0
.LBB153_1613:
	s_andn2_b64 vcc, exec, s[4:5]
	s_cbranch_vccnz .LBB153_1615
; %bb.1614:
	global_load_ushort v8, v[0:1], off
.LBB153_1615:
	s_mov_b64 s[4:5], 0
.LBB153_1616:
	s_andn2_b64 vcc, exec, s[4:5]
	s_cbranch_vccnz .LBB153_1636
; %bb.1617:
	s_cmp_lt_i32 s26, 2
	s_cbranch_scc1 .LBB153_1621
; %bb.1618:
	s_cmp_lt_i32 s26, 3
	s_cbranch_scc1 .LBB153_1622
; %bb.1619:
	s_cmp_gt_i32 s26, 3
	s_cbranch_scc0 .LBB153_1623
; %bb.1620:
	global_load_dwordx2 v[12:13], v[0:1], off
	s_mov_b64 s[4:5], 0
	s_waitcnt vmcnt(0)
	v_xor_b32_e32 v10, v12, v13
	v_ffbh_i32_e32 v8, v13
	v_ashrrev_i32_e32 v10, 31, v10
	v_add_u32_e32 v8, -1, v8
	v_add_u32_e32 v10, 32, v10
	v_min_u32_e32 v8, v8, v10
	v_lshlrev_b64 v[12:13], v8, v[12:13]
	v_sub_u32_e32 v8, 32, v8
	v_min_u32_e32 v10, 1, v12
	v_or_b32_e32 v10, v13, v10
	v_cvt_f32_i32_e32 v10, v10
	v_ldexp_f32 v8, v10, v8
	v_cvt_f16_f32_e32 v8, v8
	s_branch .LBB153_1624
.LBB153_1621:
	s_mov_b64 s[4:5], -1
                                        ; implicit-def: $vgpr8
	s_branch .LBB153_1630
.LBB153_1622:
	s_mov_b64 s[4:5], -1
                                        ; implicit-def: $vgpr8
	s_branch .LBB153_1627
.LBB153_1623:
	s_mov_b64 s[4:5], -1
                                        ; implicit-def: $vgpr8
.LBB153_1624:
	s_andn2_b64 vcc, exec, s[4:5]
	s_cbranch_vccnz .LBB153_1626
; %bb.1625:
	global_load_dword v8, v[0:1], off
	s_waitcnt vmcnt(0)
	v_cvt_f32_i32_e32 v8, v8
	v_cvt_f16_f32_e32 v8, v8
.LBB153_1626:
	s_mov_b64 s[4:5], 0
.LBB153_1627:
	s_andn2_b64 vcc, exec, s[4:5]
	s_cbranch_vccnz .LBB153_1629
; %bb.1628:
	global_load_ushort v8, v[0:1], off
	s_waitcnt vmcnt(0)
	v_cvt_f16_i16_e32 v8, v8
.LBB153_1629:
	s_mov_b64 s[4:5], 0
.LBB153_1630:
	s_andn2_b64 vcc, exec, s[4:5]
	s_cbranch_vccnz .LBB153_1636
; %bb.1631:
	s_cmp_gt_i32 s26, 0
	s_cbranch_scc0 .LBB153_1633
; %bb.1632:
	global_load_sbyte v8, v[0:1], off
	s_mov_b64 s[4:5], 0
	s_waitcnt vmcnt(0)
	v_cvt_f16_i16_e32 v8, v8
	s_branch .LBB153_1634
.LBB153_1633:
	s_mov_b64 s[4:5], -1
                                        ; implicit-def: $vgpr8
.LBB153_1634:
	s_andn2_b64 vcc, exec, s[4:5]
	s_cbranch_vccnz .LBB153_1636
; %bb.1635:
	global_load_ubyte v0, v[0:1], off
	s_waitcnt vmcnt(0)
	v_cvt_f16_u16_e32 v8, v0
.LBB153_1636:
.LBB153_1637:
	s_waitcnt vmcnt(0)
	v_cvt_f32_f16_e32 v10, v8
	s_mov_b32 s4, 0x3c800000
                                        ; implicit-def: $vgpr12
	v_and_b32_e32 v0, 0x7fffffff, v10
	v_cmp_nlt_f32_e64 s[4:5], |v10|, s4
	s_and_saveexec_b64 s[6:7], s[4:5]
	s_xor_b64 s[6:7], exec, s[6:7]
	s_cbranch_execz .LBB153_1667
; %bb.1638:
	v_cmp_nlt_f32_e64 s[4:5], |v10|, 2.0
                                        ; implicit-def: $vgpr12
	s_and_saveexec_b64 s[8:9], s[4:5]
	s_xor_b64 s[8:9], exec, s[8:9]
	s_cbranch_execz .LBB153_1648
; %bb.1639:
	s_mov_b32 s4, 0x41000000
	v_cmp_nlt_f32_e64 s[4:5], |v10|, s4
                                        ; implicit-def: $vgpr12
	s_and_saveexec_b64 s[22:23], s[4:5]
	s_xor_b64 s[22:23], exec, s[22:23]
	s_cbranch_execz .LBB153_1645
; %bb.1640:
	s_mov_b32 s4, 0x5c800000
	v_cmp_nlt_f32_e64 s[4:5], |v10|, s4
                                        ; implicit-def: $vgpr12
	s_and_saveexec_b64 s[24:25], s[4:5]
	s_xor_b64 s[24:25], exec, s[24:25]
	s_cbranch_execz .LBB153_1642
; %bb.1641:
	s_mov_b32 s4, 0x800000
	v_cmp_lt_f32_e64 vcc, |v10|, s4
	v_cndmask_b32_e64 v1, 0, 32, vcc
	v_ldexp_f32 v1, |v10|, v1
	v_log_f32_e32 v1, v1
	s_mov_b32 s4, 0x3f317217
	s_mov_b32 s5, 0x7f800000
	v_mul_f32_e32 v12, 0x3f317217, v1
	v_fma_f32 v13, v1, s4, -v12
	v_fmac_f32_e32 v13, 0x3377d1cf, v1
	v_add_f32_e32 v12, v12, v13
	v_cmp_lt_f32_e64 s[4:5], |v1|, s5
	v_cndmask_b32_e64 v1, v1, v12, s[4:5]
	v_mov_b32_e32 v12, 0x41b17218
	v_cndmask_b32_e32 v12, 0, v12, vcc
	v_sub_f32_e32 v1, v1, v12
	v_fma_f32 v12, |v10|, v1, -|v10|
.LBB153_1642:
	s_andn2_saveexec_b64 s[24:25], s[24:25]
	s_cbranch_execz .LBB153_1644
; %bb.1643:
	v_rcp_f32_e64 v1, |v10|
	v_mov_b32_e32 v12, 0x3a5b3dd2
	v_mov_b32_e32 v13, 0xba1c065c
	;; [unrolled: 1-line block ×3, first 2 shown]
	v_mul_f32_e32 v15, v1, v1
	v_fmac_f32_e32 v12, 0xbad5c4e8, v15
	v_fmac_f32_e32 v13, v15, v12
	s_mov_b32 s4, 0x800000
	v_fmac_f32_e32 v14, v15, v13
	v_mov_b32_e32 v12, 0xbb360b61
	v_cmp_lt_f32_e64 vcc, |v10|, s4
	v_fmac_f32_e32 v12, v15, v14
	v_cndmask_b32_e64 v14, 0, 32, vcc
	v_ldexp_f32 v14, |v10|, v14
	v_log_f32_e32 v14, v14
	v_mov_b32_e32 v13, 0x3daaaaab
	v_fmac_f32_e32 v13, v15, v12
	v_mov_b32_e32 v12, 0x3ed67f1d
	v_fmac_f32_e32 v12, v1, v13
	s_mov_b32 s4, 0x3f317217
	v_mul_f32_e32 v13, 0x3f317217, v14
	v_fma_f32 v15, v14, s4, -v13
	v_fmac_f32_e32 v15, 0x3377d1cf, v14
	s_mov_b32 s4, 0x7f800000
	v_add_f32_e32 v13, v13, v15
	v_cmp_lt_f32_e64 s[4:5], |v14|, s4
	v_cndmask_b32_e64 v13, v14, v13, s[4:5]
	v_mov_b32_e32 v14, 0x41b17218
	v_cndmask_b32_e32 v14, 0, v14, vcc
	v_sub_f32_e32 v13, v13, v14
	v_add_f32_e64 v1, |v10|, -0.5
	v_add_f32_e32 v13, -1.0, v13
	v_fmac_f32_e32 v12, v1, v13
.LBB153_1644:
	s_or_b64 exec, exec, s[24:25]
.LBB153_1645:
	s_andn2_saveexec_b64 s[22:23], s[22:23]
	s_cbranch_execz .LBB153_1647
; %bb.1646:
	v_cvt_i32_f32_e32 v1, v0
	v_mov_b32_e32 v12, 0x3af135b4
	v_mov_b32_e32 v13, 0x3cda40e4
	;; [unrolled: 1-line block ×3, first 2 shown]
	v_cvt_f32_i32_e32 v15, v1
	v_mov_b32_e32 v16, 0x3ea6cc7a
	v_mov_b32_e32 v17, 0x3e5c245a
	v_cmp_lt_i32_e32 vcc, 2, v1
	v_sub_f32_e64 v15, |v10|, v15
	v_fmac_f32_e32 v12, 0x3805ff67, v15
	v_fmac_f32_e32 v13, v15, v12
	;; [unrolled: 1-line block ×3, first 2 shown]
	v_mov_b32_e32 v13, 0x3a4beed6
	v_fmac_f32_e32 v16, v15, v14
	v_fmac_f32_e32 v13, 0x36f5d7bd, v15
	v_mov_b32_e32 v14, 0x3c98bf54
	v_fmac_f32_e32 v14, v15, v13
	v_mov_b32_e32 v13, 0x3e300f6e
	;; [unrolled: 2-line block ×4, first 2 shown]
	v_fmac_f32_e32 v13, v15, v14
	v_add_f32_e32 v14, 2.0, v15
	v_mov_b32_e32 v18, 0xbd9e233f
	v_fmac_f32_e32 v17, v15, v16
	v_add_f32_e32 v16, 0x40400000, v15
	v_cndmask_b32_e32 v14, 1.0, v14, vcc
	v_cmp_lt_i32_e32 vcc, 3, v1
	v_fmac_f32_e32 v18, v15, v17
	v_add_f32_e32 v17, 4.0, v15
	v_cndmask_b32_e32 v16, 1.0, v16, vcc
	v_cmp_lt_i32_e32 vcc, 4, v1
	v_mul_f32_e32 v12, v15, v18
	v_add_f32_e32 v18, 0x40a00000, v15
	v_mul_f32_e32 v14, v14, v16
	v_cndmask_b32_e32 v16, 1.0, v17, vcc
	v_cmp_lt_i32_e32 vcc, 5, v1
	v_add_f32_e32 v19, 0x40c00000, v15
	v_mul_f32_e32 v14, v16, v14
	v_cndmask_b32_e32 v16, 1.0, v18, vcc
	v_cmp_lt_i32_e32 vcc, 6, v1
	v_mul_f32_e32 v14, v16, v14
	v_cndmask_b32_e32 v1, 1.0, v19, vcc
	v_mul_f32_e32 v1, v1, v14
	s_mov_b32 s4, 0x800000
	v_cmp_gt_f32_e32 vcc, s4, v1
	v_cndmask_b32_e64 v14, 0, 32, vcc
	v_fma_f32 v13, v15, v13, 1.0
	v_ldexp_f32 v1, v1, v14
	v_rcp_f32_e32 v13, v13
	v_log_f32_e32 v1, v1
	s_mov_b32 s4, 0x3f317217
	v_mul_f32_e32 v12, v12, v13
	v_mul_f32_e32 v13, 0x3f317217, v1
	v_fma_f32 v14, v1, s4, -v13
	v_fmac_f32_e32 v14, 0x3377d1cf, v1
	s_mov_b32 s4, 0x7f800000
	v_add_f32_e32 v13, v13, v14
	v_cmp_lt_f32_e64 s[4:5], |v1|, s4
	v_cndmask_b32_e64 v1, v1, v13, s[4:5]
	v_mov_b32_e32 v13, 0x41b17218
	v_cndmask_b32_e32 v13, 0, v13, vcc
	v_fmac_f32_e32 v12, 0.5, v15
	v_sub_f32_e32 v1, v1, v13
	v_add_f32_e32 v12, v1, v12
.LBB153_1647:
	s_or_b64 exec, exec, s[22:23]
.LBB153_1648:
	s_andn2_saveexec_b64 s[8:9], s[8:9]
	s_cbranch_execz .LBB153_1666
; %bb.1649:
	s_mov_b32 s4, 0x3f666666
	v_cmp_le_f32_e64 s[4:5], |v10|, s4
                                        ; implicit-def: $vgpr12
                                        ; implicit-def: $vgpr13
                                        ; implicit-def: $vgpr1
	s_and_saveexec_b64 s[22:23], s[4:5]
	s_xor_b64 s[22:23], exec, s[22:23]
	s_cbranch_execz .LBB153_1651
; %bb.1650:
	s_mov_b32 s4, 0x800000
	v_cmp_lt_f32_e64 vcc, |v10|, s4
	v_cndmask_b32_e64 v1, 0, 32, vcc
	v_ldexp_f32 v1, |v10|, v1
	v_log_f32_e32 v1, v1
	s_mov_b32 s4, 0x3f317217
	s_mov_b32 s5, 0x7f800000
	v_mul_f32_e32 v12, 0x3f317217, v1
	v_fma_f32 v13, v1, s4, -v12
	v_fmac_f32_e32 v13, 0x3377d1cf, v1
	v_add_f32_e32 v12, v12, v13
	v_cmp_lt_f32_e64 s[4:5], |v1|, s5
	v_cndmask_b32_e64 v1, v1, v12, s[4:5]
	v_mov_b32_e32 v12, 0x41b17218
	v_cndmask_b32_e32 v12, 0, v12, vcc
	v_sub_f32_e32 v1, v1, v12
	s_mov_b32 s4, 0x3f3b4a23
	s_mov_b32 s5, 0xbeec5b0c
	v_xor_b32_e32 v12, 0x80000000, v1
	v_sub_f32_e64 v1, 1.0, |v10|
	v_add_f32_e64 v13, |v10|, s5
	v_cmp_lt_f32_e64 vcc, |v10|, s4
	s_mov_b32 s4, 0x3e6d3309
	v_cndmask_b32_e32 v1, v1, v13, vcc
	v_cndmask_b32_e64 v13, 0, 1, vcc
	v_cmp_lt_f32_e64 s[4:5], |v10|, s4
	v_cndmask_b32_e64 v1, v1, |v10|, s[4:5]
	v_cndmask_b32_e64 v13, v13, 2, s[4:5]
.LBB153_1651:
	s_andn2_saveexec_b64 s[4:5], s[22:23]
	s_cbranch_execz .LBB153_1653
; %bb.1652:
	s_mov_b32 s22, 0x3fdda512
	s_mov_b32 s23, 0xbfbb16c3
	v_sub_f32_e64 v1, 2.0, |v10|
	v_add_f32_e64 v12, |v10|, s23
	v_cmp_lt_f32_e64 vcc, |v10|, s22
	v_cndmask_b32_e32 v12, v1, v12, vcc
	v_cndmask_b32_e64 v1, v1, 1.0, vcc
	v_cvt_i32_f32_e32 v13, v1
	s_mov_b32 s22, 0x3f9d70a4
	v_add_f32_e64 v1, |v10|, -1.0
	v_cmp_lt_f32_e64 vcc, |v10|, s22
	v_cndmask_b32_e32 v1, v12, v1, vcc
	v_cndmask_b32_e64 v13, v13, 2, vcc
	v_mov_b32_e32 v12, 0
.LBB153_1653:
	s_or_b64 exec, exec, s[4:5]
	v_cmp_lt_i32_e32 vcc, 0, v13
	s_and_saveexec_b64 s[4:5], vcc
	s_xor_b64 s[4:5], exec, s[4:5]
	s_cbranch_execz .LBB153_1661
; %bb.1654:
	v_cmp_lt_i32_e32 vcc, 1, v13
	s_and_saveexec_b64 s[22:23], vcc
	s_xor_b64 s[22:23], exec, s[22:23]
	s_cbranch_execz .LBB153_1658
; %bb.1655:
	v_cmp_eq_u32_e32 vcc, 2, v13
	s_and_saveexec_b64 s[24:25], vcc
	s_cbranch_execz .LBB153_1657
; %bb.1656:
	v_mov_b32_e32 v13, 0x3e6a7578
	v_fmac_f32_e32 v13, 0x3c5b3c5e, v1
	v_mov_b32_e32 v14, 0x3f7a4bb2
	v_fmac_f32_e32 v14, v1, v13
	;; [unrolled: 2-line block ×8, first 2 shown]
	v_fma_f32 v13, v1, v15, 1.0
	v_rcp_f32_e32 v13, v13
	v_mov_b32_e32 v15, 0xbd9e233f
	v_fmac_f32_e32 v15, v1, v14
	v_mul_f32_e32 v14, v1, v15
	v_mul_f32_e32 v13, v14, v13
	v_fmac_f32_e32 v13, -0.5, v1
	v_add_f32_e32 v12, v12, v13
.LBB153_1657:
	s_or_b64 exec, exec, s[24:25]
                                        ; implicit-def: $vgpr1
.LBB153_1658:
	s_andn2_saveexec_b64 s[22:23], s[22:23]
	s_cbranch_execz .LBB153_1660
; %bb.1659:
	v_mul_f32_e32 v13, v1, v1
	v_mul_f32_e32 v14, v1, v13
	v_mov_b32_e32 v15, 0xbab7f476
	v_fmac_f32_e32 v15, 0x39a57b6b, v14
	v_mov_b32_e32 v16, 0x3bc7e707
	v_fmac_f32_e32 v16, v14, v15
	;; [unrolled: 2-line block ×12, first 2 shown]
	v_fmac_f32_e32 v17, v1, v18
	s_mov_b32 s24, 0xa2863e55
	v_fma_f32 v1, v14, -v17, s24
	v_fma_f32 v1, v13, v16, -v1
	v_add_f32_e32 v1, 0xbdf8cdce, v1
	v_add_f32_e32 v12, v12, v1
.LBB153_1660:
	s_or_b64 exec, exec, s[22:23]
                                        ; implicit-def: $vgpr13
                                        ; implicit-def: $vgpr1
.LBB153_1661:
	s_andn2_saveexec_b64 s[4:5], s[4:5]
	s_cbranch_execz .LBB153_1665
; %bb.1662:
	v_cmp_eq_u32_e32 vcc, 0, v13
	s_and_saveexec_b64 s[22:23], vcc
	s_cbranch_execz .LBB153_1664
; %bb.1663:
	v_mul_f32_e32 v13, v1, v1
	v_mov_b32_e32 v14, 0x39679767
	v_fmac_f32_e32 v14, 0x37d383a2, v13
	v_mov_b32_e32 v15, 0x3a9c54a1
	v_fmac_f32_e32 v15, v13, v14
	;; [unrolled: 2-line block ×10, first 2 shown]
	v_mul_f32_e32 v13, v13, v15
	v_fmac_f32_e32 v13, v1, v14
	v_fmac_f32_e32 v13, -0.5, v1
	v_add_f32_e32 v12, v12, v13
.LBB153_1664:
	s_or_b64 exec, exec, s[22:23]
.LBB153_1665:
	s_or_b64 exec, exec, s[4:5]
.LBB153_1666:
	s_or_b64 exec, exec, s[8:9]
.LBB153_1667:
	s_andn2_saveexec_b64 s[6:7], s[6:7]
	s_cbranch_execz .LBB153_1669
; %bb.1668:
	s_mov_b32 s4, 0x3e8a8991
	v_mov_b32_e32 v1, 0xbecd26ab
	v_fma_f32 v1, |v10|, s4, v1
	s_mov_b32 s4, 0x3f528d33
	v_fma_f32 v1, |v10|, v1, s4
	s_mov_b32 s4, 0x800000
	v_cmp_lt_f32_e64 vcc, |v10|, s4
	v_cndmask_b32_e64 v12, 0, 32, vcc
	v_ldexp_f32 v12, |v10|, v12
	v_log_f32_e32 v12, v12
	s_mov_b32 s4, 0xbf13c468
	v_fma_f32 v1, |v10|, v1, s4
	s_mov_b32 s4, 0x3f317217
	v_mul_f32_e32 v13, 0x3f317217, v12
	v_fma_f32 v14, v12, s4, -v13
	v_fmac_f32_e32 v14, 0x3377d1cf, v12
	s_mov_b32 s4, 0x7f800000
	v_add_f32_e32 v13, v13, v14
	v_cmp_lt_f32_e64 s[4:5], |v12|, s4
	v_cndmask_b32_e64 v12, v12, v13, s[4:5]
	v_mov_b32_e32 v13, 0x41b17218
	v_cndmask_b32_e32 v13, 0, v13, vcc
	v_sub_f32_e32 v12, v12, v13
	v_fma_f32 v12, |v10|, v1, -v12
.LBB153_1669:
	s_or_b64 exec, exec, s[6:7]
	v_cmp_le_f16_e64 s[4:5], 0, v8
	v_cmp_nle_f16_e32 vcc, 0, v8
	s_and_saveexec_b64 s[6:7], vcc
	s_xor_b64 s[8:9], exec, s[6:7]
	s_cbranch_execz .LBB153_1673
; %bb.1670:
	s_mov_b32 s6, 0x4b000000
	s_mov_b32 s22, 0x35000000
	v_cmp_lt_f32_e64 s[6:7], |v10|, s6
	v_cmp_gt_f32_e64 s[22:23], |v10|, s22
	s_and_b64 s[6:7], s[6:7], s[22:23]
	s_and_saveexec_b64 s[22:23], s[6:7]
	s_cbranch_execz .LBB153_1672
; %bb.1671:
	v_mul_f32_e64 v1, |v10|, 0.5
	v_floor_f32_e32 v13, v1
	v_sub_f32_e32 v13, v1, v13
	v_min_f32_e32 v13, 0x3f7fffff, v13
	s_mov_b32 s24, 0x7f800000
	v_add_f32_e32 v13, v13, v13
	v_cmp_neq_f32_e32 vcc, s24, v1
	v_cndmask_b32_e32 v1, 0, v13, vcc
	v_cmp_gt_f32_e64 s[6:7], |v10|, 1.0
	v_cndmask_b32_e64 v1, |v10|, v1, s[6:7]
	v_add_f32_e32 v13, v1, v1
	v_rndne_f32_e32 v13, v13
	v_fmac_f32_e32 v1, -0.5, v13
	v_mul_f32_e32 v14, v1, v1
	v_mov_b32_e32 v15, 0xbf1f24be
	v_fmac_f32_e32 v15, 0x3e75aa41, v14
	v_mov_b32_e32 v16, 0x40234736
	v_fmac_f32_e32 v16, v14, v15
	;; [unrolled: 2-line block ×3, first 2 shown]
	v_mul_f32_e32 v16, v1, v14
	v_mul_f32_e32 v15, v16, v15
	v_fmac_f32_e32 v15, 0x40490fdb, v1
	v_mov_b32_e32 v1, 0x3e642e9d
	v_cvt_i32_f32_e32 v13, v13
	v_fmac_f32_e32 v1, 0x3d4be544, v14
	v_mov_b32_e32 v16, 0xbfaad1da
	v_fmac_f32_e32 v16, v14, v1
	v_mov_b32_e32 v1, 0x4081e0d3
	;; [unrolled: 2-line block ×3, first 2 shown]
	v_fmac_f32_e32 v16, v14, v1
	v_fma_f32 v1, v14, v16, 1.0
	v_and_b32_e32 v14, 1, v13
	v_lshlrev_b32_e32 v13, 30, v13
	v_cmp_eq_u32_e32 vcc, 0, v14
	v_and_b32_e32 v13, 0x80000000, v13
	v_xor_b32_e32 v0, v0, v10
	v_cndmask_b32_e32 v1, v1, v15, vcc
	v_xor_b32_e32 v0, v0, v13
	v_xor_b32_e32 v0, v0, v1
	v_mul_f32_e32 v0, v10, v0
	v_frexp_mant_f32_e64 v1, |v0|
	v_rcp_f32_e32 v1, v1
	v_frexp_exp_i32_f32_e32 v0, v0
	v_sub_u32_e32 v0, 2, v0
	s_mov_b32 s6, 0x800000
	v_mul_f32_e32 v1, 0x3f490fdb, v1
	v_ldexp_f32 v0, v1, v0
	v_cmp_gt_f32_e32 vcc, s6, v0
	v_cndmask_b32_e64 v1, 0, 32, vcc
	v_ldexp_f32 v0, v0, v1
	v_log_f32_e32 v0, v0
	s_mov_b32 s6, 0x3f317217
	v_mul_f32_e32 v1, 0x3f317217, v0
	v_fma_f32 v13, v0, s6, -v1
	v_fmac_f32_e32 v13, 0x3377d1cf, v0
	v_add_f32_e32 v1, v1, v13
	v_cmp_lt_f32_e64 s[6:7], |v0|, s24
	v_cndmask_b32_e64 v0, v0, v1, s[6:7]
	v_mov_b32_e32 v1, 0x41b17218
	v_cndmask_b32_e32 v1, 0, v1, vcc
	v_sub_f32_e32 v0, v0, v1
	v_floor_f32_e32 v1, v10
	v_sub_f32_e32 v1, v10, v1
	v_min_f32_e32 v1, 0x3f7fffff, v1
	v_sub_f32_e32 v0, v0, v12
	v_mov_b32_e32 v12, 0x7f800000
	v_cmp_neq_f32_e32 vcc, 0, v1
	v_cndmask_b32_e32 v12, v12, v0, vcc
.LBB153_1672:
	s_or_b64 exec, exec, s[22:23]
.LBB153_1673:
	s_andn2_saveexec_b64 s[8:9], s[8:9]
; %bb.1674:
	v_cmp_eq_f16_e32 vcc, 1.0, v8
	v_cmp_eq_f16_e64 s[6:7], 2.0, v8
	s_or_b64 s[6:7], vcc, s[6:7]
	v_cndmask_b32_e64 v12, v12, 0, s[6:7]
; %bb.1675:
	s_or_b64 exec, exec, s[8:9]
	v_add_u32_e32 v0, s11, v11
	v_ashrrev_i32_e32 v1, 31, v0
	v_mov_b32_e32 v11, s15
	v_add_co_u32_e32 v0, vcc, s14, v0
	s_cmp_lt_i32 s26, 11
	v_addc_co_u32_e32 v1, vcc, v11, v1, vcc
	s_cbranch_scc1 .LBB153_1682
; %bb.1676:
	s_cmp_gt_i32 s26, 25
	s_mov_b64 s[8:9], 0
	s_cbranch_scc0 .LBB153_1683
; %bb.1677:
	s_cmp_gt_i32 s26, 28
	s_cbranch_scc0 .LBB153_1684
; %bb.1678:
	s_cmp_gt_i32 s26, 43
	;; [unrolled: 3-line block ×3, first 2 shown]
	s_cbranch_scc0 .LBB153_1687
; %bb.1680:
	s_cmp_eq_u32 s26, 46
	s_mov_b64 s[22:23], 0
	s_cbranch_scc0 .LBB153_1688
; %bb.1681:
	global_load_dword v11, v[0:1], off
	s_mov_b64 s[6:7], 0
	s_mov_b64 s[14:15], -1
	s_waitcnt vmcnt(0)
	v_lshlrev_b32_e32 v11, 16, v11
	v_cvt_f16_f32_e32 v11, v11
	s_branch .LBB153_1689
.LBB153_1682:
	s_mov_b64 s[6:7], -1
	s_mov_b64 s[14:15], 0
                                        ; implicit-def: $vgpr11
	s_branch .LBB153_1755
.LBB153_1683:
	s_mov_b64 s[22:23], -1
	s_mov_b64 s[14:15], 0
	s_mov_b64 s[6:7], 0
                                        ; implicit-def: $vgpr11
	s_branch .LBB153_1718
.LBB153_1684:
	s_mov_b64 s[22:23], -1
	s_mov_b64 s[14:15], 0
	s_mov_b64 s[6:7], 0
                                        ; implicit-def: $vgpr11
	s_branch .LBB153_1699
.LBB153_1685:
	s_mov_b64 s[22:23], -1
	s_mov_b64 s[14:15], 0
	s_mov_b64 s[6:7], 0
                                        ; implicit-def: $vgpr11
	s_branch .LBB153_1694
.LBB153_1686:
	s_trap 2
	s_or_b64 s[20:21], s[20:21], exec
	s_cbranch_execz .LBB153_1587
	s_branch .LBB153_1588
.LBB153_1687:
	s_mov_b64 s[22:23], -1
	s_mov_b64 s[14:15], 0
	s_mov_b64 s[6:7], 0
                                        ; implicit-def: $vgpr11
	s_branch .LBB153_1689
.LBB153_1688:
	s_mov_b64 s[6:7], -1
                                        ; implicit-def: $vgpr11
	s_mov_b64 s[14:15], 0
.LBB153_1689:
	s_and_b64 vcc, exec, s[22:23]
	s_cbranch_vccz .LBB153_1693
; %bb.1690:
	s_cmp_eq_u32 s26, 44
	s_cbranch_scc0 .LBB153_1692
; %bb.1691:
	global_load_ubyte v11, v[0:1], off
	s_movk_i32 s11, 0xff
	v_mov_b32_e32 v14, 0x7e00
	s_mov_b64 s[6:7], 0
	s_mov_b64 s[14:15], -1
	s_waitcnt vmcnt(0)
	v_lshlrev_b32_e32 v13, 23, v11
	v_cvt_f16_f32_e32 v13, v13
	v_cmp_ne_u32_e32 vcc, s11, v11
	v_cndmask_b32_e32 v13, v14, v13, vcc
	v_cmp_ne_u32_e32 vcc, 0, v11
	v_cndmask_b32_e32 v11, 0, v13, vcc
	s_branch .LBB153_1693
.LBB153_1692:
	s_mov_b64 s[6:7], -1
                                        ; implicit-def: $vgpr11
.LBB153_1693:
	s_mov_b64 s[22:23], 0
.LBB153_1694:
	s_and_b64 vcc, exec, s[22:23]
	s_cbranch_vccz .LBB153_1698
; %bb.1695:
	s_cmp_eq_u32 s26, 29
	s_cbranch_scc0 .LBB153_1697
; %bb.1696:
	global_load_dwordx2 v[13:14], v[0:1], off
	s_mov_b64 s[6:7], 0
	s_mov_b64 s[14:15], -1
	s_mov_b64 s[22:23], 0
	s_waitcnt vmcnt(0)
	v_ffbh_u32_e32 v11, v14
	v_min_u32_e32 v11, 32, v11
	v_lshlrev_b64 v[13:14], v11, v[13:14]
	v_sub_u32_e32 v11, 32, v11
	v_min_u32_e32 v13, 1, v13
	v_or_b32_e32 v13, v14, v13
	v_cvt_f32_u32_e32 v13, v13
	v_ldexp_f32 v11, v13, v11
	v_cvt_f16_f32_e32 v11, v11
	s_branch .LBB153_1699
.LBB153_1697:
	s_mov_b64 s[6:7], -1
                                        ; implicit-def: $vgpr11
.LBB153_1698:
	s_mov_b64 s[22:23], 0
.LBB153_1699:
	s_and_b64 vcc, exec, s[22:23]
	s_cbranch_vccz .LBB153_1717
; %bb.1700:
	s_cmp_lt_i32 s26, 27
	s_cbranch_scc1 .LBB153_1703
; %bb.1701:
	s_cmp_gt_i32 s26, 27
	s_cbranch_scc0 .LBB153_1704
; %bb.1702:
	global_load_dword v11, v[0:1], off
	s_mov_b64 s[14:15], 0
	s_waitcnt vmcnt(0)
	v_cvt_f32_u32_e32 v11, v11
	v_cvt_f16_f32_e32 v11, v11
	s_branch .LBB153_1705
.LBB153_1703:
	s_mov_b64 s[14:15], -1
                                        ; implicit-def: $vgpr11
	s_branch .LBB153_1708
.LBB153_1704:
	s_mov_b64 s[14:15], -1
                                        ; implicit-def: $vgpr11
.LBB153_1705:
	s_andn2_b64 vcc, exec, s[14:15]
	s_cbranch_vccnz .LBB153_1707
; %bb.1706:
	global_load_ushort v11, v[0:1], off
	s_waitcnt vmcnt(0)
	v_cvt_f16_u16_e32 v11, v11
.LBB153_1707:
	s_mov_b64 s[14:15], 0
.LBB153_1708:
	s_andn2_b64 vcc, exec, s[14:15]
	s_cbranch_vccnz .LBB153_1716
; %bb.1709:
	global_load_ubyte v13, v[0:1], off
	s_movk_i32 s11, 0x7f
	s_mov_b64 s[14:15], 0
	s_waitcnt vmcnt(0)
	v_cmp_lt_i16_e32 vcc, s11, v13
	s_and_saveexec_b64 s[22:23], vcc
	s_xor_b64 s[22:23], exec, s[22:23]
	s_cbranch_execz .LBB153_1730
; %bb.1710:
	s_movk_i32 s11, 0x80
	v_cmp_eq_u16_e32 vcc, s11, v13
	s_mov_b64 s[14:15], -1
	s_and_saveexec_b64 s[24:25], vcc
; %bb.1711:
	s_xor_b64 s[14:15], exec, -1
; %bb.1712:
	s_or_b64 exec, exec, s[24:25]
	s_and_b64 s[14:15], s[14:15], exec
	s_or_saveexec_b64 s[22:23], s[22:23]
	v_mov_b32_e32 v11, 0x7e00
	s_xor_b64 exec, exec, s[22:23]
	s_cbranch_execnz .LBB153_1731
.LBB153_1713:
	s_or_b64 exec, exec, s[22:23]
	s_and_saveexec_b64 s[22:23], s[14:15]
	s_cbranch_execz .LBB153_1715
.LBB153_1714:
	v_lshlrev_b32_e32 v11, 24, v13
	v_and_b32_e32 v13, 0xffff, v13
	v_and_b32_e32 v14, 7, v13
	v_ffbh_u32_e32 v16, v14
	v_min_u32_e32 v16, 32, v16
	v_subrev_u32_e32 v17, 28, v16
	v_bfe_u32 v15, v13, 3, 4
	v_lshlrev_b32_e32 v13, v17, v13
	v_sub_u32_e32 v16, 29, v16
	v_and_b32_e32 v13, 7, v13
	v_cmp_eq_u32_e32 vcc, 0, v15
	v_cndmask_b32_e32 v15, v15, v16, vcc
	v_cndmask_b32_e32 v13, v14, v13, vcc
	v_mov_b32_e32 v14, 0x3b800000
	v_lshlrev_b32_e32 v13, 20, v13
	v_and_b32_e32 v11, 0x80000000, v11
	v_lshl_add_u32 v14, v15, 23, v14
	v_or3_b32 v11, v11, v14, v13
	v_cvt_f16_f32_e32 v11, v11
.LBB153_1715:
	s_or_b64 exec, exec, s[22:23]
.LBB153_1716:
	s_mov_b64 s[14:15], -1
.LBB153_1717:
	s_mov_b64 s[22:23], 0
.LBB153_1718:
	s_and_b64 vcc, exec, s[22:23]
	s_cbranch_vccz .LBB153_1751
; %bb.1719:
	s_cmp_gt_i32 s26, 22
	s_cbranch_scc0 .LBB153_1729
; %bb.1720:
	s_cmp_lt_i32 s26, 24
	s_cbranch_scc1 .LBB153_1732
; %bb.1721:
	s_cmp_gt_i32 s26, 24
	s_cbranch_scc0 .LBB153_1733
; %bb.1722:
	global_load_ubyte v13, v[0:1], off
	s_movk_i32 s8, 0x7f
	s_waitcnt vmcnt(0)
	v_cmp_lt_i16_e32 vcc, s8, v13
	s_mov_b64 s[8:9], 0
	s_and_saveexec_b64 s[14:15], vcc
	s_xor_b64 s[14:15], exec, s[14:15]
	s_cbranch_execz .LBB153_1745
; %bb.1723:
	s_movk_i32 s8, 0x80
	v_cmp_eq_u16_e32 vcc, s8, v13
	s_mov_b64 s[8:9], -1
	s_and_saveexec_b64 s[22:23], vcc
; %bb.1724:
	s_xor_b64 s[8:9], exec, -1
; %bb.1725:
	s_or_b64 exec, exec, s[22:23]
	s_and_b64 s[8:9], s[8:9], exec
	s_or_saveexec_b64 s[14:15], s[14:15]
	v_mov_b32_e32 v11, 0x7e00
	s_xor_b64 exec, exec, s[14:15]
	s_cbranch_execnz .LBB153_1746
.LBB153_1726:
	s_or_b64 exec, exec, s[14:15]
	s_and_saveexec_b64 s[14:15], s[8:9]
	s_cbranch_execz .LBB153_1728
.LBB153_1727:
	v_lshlrev_b32_e32 v11, 24, v13
	v_and_b32_e32 v13, 0xffff, v13
	v_and_b32_e32 v14, 3, v13
	v_ffbh_u32_e32 v16, v14
	v_min_u32_e32 v16, 32, v16
	v_subrev_u32_e32 v17, 29, v16
	v_bfe_u32 v15, v13, 2, 5
	v_lshlrev_b32_e32 v13, v17, v13
	v_sub_u32_e32 v16, 30, v16
	v_and_b32_e32 v13, 3, v13
	v_cmp_eq_u32_e32 vcc, 0, v15
	v_cndmask_b32_e32 v15, v15, v16, vcc
	v_cndmask_b32_e32 v13, v14, v13, vcc
	v_mov_b32_e32 v14, 0x37800000
	v_lshlrev_b32_e32 v13, 21, v13
	v_and_b32_e32 v11, 0x80000000, v11
	v_lshl_add_u32 v14, v15, 23, v14
	v_or3_b32 v11, v11, v14, v13
	v_cvt_f16_f32_e32 v11, v11
.LBB153_1728:
	s_or_b64 exec, exec, s[14:15]
	s_mov_b64 s[8:9], 0
	s_branch .LBB153_1734
.LBB153_1729:
	s_mov_b64 s[8:9], -1
                                        ; implicit-def: $vgpr11
	s_branch .LBB153_1740
.LBB153_1730:
	s_or_saveexec_b64 s[22:23], s[22:23]
	v_mov_b32_e32 v11, 0x7e00
	s_xor_b64 exec, exec, s[22:23]
	s_cbranch_execz .LBB153_1713
.LBB153_1731:
	v_cmp_ne_u16_e32 vcc, 0, v13
	s_andn2_b64 s[14:15], s[14:15], exec
	s_and_b64 s[24:25], vcc, exec
	s_or_b64 s[14:15], s[14:15], s[24:25]
	v_mov_b32_e32 v11, v13
	s_or_b64 exec, exec, s[22:23]
	s_and_saveexec_b64 s[22:23], s[14:15]
	s_cbranch_execnz .LBB153_1714
	s_branch .LBB153_1715
.LBB153_1732:
	s_mov_b64 s[8:9], -1
                                        ; implicit-def: $vgpr11
	s_branch .LBB153_1737
.LBB153_1733:
	s_mov_b64 s[8:9], -1
                                        ; implicit-def: $vgpr11
.LBB153_1734:
	s_and_b64 vcc, exec, s[8:9]
	s_cbranch_vccz .LBB153_1736
; %bb.1735:
	global_load_ubyte v11, v[0:1], off
	s_mov_b32 s8, 0x7f800000
	s_waitcnt vmcnt(0)
	v_lshlrev_b32_e32 v11, 24, v11
	v_and_b32_e32 v13, 0x7f000000, v11
	v_ffbh_u32_e32 v14, v13
	v_min_u32_e32 v14, 32, v14
	v_sub_u32_e64 v14, v14, 4 clamp
	v_lshlrev_b32_e32 v16, v14, v13
	v_lshlrev_b32_e32 v14, 23, v14
	v_lshrrev_b32_e32 v16, 4, v16
	v_add_u32_e32 v15, 0x1000000, v13
	v_sub_u32_e32 v14, v16, v14
	v_ashrrev_i32_e32 v15, 8, v15
	v_add_u32_e32 v14, 0x3c000000, v14
	v_and_or_b32 v14, v15, s8, v14
	v_cmp_ne_u32_e32 vcc, 0, v13
	v_cndmask_b32_e32 v13, 0, v14, vcc
	s_brev_b32 s8, 1
	v_and_or_b32 v11, v11, s8, v13
	v_cvt_f16_f32_e32 v11, v11
.LBB153_1736:
	s_mov_b64 s[8:9], 0
.LBB153_1737:
	s_andn2_b64 vcc, exec, s[8:9]
	s_cbranch_vccnz .LBB153_1739
; %bb.1738:
	global_load_ubyte v11, v[0:1], off
	s_movk_i32 s8, 0x7f00
	s_brev_b32 s9, 16
	s_waitcnt vmcnt(0)
	v_lshlrev_b16_e32 v13, 8, v11
	v_lshlrev_b32_e32 v11, 25, v11
	v_lshrrev_b32_e32 v14, 4, v11
	v_and_or_b32 v15, v13, s8, 0.5
	v_or_b32_e32 v14, 0x70000000, v14
	v_add_f32_e32 v15, -0.5, v15
	v_mul_f32_e32 v14, 0x7800000, v14
	v_cmp_gt_u32_e32 vcc, s9, v11
	v_bfe_i32 v13, v13, 0, 16
	v_cndmask_b32_e32 v11, v14, v15, vcc
	s_brev_b32 s8, 1
	v_and_or_b32 v11, v13, s8, v11
	v_cvt_f16_f32_e32 v11, v11
.LBB153_1739:
	s_mov_b64 s[8:9], 0
	s_mov_b64 s[14:15], -1
.LBB153_1740:
	s_andn2_b64 vcc, exec, s[8:9]
	s_mov_b64 s[8:9], 0
	s_cbranch_vccnz .LBB153_1751
; %bb.1741:
	s_cmp_gt_i32 s26, 14
	s_cbranch_scc0 .LBB153_1744
; %bb.1742:
	s_cmp_eq_u32 s26, 15
	s_cbranch_scc0 .LBB153_1747
; %bb.1743:
	global_load_ushort v11, v[0:1], off
	s_mov_b64 s[6:7], 0
	s_mov_b64 s[14:15], -1
	s_waitcnt vmcnt(0)
	v_lshlrev_b32_e32 v11, 16, v11
	v_cvt_f16_f32_e32 v11, v11
	s_branch .LBB153_1748
.LBB153_1744:
	s_mov_b64 s[22:23], -1
                                        ; implicit-def: $vgpr11
	s_branch .LBB153_1749
.LBB153_1745:
	s_or_saveexec_b64 s[14:15], s[14:15]
	v_mov_b32_e32 v11, 0x7e00
	s_xor_b64 exec, exec, s[14:15]
	s_cbranch_execz .LBB153_1726
.LBB153_1746:
	v_cmp_ne_u16_e32 vcc, 0, v13
	s_andn2_b64 s[8:9], s[8:9], exec
	s_and_b64 s[22:23], vcc, exec
	s_or_b64 s[8:9], s[8:9], s[22:23]
	v_mov_b32_e32 v11, v13
	s_or_b64 exec, exec, s[14:15]
	s_and_saveexec_b64 s[14:15], s[8:9]
	s_cbranch_execnz .LBB153_1727
	s_branch .LBB153_1728
.LBB153_1747:
	s_mov_b64 s[6:7], -1
                                        ; implicit-def: $vgpr11
.LBB153_1748:
	s_mov_b64 s[22:23], 0
.LBB153_1749:
	s_and_b64 vcc, exec, s[22:23]
	s_cbranch_vccz .LBB153_1751
; %bb.1750:
	s_cmp_lg_u32 s26, 11
	s_mov_b64 s[8:9], -1
	s_cselect_b64 s[6:7], -1, 0
.LBB153_1751:
	s_and_b64 vcc, exec, s[6:7]
	s_cbranch_vccnz .LBB153_2322
; %bb.1752:
	s_andn2_b64 vcc, exec, s[8:9]
	s_cbranch_vccnz .LBB153_1754
.LBB153_1753:
	global_load_ubyte v11, v[0:1], off
	v_mov_b32_e32 v13, 0x3c00
	s_mov_b64 s[14:15], -1
	s_waitcnt vmcnt(0)
	v_cmp_ne_u16_e32 vcc, 0, v11
	v_cndmask_b32_e32 v11, 0, v13, vcc
.LBB153_1754:
	s_mov_b64 s[6:7], 0
.LBB153_1755:
	s_and_b64 vcc, exec, s[6:7]
	s_cbranch_vccz .LBB153_1804
; %bb.1756:
	s_cmp_lt_i32 s26, 5
	s_cbranch_scc1 .LBB153_1761
; %bb.1757:
	s_cmp_lt_i32 s26, 8
	s_cbranch_scc1 .LBB153_1762
	;; [unrolled: 3-line block ×3, first 2 shown]
; %bb.1759:
	s_cmp_gt_i32 s26, 9
	s_cbranch_scc0 .LBB153_1764
; %bb.1760:
	global_load_dwordx2 v[13:14], v[0:1], off
	s_movk_i32 s6, 0x1ff
	s_movk_i32 s7, 0xffe
	v_mov_b32_e32 v11, 0x7c00
	v_mov_b32_e32 v15, 0x7e00
	s_movk_i32 s8, 0x40f
	s_mov_b32 s9, 0x8000
	s_waitcnt vmcnt(0)
	v_and_or_b32 v13, v14, s6, v13
	v_cmp_ne_u32_e32 vcc, 0, v13
	v_lshrrev_b32_e32 v16, 8, v14
	v_bfe_u32 v17, v14, 20, 11
	v_cndmask_b32_e64 v13, 0, 1, vcc
	v_sub_u32_e32 v18, 0x3f1, v17
	v_and_or_b32 v13, v16, s7, v13
	v_add_u32_e32 v17, 0xfffffc10, v17
	v_med3_i32 v16, v18, 0, 13
	v_or_b32_e32 v18, 0x1000, v13
	v_cmp_ne_u32_e32 vcc, 0, v13
	v_lshl_or_b32 v19, v17, 12, v13
	v_cndmask_b32_e32 v13, v11, v15, vcc
	v_lshrrev_b32_e32 v15, v16, v18
	v_lshlrev_b32_e32 v16, v16, v15
	v_cmp_ne_u32_e32 vcc, v16, v18
	v_cndmask_b32_e64 v16, 0, 1, vcc
	v_or_b32_e32 v15, v15, v16
	v_cmp_gt_i32_e32 vcc, 1, v17
	v_cndmask_b32_e32 v15, v19, v15, vcc
	v_and_b32_e32 v16, 7, v15
	v_cmp_lt_i32_e32 vcc, 5, v16
	v_cndmask_b32_e64 v18, 0, 1, vcc
	v_cmp_eq_u32_e32 vcc, 3, v16
	v_cndmask_b32_e64 v16, 0, 1, vcc
	v_lshrrev_b32_e32 v15, 2, v15
	v_or_b32_e32 v16, v16, v18
	v_add_u32_e32 v15, v15, v16
	v_cmp_gt_i32_e32 vcc, 31, v17
	v_cndmask_b32_e32 v11, v11, v15, vcc
	v_cmp_eq_u32_e32 vcc, s8, v17
	v_lshrrev_b32_e32 v14, 16, v14
	v_cndmask_b32_e32 v11, v11, v13, vcc
	v_and_or_b32 v11, v14, s9, v11
	s_mov_b64 s[6:7], 0
	s_branch .LBB153_1765
.LBB153_1761:
	s_mov_b64 s[6:7], -1
                                        ; implicit-def: $vgpr11
	s_branch .LBB153_1783
.LBB153_1762:
	s_mov_b64 s[6:7], -1
                                        ; implicit-def: $vgpr11
	s_branch .LBB153_1771
.LBB153_1763:
	s_mov_b64 s[6:7], -1
                                        ; implicit-def: $vgpr11
	s_branch .LBB153_1768
.LBB153_1764:
	s_mov_b64 s[6:7], -1
                                        ; implicit-def: $vgpr11
.LBB153_1765:
	s_andn2_b64 vcc, exec, s[6:7]
	s_cbranch_vccnz .LBB153_1767
; %bb.1766:
	global_load_dword v11, v[0:1], off
	s_waitcnt vmcnt(0)
	v_cvt_f16_f32_e32 v11, v11
.LBB153_1767:
	s_mov_b64 s[6:7], 0
.LBB153_1768:
	s_andn2_b64 vcc, exec, s[6:7]
	s_cbranch_vccnz .LBB153_1770
; %bb.1769:
	global_load_dword v11, v[0:1], off
.LBB153_1770:
	s_mov_b64 s[6:7], 0
.LBB153_1771:
	s_andn2_b64 vcc, exec, s[6:7]
	s_cbranch_vccnz .LBB153_1782
; %bb.1772:
	s_cmp_lt_i32 s26, 6
	s_cbranch_scc1 .LBB153_1775
; %bb.1773:
	s_cmp_gt_i32 s26, 6
	s_cbranch_scc0 .LBB153_1776
; %bb.1774:
	global_load_dwordx2 v[13:14], v[0:1], off
	s_movk_i32 s6, 0x1ff
	s_movk_i32 s7, 0xffe
	s_waitcnt vmcnt(1)
	v_mov_b32_e32 v11, 0x7c00
	v_mov_b32_e32 v15, 0x7e00
	s_movk_i32 s8, 0x40f
	s_mov_b32 s9, 0x8000
	s_waitcnt vmcnt(0)
	v_and_or_b32 v13, v14, s6, v13
	v_cmp_ne_u32_e32 vcc, 0, v13
	v_lshrrev_b32_e32 v16, 8, v14
	v_bfe_u32 v17, v14, 20, 11
	v_cndmask_b32_e64 v13, 0, 1, vcc
	v_sub_u32_e32 v18, 0x3f1, v17
	v_and_or_b32 v13, v16, s7, v13
	v_add_u32_e32 v17, 0xfffffc10, v17
	v_med3_i32 v16, v18, 0, 13
	v_or_b32_e32 v18, 0x1000, v13
	v_cmp_ne_u32_e32 vcc, 0, v13
	v_lshl_or_b32 v19, v17, 12, v13
	v_cndmask_b32_e32 v13, v11, v15, vcc
	v_lshrrev_b32_e32 v15, v16, v18
	v_lshlrev_b32_e32 v16, v16, v15
	v_cmp_ne_u32_e32 vcc, v16, v18
	v_cndmask_b32_e64 v16, 0, 1, vcc
	v_or_b32_e32 v15, v15, v16
	v_cmp_gt_i32_e32 vcc, 1, v17
	v_cndmask_b32_e32 v15, v19, v15, vcc
	v_and_b32_e32 v16, 7, v15
	v_cmp_lt_i32_e32 vcc, 5, v16
	v_cndmask_b32_e64 v18, 0, 1, vcc
	v_cmp_eq_u32_e32 vcc, 3, v16
	v_cndmask_b32_e64 v16, 0, 1, vcc
	v_lshrrev_b32_e32 v15, 2, v15
	v_or_b32_e32 v16, v16, v18
	v_add_u32_e32 v15, v15, v16
	v_cmp_gt_i32_e32 vcc, 31, v17
	v_cndmask_b32_e32 v11, v11, v15, vcc
	v_cmp_eq_u32_e32 vcc, s8, v17
	v_lshrrev_b32_e32 v14, 16, v14
	v_cndmask_b32_e32 v11, v11, v13, vcc
	v_and_or_b32 v11, v14, s9, v11
	s_mov_b64 s[6:7], 0
	s_branch .LBB153_1777
.LBB153_1775:
	s_mov_b64 s[6:7], -1
                                        ; implicit-def: $vgpr11
	s_branch .LBB153_1780
.LBB153_1776:
	s_mov_b64 s[6:7], -1
                                        ; implicit-def: $vgpr11
.LBB153_1777:
	s_andn2_b64 vcc, exec, s[6:7]
	s_cbranch_vccnz .LBB153_1779
; %bb.1778:
	global_load_dword v11, v[0:1], off
	s_waitcnt vmcnt(0)
	v_cvt_f16_f32_e32 v11, v11
.LBB153_1779:
	s_mov_b64 s[6:7], 0
.LBB153_1780:
	s_andn2_b64 vcc, exec, s[6:7]
	s_cbranch_vccnz .LBB153_1782
; %bb.1781:
	global_load_ushort v11, v[0:1], off
.LBB153_1782:
	s_mov_b64 s[6:7], 0
.LBB153_1783:
	s_andn2_b64 vcc, exec, s[6:7]
	s_cbranch_vccnz .LBB153_1803
; %bb.1784:
	s_cmp_lt_i32 s26, 2
	s_cbranch_scc1 .LBB153_1788
; %bb.1785:
	s_cmp_lt_i32 s26, 3
	s_cbranch_scc1 .LBB153_1789
; %bb.1786:
	s_cmp_gt_i32 s26, 3
	s_cbranch_scc0 .LBB153_1790
; %bb.1787:
	global_load_dwordx2 v[13:14], v[0:1], off
	s_mov_b64 s[6:7], 0
	s_waitcnt vmcnt(0)
	v_xor_b32_e32 v15, v13, v14
	v_ffbh_i32_e32 v11, v14
	v_ashrrev_i32_e32 v15, 31, v15
	v_add_u32_e32 v11, -1, v11
	v_add_u32_e32 v15, 32, v15
	v_min_u32_e32 v11, v11, v15
	v_lshlrev_b64 v[13:14], v11, v[13:14]
	v_sub_u32_e32 v11, 32, v11
	v_min_u32_e32 v13, 1, v13
	v_or_b32_e32 v13, v14, v13
	v_cvt_f32_i32_e32 v13, v13
	v_ldexp_f32 v11, v13, v11
	v_cvt_f16_f32_e32 v11, v11
	s_branch .LBB153_1791
.LBB153_1788:
	s_mov_b64 s[6:7], -1
                                        ; implicit-def: $vgpr11
	s_branch .LBB153_1797
.LBB153_1789:
	s_mov_b64 s[6:7], -1
                                        ; implicit-def: $vgpr11
	s_branch .LBB153_1794
.LBB153_1790:
	s_mov_b64 s[6:7], -1
                                        ; implicit-def: $vgpr11
.LBB153_1791:
	s_andn2_b64 vcc, exec, s[6:7]
	s_cbranch_vccnz .LBB153_1793
; %bb.1792:
	global_load_dword v11, v[0:1], off
	s_waitcnt vmcnt(0)
	v_cvt_f32_i32_e32 v11, v11
	v_cvt_f16_f32_e32 v11, v11
.LBB153_1793:
	s_mov_b64 s[6:7], 0
.LBB153_1794:
	s_andn2_b64 vcc, exec, s[6:7]
	s_cbranch_vccnz .LBB153_1796
; %bb.1795:
	global_load_ushort v11, v[0:1], off
	s_waitcnt vmcnt(0)
	v_cvt_f16_i16_e32 v11, v11
.LBB153_1796:
	s_mov_b64 s[6:7], 0
.LBB153_1797:
	s_andn2_b64 vcc, exec, s[6:7]
	s_cbranch_vccnz .LBB153_1803
; %bb.1798:
	s_cmp_gt_i32 s26, 0
	s_cbranch_scc0 .LBB153_1800
; %bb.1799:
	global_load_sbyte v11, v[0:1], off
	s_mov_b64 s[6:7], 0
	s_waitcnt vmcnt(0)
	v_cvt_f16_i16_e32 v11, v11
	s_branch .LBB153_1801
.LBB153_1800:
	s_mov_b64 s[6:7], -1
                                        ; implicit-def: $vgpr11
.LBB153_1801:
	s_andn2_b64 vcc, exec, s[6:7]
	s_cbranch_vccnz .LBB153_1803
; %bb.1802:
	global_load_ubyte v0, v[0:1], off
	s_waitcnt vmcnt(0)
	v_cvt_f16_u16_e32 v11, v0
.LBB153_1803:
	s_mov_b64 s[14:15], -1
.LBB153_1804:
	s_andn2_b64 vcc, exec, s[14:15]
	s_cbranch_vccnz .LBB153_2276
; %bb.1805:
	s_waitcnt vmcnt(0)
	v_cvt_f32_f16_e32 v13, v11
	s_mov_b32 s6, 0x3c800000
                                        ; implicit-def: $vgpr14
	v_and_b32_e32 v0, 0x7fffffff, v13
	v_cmp_nlt_f32_e64 s[6:7], |v13|, s6
	s_and_saveexec_b64 s[8:9], s[6:7]
	s_xor_b64 s[8:9], exec, s[8:9]
	s_cbranch_execz .LBB153_1835
; %bb.1806:
	v_cmp_nlt_f32_e64 s[6:7], |v13|, 2.0
                                        ; implicit-def: $vgpr14
	s_and_saveexec_b64 s[14:15], s[6:7]
	s_xor_b64 s[14:15], exec, s[14:15]
	s_cbranch_execz .LBB153_1816
; %bb.1807:
	s_mov_b32 s6, 0x41000000
	v_cmp_nlt_f32_e64 s[6:7], |v13|, s6
                                        ; implicit-def: $vgpr14
	s_and_saveexec_b64 s[22:23], s[6:7]
	s_xor_b64 s[22:23], exec, s[22:23]
	s_cbranch_execz .LBB153_1813
; %bb.1808:
	s_mov_b32 s6, 0x5c800000
	v_cmp_nlt_f32_e64 s[6:7], |v13|, s6
                                        ; implicit-def: $vgpr14
	s_and_saveexec_b64 s[24:25], s[6:7]
	s_xor_b64 s[24:25], exec, s[24:25]
	s_cbranch_execz .LBB153_1810
; %bb.1809:
	s_mov_b32 s6, 0x800000
	v_cmp_lt_f32_e64 vcc, |v13|, s6
	v_cndmask_b32_e64 v1, 0, 32, vcc
	v_ldexp_f32 v1, |v13|, v1
	v_log_f32_e32 v1, v1
	s_mov_b32 s6, 0x3f317217
	s_mov_b32 s7, 0x7f800000
	v_mul_f32_e32 v14, 0x3f317217, v1
	v_fma_f32 v15, v1, s6, -v14
	v_fmac_f32_e32 v15, 0x3377d1cf, v1
	v_add_f32_e32 v14, v14, v15
	v_cmp_lt_f32_e64 s[6:7], |v1|, s7
	v_cndmask_b32_e64 v1, v1, v14, s[6:7]
	v_mov_b32_e32 v14, 0x41b17218
	v_cndmask_b32_e32 v14, 0, v14, vcc
	v_sub_f32_e32 v1, v1, v14
	v_fma_f32 v14, |v13|, v1, -|v13|
.LBB153_1810:
	s_andn2_saveexec_b64 s[24:25], s[24:25]
	s_cbranch_execz .LBB153_1812
; %bb.1811:
	v_rcp_f32_e64 v1, |v13|
	v_mov_b32_e32 v14, 0x3a5b3dd2
	v_mov_b32_e32 v15, 0xba1c065c
	;; [unrolled: 1-line block ×3, first 2 shown]
	v_mul_f32_e32 v17, v1, v1
	v_fmac_f32_e32 v14, 0xbad5c4e8, v17
	v_fmac_f32_e32 v15, v17, v14
	s_mov_b32 s6, 0x800000
	v_fmac_f32_e32 v16, v17, v15
	v_mov_b32_e32 v14, 0xbb360b61
	v_cmp_lt_f32_e64 vcc, |v13|, s6
	v_fmac_f32_e32 v14, v17, v16
	v_cndmask_b32_e64 v16, 0, 32, vcc
	v_ldexp_f32 v16, |v13|, v16
	v_log_f32_e32 v16, v16
	v_mov_b32_e32 v15, 0x3daaaaab
	v_fmac_f32_e32 v15, v17, v14
	v_mov_b32_e32 v14, 0x3ed67f1d
	v_fmac_f32_e32 v14, v1, v15
	s_mov_b32 s6, 0x3f317217
	v_mul_f32_e32 v15, 0x3f317217, v16
	v_fma_f32 v17, v16, s6, -v15
	v_fmac_f32_e32 v17, 0x3377d1cf, v16
	s_mov_b32 s6, 0x7f800000
	v_add_f32_e32 v15, v15, v17
	v_cmp_lt_f32_e64 s[6:7], |v16|, s6
	v_cndmask_b32_e64 v15, v16, v15, s[6:7]
	v_mov_b32_e32 v16, 0x41b17218
	v_cndmask_b32_e32 v16, 0, v16, vcc
	v_sub_f32_e32 v15, v15, v16
	v_add_f32_e64 v1, |v13|, -0.5
	v_add_f32_e32 v15, -1.0, v15
	v_fmac_f32_e32 v14, v1, v15
.LBB153_1812:
	s_or_b64 exec, exec, s[24:25]
.LBB153_1813:
	s_andn2_saveexec_b64 s[22:23], s[22:23]
	s_cbranch_execz .LBB153_1815
; %bb.1814:
	v_cvt_i32_f32_e32 v1, v0
	v_mov_b32_e32 v14, 0x3af135b4
	v_mov_b32_e32 v15, 0x3cda40e4
	;; [unrolled: 1-line block ×3, first 2 shown]
	v_cvt_f32_i32_e32 v17, v1
	v_mov_b32_e32 v18, 0x3ea6cc7a
	v_mov_b32_e32 v19, 0x3e5c245a
	v_cmp_lt_i32_e32 vcc, 2, v1
	v_sub_f32_e64 v17, |v13|, v17
	v_fmac_f32_e32 v14, 0x3805ff67, v17
	v_fmac_f32_e32 v15, v17, v14
	;; [unrolled: 1-line block ×3, first 2 shown]
	v_mov_b32_e32 v15, 0x3a4beed6
	v_fmac_f32_e32 v18, v17, v16
	v_fmac_f32_e32 v15, 0x36f5d7bd, v17
	v_mov_b32_e32 v16, 0x3c98bf54
	v_fmac_f32_e32 v16, v17, v15
	v_mov_b32_e32 v15, 0x3e300f6e
	;; [unrolled: 2-line block ×4, first 2 shown]
	v_fmac_f32_e32 v15, v17, v16
	v_add_f32_e32 v16, 2.0, v17
	v_mov_b32_e32 v20, 0xbd9e233f
	v_fmac_f32_e32 v19, v17, v18
	v_add_f32_e32 v18, 0x40400000, v17
	v_cndmask_b32_e32 v16, 1.0, v16, vcc
	v_cmp_lt_i32_e32 vcc, 3, v1
	v_fmac_f32_e32 v20, v17, v19
	v_add_f32_e32 v19, 4.0, v17
	v_cndmask_b32_e32 v18, 1.0, v18, vcc
	v_cmp_lt_i32_e32 vcc, 4, v1
	v_mul_f32_e32 v14, v17, v20
	v_add_f32_e32 v20, 0x40a00000, v17
	v_mul_f32_e32 v16, v16, v18
	v_cndmask_b32_e32 v18, 1.0, v19, vcc
	v_cmp_lt_i32_e32 vcc, 5, v1
	v_add_f32_e32 v21, 0x40c00000, v17
	v_mul_f32_e32 v16, v18, v16
	v_cndmask_b32_e32 v18, 1.0, v20, vcc
	v_cmp_lt_i32_e32 vcc, 6, v1
	v_mul_f32_e32 v16, v18, v16
	v_cndmask_b32_e32 v1, 1.0, v21, vcc
	v_mul_f32_e32 v1, v1, v16
	s_mov_b32 s6, 0x800000
	v_cmp_gt_f32_e32 vcc, s6, v1
	v_cndmask_b32_e64 v16, 0, 32, vcc
	v_fma_f32 v15, v17, v15, 1.0
	v_ldexp_f32 v1, v1, v16
	v_rcp_f32_e32 v15, v15
	v_log_f32_e32 v1, v1
	s_mov_b32 s6, 0x3f317217
	v_mul_f32_e32 v14, v14, v15
	v_mul_f32_e32 v15, 0x3f317217, v1
	v_fma_f32 v16, v1, s6, -v15
	v_fmac_f32_e32 v16, 0x3377d1cf, v1
	s_mov_b32 s6, 0x7f800000
	v_add_f32_e32 v15, v15, v16
	v_cmp_lt_f32_e64 s[6:7], |v1|, s6
	v_cndmask_b32_e64 v1, v1, v15, s[6:7]
	v_mov_b32_e32 v15, 0x41b17218
	v_cndmask_b32_e32 v15, 0, v15, vcc
	v_fmac_f32_e32 v14, 0.5, v17
	v_sub_f32_e32 v1, v1, v15
	v_add_f32_e32 v14, v1, v14
.LBB153_1815:
	s_or_b64 exec, exec, s[22:23]
.LBB153_1816:
	s_andn2_saveexec_b64 s[14:15], s[14:15]
	s_cbranch_execz .LBB153_1834
; %bb.1817:
	s_mov_b32 s6, 0x3f666666
	v_cmp_le_f32_e64 s[6:7], |v13|, s6
                                        ; implicit-def: $vgpr14
                                        ; implicit-def: $vgpr15
                                        ; implicit-def: $vgpr1
	s_and_saveexec_b64 s[22:23], s[6:7]
	s_xor_b64 s[22:23], exec, s[22:23]
	s_cbranch_execz .LBB153_1819
; %bb.1818:
	s_mov_b32 s6, 0x800000
	v_cmp_lt_f32_e64 vcc, |v13|, s6
	v_cndmask_b32_e64 v1, 0, 32, vcc
	v_ldexp_f32 v1, |v13|, v1
	v_log_f32_e32 v1, v1
	s_mov_b32 s6, 0x3f317217
	s_mov_b32 s7, 0x7f800000
	v_mul_f32_e32 v14, 0x3f317217, v1
	v_fma_f32 v15, v1, s6, -v14
	v_fmac_f32_e32 v15, 0x3377d1cf, v1
	v_add_f32_e32 v14, v14, v15
	v_cmp_lt_f32_e64 s[6:7], |v1|, s7
	v_cndmask_b32_e64 v1, v1, v14, s[6:7]
	v_mov_b32_e32 v14, 0x41b17218
	v_cndmask_b32_e32 v14, 0, v14, vcc
	v_sub_f32_e32 v1, v1, v14
	s_mov_b32 s6, 0x3f3b4a23
	s_mov_b32 s7, 0xbeec5b0c
	v_xor_b32_e32 v14, 0x80000000, v1
	v_sub_f32_e64 v1, 1.0, |v13|
	v_add_f32_e64 v15, |v13|, s7
	v_cmp_lt_f32_e64 vcc, |v13|, s6
	s_mov_b32 s6, 0x3e6d3309
	v_cndmask_b32_e32 v1, v1, v15, vcc
	v_cndmask_b32_e64 v15, 0, 1, vcc
	v_cmp_lt_f32_e64 s[6:7], |v13|, s6
	v_cndmask_b32_e64 v1, v1, |v13|, s[6:7]
	v_cndmask_b32_e64 v15, v15, 2, s[6:7]
.LBB153_1819:
	s_andn2_saveexec_b64 s[6:7], s[22:23]
	s_cbranch_execz .LBB153_1821
; %bb.1820:
	s_mov_b32 s11, 0x3fdda512
	s_mov_b32 s22, 0xbfbb16c3
	v_sub_f32_e64 v1, 2.0, |v13|
	v_add_f32_e64 v14, |v13|, s22
	v_cmp_lt_f32_e64 vcc, |v13|, s11
	v_cndmask_b32_e32 v14, v1, v14, vcc
	v_cndmask_b32_e64 v1, v1, 1.0, vcc
	v_cvt_i32_f32_e32 v15, v1
	s_mov_b32 s11, 0x3f9d70a4
	v_add_f32_e64 v1, |v13|, -1.0
	v_cmp_lt_f32_e64 vcc, |v13|, s11
	v_cndmask_b32_e32 v1, v14, v1, vcc
	v_cndmask_b32_e64 v15, v15, 2, vcc
	v_mov_b32_e32 v14, 0
.LBB153_1821:
	s_or_b64 exec, exec, s[6:7]
	v_cmp_lt_i32_e32 vcc, 0, v15
	s_and_saveexec_b64 s[6:7], vcc
	s_xor_b64 s[6:7], exec, s[6:7]
	s_cbranch_execz .LBB153_1829
; %bb.1822:
	v_cmp_lt_i32_e32 vcc, 1, v15
	s_and_saveexec_b64 s[22:23], vcc
	s_xor_b64 s[22:23], exec, s[22:23]
	s_cbranch_execz .LBB153_1826
; %bb.1823:
	v_cmp_eq_u32_e32 vcc, 2, v15
	s_and_saveexec_b64 s[24:25], vcc
	s_cbranch_execz .LBB153_1825
; %bb.1824:
	v_mov_b32_e32 v15, 0x3e6a7578
	v_fmac_f32_e32 v15, 0x3c5b3c5e, v1
	v_mov_b32_e32 v16, 0x3f7a4bb2
	v_fmac_f32_e32 v16, v1, v15
	;; [unrolled: 2-line block ×8, first 2 shown]
	v_fma_f32 v15, v1, v17, 1.0
	v_rcp_f32_e32 v15, v15
	v_mov_b32_e32 v17, 0xbd9e233f
	v_fmac_f32_e32 v17, v1, v16
	v_mul_f32_e32 v16, v1, v17
	v_mul_f32_e32 v15, v16, v15
	v_fmac_f32_e32 v15, -0.5, v1
	v_add_f32_e32 v14, v14, v15
.LBB153_1825:
	s_or_b64 exec, exec, s[24:25]
                                        ; implicit-def: $vgpr1
.LBB153_1826:
	s_andn2_saveexec_b64 s[22:23], s[22:23]
	s_cbranch_execz .LBB153_1828
; %bb.1827:
	v_mul_f32_e32 v15, v1, v1
	v_mul_f32_e32 v16, v1, v15
	v_mov_b32_e32 v17, 0xbab7f476
	v_fmac_f32_e32 v17, 0x39a57b6b, v16
	v_mov_b32_e32 v18, 0x3bc7e707
	v_fmac_f32_e32 v18, v16, v17
	v_mov_b32_e32 v17, 0xbd064d47
	v_fmac_f32_e32 v17, v16, v18
	v_mov_b32_e32 v18, 0x3ef7b95e
	v_fmac_f32_e32 v18, v16, v17
	v_mov_b32_e32 v17, 0x3a66f867
	v_fmac_f32_e32 v17, 0xb9a3f927, v16
	v_mov_b32_e32 v19, 0xbb7177fe
	v_fmac_f32_e32 v19, v16, v17
	v_mov_b32_e32 v17, 0x3c93373d
	v_fmac_f32_e32 v17, v16, v19
	v_mov_b32_e32 v19, 0xbe17213c
	v_fmac_f32_e32 v19, v16, v17
	v_mov_b32_e32 v17, 0xba0d3085
	v_fmac_f32_e32 v17, 0x39afe9f7, v16
	v_mov_b32_e32 v20, 0x3b141699
	v_fmac_f32_e32 v20, v16, v17
	v_mov_b32_e32 v17, 0xbc28fcfe
	v_fmac_f32_e32 v17, v16, v20
	v_mov_b32_e32 v20, 0x3d845a15
	v_fmac_f32_e32 v20, v16, v17
	v_fmac_f32_e32 v19, v1, v20
	s_mov_b32 s11, 0xa2863e55
	v_fma_f32 v1, v16, -v19, s11
	v_fma_f32 v1, v15, v18, -v1
	v_add_f32_e32 v1, 0xbdf8cdce, v1
	v_add_f32_e32 v14, v14, v1
.LBB153_1828:
	s_or_b64 exec, exec, s[22:23]
                                        ; implicit-def: $vgpr15
                                        ; implicit-def: $vgpr1
.LBB153_1829:
	s_andn2_saveexec_b64 s[6:7], s[6:7]
	s_cbranch_execz .LBB153_1833
; %bb.1830:
	v_cmp_eq_u32_e32 vcc, 0, v15
	s_and_saveexec_b64 s[22:23], vcc
	s_cbranch_execz .LBB153_1832
; %bb.1831:
	v_mul_f32_e32 v15, v1, v1
	v_mov_b32_e32 v16, 0x39679767
	v_fmac_f32_e32 v16, 0x37d383a2, v15
	v_mov_b32_e32 v17, 0x3a9c54a1
	v_fmac_f32_e32 v17, v15, v16
	;; [unrolled: 2-line block ×10, first 2 shown]
	v_mul_f32_e32 v15, v15, v17
	v_fmac_f32_e32 v15, v1, v16
	v_fmac_f32_e32 v15, -0.5, v1
	v_add_f32_e32 v14, v14, v15
.LBB153_1832:
	s_or_b64 exec, exec, s[22:23]
.LBB153_1833:
	s_or_b64 exec, exec, s[6:7]
.LBB153_1834:
	s_or_b64 exec, exec, s[14:15]
.LBB153_1835:
	s_andn2_saveexec_b64 s[8:9], s[8:9]
	s_cbranch_execz .LBB153_1837
; %bb.1836:
	s_mov_b32 s6, 0x3e8a8991
	v_mov_b32_e32 v1, 0xbecd26ab
	v_fma_f32 v1, |v13|, s6, v1
	s_mov_b32 s6, 0x3f528d33
	v_fma_f32 v1, |v13|, v1, s6
	s_mov_b32 s6, 0x800000
	v_cmp_lt_f32_e64 vcc, |v13|, s6
	v_cndmask_b32_e64 v14, 0, 32, vcc
	v_ldexp_f32 v14, |v13|, v14
	v_log_f32_e32 v14, v14
	s_mov_b32 s6, 0xbf13c468
	v_fma_f32 v1, |v13|, v1, s6
	s_mov_b32 s6, 0x3f317217
	v_mul_f32_e32 v15, 0x3f317217, v14
	v_fma_f32 v16, v14, s6, -v15
	v_fmac_f32_e32 v16, 0x3377d1cf, v14
	s_mov_b32 s6, 0x7f800000
	v_add_f32_e32 v15, v15, v16
	v_cmp_lt_f32_e64 s[6:7], |v14|, s6
	v_cndmask_b32_e64 v14, v14, v15, s[6:7]
	v_mov_b32_e32 v15, 0x41b17218
	v_cndmask_b32_e32 v15, 0, v15, vcc
	v_sub_f32_e32 v14, v14, v15
	v_fma_f32 v14, |v13|, v1, -v14
.LBB153_1837:
	s_or_b64 exec, exec, s[8:9]
	v_cmp_le_f16_e64 s[6:7], 0, v11
	v_cmp_nle_f16_e32 vcc, 0, v11
	s_and_saveexec_b64 s[8:9], vcc
	s_xor_b64 s[14:15], exec, s[8:9]
	s_cbranch_execz .LBB153_1841
; %bb.1838:
	s_mov_b32 s8, 0x4b000000
	s_mov_b32 s11, 0x35000000
	v_cmp_lt_f32_e64 s[8:9], |v13|, s8
	v_cmp_gt_f32_e64 s[22:23], |v13|, s11
	s_and_b64 s[8:9], s[8:9], s[22:23]
	s_and_saveexec_b64 s[22:23], s[8:9]
	s_cbranch_execz .LBB153_1840
; %bb.1839:
	v_mul_f32_e64 v1, |v13|, 0.5
	v_floor_f32_e32 v15, v1
	v_sub_f32_e32 v15, v1, v15
	v_min_f32_e32 v15, 0x3f7fffff, v15
	s_mov_b32 s11, 0x7f800000
	v_add_f32_e32 v15, v15, v15
	v_cmp_neq_f32_e32 vcc, s11, v1
	v_cndmask_b32_e32 v1, 0, v15, vcc
	v_cmp_gt_f32_e64 s[8:9], |v13|, 1.0
	v_cndmask_b32_e64 v1, |v13|, v1, s[8:9]
	v_add_f32_e32 v15, v1, v1
	v_rndne_f32_e32 v15, v15
	v_fmac_f32_e32 v1, -0.5, v15
	v_mul_f32_e32 v16, v1, v1
	v_mov_b32_e32 v17, 0xbf1f24be
	v_fmac_f32_e32 v17, 0x3e75aa41, v16
	v_mov_b32_e32 v18, 0x40234736
	v_fmac_f32_e32 v18, v16, v17
	;; [unrolled: 2-line block ×3, first 2 shown]
	v_mul_f32_e32 v18, v1, v16
	v_mul_f32_e32 v17, v18, v17
	v_fmac_f32_e32 v17, 0x40490fdb, v1
	v_mov_b32_e32 v1, 0x3e642e9d
	v_cvt_i32_f32_e32 v15, v15
	v_fmac_f32_e32 v1, 0x3d4be544, v16
	v_mov_b32_e32 v18, 0xbfaad1da
	v_fmac_f32_e32 v18, v16, v1
	v_mov_b32_e32 v1, 0x4081e0d3
	;; [unrolled: 2-line block ×3, first 2 shown]
	v_fmac_f32_e32 v18, v16, v1
	v_fma_f32 v1, v16, v18, 1.0
	v_and_b32_e32 v16, 1, v15
	v_lshlrev_b32_e32 v15, 30, v15
	v_cmp_eq_u32_e32 vcc, 0, v16
	v_and_b32_e32 v15, 0x80000000, v15
	v_xor_b32_e32 v0, v0, v13
	v_cndmask_b32_e32 v1, v1, v17, vcc
	v_xor_b32_e32 v0, v0, v15
	v_xor_b32_e32 v0, v0, v1
	v_mul_f32_e32 v0, v13, v0
	v_frexp_mant_f32_e64 v1, |v0|
	v_rcp_f32_e32 v1, v1
	v_frexp_exp_i32_f32_e32 v0, v0
	v_sub_u32_e32 v0, 2, v0
	s_mov_b32 s8, 0x800000
	v_mul_f32_e32 v1, 0x3f490fdb, v1
	v_ldexp_f32 v0, v1, v0
	v_cmp_gt_f32_e32 vcc, s8, v0
	v_cndmask_b32_e64 v1, 0, 32, vcc
	v_ldexp_f32 v0, v0, v1
	v_log_f32_e32 v0, v0
	s_mov_b32 s8, 0x3f317217
	v_mul_f32_e32 v1, 0x3f317217, v0
	v_fma_f32 v15, v0, s8, -v1
	v_fmac_f32_e32 v15, 0x3377d1cf, v0
	v_add_f32_e32 v1, v1, v15
	v_cmp_lt_f32_e64 s[8:9], |v0|, s11
	v_cndmask_b32_e64 v0, v0, v1, s[8:9]
	v_mov_b32_e32 v1, 0x41b17218
	v_cndmask_b32_e32 v1, 0, v1, vcc
	v_sub_f32_e32 v0, v0, v1
	v_floor_f32_e32 v1, v13
	v_sub_f32_e32 v1, v13, v1
	v_min_f32_e32 v1, 0x3f7fffff, v1
	v_sub_f32_e32 v0, v0, v14
	v_mov_b32_e32 v14, 0x7f800000
	v_cmp_neq_f32_e32 vcc, 0, v1
	v_cndmask_b32_e32 v14, v14, v0, vcc
.LBB153_1840:
	s_or_b64 exec, exec, s[22:23]
.LBB153_1841:
	s_andn2_saveexec_b64 s[14:15], s[14:15]
; %bb.1842:
	v_cmp_eq_f16_e32 vcc, 1.0, v11
	v_cmp_eq_f16_e64 s[8:9], 2.0, v11
	s_or_b64 s[8:9], vcc, s[8:9]
	v_cndmask_b32_e64 v14, v14, 0, s[8:9]
; %bb.1843:
	s_or_b64 exec, exec, s[14:15]
	v_cvt_f16_f32_e32 v1, v6
	s_mov_b32 s8, 0x4b000000
	v_cmp_lt_f32_e64 s[8:9], |v4|, s8
	v_mul_lo_u32 v2, s10, v2
	v_mov_b32_e32 v0, 0x264
	v_mov_b32_e32 v6, 0x7c00
	s_or_b64 vcc, s[0:1], s[8:9]
	v_cndmask_b32_e32 v1, v6, v1, vcc
	v_cmp_class_f32_e32 vcc, v4, v0
	v_cndmask_b32_e32 v0, v1, v6, vcc
	v_cmp_u_f16_e32 vcc, v3, v3
	v_cndmask_b32_e32 v3, v0, v3, vcc
	v_ashrrev_i32_e32 v1, 31, v2
	v_mov_b32_e32 v4, s13
	s_and_b32 s26, s33, 0xff
	v_add_co_u32_e32 v0, vcc, s12, v2
	s_cmp_lt_i32 s26, 11
	v_addc_co_u32_e32 v1, vcc, v4, v1, vcc
	s_cbranch_scc1 .LBB153_1921
; %bb.1844:
	s_and_b32 s11, 0xffff, s26
	s_mov_b64 s[22:23], -1
	s_mov_b64 s[8:9], 0
	s_cmp_gt_i32 s11, 25
	s_mov_b64 s[14:15], 0
	s_mov_b64 s[0:1], 0
	s_cbranch_scc0 .LBB153_1877
; %bb.1845:
	s_cmp_gt_i32 s11, 28
	s_cbranch_scc0 .LBB153_1860
; %bb.1846:
	s_cmp_gt_i32 s11, 43
	;; [unrolled: 3-line block ×3, first 2 shown]
	s_cbranch_scc0 .LBB153_1850
; %bb.1848:
	s_mov_b64 s[0:1], -1
	s_mov_b64 s[22:23], 0
	s_cmp_eq_u32 s11, 46
	s_cbranch_scc0 .LBB153_1850
; %bb.1849:
	v_cvt_f32_f16_e32 v4, v3
	s_movk_i32 s0, 0x7fff
	v_cmp_o_f16_e32 vcc, v3, v3
	v_mov_b32_e32 v6, 0x7fc0
	v_bfe_u32 v15, v4, 16, 1
	v_add3_u32 v4, v4, v15, s0
	v_cndmask_b32_sdwa v4, v6, v4, vcc dst_sel:DWORD dst_unused:UNUSED_PAD src0_sel:DWORD src1_sel:WORD_1
	global_store_dword v[0:1], v4, off
	s_mov_b64 s[0:1], 0
	s_mov_b64 s[14:15], -1
.LBB153_1850:
	s_and_b64 vcc, exec, s[22:23]
	s_cbranch_vccz .LBB153_1855
; %bb.1851:
	s_cmp_eq_u32 s11, 44
	s_mov_b64 s[0:1], -1
	s_cbranch_scc0 .LBB153_1855
; %bb.1852:
	v_cvt_f32_f16_e32 v4, v3
	s_movk_i32 s0, 0xff
	v_mov_b32_e32 v15, 0xff
	v_bfe_u32 v6, v4, 23, 8
	v_cmp_ne_u32_e32 vcc, s0, v6
	s_and_saveexec_b64 s[14:15], vcc
; %bb.1853:
	s_mov_b32 s0, 0x3fffff
	v_lshrrev_b32_e32 v15, 23, v4
	v_and_b32_e32 v16, 0x400000, v4
	v_and_or_b32 v4, v4, s0, v6
	v_cmp_ne_u32_e32 vcc, 0, v16
	v_cmp_ne_u32_e64 s[0:1], 0, v4
	s_and_b64 s[0:1], vcc, s[0:1]
	v_cndmask_b32_e64 v4, 0, 1, s[0:1]
	v_add_u32_e32 v15, v15, v4
; %bb.1854:
	s_or_b64 exec, exec, s[14:15]
	s_mov_b64 s[0:1], 0
	s_mov_b64 s[14:15], -1
	global_store_byte v[0:1], v15, off
.LBB153_1855:
	s_mov_b64 s[22:23], 0
.LBB153_1856:
	s_and_b64 vcc, exec, s[22:23]
	s_cbranch_vccz .LBB153_1859
; %bb.1857:
	s_cmp_eq_u32 s11, 29
	s_mov_b64 s[0:1], -1
	s_cbranch_scc0 .LBB153_1859
; %bb.1858:
	v_cvt_f32_f16_e32 v4, v3
	v_mov_b32_e32 v16, 0
	s_mov_b64 s[0:1], 0
	s_mov_b64 s[14:15], -1
	v_cvt_u32_f32_e32 v15, v4
	global_store_dwordx2 v[0:1], v[15:16], off
.LBB153_1859:
	s_mov_b64 s[22:23], 0
.LBB153_1860:
	s_and_b64 vcc, exec, s[22:23]
	s_cbranch_vccz .LBB153_1876
; %bb.1861:
	s_cmp_lt_i32 s11, 27
	s_mov_b64 s[14:15], -1
	s_cbranch_scc1 .LBB153_1867
; %bb.1862:
	s_cmp_gt_i32 s11, 27
	s_cbranch_scc0 .LBB153_1864
; %bb.1863:
	v_cvt_f32_f16_e32 v4, v3
	s_mov_b64 s[14:15], 0
	v_cvt_u32_f32_e32 v4, v4
	global_store_dword v[0:1], v4, off
.LBB153_1864:
	s_andn2_b64 vcc, exec, s[14:15]
	s_cbranch_vccnz .LBB153_1866
; %bb.1865:
	v_cvt_u16_f16_e32 v4, v3
	global_store_short v[0:1], v4, off
.LBB153_1866:
	s_mov_b64 s[14:15], 0
.LBB153_1867:
	s_andn2_b64 vcc, exec, s[14:15]
	s_cbranch_vccnz .LBB153_1875
; %bb.1868:
	v_cvt_f32_f16_e32 v4, v3
	s_mov_b32 s14, 0x43800000
	v_mov_b32_e32 v15, 0x80
	v_and_b32_e32 v6, 0x7fffffff, v4
	v_cmp_gt_u32_e32 vcc, s14, v6
	s_and_saveexec_b64 s[14:15], vcc
	s_cbranch_execz .LBB153_1874
; %bb.1869:
	s_mov_b32 s22, 0x3bffffff
	v_cmp_lt_u32_e32 vcc, s22, v6
	s_mov_b64 s[22:23], 0
                                        ; implicit-def: $vgpr6
	s_and_saveexec_b64 s[24:25], vcc
	s_xor_b64 s[24:25], exec, s[24:25]
	s_cbranch_execz .LBB153_2323
; %bb.1870:
	v_bfe_u32 v6, v4, 20, 1
	s_mov_b32 s27, 0x487ffff
	v_add3_u32 v6, v4, v6, s27
	s_mov_b64 s[22:23], exec
	v_lshrrev_b32_e32 v6, 20, v6
	s_andn2_saveexec_b64 s[24:25], s[24:25]
	s_cbranch_execnz .LBB153_2324
.LBB153_1871:
	s_or_b64 exec, exec, s[24:25]
	v_mov_b32_e32 v15, 0
	s_and_saveexec_b64 s[24:25], s[22:23]
.LBB153_1872:
	v_lshrrev_b32_e32 v4, 24, v4
	s_movk_i32 s22, 0x80
	v_and_or_b32 v15, v4, s22, v6
.LBB153_1873:
	s_or_b64 exec, exec, s[24:25]
.LBB153_1874:
	s_or_b64 exec, exec, s[14:15]
	global_store_byte v[0:1], v15, off
.LBB153_1875:
	s_mov_b64 s[14:15], -1
.LBB153_1876:
	s_mov_b64 s[22:23], 0
.LBB153_1877:
	s_and_b64 vcc, exec, s[22:23]
	s_cbranch_vccz .LBB153_1917
; %bb.1878:
	s_cmp_gt_i32 s11, 22
	s_mov_b64 s[8:9], -1
	s_cbranch_scc0 .LBB153_1910
; %bb.1879:
	s_cmp_lt_i32 s11, 24
	s_cbranch_scc1 .LBB153_1899
; %bb.1880:
	s_cmp_gt_i32 s11, 24
	s_cbranch_scc0 .LBB153_1888
; %bb.1881:
	v_cvt_f32_f16_e32 v4, v3
	s_mov_b32 s8, 0x47800000
	v_mov_b32_e32 v15, 0x80
	v_and_b32_e32 v6, 0x7fffffff, v4
	v_cmp_gt_u32_e32 vcc, s8, v6
	s_and_saveexec_b64 s[8:9], vcc
	s_cbranch_execz .LBB153_1887
; %bb.1882:
	s_mov_b32 s14, 0x37ffffff
	v_cmp_lt_u32_e32 vcc, s14, v6
	s_mov_b64 s[14:15], 0
                                        ; implicit-def: $vgpr6
	s_and_saveexec_b64 s[22:23], vcc
	s_xor_b64 s[22:23], exec, s[22:23]
	s_cbranch_execz .LBB153_2326
; %bb.1883:
	v_bfe_u32 v6, v4, 21, 1
	s_mov_b32 s24, 0x88fffff
	v_add3_u32 v6, v4, v6, s24
	s_mov_b64 s[14:15], exec
	v_lshrrev_b32_e32 v6, 21, v6
	s_andn2_saveexec_b64 s[22:23], s[22:23]
	s_cbranch_execnz .LBB153_2327
.LBB153_1884:
	s_or_b64 exec, exec, s[22:23]
	v_mov_b32_e32 v15, 0
	s_and_saveexec_b64 s[22:23], s[14:15]
.LBB153_1885:
	v_lshrrev_b32_e32 v4, 24, v4
	s_movk_i32 s14, 0x80
	v_and_or_b32 v15, v4, s14, v6
.LBB153_1886:
	s_or_b64 exec, exec, s[22:23]
.LBB153_1887:
	s_or_b64 exec, exec, s[8:9]
	s_mov_b64 s[8:9], 0
	global_store_byte v[0:1], v15, off
.LBB153_1888:
	s_and_b64 vcc, exec, s[8:9]
	s_cbranch_vccz .LBB153_1898
; %bb.1889:
	v_cvt_f32_f16_e32 v4, v3
	s_mov_b32 s8, 0x43f00000
                                        ; implicit-def: $vgpr6
	v_and_b32_e32 v15, 0x7fffffff, v4
	v_cmp_gt_u32_e32 vcc, s8, v15
	s_and_saveexec_b64 s[8:9], vcc
	s_xor_b64 s[8:9], exec, s[8:9]
	s_cbranch_execz .LBB153_1895
; %bb.1890:
	s_mov_b32 s14, 0x3c7fffff
	v_cmp_lt_u32_e32 vcc, s14, v15
                                        ; implicit-def: $vgpr6
	s_and_saveexec_b64 s[14:15], vcc
	s_xor_b64 s[14:15], exec, s[14:15]
; %bb.1891:
	v_bfe_u32 v6, v4, 20, 1
	s_mov_b32 s22, 0x407ffff
	v_add3_u32 v6, v4, v6, s22
	v_lshrrev_b32_e32 v15, 20, v6
	v_and_b32_e32 v6, 0xff00000, v6
	s_mov_b32 s22, 0x7f00000
	v_mov_b32_e32 v16, 0x7e
	v_cmp_ne_u32_e32 vcc, s22, v6
	v_cndmask_b32_e32 v6, v16, v15, vcc
; %bb.1892:
	s_andn2_saveexec_b64 s[14:15], s[14:15]
; %bb.1893:
	s_mov_b32 s22, 0x46800000
	v_add_f32_e64 v6, |v4|, s22
; %bb.1894:
	s_or_b64 exec, exec, s[14:15]
                                        ; implicit-def: $vgpr15
.LBB153_1895:
	s_andn2_saveexec_b64 s[8:9], s[8:9]
; %bb.1896:
	s_mov_b32 s14, 0x7f800000
	v_mov_b32_e32 v6, 0x7e
	v_mov_b32_e32 v16, 0x7f
	v_cmp_lt_u32_e32 vcc, s14, v15
	v_cndmask_b32_e32 v6, v6, v16, vcc
; %bb.1897:
	s_or_b64 exec, exec, s[8:9]
	v_lshrrev_b32_e32 v4, 24, v4
	s_movk_i32 s8, 0x80
	v_and_or_b32 v4, v4, s8, v6
	global_store_byte v[0:1], v4, off
.LBB153_1898:
	s_mov_b64 s[8:9], 0
.LBB153_1899:
	s_andn2_b64 vcc, exec, s[8:9]
	s_cbranch_vccnz .LBB153_1909
; %bb.1900:
	v_cvt_f32_f16_e32 v4, v3
	s_mov_b32 s8, 0x47800000
                                        ; implicit-def: $vgpr6
	v_and_b32_e32 v15, 0x7fffffff, v4
	v_cmp_gt_u32_e32 vcc, s8, v15
	s_and_saveexec_b64 s[8:9], vcc
	s_xor_b64 s[8:9], exec, s[8:9]
	s_cbranch_execz .LBB153_1906
; %bb.1901:
	s_mov_b32 s14, 0x387fffff
	v_cmp_lt_u32_e32 vcc, s14, v15
                                        ; implicit-def: $vgpr6
	s_and_saveexec_b64 s[14:15], vcc
	s_xor_b64 s[14:15], exec, s[14:15]
; %bb.1902:
	v_bfe_u32 v6, v4, 21, 1
	s_mov_b32 s22, 0x80fffff
	v_add3_u32 v6, v4, v6, s22
	v_lshrrev_b32_e32 v6, 21, v6
; %bb.1903:
	s_andn2_saveexec_b64 s[14:15], s[14:15]
; %bb.1904:
	s_mov_b32 s22, 0x43000000
	v_add_f32_e64 v6, |v4|, s22
; %bb.1905:
	s_or_b64 exec, exec, s[14:15]
                                        ; implicit-def: $vgpr15
.LBB153_1906:
	s_andn2_saveexec_b64 s[8:9], s[8:9]
; %bb.1907:
	s_mov_b32 s14, 0x7f800000
	v_mov_b32_e32 v6, 0x7c
	v_mov_b32_e32 v16, 0x7f
	v_cmp_lt_u32_e32 vcc, s14, v15
	v_cndmask_b32_e32 v6, v6, v16, vcc
; %bb.1908:
	s_or_b64 exec, exec, s[8:9]
	v_lshrrev_b32_e32 v4, 24, v4
	s_movk_i32 s8, 0x80
	v_and_or_b32 v4, v4, s8, v6
	global_store_byte v[0:1], v4, off
.LBB153_1909:
	s_mov_b64 s[8:9], 0
	s_mov_b64 s[14:15], -1
.LBB153_1910:
	s_andn2_b64 vcc, exec, s[8:9]
	s_mov_b64 s[8:9], 0
	s_cbranch_vccnz .LBB153_1917
; %bb.1911:
	s_cmp_gt_i32 s11, 14
	s_mov_b64 s[22:23], -1
	s_cbranch_scc0 .LBB153_1915
; %bb.1912:
	s_cmp_eq_u32 s11, 15
	s_mov_b64 s[0:1], -1
	s_cbranch_scc0 .LBB153_1914
; %bb.1913:
	v_cvt_f32_f16_e32 v4, v3
	s_movk_i32 s0, 0x7fff
	v_cmp_o_f16_e32 vcc, v3, v3
	v_mov_b32_e32 v6, 0x7fc0
	v_bfe_u32 v15, v4, 16, 1
	v_add3_u32 v4, v4, v15, s0
	v_cndmask_b32_sdwa v4, v6, v4, vcc dst_sel:DWORD dst_unused:UNUSED_PAD src0_sel:DWORD src1_sel:WORD_1
	global_store_short v[0:1], v4, off
	s_mov_b64 s[0:1], 0
	s_mov_b64 s[14:15], -1
.LBB153_1914:
	s_mov_b64 s[22:23], 0
.LBB153_1915:
	s_and_b64 vcc, exec, s[22:23]
	s_cbranch_vccz .LBB153_1917
; %bb.1916:
	s_cmp_lg_u32 s11, 11
	s_mov_b64 s[8:9], -1
	s_cselect_b64 s[0:1], -1, 0
.LBB153_1917:
	s_and_b64 vcc, exec, s[0:1]
	s_cbranch_vccnz .LBB153_2325
; %bb.1918:
	s_andn2_b64 vcc, exec, s[8:9]
	s_cbranch_vccnz .LBB153_1920
.LBB153_1919:
	v_cmp_neq_f16_e32 vcc, 0, v3
	v_cndmask_b32_e64 v4, 0, 1, vcc
	s_mov_b64 s[14:15], -1
	global_store_byte v[0:1], v4, off
.LBB153_1920:
	s_mov_b64 s[0:1], 0
	s_branch .LBB153_1922
.LBB153_1921:
	s_mov_b64 s[0:1], -1
	s_mov_b64 s[14:15], 0
.LBB153_1922:
	s_and_b64 vcc, exec, s[0:1]
	s_cbranch_vccz .LBB153_1961
; %bb.1923:
	s_and_b32 s8, 0xffff, s26
	s_cmp_lt_i32 s8, 5
	s_mov_b64 s[0:1], -1
	s_cbranch_scc1 .LBB153_1944
; %bb.1924:
	s_cmp_lt_i32 s8, 8
	s_cbranch_scc1 .LBB153_1934
; %bb.1925:
	s_cmp_lt_i32 s8, 9
	s_cbranch_scc1 .LBB153_1931
; %bb.1926:
	s_cmp_gt_i32 s8, 9
	s_cbranch_scc0 .LBB153_1928
; %bb.1927:
	v_cvt_f32_f16_e32 v4, v3
	v_mov_b32_e32 v17, 0
	v_mov_b32_e32 v18, v17
	s_mov_b64 s[0:1], 0
	v_cvt_f64_f32_e32 v[15:16], v4
	global_store_dwordx4 v[0:1], v[15:18], off
.LBB153_1928:
	s_andn2_b64 vcc, exec, s[0:1]
	s_cbranch_vccnz .LBB153_1930
; %bb.1929:
	v_cvt_f32_f16_e32 v15, v3
	v_mov_b32_e32 v16, 0
	global_store_dwordx2 v[0:1], v[15:16], off
.LBB153_1930:
	s_mov_b64 s[0:1], 0
.LBB153_1931:
	s_andn2_b64 vcc, exec, s[0:1]
	s_cbranch_vccnz .LBB153_1933
; %bb.1932:
	v_and_b32_e32 v4, 0xffff, v3
	global_store_dword v[0:1], v4, off
.LBB153_1933:
	s_mov_b64 s[0:1], 0
.LBB153_1934:
	s_andn2_b64 vcc, exec, s[0:1]
	s_cbranch_vccnz .LBB153_1943
; %bb.1935:
	s_cmp_lt_i32 s8, 6
	s_mov_b64 s[0:1], -1
	s_cbranch_scc1 .LBB153_1941
; %bb.1936:
	s_cmp_gt_i32 s8, 6
	s_cbranch_scc0 .LBB153_1938
; %bb.1937:
	v_cvt_f32_f16_e32 v4, v3
	s_mov_b64 s[0:1], 0
	v_cvt_f64_f32_e32 v[15:16], v4
	global_store_dwordx2 v[0:1], v[15:16], off
.LBB153_1938:
	s_andn2_b64 vcc, exec, s[0:1]
	s_cbranch_vccnz .LBB153_1940
; %bb.1939:
	v_cvt_f32_f16_e32 v4, v3
	global_store_dword v[0:1], v4, off
.LBB153_1940:
	s_mov_b64 s[0:1], 0
.LBB153_1941:
	s_andn2_b64 vcc, exec, s[0:1]
	s_cbranch_vccnz .LBB153_1943
; %bb.1942:
	global_store_short v[0:1], v3, off
.LBB153_1943:
	s_mov_b64 s[0:1], 0
.LBB153_1944:
	s_andn2_b64 vcc, exec, s[0:1]
	s_cbranch_vccnz .LBB153_1960
; %bb.1945:
	s_cmp_lt_i32 s8, 2
	s_mov_b64 s[0:1], -1
	s_cbranch_scc1 .LBB153_1955
; %bb.1946:
	s_cmp_lt_i32 s8, 3
	s_cbranch_scc1 .LBB153_1952
; %bb.1947:
	s_cmp_gt_i32 s8, 3
	s_cbranch_scc0 .LBB153_1949
; %bb.1948:
	v_cvt_f32_f16_e32 v4, v3
	s_mov_b64 s[0:1], 0
	v_cvt_i32_f32_e32 v15, v4
	v_ashrrev_i32_e32 v16, 31, v15
	global_store_dwordx2 v[0:1], v[15:16], off
.LBB153_1949:
	s_andn2_b64 vcc, exec, s[0:1]
	s_cbranch_vccnz .LBB153_1951
; %bb.1950:
	v_cvt_f32_f16_e32 v4, v3
	v_cvt_i32_f32_e32 v4, v4
	global_store_dword v[0:1], v4, off
.LBB153_1951:
	s_mov_b64 s[0:1], 0
.LBB153_1952:
	s_andn2_b64 vcc, exec, s[0:1]
	s_cbranch_vccnz .LBB153_1954
; %bb.1953:
	v_cvt_i16_f16_e32 v4, v3
	global_store_short v[0:1], v4, off
.LBB153_1954:
	s_mov_b64 s[0:1], 0
.LBB153_1955:
	s_andn2_b64 vcc, exec, s[0:1]
	s_cbranch_vccnz .LBB153_1960
; %bb.1956:
	s_cmp_gt_i32 s8, 0
	s_mov_b64 s[0:1], -1
	s_cbranch_scc0 .LBB153_1958
; %bb.1957:
	v_cvt_i16_f16_e32 v4, v3
	global_store_byte v[0:1], v4, off
	s_mov_b64 s[0:1], 0
.LBB153_1958:
	s_andn2_b64 vcc, exec, s[0:1]
	s_cbranch_vccnz .LBB153_1960
; %bb.1959:
	v_cvt_f32_f16_e32 v3, v3
	v_cvt_i32_f32_e32 v3, v3
	global_store_byte v[0:1], v3, off
.LBB153_1960:
	s_mov_b64 s[14:15], -1
.LBB153_1961:
	s_andn2_b64 vcc, exec, s[14:15]
	s_cbranch_vccnz .LBB153_2276
; %bb.1962:
	v_cvt_f16_f32_e32 v1, v9
	s_mov_b32 s0, 0x4b000000
	v_cmp_lt_f32_e64 s[0:1], |v7|, s0
	v_mov_b32_e32 v0, 0x264
	v_mov_b32_e32 v3, 0x7c00
	s_or_b64 vcc, s[2:3], s[0:1]
	v_cndmask_b32_e32 v1, v3, v1, vcc
	v_cmp_class_f32_e32 vcc, v7, v0
	s_lshl_b32 s22, s10, 7
	v_cndmask_b32_e32 v0, v1, v3, vcc
	v_cmp_u_f16_e32 vcc, v5, v5
	v_add_u32_e32 v2, s22, v2
	v_cndmask_b32_e32 v3, v0, v5, vcc
	v_ashrrev_i32_e32 v1, 31, v2
	v_mov_b32_e32 v4, s13
	v_add_co_u32_e32 v0, vcc, s12, v2
	s_cmp_lt_i32 s26, 11
	v_addc_co_u32_e32 v1, vcc, v4, v1, vcc
	s_cbranch_scc1 .LBB153_2040
; %bb.1963:
	s_and_b32 s23, 0xffff, s26
	s_mov_b64 s[10:11], -1
	s_mov_b64 s[2:3], 0
	s_cmp_gt_i32 s23, 25
	s_mov_b64 s[8:9], 0
	s_mov_b64 s[0:1], 0
	s_cbranch_scc0 .LBB153_1996
; %bb.1964:
	s_cmp_gt_i32 s23, 28
	s_cbranch_scc0 .LBB153_1979
; %bb.1965:
	s_cmp_gt_i32 s23, 43
	;; [unrolled: 3-line block ×3, first 2 shown]
	s_cbranch_scc0 .LBB153_1969
; %bb.1967:
	s_mov_b64 s[0:1], -1
	s_mov_b64 s[10:11], 0
	s_cmp_eq_u32 s23, 46
	s_cbranch_scc0 .LBB153_1969
; %bb.1968:
	v_cvt_f32_f16_e32 v4, v3
	s_movk_i32 s0, 0x7fff
	v_cmp_o_f16_e32 vcc, v3, v3
	v_mov_b32_e32 v5, 0x7fc0
	v_bfe_u32 v6, v4, 16, 1
	v_add3_u32 v4, v4, v6, s0
	v_cndmask_b32_sdwa v4, v5, v4, vcc dst_sel:DWORD dst_unused:UNUSED_PAD src0_sel:DWORD src1_sel:WORD_1
	global_store_dword v[0:1], v4, off
	s_mov_b64 s[0:1], 0
	s_mov_b64 s[8:9], -1
.LBB153_1969:
	s_and_b64 vcc, exec, s[10:11]
	s_cbranch_vccz .LBB153_1974
; %bb.1970:
	s_cmp_eq_u32 s23, 44
	s_mov_b64 s[0:1], -1
	s_cbranch_scc0 .LBB153_1974
; %bb.1971:
	v_cvt_f32_f16_e32 v4, v3
	s_movk_i32 s0, 0xff
	v_mov_b32_e32 v6, 0xff
	v_bfe_u32 v5, v4, 23, 8
	v_cmp_ne_u32_e32 vcc, s0, v5
	s_and_saveexec_b64 s[8:9], vcc
; %bb.1972:
	s_mov_b32 s0, 0x3fffff
	v_lshrrev_b32_e32 v6, 23, v4
	v_and_b32_e32 v7, 0x400000, v4
	v_and_or_b32 v4, v4, s0, v5
	v_cmp_ne_u32_e32 vcc, 0, v7
	v_cmp_ne_u32_e64 s[0:1], 0, v4
	s_and_b64 s[0:1], vcc, s[0:1]
	v_cndmask_b32_e64 v4, 0, 1, s[0:1]
	v_add_u32_e32 v6, v6, v4
; %bb.1973:
	s_or_b64 exec, exec, s[8:9]
	s_mov_b64 s[0:1], 0
	s_mov_b64 s[8:9], -1
	global_store_byte v[0:1], v6, off
.LBB153_1974:
	s_mov_b64 s[10:11], 0
.LBB153_1975:
	s_and_b64 vcc, exec, s[10:11]
	s_cbranch_vccz .LBB153_1978
; %bb.1976:
	s_cmp_eq_u32 s23, 29
	s_mov_b64 s[0:1], -1
	s_cbranch_scc0 .LBB153_1978
; %bb.1977:
	v_cvt_f32_f16_e32 v4, v3
	v_mov_b32_e32 v5, 0
	s_mov_b64 s[0:1], 0
	s_mov_b64 s[8:9], -1
	v_cvt_u32_f32_e32 v4, v4
	global_store_dwordx2 v[0:1], v[4:5], off
.LBB153_1978:
	s_mov_b64 s[10:11], 0
.LBB153_1979:
	s_and_b64 vcc, exec, s[10:11]
	s_cbranch_vccz .LBB153_1995
; %bb.1980:
	s_cmp_lt_i32 s23, 27
	s_mov_b64 s[8:9], -1
	s_cbranch_scc1 .LBB153_1986
; %bb.1981:
	s_cmp_gt_i32 s23, 27
	s_cbranch_scc0 .LBB153_1983
; %bb.1982:
	v_cvt_f32_f16_e32 v4, v3
	s_mov_b64 s[8:9], 0
	v_cvt_u32_f32_e32 v4, v4
	global_store_dword v[0:1], v4, off
.LBB153_1983:
	s_andn2_b64 vcc, exec, s[8:9]
	s_cbranch_vccnz .LBB153_1985
; %bb.1984:
	v_cvt_u16_f16_e32 v4, v3
	global_store_short v[0:1], v4, off
.LBB153_1985:
	s_mov_b64 s[8:9], 0
.LBB153_1986:
	s_andn2_b64 vcc, exec, s[8:9]
	s_cbranch_vccnz .LBB153_1994
; %bb.1987:
	v_cvt_f32_f16_e32 v4, v3
	s_mov_b32 s8, 0x43800000
	v_mov_b32_e32 v6, 0x80
	v_and_b32_e32 v5, 0x7fffffff, v4
	v_cmp_gt_u32_e32 vcc, s8, v5
	s_and_saveexec_b64 s[8:9], vcc
	s_cbranch_execz .LBB153_1993
; %bb.1988:
	s_mov_b32 s10, 0x3bffffff
	v_cmp_lt_u32_e32 vcc, s10, v5
	s_mov_b64 s[10:11], 0
                                        ; implicit-def: $vgpr5
	s_and_saveexec_b64 s[14:15], vcc
	s_xor_b64 s[14:15], exec, s[14:15]
	s_cbranch_execz .LBB153_2328
; %bb.1989:
	v_bfe_u32 v5, v4, 20, 1
	s_mov_b32 s24, 0x487ffff
	v_add3_u32 v5, v4, v5, s24
	s_mov_b64 s[10:11], exec
	v_lshrrev_b32_e32 v5, 20, v5
	s_andn2_saveexec_b64 s[14:15], s[14:15]
	s_cbranch_execnz .LBB153_2329
.LBB153_1990:
	s_or_b64 exec, exec, s[14:15]
	v_mov_b32_e32 v6, 0
	s_and_saveexec_b64 s[14:15], s[10:11]
.LBB153_1991:
	v_lshrrev_b32_e32 v4, 24, v4
	s_movk_i32 s10, 0x80
	v_and_or_b32 v6, v4, s10, v5
.LBB153_1992:
	s_or_b64 exec, exec, s[14:15]
.LBB153_1993:
	s_or_b64 exec, exec, s[8:9]
	global_store_byte v[0:1], v6, off
.LBB153_1994:
	s_mov_b64 s[8:9], -1
.LBB153_1995:
	s_mov_b64 s[10:11], 0
.LBB153_1996:
	s_and_b64 vcc, exec, s[10:11]
	s_cbranch_vccz .LBB153_2036
; %bb.1997:
	s_cmp_gt_i32 s23, 22
	s_mov_b64 s[2:3], -1
	s_cbranch_scc0 .LBB153_2029
; %bb.1998:
	s_cmp_lt_i32 s23, 24
	s_cbranch_scc1 .LBB153_2018
; %bb.1999:
	s_cmp_gt_i32 s23, 24
	s_cbranch_scc0 .LBB153_2007
; %bb.2000:
	v_cvt_f32_f16_e32 v4, v3
	s_mov_b32 s2, 0x47800000
	v_mov_b32_e32 v6, 0x80
	v_and_b32_e32 v5, 0x7fffffff, v4
	v_cmp_gt_u32_e32 vcc, s2, v5
	s_and_saveexec_b64 s[2:3], vcc
	s_cbranch_execz .LBB153_2006
; %bb.2001:
	s_mov_b32 s8, 0x37ffffff
	v_cmp_lt_u32_e32 vcc, s8, v5
	s_mov_b64 s[8:9], 0
                                        ; implicit-def: $vgpr5
	s_and_saveexec_b64 s[10:11], vcc
	s_xor_b64 s[10:11], exec, s[10:11]
	s_cbranch_execz .LBB153_2331
; %bb.2002:
	v_bfe_u32 v5, v4, 21, 1
	s_mov_b32 s14, 0x88fffff
	v_add3_u32 v5, v4, v5, s14
	s_mov_b64 s[8:9], exec
	v_lshrrev_b32_e32 v5, 21, v5
	s_andn2_saveexec_b64 s[10:11], s[10:11]
	s_cbranch_execnz .LBB153_2332
.LBB153_2003:
	s_or_b64 exec, exec, s[10:11]
	v_mov_b32_e32 v6, 0
	s_and_saveexec_b64 s[10:11], s[8:9]
.LBB153_2004:
	v_lshrrev_b32_e32 v4, 24, v4
	s_movk_i32 s8, 0x80
	v_and_or_b32 v6, v4, s8, v5
.LBB153_2005:
	s_or_b64 exec, exec, s[10:11]
.LBB153_2006:
	s_or_b64 exec, exec, s[2:3]
	s_mov_b64 s[2:3], 0
	global_store_byte v[0:1], v6, off
.LBB153_2007:
	s_and_b64 vcc, exec, s[2:3]
	s_cbranch_vccz .LBB153_2017
; %bb.2008:
	v_cvt_f32_f16_e32 v4, v3
	s_mov_b32 s2, 0x43f00000
                                        ; implicit-def: $vgpr5
	v_and_b32_e32 v6, 0x7fffffff, v4
	v_cmp_gt_u32_e32 vcc, s2, v6
	s_and_saveexec_b64 s[2:3], vcc
	s_xor_b64 s[2:3], exec, s[2:3]
	s_cbranch_execz .LBB153_2014
; %bb.2009:
	s_mov_b32 s8, 0x3c7fffff
	v_cmp_lt_u32_e32 vcc, s8, v6
                                        ; implicit-def: $vgpr5
	s_and_saveexec_b64 s[8:9], vcc
	s_xor_b64 s[8:9], exec, s[8:9]
; %bb.2010:
	v_bfe_u32 v5, v4, 20, 1
	s_mov_b32 s10, 0x407ffff
	v_add3_u32 v5, v4, v5, s10
	v_lshrrev_b32_e32 v6, 20, v5
	v_and_b32_e32 v5, 0xff00000, v5
	s_mov_b32 s10, 0x7f00000
	v_mov_b32_e32 v7, 0x7e
	v_cmp_ne_u32_e32 vcc, s10, v5
	v_cndmask_b32_e32 v5, v7, v6, vcc
; %bb.2011:
	s_andn2_saveexec_b64 s[8:9], s[8:9]
; %bb.2012:
	s_mov_b32 s10, 0x46800000
	v_add_f32_e64 v5, |v4|, s10
; %bb.2013:
	s_or_b64 exec, exec, s[8:9]
                                        ; implicit-def: $vgpr6
.LBB153_2014:
	s_andn2_saveexec_b64 s[2:3], s[2:3]
; %bb.2015:
	s_mov_b32 s8, 0x7f800000
	v_mov_b32_e32 v5, 0x7e
	v_mov_b32_e32 v7, 0x7f
	v_cmp_lt_u32_e32 vcc, s8, v6
	v_cndmask_b32_e32 v5, v5, v7, vcc
; %bb.2016:
	s_or_b64 exec, exec, s[2:3]
	v_lshrrev_b32_e32 v4, 24, v4
	s_movk_i32 s2, 0x80
	v_and_or_b32 v4, v4, s2, v5
	global_store_byte v[0:1], v4, off
.LBB153_2017:
	s_mov_b64 s[2:3], 0
.LBB153_2018:
	s_andn2_b64 vcc, exec, s[2:3]
	s_cbranch_vccnz .LBB153_2028
; %bb.2019:
	v_cvt_f32_f16_e32 v4, v3
	s_mov_b32 s2, 0x47800000
                                        ; implicit-def: $vgpr5
	v_and_b32_e32 v6, 0x7fffffff, v4
	v_cmp_gt_u32_e32 vcc, s2, v6
	s_and_saveexec_b64 s[2:3], vcc
	s_xor_b64 s[2:3], exec, s[2:3]
	s_cbranch_execz .LBB153_2025
; %bb.2020:
	s_mov_b32 s8, 0x387fffff
	v_cmp_lt_u32_e32 vcc, s8, v6
                                        ; implicit-def: $vgpr5
	s_and_saveexec_b64 s[8:9], vcc
	s_xor_b64 s[8:9], exec, s[8:9]
; %bb.2021:
	v_bfe_u32 v5, v4, 21, 1
	s_mov_b32 s10, 0x80fffff
	v_add3_u32 v5, v4, v5, s10
	v_lshrrev_b32_e32 v5, 21, v5
; %bb.2022:
	s_andn2_saveexec_b64 s[8:9], s[8:9]
; %bb.2023:
	s_mov_b32 s10, 0x43000000
	v_add_f32_e64 v5, |v4|, s10
; %bb.2024:
	s_or_b64 exec, exec, s[8:9]
                                        ; implicit-def: $vgpr6
.LBB153_2025:
	s_andn2_saveexec_b64 s[2:3], s[2:3]
; %bb.2026:
	s_mov_b32 s8, 0x7f800000
	v_mov_b32_e32 v5, 0x7c
	v_mov_b32_e32 v7, 0x7f
	v_cmp_lt_u32_e32 vcc, s8, v6
	v_cndmask_b32_e32 v5, v5, v7, vcc
; %bb.2027:
	s_or_b64 exec, exec, s[2:3]
	v_lshrrev_b32_e32 v4, 24, v4
	s_movk_i32 s2, 0x80
	v_and_or_b32 v4, v4, s2, v5
	global_store_byte v[0:1], v4, off
.LBB153_2028:
	s_mov_b64 s[2:3], 0
	s_mov_b64 s[8:9], -1
.LBB153_2029:
	s_andn2_b64 vcc, exec, s[2:3]
	s_mov_b64 s[2:3], 0
	s_cbranch_vccnz .LBB153_2036
; %bb.2030:
	s_cmp_gt_i32 s23, 14
	s_mov_b64 s[10:11], -1
	s_cbranch_scc0 .LBB153_2034
; %bb.2031:
	s_cmp_eq_u32 s23, 15
	s_mov_b64 s[0:1], -1
	s_cbranch_scc0 .LBB153_2033
; %bb.2032:
	v_cvt_f32_f16_e32 v4, v3
	s_movk_i32 s0, 0x7fff
	v_cmp_o_f16_e32 vcc, v3, v3
	v_mov_b32_e32 v5, 0x7fc0
	v_bfe_u32 v6, v4, 16, 1
	v_add3_u32 v4, v4, v6, s0
	v_cndmask_b32_sdwa v4, v5, v4, vcc dst_sel:DWORD dst_unused:UNUSED_PAD src0_sel:DWORD src1_sel:WORD_1
	global_store_short v[0:1], v4, off
	s_mov_b64 s[0:1], 0
	s_mov_b64 s[8:9], -1
.LBB153_2033:
	s_mov_b64 s[10:11], 0
.LBB153_2034:
	s_and_b64 vcc, exec, s[10:11]
	s_cbranch_vccz .LBB153_2036
; %bb.2035:
	s_cmp_lg_u32 s23, 11
	s_mov_b64 s[2:3], -1
	s_cselect_b64 s[0:1], -1, 0
.LBB153_2036:
	s_and_b64 vcc, exec, s[0:1]
	s_cbranch_vccnz .LBB153_2330
; %bb.2037:
	s_andn2_b64 vcc, exec, s[2:3]
	s_cbranch_vccnz .LBB153_2039
.LBB153_2038:
	v_cmp_neq_f16_e32 vcc, 0, v3
	v_cndmask_b32_e64 v4, 0, 1, vcc
	s_mov_b64 s[8:9], -1
	global_store_byte v[0:1], v4, off
.LBB153_2039:
	s_mov_b64 s[0:1], 0
	s_branch .LBB153_2041
.LBB153_2040:
	s_mov_b64 s[0:1], -1
	s_mov_b64 s[8:9], 0
.LBB153_2041:
	s_and_b64 vcc, exec, s[0:1]
	s_cbranch_vccz .LBB153_2080
; %bb.2042:
	s_and_b32 s2, 0xffff, s26
	s_cmp_lt_i32 s2, 5
	s_mov_b64 s[0:1], -1
	s_cbranch_scc1 .LBB153_2063
; %bb.2043:
	s_cmp_lt_i32 s2, 8
	s_cbranch_scc1 .LBB153_2053
; %bb.2044:
	s_cmp_lt_i32 s2, 9
	s_cbranch_scc1 .LBB153_2050
; %bb.2045:
	s_cmp_gt_i32 s2, 9
	s_cbranch_scc0 .LBB153_2047
; %bb.2046:
	v_cvt_f32_f16_e32 v4, v3
	v_mov_b32_e32 v6, 0
	v_mov_b32_e32 v7, v6
	s_mov_b64 s[0:1], 0
	v_cvt_f64_f32_e32 v[4:5], v4
	global_store_dwordx4 v[0:1], v[4:7], off
.LBB153_2047:
	s_andn2_b64 vcc, exec, s[0:1]
	s_cbranch_vccnz .LBB153_2049
; %bb.2048:
	v_cvt_f32_f16_e32 v4, v3
	v_mov_b32_e32 v5, 0
	global_store_dwordx2 v[0:1], v[4:5], off
.LBB153_2049:
	s_mov_b64 s[0:1], 0
.LBB153_2050:
	s_andn2_b64 vcc, exec, s[0:1]
	s_cbranch_vccnz .LBB153_2052
; %bb.2051:
	v_and_b32_e32 v4, 0xffff, v3
	global_store_dword v[0:1], v4, off
.LBB153_2052:
	s_mov_b64 s[0:1], 0
.LBB153_2053:
	s_andn2_b64 vcc, exec, s[0:1]
	s_cbranch_vccnz .LBB153_2062
; %bb.2054:
	s_cmp_lt_i32 s2, 6
	s_mov_b64 s[0:1], -1
	s_cbranch_scc1 .LBB153_2060
; %bb.2055:
	s_cmp_gt_i32 s2, 6
	s_cbranch_scc0 .LBB153_2057
; %bb.2056:
	v_cvt_f32_f16_e32 v4, v3
	s_mov_b64 s[0:1], 0
	v_cvt_f64_f32_e32 v[4:5], v4
	global_store_dwordx2 v[0:1], v[4:5], off
.LBB153_2057:
	s_andn2_b64 vcc, exec, s[0:1]
	s_cbranch_vccnz .LBB153_2059
; %bb.2058:
	v_cvt_f32_f16_e32 v4, v3
	global_store_dword v[0:1], v4, off
.LBB153_2059:
	s_mov_b64 s[0:1], 0
.LBB153_2060:
	s_andn2_b64 vcc, exec, s[0:1]
	s_cbranch_vccnz .LBB153_2062
; %bb.2061:
	global_store_short v[0:1], v3, off
.LBB153_2062:
	s_mov_b64 s[0:1], 0
.LBB153_2063:
	s_andn2_b64 vcc, exec, s[0:1]
	s_cbranch_vccnz .LBB153_2079
; %bb.2064:
	s_cmp_lt_i32 s2, 2
	s_mov_b64 s[0:1], -1
	s_cbranch_scc1 .LBB153_2074
; %bb.2065:
	s_cmp_lt_i32 s2, 3
	s_cbranch_scc1 .LBB153_2071
; %bb.2066:
	s_cmp_gt_i32 s2, 3
	s_cbranch_scc0 .LBB153_2068
; %bb.2067:
	v_cvt_f32_f16_e32 v4, v3
	s_mov_b64 s[0:1], 0
	v_cvt_i32_f32_e32 v4, v4
	v_ashrrev_i32_e32 v5, 31, v4
	global_store_dwordx2 v[0:1], v[4:5], off
.LBB153_2068:
	s_andn2_b64 vcc, exec, s[0:1]
	s_cbranch_vccnz .LBB153_2070
; %bb.2069:
	v_cvt_f32_f16_e32 v4, v3
	v_cvt_i32_f32_e32 v4, v4
	global_store_dword v[0:1], v4, off
.LBB153_2070:
	s_mov_b64 s[0:1], 0
.LBB153_2071:
	s_andn2_b64 vcc, exec, s[0:1]
	s_cbranch_vccnz .LBB153_2073
; %bb.2072:
	v_cvt_i16_f16_e32 v4, v3
	global_store_short v[0:1], v4, off
.LBB153_2073:
	s_mov_b64 s[0:1], 0
.LBB153_2074:
	s_andn2_b64 vcc, exec, s[0:1]
	s_cbranch_vccnz .LBB153_2079
; %bb.2075:
	s_cmp_gt_i32 s2, 0
	s_mov_b64 s[0:1], -1
	s_cbranch_scc0 .LBB153_2077
; %bb.2076:
	v_cvt_i16_f16_e32 v4, v3
	global_store_byte v[0:1], v4, off
	s_mov_b64 s[0:1], 0
.LBB153_2077:
	s_andn2_b64 vcc, exec, s[0:1]
	s_cbranch_vccnz .LBB153_2079
; %bb.2078:
	v_cvt_f32_f16_e32 v3, v3
	v_cvt_i32_f32_e32 v3, v3
	global_store_byte v[0:1], v3, off
.LBB153_2079:
	s_mov_b64 s[8:9], -1
.LBB153_2080:
	s_andn2_b64 vcc, exec, s[8:9]
	s_cbranch_vccnz .LBB153_2276
; %bb.2081:
	v_cvt_f16_f32_e32 v1, v12
	s_mov_b32 s0, 0x4b000000
	v_cmp_lt_f32_e64 s[0:1], |v10|, s0
	v_mov_b32_e32 v0, 0x264
	v_mov_b32_e32 v3, 0x7c00
	s_or_b64 vcc, s[4:5], s[0:1]
	v_cndmask_b32_e32 v1, v3, v1, vcc
	v_cmp_class_f32_e32 vcc, v10, v0
	v_cndmask_b32_e32 v0, v1, v3, vcc
	v_cmp_u_f16_e32 vcc, v8, v8
	v_add_u32_e32 v2, s22, v2
	v_cndmask_b32_e32 v3, v0, v8, vcc
	v_ashrrev_i32_e32 v1, 31, v2
	v_mov_b32_e32 v4, s13
	v_add_co_u32_e32 v0, vcc, s12, v2
	s_cmp_lt_i32 s26, 11
	v_addc_co_u32_e32 v1, vcc, v4, v1, vcc
	s_cbranch_scc1 .LBB153_2159
; %bb.2082:
	s_and_b32 s14, 0xffff, s26
	s_mov_b64 s[8:9], -1
	s_mov_b64 s[2:3], 0
	s_cmp_gt_i32 s14, 25
	s_mov_b64 s[4:5], 0
	s_mov_b64 s[0:1], 0
	s_cbranch_scc0 .LBB153_2115
; %bb.2083:
	s_cmp_gt_i32 s14, 28
	s_cbranch_scc0 .LBB153_2098
; %bb.2084:
	s_cmp_gt_i32 s14, 43
	;; [unrolled: 3-line block ×3, first 2 shown]
	s_cbranch_scc0 .LBB153_2088
; %bb.2086:
	s_mov_b64 s[0:1], -1
	s_mov_b64 s[8:9], 0
	s_cmp_eq_u32 s14, 46
	s_cbranch_scc0 .LBB153_2088
; %bb.2087:
	v_cvt_f32_f16_e32 v4, v3
	s_movk_i32 s0, 0x7fff
	v_cmp_o_f16_e32 vcc, v3, v3
	v_mov_b32_e32 v5, 0x7fc0
	v_bfe_u32 v6, v4, 16, 1
	v_add3_u32 v4, v4, v6, s0
	v_cndmask_b32_sdwa v4, v5, v4, vcc dst_sel:DWORD dst_unused:UNUSED_PAD src0_sel:DWORD src1_sel:WORD_1
	global_store_dword v[0:1], v4, off
	s_mov_b64 s[0:1], 0
	s_mov_b64 s[4:5], -1
.LBB153_2088:
	s_and_b64 vcc, exec, s[8:9]
	s_cbranch_vccz .LBB153_2093
; %bb.2089:
	s_cmp_eq_u32 s14, 44
	s_mov_b64 s[0:1], -1
	s_cbranch_scc0 .LBB153_2093
; %bb.2090:
	v_cvt_f32_f16_e32 v4, v3
	s_movk_i32 s0, 0xff
	v_mov_b32_e32 v6, 0xff
	v_bfe_u32 v5, v4, 23, 8
	v_cmp_ne_u32_e32 vcc, s0, v5
	s_and_saveexec_b64 s[4:5], vcc
; %bb.2091:
	s_mov_b32 s0, 0x3fffff
	v_lshrrev_b32_e32 v6, 23, v4
	v_and_b32_e32 v7, 0x400000, v4
	v_and_or_b32 v4, v4, s0, v5
	v_cmp_ne_u32_e32 vcc, 0, v7
	v_cmp_ne_u32_e64 s[0:1], 0, v4
	s_and_b64 s[0:1], vcc, s[0:1]
	v_cndmask_b32_e64 v4, 0, 1, s[0:1]
	v_add_u32_e32 v6, v6, v4
; %bb.2092:
	s_or_b64 exec, exec, s[4:5]
	s_mov_b64 s[0:1], 0
	s_mov_b64 s[4:5], -1
	global_store_byte v[0:1], v6, off
.LBB153_2093:
	s_mov_b64 s[8:9], 0
.LBB153_2094:
	s_and_b64 vcc, exec, s[8:9]
	s_cbranch_vccz .LBB153_2097
; %bb.2095:
	s_cmp_eq_u32 s14, 29
	s_mov_b64 s[0:1], -1
	s_cbranch_scc0 .LBB153_2097
; %bb.2096:
	v_cvt_f32_f16_e32 v4, v3
	v_mov_b32_e32 v5, 0
	s_mov_b64 s[0:1], 0
	s_mov_b64 s[4:5], -1
	v_cvt_u32_f32_e32 v4, v4
	global_store_dwordx2 v[0:1], v[4:5], off
.LBB153_2097:
	s_mov_b64 s[8:9], 0
.LBB153_2098:
	s_and_b64 vcc, exec, s[8:9]
	s_cbranch_vccz .LBB153_2114
; %bb.2099:
	s_cmp_lt_i32 s14, 27
	s_mov_b64 s[4:5], -1
	s_cbranch_scc1 .LBB153_2105
; %bb.2100:
	s_cmp_gt_i32 s14, 27
	s_cbranch_scc0 .LBB153_2102
; %bb.2101:
	v_cvt_f32_f16_e32 v4, v3
	s_mov_b64 s[4:5], 0
	v_cvt_u32_f32_e32 v4, v4
	global_store_dword v[0:1], v4, off
.LBB153_2102:
	s_andn2_b64 vcc, exec, s[4:5]
	s_cbranch_vccnz .LBB153_2104
; %bb.2103:
	v_cvt_u16_f16_e32 v4, v3
	global_store_short v[0:1], v4, off
.LBB153_2104:
	s_mov_b64 s[4:5], 0
.LBB153_2105:
	s_andn2_b64 vcc, exec, s[4:5]
	s_cbranch_vccnz .LBB153_2113
; %bb.2106:
	v_cvt_f32_f16_e32 v4, v3
	s_mov_b32 s4, 0x43800000
	v_mov_b32_e32 v6, 0x80
	v_and_b32_e32 v5, 0x7fffffff, v4
	v_cmp_gt_u32_e32 vcc, s4, v5
	s_and_saveexec_b64 s[4:5], vcc
	s_cbranch_execz .LBB153_2112
; %bb.2107:
	s_mov_b32 s8, 0x3bffffff
	v_cmp_lt_u32_e32 vcc, s8, v5
	s_mov_b64 s[8:9], 0
                                        ; implicit-def: $vgpr5
	s_and_saveexec_b64 s[10:11], vcc
	s_xor_b64 s[10:11], exec, s[10:11]
	s_cbranch_execz .LBB153_2333
; %bb.2108:
	v_bfe_u32 v5, v4, 20, 1
	s_mov_b32 s15, 0x487ffff
	v_add3_u32 v5, v4, v5, s15
	s_mov_b64 s[8:9], exec
	v_lshrrev_b32_e32 v5, 20, v5
	s_andn2_saveexec_b64 s[10:11], s[10:11]
	s_cbranch_execnz .LBB153_2334
.LBB153_2109:
	s_or_b64 exec, exec, s[10:11]
	v_mov_b32_e32 v6, 0
	s_and_saveexec_b64 s[10:11], s[8:9]
.LBB153_2110:
	v_lshrrev_b32_e32 v4, 24, v4
	s_movk_i32 s8, 0x80
	v_and_or_b32 v6, v4, s8, v5
.LBB153_2111:
	s_or_b64 exec, exec, s[10:11]
.LBB153_2112:
	s_or_b64 exec, exec, s[4:5]
	global_store_byte v[0:1], v6, off
.LBB153_2113:
	s_mov_b64 s[4:5], -1
.LBB153_2114:
	s_mov_b64 s[8:9], 0
.LBB153_2115:
	s_and_b64 vcc, exec, s[8:9]
	s_cbranch_vccz .LBB153_2155
; %bb.2116:
	s_cmp_gt_i32 s14, 22
	s_mov_b64 s[2:3], -1
	s_cbranch_scc0 .LBB153_2148
; %bb.2117:
	s_cmp_lt_i32 s14, 24
	s_cbranch_scc1 .LBB153_2137
; %bb.2118:
	s_cmp_gt_i32 s14, 24
	s_cbranch_scc0 .LBB153_2126
; %bb.2119:
	v_cvt_f32_f16_e32 v4, v3
	s_mov_b32 s2, 0x47800000
	v_mov_b32_e32 v6, 0x80
	v_and_b32_e32 v5, 0x7fffffff, v4
	v_cmp_gt_u32_e32 vcc, s2, v5
	s_and_saveexec_b64 s[2:3], vcc
	s_cbranch_execz .LBB153_2125
; %bb.2120:
	s_mov_b32 s4, 0x37ffffff
	v_cmp_lt_u32_e32 vcc, s4, v5
	s_mov_b64 s[4:5], 0
                                        ; implicit-def: $vgpr5
	s_and_saveexec_b64 s[8:9], vcc
	s_xor_b64 s[8:9], exec, s[8:9]
	s_cbranch_execz .LBB153_2336
; %bb.2121:
	v_bfe_u32 v5, v4, 21, 1
	s_mov_b32 s10, 0x88fffff
	v_add3_u32 v5, v4, v5, s10
	s_mov_b64 s[4:5], exec
	v_lshrrev_b32_e32 v5, 21, v5
	s_andn2_saveexec_b64 s[8:9], s[8:9]
	s_cbranch_execnz .LBB153_2337
.LBB153_2122:
	s_or_b64 exec, exec, s[8:9]
	v_mov_b32_e32 v6, 0
	s_and_saveexec_b64 s[8:9], s[4:5]
.LBB153_2123:
	v_lshrrev_b32_e32 v4, 24, v4
	s_movk_i32 s4, 0x80
	v_and_or_b32 v6, v4, s4, v5
.LBB153_2124:
	s_or_b64 exec, exec, s[8:9]
.LBB153_2125:
	s_or_b64 exec, exec, s[2:3]
	s_mov_b64 s[2:3], 0
	global_store_byte v[0:1], v6, off
.LBB153_2126:
	s_and_b64 vcc, exec, s[2:3]
	s_cbranch_vccz .LBB153_2136
; %bb.2127:
	v_cvt_f32_f16_e32 v4, v3
	s_mov_b32 s2, 0x43f00000
                                        ; implicit-def: $vgpr5
	v_and_b32_e32 v6, 0x7fffffff, v4
	v_cmp_gt_u32_e32 vcc, s2, v6
	s_and_saveexec_b64 s[2:3], vcc
	s_xor_b64 s[2:3], exec, s[2:3]
	s_cbranch_execz .LBB153_2133
; %bb.2128:
	s_mov_b32 s4, 0x3c7fffff
	v_cmp_lt_u32_e32 vcc, s4, v6
                                        ; implicit-def: $vgpr5
	s_and_saveexec_b64 s[4:5], vcc
	s_xor_b64 s[4:5], exec, s[4:5]
; %bb.2129:
	v_bfe_u32 v5, v4, 20, 1
	s_mov_b32 s8, 0x407ffff
	v_add3_u32 v5, v4, v5, s8
	v_lshrrev_b32_e32 v6, 20, v5
	v_and_b32_e32 v5, 0xff00000, v5
	s_mov_b32 s8, 0x7f00000
	v_mov_b32_e32 v7, 0x7e
	v_cmp_ne_u32_e32 vcc, s8, v5
	v_cndmask_b32_e32 v5, v7, v6, vcc
; %bb.2130:
	s_andn2_saveexec_b64 s[4:5], s[4:5]
; %bb.2131:
	s_mov_b32 s8, 0x46800000
	v_add_f32_e64 v5, |v4|, s8
; %bb.2132:
	s_or_b64 exec, exec, s[4:5]
                                        ; implicit-def: $vgpr6
.LBB153_2133:
	s_andn2_saveexec_b64 s[2:3], s[2:3]
; %bb.2134:
	s_mov_b32 s4, 0x7f800000
	v_mov_b32_e32 v5, 0x7e
	v_mov_b32_e32 v7, 0x7f
	v_cmp_lt_u32_e32 vcc, s4, v6
	v_cndmask_b32_e32 v5, v5, v7, vcc
; %bb.2135:
	s_or_b64 exec, exec, s[2:3]
	v_lshrrev_b32_e32 v4, 24, v4
	s_movk_i32 s2, 0x80
	v_and_or_b32 v4, v4, s2, v5
	global_store_byte v[0:1], v4, off
.LBB153_2136:
	s_mov_b64 s[2:3], 0
.LBB153_2137:
	s_andn2_b64 vcc, exec, s[2:3]
	s_cbranch_vccnz .LBB153_2147
; %bb.2138:
	v_cvt_f32_f16_e32 v4, v3
	s_mov_b32 s2, 0x47800000
                                        ; implicit-def: $vgpr5
	v_and_b32_e32 v6, 0x7fffffff, v4
	v_cmp_gt_u32_e32 vcc, s2, v6
	s_and_saveexec_b64 s[2:3], vcc
	s_xor_b64 s[2:3], exec, s[2:3]
	s_cbranch_execz .LBB153_2144
; %bb.2139:
	s_mov_b32 s4, 0x387fffff
	v_cmp_lt_u32_e32 vcc, s4, v6
                                        ; implicit-def: $vgpr5
	s_and_saveexec_b64 s[4:5], vcc
	s_xor_b64 s[4:5], exec, s[4:5]
; %bb.2140:
	v_bfe_u32 v5, v4, 21, 1
	s_mov_b32 s8, 0x80fffff
	v_add3_u32 v5, v4, v5, s8
	v_lshrrev_b32_e32 v5, 21, v5
; %bb.2141:
	s_andn2_saveexec_b64 s[4:5], s[4:5]
; %bb.2142:
	s_mov_b32 s8, 0x43000000
	v_add_f32_e64 v5, |v4|, s8
; %bb.2143:
	s_or_b64 exec, exec, s[4:5]
                                        ; implicit-def: $vgpr6
.LBB153_2144:
	s_andn2_saveexec_b64 s[2:3], s[2:3]
; %bb.2145:
	s_mov_b32 s4, 0x7f800000
	v_mov_b32_e32 v5, 0x7c
	v_mov_b32_e32 v7, 0x7f
	v_cmp_lt_u32_e32 vcc, s4, v6
	v_cndmask_b32_e32 v5, v5, v7, vcc
; %bb.2146:
	s_or_b64 exec, exec, s[2:3]
	v_lshrrev_b32_e32 v4, 24, v4
	s_movk_i32 s2, 0x80
	v_and_or_b32 v4, v4, s2, v5
	global_store_byte v[0:1], v4, off
.LBB153_2147:
	s_mov_b64 s[2:3], 0
	s_mov_b64 s[4:5], -1
.LBB153_2148:
	s_andn2_b64 vcc, exec, s[2:3]
	s_mov_b64 s[2:3], 0
	s_cbranch_vccnz .LBB153_2155
; %bb.2149:
	s_cmp_gt_i32 s14, 14
	s_mov_b64 s[8:9], -1
	s_cbranch_scc0 .LBB153_2153
; %bb.2150:
	s_cmp_eq_u32 s14, 15
	s_mov_b64 s[0:1], -1
	s_cbranch_scc0 .LBB153_2152
; %bb.2151:
	v_cvt_f32_f16_e32 v4, v3
	s_movk_i32 s0, 0x7fff
	v_cmp_o_f16_e32 vcc, v3, v3
	v_mov_b32_e32 v5, 0x7fc0
	v_bfe_u32 v6, v4, 16, 1
	v_add3_u32 v4, v4, v6, s0
	v_cndmask_b32_sdwa v4, v5, v4, vcc dst_sel:DWORD dst_unused:UNUSED_PAD src0_sel:DWORD src1_sel:WORD_1
	global_store_short v[0:1], v4, off
	s_mov_b64 s[0:1], 0
	s_mov_b64 s[4:5], -1
.LBB153_2152:
	s_mov_b64 s[8:9], 0
.LBB153_2153:
	s_and_b64 vcc, exec, s[8:9]
	s_cbranch_vccz .LBB153_2155
; %bb.2154:
	s_cmp_lg_u32 s14, 11
	s_mov_b64 s[2:3], -1
	s_cselect_b64 s[0:1], -1, 0
.LBB153_2155:
	s_and_b64 vcc, exec, s[0:1]
	s_cbranch_vccnz .LBB153_2335
; %bb.2156:
	s_andn2_b64 vcc, exec, s[2:3]
	s_cbranch_vccnz .LBB153_2158
.LBB153_2157:
	v_cmp_neq_f16_e32 vcc, 0, v3
	v_cndmask_b32_e64 v4, 0, 1, vcc
	s_mov_b64 s[4:5], -1
	global_store_byte v[0:1], v4, off
.LBB153_2158:
	s_mov_b64 s[0:1], 0
	s_branch .LBB153_2160
.LBB153_2159:
	s_mov_b64 s[0:1], -1
	s_mov_b64 s[4:5], 0
.LBB153_2160:
	s_and_b64 vcc, exec, s[0:1]
	s_cbranch_vccz .LBB153_2199
; %bb.2161:
	s_and_b32 s2, 0xffff, s26
	s_cmp_lt_i32 s2, 5
	s_mov_b64 s[0:1], -1
	s_cbranch_scc1 .LBB153_2182
; %bb.2162:
	s_cmp_lt_i32 s2, 8
	s_cbranch_scc1 .LBB153_2172
; %bb.2163:
	s_cmp_lt_i32 s2, 9
	s_cbranch_scc1 .LBB153_2169
; %bb.2164:
	s_cmp_gt_i32 s2, 9
	s_cbranch_scc0 .LBB153_2166
; %bb.2165:
	v_cvt_f32_f16_e32 v4, v3
	v_mov_b32_e32 v6, 0
	v_mov_b32_e32 v7, v6
	s_mov_b64 s[0:1], 0
	v_cvt_f64_f32_e32 v[4:5], v4
	global_store_dwordx4 v[0:1], v[4:7], off
.LBB153_2166:
	s_andn2_b64 vcc, exec, s[0:1]
	s_cbranch_vccnz .LBB153_2168
; %bb.2167:
	v_cvt_f32_f16_e32 v4, v3
	v_mov_b32_e32 v5, 0
	global_store_dwordx2 v[0:1], v[4:5], off
.LBB153_2168:
	s_mov_b64 s[0:1], 0
.LBB153_2169:
	s_andn2_b64 vcc, exec, s[0:1]
	s_cbranch_vccnz .LBB153_2171
; %bb.2170:
	v_and_b32_e32 v4, 0xffff, v3
	global_store_dword v[0:1], v4, off
.LBB153_2171:
	s_mov_b64 s[0:1], 0
.LBB153_2172:
	s_andn2_b64 vcc, exec, s[0:1]
	s_cbranch_vccnz .LBB153_2181
; %bb.2173:
	s_cmp_lt_i32 s2, 6
	s_mov_b64 s[0:1], -1
	s_cbranch_scc1 .LBB153_2179
; %bb.2174:
	s_cmp_gt_i32 s2, 6
	s_cbranch_scc0 .LBB153_2176
; %bb.2175:
	v_cvt_f32_f16_e32 v4, v3
	s_mov_b64 s[0:1], 0
	v_cvt_f64_f32_e32 v[4:5], v4
	global_store_dwordx2 v[0:1], v[4:5], off
.LBB153_2176:
	s_andn2_b64 vcc, exec, s[0:1]
	s_cbranch_vccnz .LBB153_2178
; %bb.2177:
	v_cvt_f32_f16_e32 v4, v3
	global_store_dword v[0:1], v4, off
.LBB153_2178:
	s_mov_b64 s[0:1], 0
.LBB153_2179:
	s_andn2_b64 vcc, exec, s[0:1]
	s_cbranch_vccnz .LBB153_2181
; %bb.2180:
	global_store_short v[0:1], v3, off
.LBB153_2181:
	s_mov_b64 s[0:1], 0
.LBB153_2182:
	s_andn2_b64 vcc, exec, s[0:1]
	s_cbranch_vccnz .LBB153_2198
; %bb.2183:
	s_cmp_lt_i32 s2, 2
	s_mov_b64 s[0:1], -1
	s_cbranch_scc1 .LBB153_2193
; %bb.2184:
	s_cmp_lt_i32 s2, 3
	s_cbranch_scc1 .LBB153_2190
; %bb.2185:
	s_cmp_gt_i32 s2, 3
	s_cbranch_scc0 .LBB153_2187
; %bb.2186:
	v_cvt_f32_f16_e32 v4, v3
	s_mov_b64 s[0:1], 0
	v_cvt_i32_f32_e32 v4, v4
	v_ashrrev_i32_e32 v5, 31, v4
	global_store_dwordx2 v[0:1], v[4:5], off
.LBB153_2187:
	s_andn2_b64 vcc, exec, s[0:1]
	s_cbranch_vccnz .LBB153_2189
; %bb.2188:
	v_cvt_f32_f16_e32 v4, v3
	v_cvt_i32_f32_e32 v4, v4
	global_store_dword v[0:1], v4, off
.LBB153_2189:
	s_mov_b64 s[0:1], 0
.LBB153_2190:
	s_andn2_b64 vcc, exec, s[0:1]
	s_cbranch_vccnz .LBB153_2192
; %bb.2191:
	v_cvt_i16_f16_e32 v4, v3
	global_store_short v[0:1], v4, off
.LBB153_2192:
	s_mov_b64 s[0:1], 0
.LBB153_2193:
	s_andn2_b64 vcc, exec, s[0:1]
	s_cbranch_vccnz .LBB153_2198
; %bb.2194:
	s_cmp_gt_i32 s2, 0
	s_mov_b64 s[0:1], -1
	s_cbranch_scc0 .LBB153_2196
; %bb.2195:
	v_cvt_i16_f16_e32 v4, v3
	global_store_byte v[0:1], v4, off
	s_mov_b64 s[0:1], 0
.LBB153_2196:
	s_andn2_b64 vcc, exec, s[0:1]
	s_cbranch_vccnz .LBB153_2198
; %bb.2197:
	v_cvt_f32_f16_e32 v3, v3
	v_cvt_i32_f32_e32 v3, v3
	global_store_byte v[0:1], v3, off
.LBB153_2198:
	s_mov_b64 s[4:5], -1
.LBB153_2199:
	s_andn2_b64 vcc, exec, s[4:5]
	s_cbranch_vccnz .LBB153_2276
; %bb.2200:
	v_cvt_f16_f32_e32 v1, v14
	s_mov_b32 s0, 0x4b000000
	v_cmp_lt_f32_e64 s[0:1], |v13|, s0
	v_mov_b32_e32 v0, 0x264
	v_mov_b32_e32 v3, 0x7c00
	s_or_b64 vcc, s[6:7], s[0:1]
	v_cndmask_b32_e32 v1, v3, v1, vcc
	v_cmp_class_f32_e32 vcc, v13, v0
	v_cndmask_b32_e32 v0, v1, v3, vcc
	v_cmp_u_f16_e32 vcc, v11, v11
	v_cndmask_b32_e32 v3, v0, v11, vcc
	v_add_u32_e32 v0, s22, v2
	v_ashrrev_i32_e32 v1, 31, v0
	v_mov_b32_e32 v2, s13
	v_add_co_u32_e32 v0, vcc, s12, v0
	s_cmp_lt_i32 s26, 11
	v_addc_co_u32_e32 v1, vcc, v2, v1, vcc
	s_cbranch_scc1 .LBB153_2321
; %bb.2201:
	s_and_b32 s10, 0xffff, s26
	s_mov_b64 s[4:5], -1
	s_mov_b64 s[2:3], 0
	s_cmp_gt_i32 s10, 25
	s_mov_b64 s[0:1], 0
	s_cbranch_scc0 .LBB153_2234
; %bb.2202:
	s_cmp_gt_i32 s10, 28
	s_cbranch_scc0 .LBB153_2218
; %bb.2203:
	s_cmp_gt_i32 s10, 43
	;; [unrolled: 3-line block ×3, first 2 shown]
	s_cbranch_scc0 .LBB153_2208
; %bb.2205:
	s_cmp_eq_u32 s10, 46
	s_mov_b64 s[0:1], -1
	s_cbranch_scc0 .LBB153_2207
; %bb.2206:
	v_cvt_f32_f16_e32 v2, v3
	s_movk_i32 s0, 0x7fff
	v_cmp_o_f16_e32 vcc, v3, v3
	v_mov_b32_e32 v4, 0x7fc0
	v_bfe_u32 v5, v2, 16, 1
	v_add3_u32 v2, v2, v5, s0
	v_cndmask_b32_sdwa v2, v4, v2, vcc dst_sel:DWORD dst_unused:UNUSED_PAD src0_sel:DWORD src1_sel:WORD_1
	global_store_dword v[0:1], v2, off
	s_mov_b64 s[0:1], 0
.LBB153_2207:
	s_mov_b64 s[4:5], 0
.LBB153_2208:
	s_and_b64 vcc, exec, s[4:5]
	s_cbranch_vccz .LBB153_2213
; %bb.2209:
	s_cmp_eq_u32 s10, 44
	s_mov_b64 s[0:1], -1
	s_cbranch_scc0 .LBB153_2213
; %bb.2210:
	v_cvt_f32_f16_e32 v2, v3
	s_movk_i32 s0, 0xff
	v_mov_b32_e32 v5, 0xff
	v_bfe_u32 v4, v2, 23, 8
	v_cmp_ne_u32_e32 vcc, s0, v4
	s_and_saveexec_b64 s[4:5], vcc
; %bb.2211:
	s_mov_b32 s0, 0x3fffff
	v_lshrrev_b32_e32 v5, 23, v2
	v_and_b32_e32 v6, 0x400000, v2
	v_and_or_b32 v2, v2, s0, v4
	v_cmp_ne_u32_e32 vcc, 0, v6
	v_cmp_ne_u32_e64 s[0:1], 0, v2
	s_and_b64 s[0:1], vcc, s[0:1]
	v_cndmask_b32_e64 v2, 0, 1, s[0:1]
	v_add_u32_e32 v5, v5, v2
; %bb.2212:
	s_or_b64 exec, exec, s[4:5]
	s_mov_b64 s[0:1], 0
	global_store_byte v[0:1], v5, off
.LBB153_2213:
	s_mov_b64 s[4:5], 0
.LBB153_2214:
	s_and_b64 vcc, exec, s[4:5]
	s_cbranch_vccz .LBB153_2217
; %bb.2215:
	s_cmp_eq_u32 s10, 29
	s_mov_b64 s[0:1], -1
	s_cbranch_scc0 .LBB153_2217
; %bb.2216:
	v_cvt_f32_f16_e32 v2, v3
	v_mov_b32_e32 v5, 0
	s_mov_b64 s[0:1], 0
	v_cvt_u32_f32_e32 v4, v2
	global_store_dwordx2 v[0:1], v[4:5], off
.LBB153_2217:
	s_mov_b64 s[4:5], 0
.LBB153_2218:
	s_and_b64 vcc, exec, s[4:5]
	s_cbranch_vccz .LBB153_2233
; %bb.2219:
	s_cmp_lt_i32 s10, 27
	s_mov_b64 s[4:5], -1
	s_cbranch_scc1 .LBB153_2225
; %bb.2220:
	s_cmp_gt_i32 s10, 27
	s_cbranch_scc0 .LBB153_2222
; %bb.2221:
	v_cvt_f32_f16_e32 v2, v3
	s_mov_b64 s[4:5], 0
	v_cvt_u32_f32_e32 v2, v2
	global_store_dword v[0:1], v2, off
.LBB153_2222:
	s_andn2_b64 vcc, exec, s[4:5]
	s_cbranch_vccnz .LBB153_2224
; %bb.2223:
	v_cvt_u16_f16_e32 v2, v3
	global_store_short v[0:1], v2, off
.LBB153_2224:
	s_mov_b64 s[4:5], 0
.LBB153_2225:
	s_andn2_b64 vcc, exec, s[4:5]
	s_cbranch_vccnz .LBB153_2233
; %bb.2226:
	v_cvt_f32_f16_e32 v2, v3
	s_mov_b32 s4, 0x43800000
	v_mov_b32_e32 v5, 0x80
	v_and_b32_e32 v4, 0x7fffffff, v2
	v_cmp_gt_u32_e32 vcc, s4, v4
	s_and_saveexec_b64 s[4:5], vcc
	s_cbranch_execz .LBB153_2232
; %bb.2227:
	s_mov_b32 s6, 0x3bffffff
	v_cmp_lt_u32_e32 vcc, s6, v4
	s_mov_b64 s[6:7], 0
                                        ; implicit-def: $vgpr4
	s_and_saveexec_b64 s[8:9], vcc
	s_xor_b64 s[8:9], exec, s[8:9]
	s_cbranch_execz .LBB153_2338
; %bb.2228:
	v_bfe_u32 v4, v2, 20, 1
	s_mov_b32 s11, 0x487ffff
	v_add3_u32 v4, v2, v4, s11
	s_mov_b64 s[6:7], exec
	v_lshrrev_b32_e32 v4, 20, v4
	s_andn2_saveexec_b64 s[8:9], s[8:9]
	s_cbranch_execnz .LBB153_2339
.LBB153_2229:
	s_or_b64 exec, exec, s[8:9]
	v_mov_b32_e32 v5, 0
	s_and_saveexec_b64 s[8:9], s[6:7]
.LBB153_2230:
	v_lshrrev_b32_e32 v2, 24, v2
	s_movk_i32 s6, 0x80
	v_and_or_b32 v5, v2, s6, v4
.LBB153_2231:
	s_or_b64 exec, exec, s[8:9]
.LBB153_2232:
	s_or_b64 exec, exec, s[4:5]
	global_store_byte v[0:1], v5, off
.LBB153_2233:
	s_mov_b64 s[4:5], 0
.LBB153_2234:
	s_and_b64 vcc, exec, s[4:5]
	s_cbranch_vccz .LBB153_2274
; %bb.2235:
	s_cmp_gt_i32 s10, 22
	s_mov_b64 s[2:3], -1
	s_cbranch_scc0 .LBB153_2267
; %bb.2236:
	s_cmp_lt_i32 s10, 24
	s_cbranch_scc1 .LBB153_2256
; %bb.2237:
	s_cmp_gt_i32 s10, 24
	s_cbranch_scc0 .LBB153_2245
; %bb.2238:
	v_cvt_f32_f16_e32 v2, v3
	s_mov_b32 s2, 0x47800000
	v_mov_b32_e32 v5, 0x80
	v_and_b32_e32 v4, 0x7fffffff, v2
	v_cmp_gt_u32_e32 vcc, s2, v4
	s_and_saveexec_b64 s[2:3], vcc
	s_cbranch_execz .LBB153_2244
; %bb.2239:
	s_mov_b32 s4, 0x37ffffff
	v_cmp_lt_u32_e32 vcc, s4, v4
	s_mov_b64 s[4:5], 0
                                        ; implicit-def: $vgpr4
	s_and_saveexec_b64 s[6:7], vcc
	s_xor_b64 s[6:7], exec, s[6:7]
	s_cbranch_execz .LBB153_2341
; %bb.2240:
	v_bfe_u32 v4, v2, 21, 1
	s_mov_b32 s8, 0x88fffff
	v_add3_u32 v4, v2, v4, s8
	s_mov_b64 s[4:5], exec
	v_lshrrev_b32_e32 v4, 21, v4
	s_andn2_saveexec_b64 s[6:7], s[6:7]
	s_cbranch_execnz .LBB153_2342
.LBB153_2241:
	s_or_b64 exec, exec, s[6:7]
	v_mov_b32_e32 v5, 0
	s_and_saveexec_b64 s[6:7], s[4:5]
.LBB153_2242:
	v_lshrrev_b32_e32 v2, 24, v2
	s_movk_i32 s4, 0x80
	v_and_or_b32 v5, v2, s4, v4
.LBB153_2243:
	s_or_b64 exec, exec, s[6:7]
.LBB153_2244:
	s_or_b64 exec, exec, s[2:3]
	s_mov_b64 s[2:3], 0
	global_store_byte v[0:1], v5, off
.LBB153_2245:
	s_and_b64 vcc, exec, s[2:3]
	s_cbranch_vccz .LBB153_2255
; %bb.2246:
	v_cvt_f32_f16_e32 v2, v3
	s_mov_b32 s2, 0x43f00000
                                        ; implicit-def: $vgpr4
	v_and_b32_e32 v5, 0x7fffffff, v2
	v_cmp_gt_u32_e32 vcc, s2, v5
	s_and_saveexec_b64 s[2:3], vcc
	s_xor_b64 s[2:3], exec, s[2:3]
	s_cbranch_execz .LBB153_2252
; %bb.2247:
	s_mov_b32 s4, 0x3c7fffff
	v_cmp_lt_u32_e32 vcc, s4, v5
                                        ; implicit-def: $vgpr4
	s_and_saveexec_b64 s[4:5], vcc
	s_xor_b64 s[4:5], exec, s[4:5]
; %bb.2248:
	v_bfe_u32 v4, v2, 20, 1
	s_mov_b32 s6, 0x407ffff
	v_add3_u32 v4, v2, v4, s6
	v_lshrrev_b32_e32 v5, 20, v4
	v_and_b32_e32 v4, 0xff00000, v4
	s_mov_b32 s6, 0x7f00000
	v_mov_b32_e32 v6, 0x7e
	v_cmp_ne_u32_e32 vcc, s6, v4
	v_cndmask_b32_e32 v4, v6, v5, vcc
; %bb.2249:
	s_andn2_saveexec_b64 s[4:5], s[4:5]
; %bb.2250:
	s_mov_b32 s6, 0x46800000
	v_add_f32_e64 v4, |v2|, s6
; %bb.2251:
	s_or_b64 exec, exec, s[4:5]
                                        ; implicit-def: $vgpr5
.LBB153_2252:
	s_andn2_saveexec_b64 s[2:3], s[2:3]
; %bb.2253:
	s_mov_b32 s4, 0x7f800000
	v_mov_b32_e32 v4, 0x7e
	v_mov_b32_e32 v6, 0x7f
	v_cmp_lt_u32_e32 vcc, s4, v5
	v_cndmask_b32_e32 v4, v4, v6, vcc
; %bb.2254:
	s_or_b64 exec, exec, s[2:3]
	v_lshrrev_b32_e32 v2, 24, v2
	s_movk_i32 s2, 0x80
	v_and_or_b32 v2, v2, s2, v4
	global_store_byte v[0:1], v2, off
.LBB153_2255:
	s_mov_b64 s[2:3], 0
.LBB153_2256:
	s_andn2_b64 vcc, exec, s[2:3]
	s_cbranch_vccnz .LBB153_2266
; %bb.2257:
	v_cvt_f32_f16_e32 v2, v3
	s_mov_b32 s2, 0x47800000
                                        ; implicit-def: $vgpr4
	v_and_b32_e32 v5, 0x7fffffff, v2
	v_cmp_gt_u32_e32 vcc, s2, v5
	s_and_saveexec_b64 s[2:3], vcc
	s_xor_b64 s[2:3], exec, s[2:3]
	s_cbranch_execz .LBB153_2263
; %bb.2258:
	s_mov_b32 s4, 0x387fffff
	v_cmp_lt_u32_e32 vcc, s4, v5
                                        ; implicit-def: $vgpr4
	s_and_saveexec_b64 s[4:5], vcc
	s_xor_b64 s[4:5], exec, s[4:5]
; %bb.2259:
	v_bfe_u32 v4, v2, 21, 1
	s_mov_b32 s6, 0x80fffff
	v_add3_u32 v4, v2, v4, s6
	v_lshrrev_b32_e32 v4, 21, v4
; %bb.2260:
	s_andn2_saveexec_b64 s[4:5], s[4:5]
; %bb.2261:
	s_mov_b32 s6, 0x43000000
	v_add_f32_e64 v4, |v2|, s6
; %bb.2262:
	s_or_b64 exec, exec, s[4:5]
                                        ; implicit-def: $vgpr5
.LBB153_2263:
	s_andn2_saveexec_b64 s[2:3], s[2:3]
; %bb.2264:
	s_mov_b32 s4, 0x7f800000
	v_mov_b32_e32 v4, 0x7c
	v_mov_b32_e32 v6, 0x7f
	v_cmp_lt_u32_e32 vcc, s4, v5
	v_cndmask_b32_e32 v4, v4, v6, vcc
; %bb.2265:
	s_or_b64 exec, exec, s[2:3]
	v_lshrrev_b32_e32 v2, 24, v2
	s_movk_i32 s2, 0x80
	v_and_or_b32 v2, v2, s2, v4
	global_store_byte v[0:1], v2, off
.LBB153_2266:
	s_mov_b64 s[2:3], 0
.LBB153_2267:
	s_andn2_b64 vcc, exec, s[2:3]
	s_mov_b64 s[2:3], 0
	s_cbranch_vccnz .LBB153_2274
; %bb.2268:
	s_cmp_gt_i32 s10, 14
	s_mov_b64 s[4:5], -1
	s_cbranch_scc0 .LBB153_2272
; %bb.2269:
	s_cmp_eq_u32 s10, 15
	s_mov_b64 s[0:1], -1
	s_cbranch_scc0 .LBB153_2271
; %bb.2270:
	v_cvt_f32_f16_e32 v2, v3
	s_movk_i32 s0, 0x7fff
	v_cmp_o_f16_e32 vcc, v3, v3
	v_mov_b32_e32 v4, 0x7fc0
	v_bfe_u32 v5, v2, 16, 1
	v_add3_u32 v2, v2, v5, s0
	v_cndmask_b32_sdwa v2, v4, v2, vcc dst_sel:DWORD dst_unused:UNUSED_PAD src0_sel:DWORD src1_sel:WORD_1
	global_store_short v[0:1], v2, off
	s_mov_b64 s[0:1], 0
.LBB153_2271:
	s_mov_b64 s[4:5], 0
.LBB153_2272:
	s_and_b64 vcc, exec, s[4:5]
	s_cbranch_vccz .LBB153_2274
; %bb.2273:
	s_cmp_lg_u32 s10, 11
	s_mov_b64 s[2:3], -1
	s_cselect_b64 s[0:1], -1, 0
.LBB153_2274:
	s_and_b64 vcc, exec, s[0:1]
	s_cbranch_vccnz .LBB153_2340
.LBB153_2275:
	s_mov_b64 s[0:1], 0
	s_branch .LBB153_2277
.LBB153_2276:
	s_mov_b64 s[0:1], 0
	s_mov_b64 s[2:3], 0
                                        ; implicit-def: $sgpr26
                                        ; implicit-def: $vgpr0_vgpr1
                                        ; implicit-def: $vgpr3
.LBB153_2277:
	s_and_b64 s[8:9], s[2:3], exec
	s_andn2_b64 s[2:3], s[16:17], exec
	s_and_b64 s[4:5], s[20:21], exec
	s_and_b64 s[0:1], s[0:1], exec
	s_or_b64 s[16:17], s[2:3], s[4:5]
.LBB153_2278:
	s_or_b64 exec, exec, s[18:19]
	s_and_saveexec_b64 s[2:3], s[16:17]
	s_cbranch_execz .LBB153_2281
; %bb.2279:
	; divergent unreachable
	s_or_b64 exec, exec, s[2:3]
	s_and_saveexec_b64 s[2:3], s[8:9]
	s_xor_b64 s[2:3], exec, s[2:3]
	s_cbranch_execnz .LBB153_2282
.LBB153_2280:
	s_or_b64 exec, exec, s[2:3]
	s_and_saveexec_b64 s[2:3], s[0:1]
	s_cbranch_execnz .LBB153_2283
	s_branch .LBB153_2320
.LBB153_2281:
	s_or_b64 exec, exec, s[2:3]
	s_and_saveexec_b64 s[2:3], s[8:9]
	s_xor_b64 s[2:3], exec, s[2:3]
	s_cbranch_execz .LBB153_2280
.LBB153_2282:
	s_waitcnt vmcnt(0)
	v_cmp_neq_f16_e32 vcc, 0, v3
	v_cndmask_b32_e64 v2, 0, 1, vcc
	global_store_byte v[0:1], v2, off
	s_or_b64 exec, exec, s[2:3]
	s_and_saveexec_b64 s[2:3], s[0:1]
	s_cbranch_execz .LBB153_2320
.LBB153_2283:
	s_sext_i32_i16 s2, s26
	s_cmp_lt_i32 s2, 5
	s_mov_b64 s[0:1], -1
	s_cbranch_scc1 .LBB153_2304
; %bb.2284:
	s_cmp_lt_i32 s2, 8
	s_cbranch_scc1 .LBB153_2294
; %bb.2285:
	s_cmp_lt_i32 s2, 9
	s_cbranch_scc1 .LBB153_2291
; %bb.2286:
	s_cmp_gt_i32 s2, 9
	s_cbranch_scc0 .LBB153_2288
; %bb.2287:
	s_waitcnt vmcnt(0)
	v_cvt_f32_f16_e32 v2, v3
	v_mov_b32_e32 v6, 0
	v_mov_b32_e32 v7, v6
	s_mov_b64 s[0:1], 0
	v_cvt_f64_f32_e32 v[4:5], v2
	global_store_dwordx4 v[0:1], v[4:7], off
.LBB153_2288:
	s_andn2_b64 vcc, exec, s[0:1]
	s_cbranch_vccnz .LBB153_2290
; %bb.2289:
	s_waitcnt vmcnt(0)
	v_cvt_f32_f16_e32 v4, v3
	v_mov_b32_e32 v5, 0
	global_store_dwordx2 v[0:1], v[4:5], off
.LBB153_2290:
	s_mov_b64 s[0:1], 0
.LBB153_2291:
	s_andn2_b64 vcc, exec, s[0:1]
	s_cbranch_vccnz .LBB153_2293
; %bb.2292:
	s_waitcnt vmcnt(0)
	v_and_b32_e32 v2, 0xffff, v3
	global_store_dword v[0:1], v2, off
.LBB153_2293:
	s_mov_b64 s[0:1], 0
.LBB153_2294:
	s_andn2_b64 vcc, exec, s[0:1]
	s_cbranch_vccnz .LBB153_2303
; %bb.2295:
	s_sext_i32_i16 s2, s26
	s_cmp_lt_i32 s2, 6
	s_mov_b64 s[0:1], -1
	s_cbranch_scc1 .LBB153_2301
; %bb.2296:
	s_cmp_gt_i32 s2, 6
	s_cbranch_scc0 .LBB153_2298
; %bb.2297:
	s_waitcnt vmcnt(0)
	v_cvt_f32_f16_e32 v2, v3
	s_mov_b64 s[0:1], 0
	v_cvt_f64_f32_e32 v[4:5], v2
	global_store_dwordx2 v[0:1], v[4:5], off
.LBB153_2298:
	s_andn2_b64 vcc, exec, s[0:1]
	s_cbranch_vccnz .LBB153_2300
; %bb.2299:
	s_waitcnt vmcnt(0)
	v_cvt_f32_f16_e32 v2, v3
	global_store_dword v[0:1], v2, off
.LBB153_2300:
	s_mov_b64 s[0:1], 0
.LBB153_2301:
	s_andn2_b64 vcc, exec, s[0:1]
	s_cbranch_vccnz .LBB153_2303
; %bb.2302:
	s_waitcnt vmcnt(0)
	global_store_short v[0:1], v3, off
.LBB153_2303:
	s_mov_b64 s[0:1], 0
.LBB153_2304:
	s_andn2_b64 vcc, exec, s[0:1]
	s_cbranch_vccnz .LBB153_2320
; %bb.2305:
	s_sext_i32_i16 s2, s26
	s_cmp_lt_i32 s2, 2
	s_mov_b64 s[0:1], -1
	s_cbranch_scc1 .LBB153_2315
; %bb.2306:
	s_cmp_lt_i32 s2, 3
	s_cbranch_scc1 .LBB153_2312
; %bb.2307:
	s_cmp_gt_i32 s2, 3
	s_cbranch_scc0 .LBB153_2309
; %bb.2308:
	s_waitcnt vmcnt(0)
	v_cvt_f32_f16_e32 v2, v3
	s_mov_b64 s[0:1], 0
	v_cvt_i32_f32_e32 v4, v2
	v_ashrrev_i32_e32 v5, 31, v4
	global_store_dwordx2 v[0:1], v[4:5], off
.LBB153_2309:
	s_andn2_b64 vcc, exec, s[0:1]
	s_cbranch_vccnz .LBB153_2311
; %bb.2310:
	s_waitcnt vmcnt(0)
	v_cvt_f32_f16_e32 v2, v3
	v_cvt_i32_f32_e32 v2, v2
	global_store_dword v[0:1], v2, off
.LBB153_2311:
	s_mov_b64 s[0:1], 0
.LBB153_2312:
	s_andn2_b64 vcc, exec, s[0:1]
	s_cbranch_vccnz .LBB153_2314
; %bb.2313:
	s_waitcnt vmcnt(0)
	v_cvt_i16_f16_e32 v2, v3
	global_store_short v[0:1], v2, off
.LBB153_2314:
	s_mov_b64 s[0:1], 0
.LBB153_2315:
	s_andn2_b64 vcc, exec, s[0:1]
	s_cbranch_vccnz .LBB153_2320
; %bb.2316:
	s_sext_i32_i16 s0, s26
	s_cmp_gt_i32 s0, 0
	s_mov_b64 s[0:1], -1
	s_cbranch_scc0 .LBB153_2318
; %bb.2317:
	s_waitcnt vmcnt(0)
	v_cvt_i16_f16_e32 v2, v3
	global_store_byte v[0:1], v2, off
	s_mov_b64 s[0:1], 0
.LBB153_2318:
	s_andn2_b64 vcc, exec, s[0:1]
	s_cbranch_vccnz .LBB153_2320
; %bb.2319:
	s_waitcnt vmcnt(0)
	v_cvt_f32_f16_e32 v2, v3
	v_cvt_i32_f32_e32 v2, v2
	global_store_byte v[0:1], v2, off
	s_endpgm
.LBB153_2320:
	s_endpgm
.LBB153_2321:
	s_mov_b64 s[2:3], 0
	s_mov_b64 s[0:1], -1
	s_branch .LBB153_2277
.LBB153_2322:
	s_trap 2
	s_or_b64 s[20:21], s[20:21], exec
	s_cbranch_execz .LBB153_1753
	s_branch .LBB153_1754
.LBB153_2323:
	s_andn2_saveexec_b64 s[24:25], s[24:25]
	s_cbranch_execz .LBB153_1871
.LBB153_2324:
	s_mov_b32 s27, 0x46000000
	v_add_f32_e64 v6, |v4|, s27
	v_and_b32_e32 v6, 0xff, v6
	v_cmp_ne_u32_e32 vcc, 0, v6
	s_andn2_b64 s[22:23], s[22:23], exec
	s_and_b64 s[28:29], vcc, exec
	s_or_b64 s[22:23], s[22:23], s[28:29]
	s_or_b64 exec, exec, s[24:25]
	v_mov_b32_e32 v15, 0
	s_and_saveexec_b64 s[24:25], s[22:23]
	s_cbranch_execnz .LBB153_1872
	s_branch .LBB153_1873
.LBB153_2325:
	s_trap 2
	s_or_b64 s[20:21], s[20:21], exec
	s_cbranch_execz .LBB153_1919
	s_branch .LBB153_1920
.LBB153_2326:
	s_andn2_saveexec_b64 s[22:23], s[22:23]
	s_cbranch_execz .LBB153_1884
.LBB153_2327:
	s_mov_b32 s24, 0x42800000
	v_add_f32_e64 v6, |v4|, s24
	v_and_b32_e32 v6, 0xff, v6
	v_cmp_ne_u32_e32 vcc, 0, v6
	s_andn2_b64 s[14:15], s[14:15], exec
	s_and_b64 s[24:25], vcc, exec
	s_or_b64 s[14:15], s[14:15], s[24:25]
	s_or_b64 exec, exec, s[22:23]
	v_mov_b32_e32 v15, 0
	s_and_saveexec_b64 s[22:23], s[14:15]
	s_cbranch_execnz .LBB153_1885
	s_branch .LBB153_1886
.LBB153_2328:
	s_andn2_saveexec_b64 s[14:15], s[14:15]
	s_cbranch_execz .LBB153_1990
.LBB153_2329:
	s_mov_b32 s24, 0x46000000
	v_add_f32_e64 v5, |v4|, s24
	v_and_b32_e32 v5, 0xff, v5
	v_cmp_ne_u32_e32 vcc, 0, v5
	s_andn2_b64 s[10:11], s[10:11], exec
	s_and_b64 s[24:25], vcc, exec
	s_or_b64 s[10:11], s[10:11], s[24:25]
	s_or_b64 exec, exec, s[14:15]
	v_mov_b32_e32 v6, 0
	s_and_saveexec_b64 s[14:15], s[10:11]
	s_cbranch_execnz .LBB153_1991
	s_branch .LBB153_1992
.LBB153_2330:
	s_trap 2
	s_or_b64 s[20:21], s[20:21], exec
	s_cbranch_execz .LBB153_2038
	s_branch .LBB153_2039
.LBB153_2331:
	s_andn2_saveexec_b64 s[10:11], s[10:11]
	s_cbranch_execz .LBB153_2003
.LBB153_2332:
	s_mov_b32 s14, 0x42800000
	v_add_f32_e64 v5, |v4|, s14
	v_and_b32_e32 v5, 0xff, v5
	v_cmp_ne_u32_e32 vcc, 0, v5
	s_andn2_b64 s[8:9], s[8:9], exec
	s_and_b64 s[14:15], vcc, exec
	s_or_b64 s[8:9], s[8:9], s[14:15]
	s_or_b64 exec, exec, s[10:11]
	v_mov_b32_e32 v6, 0
	s_and_saveexec_b64 s[10:11], s[8:9]
	s_cbranch_execnz .LBB153_2004
	s_branch .LBB153_2005
.LBB153_2333:
	s_andn2_saveexec_b64 s[10:11], s[10:11]
	s_cbranch_execz .LBB153_2109
.LBB153_2334:
	s_mov_b32 s15, 0x46000000
	v_add_f32_e64 v5, |v4|, s15
	v_and_b32_e32 v5, 0xff, v5
	v_cmp_ne_u32_e32 vcc, 0, v5
	s_andn2_b64 s[8:9], s[8:9], exec
	s_and_b64 s[24:25], vcc, exec
	s_or_b64 s[8:9], s[8:9], s[24:25]
	s_or_b64 exec, exec, s[10:11]
	v_mov_b32_e32 v6, 0
	s_and_saveexec_b64 s[10:11], s[8:9]
	s_cbranch_execnz .LBB153_2110
	s_branch .LBB153_2111
.LBB153_2335:
	s_trap 2
	s_or_b64 s[20:21], s[20:21], exec
	s_cbranch_execz .LBB153_2157
	s_branch .LBB153_2158
.LBB153_2336:
	s_andn2_saveexec_b64 s[8:9], s[8:9]
	s_cbranch_execz .LBB153_2122
.LBB153_2337:
	s_mov_b32 s10, 0x42800000
	v_add_f32_e64 v5, |v4|, s10
	v_and_b32_e32 v5, 0xff, v5
	v_cmp_ne_u32_e32 vcc, 0, v5
	s_andn2_b64 s[4:5], s[4:5], exec
	s_and_b64 s[10:11], vcc, exec
	s_or_b64 s[4:5], s[4:5], s[10:11]
	s_or_b64 exec, exec, s[8:9]
	v_mov_b32_e32 v6, 0
	s_and_saveexec_b64 s[8:9], s[4:5]
	s_cbranch_execnz .LBB153_2123
	s_branch .LBB153_2124
.LBB153_2338:
	s_andn2_saveexec_b64 s[8:9], s[8:9]
	s_cbranch_execz .LBB153_2229
.LBB153_2339:
	s_mov_b32 s11, 0x46000000
	v_add_f32_e64 v4, |v2|, s11
	v_and_b32_e32 v4, 0xff, v4
	v_cmp_ne_u32_e32 vcc, 0, v4
	s_andn2_b64 s[6:7], s[6:7], exec
	s_and_b64 s[12:13], vcc, exec
	s_or_b64 s[6:7], s[6:7], s[12:13]
	s_or_b64 exec, exec, s[8:9]
	v_mov_b32_e32 v5, 0
	s_and_saveexec_b64 s[8:9], s[6:7]
	s_cbranch_execnz .LBB153_2230
	s_branch .LBB153_2231
.LBB153_2340:
	s_mov_b64 s[2:3], 0
	s_or_b64 s[20:21], s[20:21], exec
	s_trap 2
	s_branch .LBB153_2275
.LBB153_2341:
	s_andn2_saveexec_b64 s[6:7], s[6:7]
	s_cbranch_execz .LBB153_2241
.LBB153_2342:
	s_mov_b32 s8, 0x42800000
	v_add_f32_e64 v4, |v2|, s8
	v_and_b32_e32 v4, 0xff, v4
	v_cmp_ne_u32_e32 vcc, 0, v4
	s_andn2_b64 s[4:5], s[4:5], exec
	s_and_b64 s[8:9], vcc, exec
	s_or_b64 s[4:5], s[4:5], s[8:9]
	s_or_b64 exec, exec, s[6:7]
	v_mov_b32_e32 v5, 0
	s_and_saveexec_b64 s[6:7], s[4:5]
	s_cbranch_execnz .LBB153_2242
	s_branch .LBB153_2243
	.section	.rodata,"a",@progbits
	.p2align	6, 0x0
	.amdhsa_kernel _ZN2at6native32elementwise_kernel_manual_unrollILi128ELi4EZNS0_15gpu_kernel_implIZZZNS0_18lgamma_kernel_cudaERNS_18TensorIteratorBaseEENKUlvE_clEvENKUlvE1_clEvEUlN3c104HalfEE_EEvS4_RKT_EUlibE_EEviT1_
		.amdhsa_group_segment_fixed_size 0
		.amdhsa_private_segment_fixed_size 0
		.amdhsa_kernarg_size 40
		.amdhsa_user_sgpr_count 6
		.amdhsa_user_sgpr_private_segment_buffer 1
		.amdhsa_user_sgpr_dispatch_ptr 0
		.amdhsa_user_sgpr_queue_ptr 0
		.amdhsa_user_sgpr_kernarg_segment_ptr 1
		.amdhsa_user_sgpr_dispatch_id 0
		.amdhsa_user_sgpr_flat_scratch_init 0
		.amdhsa_user_sgpr_private_segment_size 0
		.amdhsa_uses_dynamic_stack 0
		.amdhsa_system_sgpr_private_segment_wavefront_offset 0
		.amdhsa_system_sgpr_workgroup_id_x 1
		.amdhsa_system_sgpr_workgroup_id_y 0
		.amdhsa_system_sgpr_workgroup_id_z 0
		.amdhsa_system_sgpr_workgroup_info 0
		.amdhsa_system_vgpr_workitem_id 0
		.amdhsa_next_free_vgpr 22
		.amdhsa_next_free_sgpr 44
		.amdhsa_reserve_vcc 1
		.amdhsa_reserve_flat_scratch 0
		.amdhsa_float_round_mode_32 0
		.amdhsa_float_round_mode_16_64 0
		.amdhsa_float_denorm_mode_32 3
		.amdhsa_float_denorm_mode_16_64 3
		.amdhsa_dx10_clamp 1
		.amdhsa_ieee_mode 1
		.amdhsa_fp16_overflow 0
		.amdhsa_exception_fp_ieee_invalid_op 0
		.amdhsa_exception_fp_denorm_src 0
		.amdhsa_exception_fp_ieee_div_zero 0
		.amdhsa_exception_fp_ieee_overflow 0
		.amdhsa_exception_fp_ieee_underflow 0
		.amdhsa_exception_fp_ieee_inexact 0
		.amdhsa_exception_int_div_zero 0
	.end_amdhsa_kernel
	.section	.text._ZN2at6native32elementwise_kernel_manual_unrollILi128ELi4EZNS0_15gpu_kernel_implIZZZNS0_18lgamma_kernel_cudaERNS_18TensorIteratorBaseEENKUlvE_clEvENKUlvE1_clEvEUlN3c104HalfEE_EEvS4_RKT_EUlibE_EEviT1_,"axG",@progbits,_ZN2at6native32elementwise_kernel_manual_unrollILi128ELi4EZNS0_15gpu_kernel_implIZZZNS0_18lgamma_kernel_cudaERNS_18TensorIteratorBaseEENKUlvE_clEvENKUlvE1_clEvEUlN3c104HalfEE_EEvS4_RKT_EUlibE_EEviT1_,comdat
.Lfunc_end153:
	.size	_ZN2at6native32elementwise_kernel_manual_unrollILi128ELi4EZNS0_15gpu_kernel_implIZZZNS0_18lgamma_kernel_cudaERNS_18TensorIteratorBaseEENKUlvE_clEvENKUlvE1_clEvEUlN3c104HalfEE_EEvS4_RKT_EUlibE_EEviT1_, .Lfunc_end153-_ZN2at6native32elementwise_kernel_manual_unrollILi128ELi4EZNS0_15gpu_kernel_implIZZZNS0_18lgamma_kernel_cudaERNS_18TensorIteratorBaseEENKUlvE_clEvENKUlvE1_clEvEUlN3c104HalfEE_EEvS4_RKT_EUlibE_EEviT1_
                                        ; -- End function
	.set _ZN2at6native32elementwise_kernel_manual_unrollILi128ELi4EZNS0_15gpu_kernel_implIZZZNS0_18lgamma_kernel_cudaERNS_18TensorIteratorBaseEENKUlvE_clEvENKUlvE1_clEvEUlN3c104HalfEE_EEvS4_RKT_EUlibE_EEviT1_.num_vgpr, 22
	.set _ZN2at6native32elementwise_kernel_manual_unrollILi128ELi4EZNS0_15gpu_kernel_implIZZZNS0_18lgamma_kernel_cudaERNS_18TensorIteratorBaseEENKUlvE_clEvENKUlvE1_clEvEUlN3c104HalfEE_EEvS4_RKT_EUlibE_EEviT1_.num_agpr, 0
	.set _ZN2at6native32elementwise_kernel_manual_unrollILi128ELi4EZNS0_15gpu_kernel_implIZZZNS0_18lgamma_kernel_cudaERNS_18TensorIteratorBaseEENKUlvE_clEvENKUlvE1_clEvEUlN3c104HalfEE_EEvS4_RKT_EUlibE_EEviT1_.numbered_sgpr, 44
	.set _ZN2at6native32elementwise_kernel_manual_unrollILi128ELi4EZNS0_15gpu_kernel_implIZZZNS0_18lgamma_kernel_cudaERNS_18TensorIteratorBaseEENKUlvE_clEvENKUlvE1_clEvEUlN3c104HalfEE_EEvS4_RKT_EUlibE_EEviT1_.num_named_barrier, 0
	.set _ZN2at6native32elementwise_kernel_manual_unrollILi128ELi4EZNS0_15gpu_kernel_implIZZZNS0_18lgamma_kernel_cudaERNS_18TensorIteratorBaseEENKUlvE_clEvENKUlvE1_clEvEUlN3c104HalfEE_EEvS4_RKT_EUlibE_EEviT1_.private_seg_size, 0
	.set _ZN2at6native32elementwise_kernel_manual_unrollILi128ELi4EZNS0_15gpu_kernel_implIZZZNS0_18lgamma_kernel_cudaERNS_18TensorIteratorBaseEENKUlvE_clEvENKUlvE1_clEvEUlN3c104HalfEE_EEvS4_RKT_EUlibE_EEviT1_.uses_vcc, 1
	.set _ZN2at6native32elementwise_kernel_manual_unrollILi128ELi4EZNS0_15gpu_kernel_implIZZZNS0_18lgamma_kernel_cudaERNS_18TensorIteratorBaseEENKUlvE_clEvENKUlvE1_clEvEUlN3c104HalfEE_EEvS4_RKT_EUlibE_EEviT1_.uses_flat_scratch, 0
	.set _ZN2at6native32elementwise_kernel_manual_unrollILi128ELi4EZNS0_15gpu_kernel_implIZZZNS0_18lgamma_kernel_cudaERNS_18TensorIteratorBaseEENKUlvE_clEvENKUlvE1_clEvEUlN3c104HalfEE_EEvS4_RKT_EUlibE_EEviT1_.has_dyn_sized_stack, 0
	.set _ZN2at6native32elementwise_kernel_manual_unrollILi128ELi4EZNS0_15gpu_kernel_implIZZZNS0_18lgamma_kernel_cudaERNS_18TensorIteratorBaseEENKUlvE_clEvENKUlvE1_clEvEUlN3c104HalfEE_EEvS4_RKT_EUlibE_EEviT1_.has_recursion, 0
	.set _ZN2at6native32elementwise_kernel_manual_unrollILi128ELi4EZNS0_15gpu_kernel_implIZZZNS0_18lgamma_kernel_cudaERNS_18TensorIteratorBaseEENKUlvE_clEvENKUlvE1_clEvEUlN3c104HalfEE_EEvS4_RKT_EUlibE_EEviT1_.has_indirect_call, 0
	.section	.AMDGPU.csdata,"",@progbits
; Kernel info:
; codeLenInByte = 56036
; TotalNumSgprs: 48
; NumVgprs: 22
; ScratchSize: 0
; MemoryBound: 0
; FloatMode: 240
; IeeeMode: 1
; LDSByteSize: 0 bytes/workgroup (compile time only)
; SGPRBlocks: 5
; VGPRBlocks: 5
; NumSGPRsForWavesPerEU: 48
; NumVGPRsForWavesPerEU: 22
; Occupancy: 10
; WaveLimiterHint : 0
; COMPUTE_PGM_RSRC2:SCRATCH_EN: 0
; COMPUTE_PGM_RSRC2:USER_SGPR: 6
; COMPUTE_PGM_RSRC2:TRAP_HANDLER: 0
; COMPUTE_PGM_RSRC2:TGID_X_EN: 1
; COMPUTE_PGM_RSRC2:TGID_Y_EN: 0
; COMPUTE_PGM_RSRC2:TGID_Z_EN: 0
; COMPUTE_PGM_RSRC2:TIDIG_COMP_CNT: 0
	.section	.text._ZN2at6native32elementwise_kernel_manual_unrollILi128ELi4EZNS0_15gpu_kernel_implIZZZNS0_18lgamma_kernel_cudaERNS_18TensorIteratorBaseEENKUlvE_clEvENKUlvE1_clEvEUlN3c104HalfEE_EEvS4_RKT_EUlibE0_EEviT1_,"axG",@progbits,_ZN2at6native32elementwise_kernel_manual_unrollILi128ELi4EZNS0_15gpu_kernel_implIZZZNS0_18lgamma_kernel_cudaERNS_18TensorIteratorBaseEENKUlvE_clEvENKUlvE1_clEvEUlN3c104HalfEE_EEvS4_RKT_EUlibE0_EEviT1_,comdat
	.globl	_ZN2at6native32elementwise_kernel_manual_unrollILi128ELi4EZNS0_15gpu_kernel_implIZZZNS0_18lgamma_kernel_cudaERNS_18TensorIteratorBaseEENKUlvE_clEvENKUlvE1_clEvEUlN3c104HalfEE_EEvS4_RKT_EUlibE0_EEviT1_ ; -- Begin function _ZN2at6native32elementwise_kernel_manual_unrollILi128ELi4EZNS0_15gpu_kernel_implIZZZNS0_18lgamma_kernel_cudaERNS_18TensorIteratorBaseEENKUlvE_clEvENKUlvE1_clEvEUlN3c104HalfEE_EEvS4_RKT_EUlibE0_EEviT1_
	.p2align	8
	.type	_ZN2at6native32elementwise_kernel_manual_unrollILi128ELi4EZNS0_15gpu_kernel_implIZZZNS0_18lgamma_kernel_cudaERNS_18TensorIteratorBaseEENKUlvE_clEvENKUlvE1_clEvEUlN3c104HalfEE_EEvS4_RKT_EUlibE0_EEviT1_,@function
_ZN2at6native32elementwise_kernel_manual_unrollILi128ELi4EZNS0_15gpu_kernel_implIZZZNS0_18lgamma_kernel_cudaERNS_18TensorIteratorBaseEENKUlvE_clEvENKUlvE1_clEvEUlN3c104HalfEE_EEvS4_RKT_EUlibE0_EEviT1_: ; @_ZN2at6native32elementwise_kernel_manual_unrollILi128ELi4EZNS0_15gpu_kernel_implIZZZNS0_18lgamma_kernel_cudaERNS_18TensorIteratorBaseEENKUlvE_clEvENKUlvE1_clEvEUlN3c104HalfEE_EEvS4_RKT_EUlibE0_EEviT1_
; %bb.0:
	s_load_dword s70, s[4:5], 0x0
	s_load_dword s33, s[4:5], 0x8
	s_add_u32 s34, s4, 8
	s_addc_u32 s35, s5, 0
	v_lshl_or_b32 v8, s6, 9, v0
	v_or_b32_e32 v15, 0x180, v8
	s_waitcnt lgkmcnt(0)
	s_add_i32 s72, s33, -1
	s_cmp_gt_u32 s72, 1
	v_cmp_le_i32_e32 vcc, s70, v15
	s_cselect_b64 s[40:41], -1, 0
	s_mov_b64 s[6:7], 0
	s_mov_b64 s[28:29], 0
	s_and_saveexec_b64 s[0:1], vcc
	s_xor_b64 s[42:43], exec, s[0:1]
	s_cbranch_execz .LBB154_1238
; %bb.1:
	v_mov_b32_e32 v0, 0
	global_load_ushort v0, v0, s[34:35] offset:345
	s_load_dwordx4 s[36:39], s[34:35], 0x4
	s_load_dwordx2 s[44:45], s[34:35], 0x14
	s_load_dwordx4 s[28:31], s[34:35], 0xc4
	s_load_dwordx4 s[24:27], s[34:35], 0x148
	s_cmp_lg_u32 s33, 0
	s_cselect_b64 s[50:51], -1, 0
	s_add_u32 s48, s34, 0xc4
	s_addc_u32 s49, s35, 0
	s_min_u32 s75, s72, 15
	s_cmp_gt_u32 s33, 1
	s_cselect_b64 s[46:47], -1, 0
	v_cmp_gt_i32_e32 vcc, s70, v8
	s_mov_b64 s[2:3], -1
	s_mov_b64 s[60:61], 0
	s_mov_b64 s[54:55], 0
	;; [unrolled: 1-line block ×3, first 2 shown]
	s_waitcnt vmcnt(0)
	v_readfirstlane_b32 s73, v0
	s_and_b32 s0, 0xffff, s73
	s_lshr_b32 s74, s0, 8
	s_and_saveexec_b64 s[56:57], vcc
	s_cbranch_execz .LBB154_304
; %bb.2:
	s_andn2_b64 vcc, exec, s[40:41]
	s_cbranch_vccnz .LBB154_7
; %bb.3:
	s_andn2_b64 vcc, exec, s[50:51]
	s_cbranch_vccnz .LBB154_8
; %bb.4:
	s_add_i32 s59, s75, 1
	s_cmp_eq_u32 s72, 2
	s_cbranch_scc1 .LBB154_9
; %bb.5:
	s_and_b32 s58, s59, 28
	v_mov_b32_e32 v2, 0
	s_mov_b32 s62, 0
	s_mov_b64 s[52:53], s[34:35]
	s_mov_b64 s[54:55], s[48:49]
	v_mov_b32_e32 v0, 0
	v_mov_b32_e32 v1, v8
.LBB154_6:                              ; =>This Inner Loop Header: Depth=1
	s_load_dwordx8 s[16:23], s[52:53], 0x4
	s_load_dwordx4 s[0:3], s[52:53], 0x24
	s_load_dwordx8 s[8:15], s[54:55], 0x0
	s_add_u32 s52, s52, 48
	s_addc_u32 s53, s53, 0
	s_waitcnt lgkmcnt(0)
	v_mul_hi_u32 v3, s17, v1
	s_add_i32 s62, s62, 4
	s_add_u32 s54, s54, 32
	s_addc_u32 s55, s55, 0
	v_add_u32_e32 v3, v1, v3
	v_lshrrev_b32_e32 v3, s18, v3
	v_mul_lo_u32 v4, v3, s16
	v_mul_hi_u32 v5, s20, v3
	s_cmp_lg_u32 s58, s62
	v_sub_u32_e32 v1, v1, v4
	v_add_u32_e32 v4, v3, v5
	v_mul_lo_u32 v5, v1, s8
	v_mul_lo_u32 v6, v1, s9
	v_lshrrev_b32_e32 v1, s21, v4
	v_mul_lo_u32 v4, v1, s19
	v_mul_hi_u32 v7, s23, v1
	v_sub_u32_e32 v3, v3, v4
	v_add_u32_e32 v4, v1, v7
	v_lshrrev_b32_e32 v4, s0, v4
	v_mul_hi_u32 v9, s2, v4
	v_mul_lo_u32 v10, v4, s22
	v_mul_lo_u32 v7, v3, s10
	;; [unrolled: 1-line block ×3, first 2 shown]
	v_sub_u32_e32 v10, v1, v10
	v_add_u32_e32 v1, v4, v9
	v_lshrrev_b32_e32 v1, s3, v1
	v_mul_lo_u32 v9, v1, s1
	v_mul_lo_u32 v11, v10, s12
	;; [unrolled: 1-line block ×3, first 2 shown]
	v_add3_u32 v0, v5, v0, v7
	v_sub_u32_e32 v4, v4, v9
	v_mul_lo_u32 v9, v4, s14
	v_mul_lo_u32 v4, v4, s15
	v_add3_u32 v2, v6, v2, v3
	v_add3_u32 v0, v11, v0, v9
	;; [unrolled: 1-line block ×3, first 2 shown]
	s_cbranch_scc1 .LBB154_6
	s_branch .LBB154_10
.LBB154_7:
                                        ; implicit-def: $vgpr0
                                        ; implicit-def: $vgpr2
	s_branch .LBB154_14
.LBB154_8:
	v_mov_b32_e32 v0, 0
	v_mov_b32_e32 v2, 0
	s_branch .LBB154_13
.LBB154_9:
	s_mov_b32 s58, 0
	v_mov_b32_e32 v0, 0
	v_mov_b32_e32 v2, 0
	;; [unrolled: 1-line block ×3, first 2 shown]
.LBB154_10:
	s_and_b32 s8, s59, 3
	s_cmp_eq_u32 s8, 0
	s_cbranch_scc1 .LBB154_13
; %bb.11:
	s_lshl_b32 s0, s58, 3
	s_add_u32 s0, s34, s0
	s_addc_u32 s1, s35, 0
	s_add_u32 s0, s0, 0xc4
	s_addc_u32 s1, s1, 0
	s_mul_i32 s2, s58, 12
	s_add_u32 s2, s34, s2
	s_addc_u32 s3, s35, 0
.LBB154_12:                             ; =>This Inner Loop Header: Depth=1
	s_load_dwordx2 s[10:11], s[2:3], 0x4
	s_load_dword s9, s[2:3], 0xc
	s_load_dwordx2 s[12:13], s[0:1], 0x0
	s_add_u32 s2, s2, 12
	s_addc_u32 s3, s3, 0
	s_waitcnt lgkmcnt(0)
	v_mul_hi_u32 v3, s11, v1
	s_add_u32 s0, s0, 8
	s_addc_u32 s1, s1, 0
	s_add_i32 s8, s8, -1
	v_add_u32_e32 v3, v1, v3
	v_lshrrev_b32_e32 v4, s9, v3
	v_mul_lo_u32 v3, v4, s10
	s_cmp_lg_u32 s8, 0
	v_sub_u32_e32 v3, v1, v3
	v_mad_u64_u32 v[0:1], s[10:11], v3, s12, v[0:1]
	v_mad_u64_u32 v[2:3], s[10:11], v3, s13, v[2:3]
	v_mov_b32_e32 v1, v4
	s_cbranch_scc1 .LBB154_12
.LBB154_13:
	s_cbranch_execnz .LBB154_16
.LBB154_14:
	s_waitcnt lgkmcnt(0)
	v_mul_hi_u32 v0, s37, v8
	s_andn2_b64 vcc, exec, s[46:47]
	v_add_u32_e32 v0, v8, v0
	v_lshrrev_b32_e32 v1, s38, v0
	v_mul_lo_u32 v0, v1, s36
	v_sub_u32_e32 v2, v8, v0
	v_mul_lo_u32 v0, v2, s28
	v_mul_lo_u32 v2, v2, s29
	s_cbranch_vccnz .LBB154_16
; %bb.15:
	v_mul_hi_u32 v3, s44, v1
	v_add_u32_e32 v3, v1, v3
	v_lshrrev_b32_e32 v3, s45, v3
	v_mul_lo_u32 v3, v3, s39
	v_sub_u32_e32 v3, v1, v3
	v_mad_u64_u32 v[0:1], s[0:1], v3, s30, v[0:1]
	v_mad_u64_u32 v[2:3], s[0:1], v3, s31, v[2:3]
.LBB154_16:
	s_waitcnt lgkmcnt(0)
	v_mov_b32_e32 v3, s27
	s_and_b32 s12, 0xffff, s74
	v_add_co_u32_e32 v1, vcc, s26, v2
	s_cmp_lt_i32 s12, 11
	v_addc_co_u32_e32 v2, vcc, 0, v3, vcc
	s_cbranch_scc1 .LBB154_23
; %bb.17:
	s_cmp_gt_i32 s12, 25
	s_cbranch_scc0 .LBB154_70
; %bb.18:
	s_cmp_gt_i32 s12, 28
	s_cbranch_scc0 .LBB154_73
	;; [unrolled: 3-line block ×4, first 2 shown]
; %bb.21:
	s_cmp_eq_u32 s12, 46
	s_mov_b64 s[2:3], 0
	s_cbranch_scc0 .LBB154_79
; %bb.22:
	global_load_dword v3, v[1:2], off
	s_mov_b64 s[0:1], -1
	s_mov_b64 s[8:9], 0
	s_waitcnt vmcnt(0)
	v_lshlrev_b32_e32 v3, 16, v3
	v_cvt_f16_f32_e32 v3, v3
	s_branch .LBB154_81
.LBB154_23:
	s_mov_b64 s[8:9], 0
                                        ; implicit-def: $vgpr3
	s_mov_b64 s[0:1], 0
	s_cbranch_execnz .LBB154_254
.LBB154_24:
	s_andn2_b64 vcc, exec, s[0:1]
	s_cbranch_vccnz .LBB154_301
.LBB154_25:
	s_waitcnt vmcnt(0)
	v_cvt_f32_f16_e32 v1, v3
	s_mov_b32 s0, 0x3c800000
                                        ; implicit-def: $vgpr4
	v_and_b32_e32 v2, 0x7fffffff, v1
	v_cmp_nlt_f32_e64 s[0:1], |v1|, s0
	s_and_saveexec_b64 s[2:3], s[0:1]
	s_xor_b64 s[2:3], exec, s[2:3]
	s_cbranch_execz .LBB154_55
; %bb.26:
	v_cmp_nlt_f32_e64 s[0:1], |v1|, 2.0
                                        ; implicit-def: $vgpr4
	s_and_saveexec_b64 s[10:11], s[0:1]
	s_xor_b64 s[10:11], exec, s[10:11]
	s_cbranch_execz .LBB154_36
; %bb.27:
	s_mov_b32 s0, 0x41000000
	v_cmp_nlt_f32_e64 s[0:1], |v1|, s0
                                        ; implicit-def: $vgpr4
	s_and_saveexec_b64 s[12:13], s[0:1]
	s_xor_b64 s[12:13], exec, s[12:13]
	s_cbranch_execz .LBB154_33
; %bb.28:
	s_mov_b32 s0, 0x5c800000
	v_cmp_nlt_f32_e64 s[0:1], |v1|, s0
                                        ; implicit-def: $vgpr4
	s_and_saveexec_b64 s[14:15], s[0:1]
	s_xor_b64 s[14:15], exec, s[14:15]
	s_cbranch_execz .LBB154_30
; %bb.29:
	s_mov_b32 s0, 0x800000
	v_cmp_lt_f32_e64 vcc, |v1|, s0
	v_cndmask_b32_e64 v4, 0, 32, vcc
	v_ldexp_f32 v4, |v1|, v4
	v_log_f32_e32 v4, v4
	s_mov_b32 s0, 0x3f317217
	s_mov_b32 s1, 0x7f800000
	v_mul_f32_e32 v5, 0x3f317217, v4
	v_fma_f32 v6, v4, s0, -v5
	v_fmac_f32_e32 v6, 0x3377d1cf, v4
	v_add_f32_e32 v5, v5, v6
	v_cmp_lt_f32_e64 s[0:1], |v4|, s1
	v_cndmask_b32_e64 v4, v4, v5, s[0:1]
	v_mov_b32_e32 v5, 0x41b17218
	v_cndmask_b32_e32 v5, 0, v5, vcc
	v_sub_f32_e32 v4, v4, v5
	v_fma_f32 v4, |v1|, v4, -|v1|
.LBB154_30:
	s_andn2_saveexec_b64 s[14:15], s[14:15]
	s_cbranch_execz .LBB154_32
; %bb.31:
	v_rcp_f32_e64 v5, |v1|
	v_mov_b32_e32 v4, 0x3a5b3dd2
	v_mov_b32_e32 v6, 0xba1c065c
	;; [unrolled: 1-line block ×3, first 2 shown]
	v_mul_f32_e32 v9, v5, v5
	v_fmac_f32_e32 v4, 0xbad5c4e8, v9
	v_fmac_f32_e32 v6, v9, v4
	s_mov_b32 s0, 0x800000
	v_fmac_f32_e32 v7, v9, v6
	v_mov_b32_e32 v4, 0xbb360b61
	v_cmp_lt_f32_e64 vcc, |v1|, s0
	v_fmac_f32_e32 v4, v9, v7
	v_cndmask_b32_e64 v7, 0, 32, vcc
	v_ldexp_f32 v7, |v1|, v7
	v_log_f32_e32 v7, v7
	v_mov_b32_e32 v6, 0x3daaaaab
	v_fmac_f32_e32 v6, v9, v4
	v_mov_b32_e32 v4, 0x3ed67f1d
	v_fmac_f32_e32 v4, v5, v6
	s_mov_b32 s0, 0x3f317217
	v_mul_f32_e32 v6, 0x3f317217, v7
	v_fma_f32 v9, v7, s0, -v6
	v_fmac_f32_e32 v9, 0x3377d1cf, v7
	s_mov_b32 s0, 0x7f800000
	v_add_f32_e32 v6, v6, v9
	v_cmp_lt_f32_e64 s[0:1], |v7|, s0
	v_cndmask_b32_e64 v6, v7, v6, s[0:1]
	v_mov_b32_e32 v7, 0x41b17218
	v_cndmask_b32_e32 v7, 0, v7, vcc
	v_sub_f32_e32 v6, v6, v7
	v_add_f32_e64 v5, |v1|, -0.5
	v_add_f32_e32 v6, -1.0, v6
	v_fmac_f32_e32 v4, v5, v6
.LBB154_32:
	s_or_b64 exec, exec, s[14:15]
.LBB154_33:
	s_andn2_saveexec_b64 s[12:13], s[12:13]
	s_cbranch_execz .LBB154_35
; %bb.34:
	v_cvt_i32_f32_e32 v4, v2
	v_mov_b32_e32 v5, 0x3af135b4
	v_mov_b32_e32 v6, 0x3cda40e4
	;; [unrolled: 1-line block ×3, first 2 shown]
	v_cvt_f32_i32_e32 v9, v4
	v_mov_b32_e32 v10, 0x3ea6cc7a
	v_mov_b32_e32 v11, 0x3e5c245a
	v_cmp_lt_i32_e32 vcc, 2, v4
	v_sub_f32_e64 v9, |v1|, v9
	v_fmac_f32_e32 v5, 0x3805ff67, v9
	v_fmac_f32_e32 v6, v9, v5
	;; [unrolled: 1-line block ×3, first 2 shown]
	v_mov_b32_e32 v6, 0x3a4beed6
	v_fmac_f32_e32 v10, v9, v7
	v_fmac_f32_e32 v6, 0x36f5d7bd, v9
	v_mov_b32_e32 v7, 0x3c98bf54
	v_fmac_f32_e32 v7, v9, v6
	v_mov_b32_e32 v6, 0x3e300f6e
	;; [unrolled: 2-line block ×4, first 2 shown]
	v_fmac_f32_e32 v6, v9, v7
	v_add_f32_e32 v7, 2.0, v9
	v_mov_b32_e32 v12, 0xbd9e233f
	v_fmac_f32_e32 v11, v9, v10
	v_add_f32_e32 v10, 0x40400000, v9
	v_cndmask_b32_e32 v7, 1.0, v7, vcc
	v_cmp_lt_i32_e32 vcc, 3, v4
	v_fmac_f32_e32 v12, v9, v11
	v_add_f32_e32 v11, 4.0, v9
	v_cndmask_b32_e32 v10, 1.0, v10, vcc
	v_cmp_lt_i32_e32 vcc, 4, v4
	v_mul_f32_e32 v5, v9, v12
	v_add_f32_e32 v12, 0x40a00000, v9
	v_mul_f32_e32 v7, v7, v10
	v_cndmask_b32_e32 v10, 1.0, v11, vcc
	v_cmp_lt_i32_e32 vcc, 5, v4
	v_add_f32_e32 v13, 0x40c00000, v9
	v_mul_f32_e32 v7, v10, v7
	v_cndmask_b32_e32 v10, 1.0, v12, vcc
	v_cmp_lt_i32_e32 vcc, 6, v4
	v_mul_f32_e32 v7, v10, v7
	v_cndmask_b32_e32 v4, 1.0, v13, vcc
	v_mul_f32_e32 v4, v4, v7
	s_mov_b32 s0, 0x800000
	v_cmp_gt_f32_e32 vcc, s0, v4
	v_cndmask_b32_e64 v7, 0, 32, vcc
	v_fma_f32 v6, v9, v6, 1.0
	v_ldexp_f32 v4, v4, v7
	v_rcp_f32_e32 v6, v6
	v_log_f32_e32 v4, v4
	s_mov_b32 s0, 0x3f317217
	v_mul_f32_e32 v5, v5, v6
	v_mul_f32_e32 v6, 0x3f317217, v4
	v_fma_f32 v7, v4, s0, -v6
	v_fmac_f32_e32 v7, 0x3377d1cf, v4
	s_mov_b32 s0, 0x7f800000
	v_add_f32_e32 v6, v6, v7
	v_cmp_lt_f32_e64 s[0:1], |v4|, s0
	v_cndmask_b32_e64 v4, v4, v6, s[0:1]
	v_mov_b32_e32 v6, 0x41b17218
	v_cndmask_b32_e32 v6, 0, v6, vcc
	v_fmac_f32_e32 v5, 0.5, v9
	v_sub_f32_e32 v4, v4, v6
	v_add_f32_e32 v4, v4, v5
.LBB154_35:
	s_or_b64 exec, exec, s[12:13]
.LBB154_36:
	s_andn2_saveexec_b64 s[10:11], s[10:11]
	s_cbranch_execz .LBB154_54
; %bb.37:
	s_mov_b32 s0, 0x3f666666
	v_cmp_le_f32_e64 s[0:1], |v1|, s0
                                        ; implicit-def: $vgpr4
                                        ; implicit-def: $vgpr6
                                        ; implicit-def: $vgpr5
	s_and_saveexec_b64 s[12:13], s[0:1]
	s_xor_b64 s[12:13], exec, s[12:13]
	s_cbranch_execz .LBB154_39
; %bb.38:
	s_mov_b32 s0, 0x800000
	v_cmp_lt_f32_e64 vcc, |v1|, s0
	v_cndmask_b32_e64 v4, 0, 32, vcc
	v_ldexp_f32 v4, |v1|, v4
	v_log_f32_e32 v4, v4
	s_mov_b32 s0, 0x3f317217
	s_mov_b32 s1, 0x7f800000
	v_mul_f32_e32 v5, 0x3f317217, v4
	v_fma_f32 v6, v4, s0, -v5
	v_fmac_f32_e32 v6, 0x3377d1cf, v4
	v_add_f32_e32 v5, v5, v6
	v_cmp_lt_f32_e64 s[0:1], |v4|, s1
	v_cndmask_b32_e64 v4, v4, v5, s[0:1]
	v_mov_b32_e32 v5, 0x41b17218
	v_cndmask_b32_e32 v5, 0, v5, vcc
	s_mov_b32 s0, 0x3f3b4a23
	s_mov_b32 s1, 0xbeec5b0c
	v_sub_f32_e32 v4, v4, v5
	v_sub_f32_e64 v5, 1.0, |v1|
	v_add_f32_e64 v6, |v1|, s1
	v_cmp_lt_f32_e64 vcc, |v1|, s0
	s_mov_b32 s0, 0x3e6d3309
	v_cndmask_b32_e32 v5, v5, v6, vcc
	v_cndmask_b32_e64 v6, 0, 1, vcc
	v_cmp_lt_f32_e64 s[0:1], |v1|, s0
	v_xor_b32_e32 v4, 0x80000000, v4
	v_cndmask_b32_e64 v5, v5, |v1|, s[0:1]
	v_cndmask_b32_e64 v6, v6, 2, s[0:1]
.LBB154_39:
	s_andn2_saveexec_b64 s[0:1], s[12:13]
	s_cbranch_execz .LBB154_41
; %bb.40:
	s_mov_b32 s12, 0x3fdda512
	s_mov_b32 s13, 0xbfbb16c3
	v_sub_f32_e64 v4, 2.0, |v1|
	v_add_f32_e64 v5, |v1|, s13
	v_cmp_lt_f32_e64 vcc, |v1|, s12
	v_cndmask_b32_e32 v5, v4, v5, vcc
	v_cndmask_b32_e64 v4, v4, 1.0, vcc
	v_cvt_i32_f32_e32 v4, v4
	s_mov_b32 s12, 0x3f9d70a4
	v_add_f32_e64 v6, |v1|, -1.0
	v_cmp_lt_f32_e64 vcc, |v1|, s12
	v_cndmask_b32_e32 v5, v5, v6, vcc
	v_cndmask_b32_e64 v6, v4, 2, vcc
	v_mov_b32_e32 v4, 0
.LBB154_41:
	s_or_b64 exec, exec, s[0:1]
	v_cmp_lt_i32_e32 vcc, 0, v6
	s_and_saveexec_b64 s[0:1], vcc
	s_xor_b64 s[0:1], exec, s[0:1]
	s_cbranch_execz .LBB154_49
; %bb.42:
	v_cmp_lt_i32_e32 vcc, 1, v6
	s_and_saveexec_b64 s[12:13], vcc
	s_xor_b64 s[12:13], exec, s[12:13]
	s_cbranch_execz .LBB154_46
; %bb.43:
	v_cmp_eq_u32_e32 vcc, 2, v6
	s_and_saveexec_b64 s[14:15], vcc
	s_cbranch_execz .LBB154_45
; %bb.44:
	v_mov_b32_e32 v6, 0x3e6a7578
	v_fmac_f32_e32 v6, 0x3c5b3c5e, v5
	v_mov_b32_e32 v7, 0x3f7a4bb2
	v_fmac_f32_e32 v7, v5, v6
	;; [unrolled: 2-line block ×8, first 2 shown]
	v_fma_f32 v6, v5, v9, 1.0
	v_rcp_f32_e32 v6, v6
	v_mov_b32_e32 v9, 0xbd9e233f
	v_fmac_f32_e32 v9, v5, v7
	v_mul_f32_e32 v7, v5, v9
	v_mul_f32_e32 v6, v7, v6
	v_fmac_f32_e32 v6, -0.5, v5
	v_add_f32_e32 v4, v4, v6
.LBB154_45:
	s_or_b64 exec, exec, s[14:15]
                                        ; implicit-def: $vgpr5
.LBB154_46:
	s_andn2_saveexec_b64 s[12:13], s[12:13]
	s_cbranch_execz .LBB154_48
; %bb.47:
	v_mul_f32_e32 v6, v5, v5
	v_mul_f32_e32 v7, v5, v6
	v_mov_b32_e32 v9, 0xbab7f476
	v_fmac_f32_e32 v9, 0x39a57b6b, v7
	v_mov_b32_e32 v10, 0x3bc7e707
	v_fmac_f32_e32 v10, v7, v9
	;; [unrolled: 2-line block ×12, first 2 shown]
	v_fmac_f32_e32 v11, v5, v12
	s_mov_b32 s14, 0xa2863e55
	v_fma_f32 v5, v7, -v11, s14
	v_fma_f32 v5, v6, v10, -v5
	v_add_f32_e32 v5, 0xbdf8cdce, v5
	v_add_f32_e32 v4, v4, v5
.LBB154_48:
	s_or_b64 exec, exec, s[12:13]
                                        ; implicit-def: $vgpr6
                                        ; implicit-def: $vgpr5
.LBB154_49:
	s_andn2_saveexec_b64 s[0:1], s[0:1]
	s_cbranch_execz .LBB154_53
; %bb.50:
	v_cmp_eq_u32_e32 vcc, 0, v6
	s_and_saveexec_b64 s[12:13], vcc
	s_cbranch_execz .LBB154_52
; %bb.51:
	v_mul_f32_e32 v6, v5, v5
	v_mov_b32_e32 v7, 0x39679767
	v_fmac_f32_e32 v7, 0x37d383a2, v6
	v_mov_b32_e32 v9, 0x3a9c54a1
	v_fmac_f32_e32 v9, v6, v7
	;; [unrolled: 2-line block ×10, first 2 shown]
	v_mul_f32_e32 v6, v6, v9
	v_fmac_f32_e32 v6, v5, v7
	v_fmac_f32_e32 v6, -0.5, v5
	v_add_f32_e32 v4, v4, v6
.LBB154_52:
	s_or_b64 exec, exec, s[12:13]
.LBB154_53:
	s_or_b64 exec, exec, s[0:1]
.LBB154_54:
	s_or_b64 exec, exec, s[10:11]
.LBB154_55:
	s_andn2_saveexec_b64 s[2:3], s[2:3]
	s_cbranch_execz .LBB154_57
; %bb.56:
	s_mov_b32 s0, 0x3e8a8991
	v_mov_b32_e32 v4, 0xbecd26ab
	v_fma_f32 v4, |v1|, s0, v4
	s_mov_b32 s0, 0x3f528d33
	v_fma_f32 v4, |v1|, v4, s0
	s_mov_b32 s0, 0x800000
	v_cmp_lt_f32_e64 vcc, |v1|, s0
	v_cndmask_b32_e64 v5, 0, 32, vcc
	v_ldexp_f32 v5, |v1|, v5
	v_log_f32_e32 v5, v5
	s_mov_b32 s0, 0xbf13c468
	v_fma_f32 v4, |v1|, v4, s0
	s_mov_b32 s0, 0x3f317217
	v_mul_f32_e32 v6, 0x3f317217, v5
	v_fma_f32 v7, v5, s0, -v6
	v_fmac_f32_e32 v7, 0x3377d1cf, v5
	s_mov_b32 s0, 0x7f800000
	v_add_f32_e32 v6, v6, v7
	v_cmp_lt_f32_e64 s[0:1], |v5|, s0
	v_cndmask_b32_e64 v5, v5, v6, s[0:1]
	v_mov_b32_e32 v6, 0x41b17218
	v_cndmask_b32_e32 v6, 0, v6, vcc
	v_sub_f32_e32 v5, v5, v6
	v_fma_f32 v4, |v1|, v4, -v5
.LBB154_57:
	s_or_b64 exec, exec, s[2:3]
	v_cmp_le_f16_e32 vcc, 0, v3
	v_cmp_nle_f16_e64 s[0:1], 0, v3
	s_and_saveexec_b64 s[2:3], s[0:1]
	s_xor_b64 s[10:11], exec, s[2:3]
	s_cbranch_execz .LBB154_61
; %bb.58:
	s_mov_b32 s0, 0x4b000000
	s_mov_b32 s2, 0x35000000
	v_cmp_lt_f32_e64 s[0:1], |v1|, s0
	v_cmp_gt_f32_e64 s[2:3], |v1|, s2
	s_and_b64 s[0:1], s[0:1], s[2:3]
	s_and_saveexec_b64 s[12:13], s[0:1]
	s_cbranch_execz .LBB154_60
; %bb.59:
	v_mul_f32_e64 v5, |v1|, 0.5
	v_floor_f32_e32 v6, v5
	v_sub_f32_e32 v6, v5, v6
	v_min_f32_e32 v6, 0x3f7fffff, v6
	s_mov_b32 s2, 0x7f800000
	v_add_f32_e32 v6, v6, v6
	v_cmp_neq_f32_e64 s[0:1], s2, v5
	v_cndmask_b32_e64 v5, 0, v6, s[0:1]
	v_cmp_gt_f32_e64 s[0:1], |v1|, 1.0
	v_cndmask_b32_e64 v5, |v1|, v5, s[0:1]
	v_add_f32_e32 v6, v5, v5
	v_rndne_f32_e32 v6, v6
	v_fmac_f32_e32 v5, -0.5, v6
	v_mul_f32_e32 v7, v5, v5
	v_mov_b32_e32 v9, 0xbf1f24be
	v_fmac_f32_e32 v9, 0x3e75aa41, v7
	v_mov_b32_e32 v10, 0x40234736
	v_fmac_f32_e32 v10, v7, v9
	;; [unrolled: 2-line block ×3, first 2 shown]
	v_mul_f32_e32 v10, v5, v7
	v_mul_f32_e32 v9, v10, v9
	v_fmac_f32_e32 v9, 0x40490fdb, v5
	v_mov_b32_e32 v5, 0x3e642e9d
	v_cvt_i32_f32_e32 v6, v6
	v_fmac_f32_e32 v5, 0x3d4be544, v7
	v_mov_b32_e32 v10, 0xbfaad1da
	v_fmac_f32_e32 v10, v7, v5
	v_mov_b32_e32 v5, 0x4081e0d3
	;; [unrolled: 2-line block ×3, first 2 shown]
	v_fmac_f32_e32 v10, v7, v5
	v_fma_f32 v5, v7, v10, 1.0
	v_and_b32_e32 v7, 1, v6
	v_lshlrev_b32_e32 v6, 30, v6
	v_cmp_eq_u32_e64 s[0:1], 0, v7
	v_and_b32_e32 v6, 0x80000000, v6
	v_xor_b32_e32 v2, v2, v1
	v_cndmask_b32_e64 v5, v5, v9, s[0:1]
	v_xor_b32_e32 v2, v2, v6
	v_xor_b32_e32 v2, v2, v5
	v_mul_f32_e32 v2, v1, v2
	v_frexp_mant_f32_e64 v5, |v2|
	v_rcp_f32_e32 v5, v5
	v_frexp_exp_i32_f32_e32 v2, v2
	v_sub_u32_e32 v2, 2, v2
	s_mov_b32 s0, 0x800000
	v_mul_f32_e32 v5, 0x3f490fdb, v5
	v_ldexp_f32 v2, v5, v2
	v_cmp_gt_f32_e64 s[0:1], s0, v2
	v_cndmask_b32_e64 v5, 0, 32, s[0:1]
	v_ldexp_f32 v2, v2, v5
	v_log_f32_e32 v2, v2
	s_mov_b32 s3, 0x3f317217
	v_mul_f32_e32 v5, 0x3f317217, v2
	v_fma_f32 v6, v2, s3, -v5
	v_fmac_f32_e32 v6, 0x3377d1cf, v2
	v_add_f32_e32 v5, v5, v6
	v_cmp_lt_f32_e64 s[2:3], |v2|, s2
	v_cndmask_b32_e64 v2, v2, v5, s[2:3]
	v_mov_b32_e32 v5, 0x41b17218
	v_cndmask_b32_e64 v5, 0, v5, s[0:1]
	v_sub_f32_e32 v2, v2, v5
	v_sub_f32_e32 v2, v2, v4
	v_floor_f32_e32 v4, v1
	v_sub_f32_e32 v4, v1, v4
	v_min_f32_e32 v4, 0x3f7fffff, v4
	v_mov_b32_e32 v5, 0x7f800000
	v_cmp_neq_f32_e64 s[0:1], 0, v4
	v_cndmask_b32_e64 v4, v5, v2, s[0:1]
.LBB154_60:
	s_or_b64 exec, exec, s[12:13]
.LBB154_61:
	s_andn2_saveexec_b64 s[10:11], s[10:11]
; %bb.62:
	v_cmp_eq_f16_e64 s[0:1], 1.0, v3
	v_cmp_eq_f16_e64 s[2:3], 2.0, v3
	s_or_b64 s[0:1], s[0:1], s[2:3]
	v_cndmask_b32_e64 v4, v4, 0, s[0:1]
; %bb.63:
	s_or_b64 exec, exec, s[10:11]
	v_cvt_f16_f32_e32 v4, v4
	s_mov_b32 s0, 0x4b000000
	v_cmp_lt_f32_e64 s[0:1], |v1|, s0
	v_mov_b32_e32 v2, 0x264
	v_mov_b32_e32 v5, 0x7c00
	s_or_b64 vcc, vcc, s[0:1]
	v_cndmask_b32_e32 v4, v5, v4, vcc
	v_cmp_class_f32_e32 vcc, v1, v2
	v_cndmask_b32_e32 v1, v4, v5, vcc
	v_cmp_u_f16_e32 vcc, v3, v3
	v_cndmask_b32_e32 v2, v1, v3, vcc
	v_mov_b32_e32 v1, s25
	s_and_b32 s14, s73, 0xff
	v_add_co_u32_e32 v0, vcc, s24, v0
	s_cmp_lt_i32 s14, 11
	v_addc_co_u32_e32 v1, vcc, 0, v1, vcc
	s_cbranch_scc1 .LBB154_71
; %bb.64:
	s_and_b32 s15, 0xffff, s14
	s_cmp_gt_i32 s15, 25
	s_cbranch_scc0 .LBB154_74
; %bb.65:
	s_cmp_gt_i32 s15, 28
	s_cbranch_scc0 .LBB154_76
; %bb.66:
	s_cmp_gt_i32 s15, 43
	s_cbranch_scc0 .LBB154_78
; %bb.67:
	s_cmp_gt_i32 s15, 45
	s_cbranch_scc0 .LBB154_84
; %bb.68:
	s_mov_b64 s[10:11], 0
	s_mov_b64 s[0:1], -1
	s_cmp_eq_u32 s15, 46
	s_mov_b64 s[2:3], 0
	s_cbranch_scc0 .LBB154_85
; %bb.69:
	v_cvt_f32_f16_e32 v3, v2
	s_movk_i32 s0, 0x7fff
	v_cmp_o_f16_e32 vcc, v2, v2
	v_mov_b32_e32 v4, 0x7fc0
	v_bfe_u32 v5, v3, 16, 1
	v_add3_u32 v3, v3, v5, s0
	v_cndmask_b32_sdwa v3, v4, v3, vcc dst_sel:DWORD dst_unused:UNUSED_PAD src0_sel:DWORD src1_sel:WORD_1
	global_store_dword v[0:1], v3, off
	s_mov_b64 s[2:3], -1
	s_mov_b64 s[0:1], 0
	s_branch .LBB154_85
.LBB154_70:
	s_mov_b64 s[8:9], 0
	s_mov_b64 s[0:1], 0
                                        ; implicit-def: $vgpr3
	s_cbranch_execnz .LBB154_219
	s_branch .LBB154_253
.LBB154_71:
	s_mov_b64 s[0:1], 0
	s_mov_b64 s[2:3], 0
	s_cbranch_execnz .LBB154_154
.LBB154_72:
	s_andn2_b64 vcc, exec, s[2:3]
	s_cbranch_vccnz .LBB154_302
	s_branch .LBB154_192
.LBB154_73:
	s_mov_b64 s[2:3], -1
	s_mov_b64 s[8:9], 0
	s_mov_b64 s[0:1], 0
                                        ; implicit-def: $vgpr3
	s_branch .LBB154_200
.LBB154_74:
	s_mov_b64 s[10:11], -1
	s_mov_b64 s[0:1], 0
	s_mov_b64 s[2:3], 0
	s_branch .LBB154_112
.LBB154_75:
	s_mov_b64 s[2:3], -1
	s_mov_b64 s[8:9], 0
	s_mov_b64 s[0:1], 0
                                        ; implicit-def: $vgpr3
	s_branch .LBB154_195
.LBB154_76:
	s_mov_b64 s[10:11], -1
	s_mov_b64 s[0:1], 0
	s_mov_b64 s[2:3], 0
	s_branch .LBB154_95
.LBB154_77:
	s_mov_b64 s[2:3], -1
	s_mov_b64 s[8:9], 0
	s_branch .LBB154_80
.LBB154_78:
	s_mov_b64 s[10:11], -1
	s_mov_b64 s[0:1], 0
	s_mov_b64 s[2:3], 0
	s_branch .LBB154_91
.LBB154_79:
	s_mov_b64 s[8:9], -1
.LBB154_80:
	s_mov_b64 s[0:1], 0
                                        ; implicit-def: $vgpr3
.LBB154_81:
	s_and_b64 vcc, exec, s[2:3]
	s_cbranch_vccz .LBB154_194
; %bb.82:
	s_cmp_eq_u32 s12, 44
	s_cbranch_scc0 .LBB154_193
; %bb.83:
	global_load_ubyte v3, v[1:2], off
	s_movk_i32 s2, 0xff
	v_mov_b32_e32 v5, 0x7e00
	s_mov_b64 s[0:1], -1
	s_mov_b64 s[8:9], 0
	s_waitcnt vmcnt(0)
	v_lshlrev_b32_e32 v4, 23, v3
	v_cvt_f16_f32_e32 v4, v4
	v_cmp_ne_u32_e32 vcc, s2, v3
	v_cndmask_b32_e32 v4, v5, v4, vcc
	v_cmp_ne_u32_e32 vcc, 0, v3
	v_cndmask_b32_e32 v3, 0, v4, vcc
	s_branch .LBB154_194
.LBB154_84:
	s_mov_b64 s[10:11], -1
	s_mov_b64 s[0:1], 0
	s_mov_b64 s[2:3], 0
.LBB154_85:
	s_and_b64 vcc, exec, s[10:11]
	s_cbranch_vccz .LBB154_90
; %bb.86:
	s_cmp_eq_u32 s15, 44
	s_mov_b64 s[0:1], -1
	s_cbranch_scc0 .LBB154_90
; %bb.87:
	v_cvt_f32_f16_e32 v3, v2
	s_movk_i32 s0, 0xff
	v_mov_b32_e32 v5, 0xff
	v_bfe_u32 v4, v3, 23, 8
	v_cmp_ne_u32_e32 vcc, s0, v4
	s_and_saveexec_b64 s[2:3], vcc
; %bb.88:
	s_mov_b32 s0, 0x3fffff
	v_lshrrev_b32_e32 v5, 23, v3
	v_and_b32_e32 v6, 0x400000, v3
	v_and_or_b32 v3, v3, s0, v4
	v_cmp_ne_u32_e32 vcc, 0, v6
	v_cmp_ne_u32_e64 s[0:1], 0, v3
	s_and_b64 s[0:1], vcc, s[0:1]
	v_cndmask_b32_e64 v3, 0, 1, s[0:1]
	v_add_u32_e32 v5, v5, v3
; %bb.89:
	s_or_b64 exec, exec, s[2:3]
	s_mov_b64 s[2:3], -1
	s_mov_b64 s[0:1], 0
	global_store_byte v[0:1], v5, off
.LBB154_90:
	s_mov_b64 s[10:11], 0
.LBB154_91:
	s_and_b64 vcc, exec, s[10:11]
	s_cbranch_vccz .LBB154_94
; %bb.92:
	s_cmp_eq_u32 s15, 29
	s_mov_b64 s[0:1], -1
	s_cbranch_scc0 .LBB154_94
; %bb.93:
	v_cvt_f32_f16_e32 v3, v2
	v_mov_b32_e32 v4, 0
	s_mov_b64 s[2:3], -1
	s_mov_b64 s[0:1], 0
	v_cvt_u32_f32_e32 v3, v3
	s_mov_b64 s[10:11], 0
	global_store_dwordx2 v[0:1], v[3:4], off
	s_branch .LBB154_95
.LBB154_94:
	s_mov_b64 s[10:11], 0
.LBB154_95:
	s_and_b64 vcc, exec, s[10:11]
	s_cbranch_vccz .LBB154_111
; %bb.96:
	s_cmp_lt_i32 s15, 27
	s_mov_b64 s[2:3], -1
	s_cbranch_scc1 .LBB154_102
; %bb.97:
	s_cmp_gt_i32 s15, 27
	s_cbranch_scc0 .LBB154_99
; %bb.98:
	v_cvt_f32_f16_e32 v3, v2
	s_mov_b64 s[2:3], 0
	v_cvt_u32_f32_e32 v3, v3
	global_store_dword v[0:1], v3, off
.LBB154_99:
	s_andn2_b64 vcc, exec, s[2:3]
	s_cbranch_vccnz .LBB154_101
; %bb.100:
	v_cvt_u16_f16_e32 v3, v2
	global_store_short v[0:1], v3, off
.LBB154_101:
	s_mov_b64 s[2:3], 0
.LBB154_102:
	s_andn2_b64 vcc, exec, s[2:3]
	s_cbranch_vccnz .LBB154_110
; %bb.103:
	v_cvt_f32_f16_e32 v3, v2
	s_mov_b32 s2, 0x43800000
	v_mov_b32_e32 v5, 0x80
	v_and_b32_e32 v4, 0x7fffffff, v3
	v_cmp_gt_u32_e32 vcc, s2, v4
	s_and_saveexec_b64 s[2:3], vcc
	s_cbranch_execz .LBB154_109
; %bb.104:
	s_mov_b32 s10, 0x3bffffff
	v_cmp_lt_u32_e32 vcc, s10, v4
	s_mov_b64 s[10:11], 0
                                        ; implicit-def: $vgpr4
	s_and_saveexec_b64 s[12:13], vcc
	s_xor_b64 s[12:13], exec, s[12:13]
	s_cbranch_execz .LBB154_383
; %bb.105:
	v_bfe_u32 v4, v3, 20, 1
	s_mov_b32 s16, 0x487ffff
	v_add3_u32 v4, v3, v4, s16
	s_mov_b64 s[10:11], exec
	v_lshrrev_b32_e32 v4, 20, v4
	s_andn2_saveexec_b64 s[12:13], s[12:13]
	s_cbranch_execnz .LBB154_384
.LBB154_106:
	s_or_b64 exec, exec, s[12:13]
	v_mov_b32_e32 v5, 0
	s_and_saveexec_b64 s[12:13], s[10:11]
.LBB154_107:
	v_lshrrev_b32_e32 v3, 24, v3
	s_movk_i32 s10, 0x80
	v_and_or_b32 v5, v3, s10, v4
.LBB154_108:
	s_or_b64 exec, exec, s[12:13]
.LBB154_109:
	s_or_b64 exec, exec, s[2:3]
	global_store_byte v[0:1], v5, off
.LBB154_110:
	s_mov_b64 s[2:3], -1
.LBB154_111:
	s_mov_b64 s[10:11], 0
.LBB154_112:
	s_and_b64 vcc, exec, s[10:11]
	s_cbranch_vccz .LBB154_153
; %bb.113:
	s_cmp_gt_i32 s15, 22
	s_mov_b64 s[10:11], -1
	s_cbranch_scc0 .LBB154_145
; %bb.114:
	s_cmp_lt_i32 s15, 24
	s_mov_b64 s[2:3], -1
	s_cbranch_scc1 .LBB154_134
; %bb.115:
	s_cmp_gt_i32 s15, 24
	s_cbranch_scc0 .LBB154_123
; %bb.116:
	v_cvt_f32_f16_e32 v3, v2
	s_mov_b32 s2, 0x47800000
	v_mov_b32_e32 v5, 0x80
	v_and_b32_e32 v4, 0x7fffffff, v3
	v_cmp_gt_u32_e32 vcc, s2, v4
	s_and_saveexec_b64 s[2:3], vcc
	s_cbranch_execz .LBB154_122
; %bb.117:
	s_mov_b32 s10, 0x37ffffff
	v_cmp_lt_u32_e32 vcc, s10, v4
	s_mov_b64 s[10:11], 0
                                        ; implicit-def: $vgpr4
	s_and_saveexec_b64 s[12:13], vcc
	s_xor_b64 s[12:13], exec, s[12:13]
	s_cbranch_execz .LBB154_387
; %bb.118:
	v_bfe_u32 v4, v3, 21, 1
	s_mov_b32 s16, 0x88fffff
	v_add3_u32 v4, v3, v4, s16
	s_mov_b64 s[10:11], exec
	v_lshrrev_b32_e32 v4, 21, v4
	s_andn2_saveexec_b64 s[12:13], s[12:13]
	s_cbranch_execnz .LBB154_388
.LBB154_119:
	s_or_b64 exec, exec, s[12:13]
	v_mov_b32_e32 v5, 0
	s_and_saveexec_b64 s[12:13], s[10:11]
.LBB154_120:
	v_lshrrev_b32_e32 v3, 24, v3
	s_movk_i32 s10, 0x80
	v_and_or_b32 v5, v3, s10, v4
.LBB154_121:
	s_or_b64 exec, exec, s[12:13]
.LBB154_122:
	s_or_b64 exec, exec, s[2:3]
	s_mov_b64 s[2:3], 0
	global_store_byte v[0:1], v5, off
.LBB154_123:
	s_and_b64 vcc, exec, s[2:3]
	s_cbranch_vccz .LBB154_133
; %bb.124:
	v_cvt_f32_f16_e32 v3, v2
	s_mov_b32 s2, 0x43f00000
                                        ; implicit-def: $vgpr4
	v_and_b32_e32 v5, 0x7fffffff, v3
	v_cmp_gt_u32_e32 vcc, s2, v5
	s_and_saveexec_b64 s[2:3], vcc
	s_xor_b64 s[2:3], exec, s[2:3]
	s_cbranch_execz .LBB154_130
; %bb.125:
	s_mov_b32 s10, 0x3c7fffff
	v_cmp_lt_u32_e32 vcc, s10, v5
                                        ; implicit-def: $vgpr4
	s_and_saveexec_b64 s[10:11], vcc
	s_xor_b64 s[10:11], exec, s[10:11]
; %bb.126:
	v_bfe_u32 v4, v3, 20, 1
	s_mov_b32 s12, 0x407ffff
	v_add3_u32 v4, v3, v4, s12
	v_lshrrev_b32_e32 v5, 20, v4
	v_and_b32_e32 v4, 0xff00000, v4
	s_mov_b32 s12, 0x7f00000
	v_mov_b32_e32 v6, 0x7e
	v_cmp_ne_u32_e32 vcc, s12, v4
	v_cndmask_b32_e32 v4, v6, v5, vcc
; %bb.127:
	s_andn2_saveexec_b64 s[10:11], s[10:11]
; %bb.128:
	s_mov_b32 s12, 0x46800000
	v_add_f32_e64 v4, |v3|, s12
; %bb.129:
	s_or_b64 exec, exec, s[10:11]
                                        ; implicit-def: $vgpr5
.LBB154_130:
	s_andn2_saveexec_b64 s[2:3], s[2:3]
; %bb.131:
	s_mov_b32 s10, 0x7f800000
	v_mov_b32_e32 v4, 0x7e
	v_mov_b32_e32 v6, 0x7f
	v_cmp_lt_u32_e32 vcc, s10, v5
	v_cndmask_b32_e32 v4, v4, v6, vcc
; %bb.132:
	s_or_b64 exec, exec, s[2:3]
	v_lshrrev_b32_e32 v3, 24, v3
	s_movk_i32 s2, 0x80
	v_and_or_b32 v3, v3, s2, v4
	global_store_byte v[0:1], v3, off
.LBB154_133:
	s_mov_b64 s[2:3], 0
.LBB154_134:
	s_andn2_b64 vcc, exec, s[2:3]
	s_cbranch_vccnz .LBB154_144
; %bb.135:
	v_cvt_f32_f16_e32 v3, v2
	s_mov_b32 s2, 0x47800000
                                        ; implicit-def: $vgpr4
	v_and_b32_e32 v5, 0x7fffffff, v3
	v_cmp_gt_u32_e32 vcc, s2, v5
	s_and_saveexec_b64 s[2:3], vcc
	s_xor_b64 s[2:3], exec, s[2:3]
	s_cbranch_execz .LBB154_141
; %bb.136:
	s_mov_b32 s10, 0x387fffff
	v_cmp_lt_u32_e32 vcc, s10, v5
                                        ; implicit-def: $vgpr4
	s_and_saveexec_b64 s[10:11], vcc
	s_xor_b64 s[10:11], exec, s[10:11]
; %bb.137:
	v_bfe_u32 v4, v3, 21, 1
	s_mov_b32 s12, 0x80fffff
	v_add3_u32 v4, v3, v4, s12
	v_lshrrev_b32_e32 v4, 21, v4
; %bb.138:
	s_andn2_saveexec_b64 s[10:11], s[10:11]
; %bb.139:
	s_mov_b32 s12, 0x43000000
	v_add_f32_e64 v4, |v3|, s12
; %bb.140:
	s_or_b64 exec, exec, s[10:11]
                                        ; implicit-def: $vgpr5
.LBB154_141:
	s_andn2_saveexec_b64 s[2:3], s[2:3]
; %bb.142:
	s_mov_b32 s10, 0x7f800000
	v_mov_b32_e32 v4, 0x7c
	v_mov_b32_e32 v6, 0x7f
	v_cmp_lt_u32_e32 vcc, s10, v5
	v_cndmask_b32_e32 v4, v4, v6, vcc
; %bb.143:
	s_or_b64 exec, exec, s[2:3]
	v_lshrrev_b32_e32 v3, 24, v3
	s_movk_i32 s2, 0x80
	v_and_or_b32 v3, v3, s2, v4
	global_store_byte v[0:1], v3, off
.LBB154_144:
	s_mov_b64 s[10:11], 0
	s_mov_b64 s[2:3], -1
.LBB154_145:
	s_andn2_b64 vcc, exec, s[10:11]
	s_cbranch_vccnz .LBB154_153
; %bb.146:
	s_cmp_gt_i32 s15, 14
	s_mov_b64 s[10:11], -1
	s_cbranch_scc0 .LBB154_150
; %bb.147:
	s_cmp_eq_u32 s15, 15
	s_mov_b64 s[0:1], -1
	s_cbranch_scc0 .LBB154_149
; %bb.148:
	v_cvt_f32_f16_e32 v3, v2
	s_movk_i32 s0, 0x7fff
	v_cmp_o_f16_e32 vcc, v2, v2
	v_mov_b32_e32 v4, 0x7fc0
	v_bfe_u32 v5, v3, 16, 1
	v_add3_u32 v3, v3, v5, s0
	v_cndmask_b32_sdwa v3, v4, v3, vcc dst_sel:DWORD dst_unused:UNUSED_PAD src0_sel:DWORD src1_sel:WORD_1
	global_store_short v[0:1], v3, off
	s_mov_b64 s[2:3], -1
	s_mov_b64 s[0:1], 0
.LBB154_149:
	s_mov_b64 s[10:11], 0
.LBB154_150:
	s_and_b64 vcc, exec, s[10:11]
	s_cbranch_vccz .LBB154_153
; %bb.151:
	s_cmp_eq_u32 s15, 11
	s_mov_b64 s[0:1], -1
	s_cbranch_scc0 .LBB154_153
; %bb.152:
	v_cmp_neq_f16_e32 vcc, 0, v2
	v_cndmask_b32_e64 v3, 0, 1, vcc
	s_mov_b64 s[2:3], -1
	s_mov_b64 s[0:1], 0
	global_store_byte v[0:1], v3, off
.LBB154_153:
	s_branch .LBB154_72
.LBB154_154:
	s_and_b32 s10, 0xffff, s14
	s_cmp_lt_i32 s10, 5
	s_mov_b64 s[2:3], -1
	s_cbranch_scc1 .LBB154_175
; %bb.155:
	s_cmp_lt_i32 s10, 8
	s_cbranch_scc1 .LBB154_165
; %bb.156:
	s_cmp_lt_i32 s10, 9
	s_cbranch_scc1 .LBB154_162
; %bb.157:
	s_cmp_gt_i32 s10, 9
	s_cbranch_scc0 .LBB154_159
; %bb.158:
	v_cvt_f32_f16_e32 v3, v2
	v_mov_b32_e32 v5, 0
	v_mov_b32_e32 v6, v5
	s_mov_b64 s[2:3], 0
	v_cvt_f64_f32_e32 v[3:4], v3
	global_store_dwordx4 v[0:1], v[3:6], off
.LBB154_159:
	s_andn2_b64 vcc, exec, s[2:3]
	s_cbranch_vccnz .LBB154_161
; %bb.160:
	v_cvt_f32_f16_e32 v3, v2
	v_mov_b32_e32 v4, 0
	global_store_dwordx2 v[0:1], v[3:4], off
.LBB154_161:
	s_mov_b64 s[2:3], 0
.LBB154_162:
	s_andn2_b64 vcc, exec, s[2:3]
	s_cbranch_vccnz .LBB154_164
; %bb.163:
	v_and_b32_e32 v3, 0xffff, v2
	global_store_dword v[0:1], v3, off
.LBB154_164:
	s_mov_b64 s[2:3], 0
.LBB154_165:
	s_andn2_b64 vcc, exec, s[2:3]
	s_cbranch_vccnz .LBB154_174
; %bb.166:
	s_cmp_lt_i32 s10, 6
	s_mov_b64 s[2:3], -1
	s_cbranch_scc1 .LBB154_172
; %bb.167:
	s_cmp_gt_i32 s10, 6
	s_cbranch_scc0 .LBB154_169
; %bb.168:
	v_cvt_f32_f16_e32 v3, v2
	s_mov_b64 s[2:3], 0
	v_cvt_f64_f32_e32 v[3:4], v3
	global_store_dwordx2 v[0:1], v[3:4], off
.LBB154_169:
	s_andn2_b64 vcc, exec, s[2:3]
	s_cbranch_vccnz .LBB154_171
; %bb.170:
	v_cvt_f32_f16_e32 v3, v2
	global_store_dword v[0:1], v3, off
.LBB154_171:
	s_mov_b64 s[2:3], 0
.LBB154_172:
	s_andn2_b64 vcc, exec, s[2:3]
	s_cbranch_vccnz .LBB154_174
; %bb.173:
	global_store_short v[0:1], v2, off
.LBB154_174:
	s_mov_b64 s[2:3], 0
.LBB154_175:
	s_andn2_b64 vcc, exec, s[2:3]
	s_cbranch_vccnz .LBB154_191
; %bb.176:
	s_cmp_lt_i32 s10, 2
	s_mov_b64 s[2:3], -1
	s_cbranch_scc1 .LBB154_186
; %bb.177:
	s_cmp_lt_i32 s10, 3
	s_cbranch_scc1 .LBB154_183
; %bb.178:
	s_cmp_gt_i32 s10, 3
	s_cbranch_scc0 .LBB154_180
; %bb.179:
	v_cvt_f32_f16_e32 v3, v2
	s_mov_b64 s[2:3], 0
	v_cvt_i32_f32_e32 v3, v3
	v_ashrrev_i32_e32 v4, 31, v3
	global_store_dwordx2 v[0:1], v[3:4], off
.LBB154_180:
	s_andn2_b64 vcc, exec, s[2:3]
	s_cbranch_vccnz .LBB154_182
; %bb.181:
	v_cvt_f32_f16_e32 v3, v2
	v_cvt_i32_f32_e32 v3, v3
	global_store_dword v[0:1], v3, off
.LBB154_182:
	s_mov_b64 s[2:3], 0
.LBB154_183:
	s_andn2_b64 vcc, exec, s[2:3]
	s_cbranch_vccnz .LBB154_185
; %bb.184:
	v_cvt_i16_f16_e32 v3, v2
	global_store_short v[0:1], v3, off
.LBB154_185:
	s_mov_b64 s[2:3], 0
.LBB154_186:
	s_andn2_b64 vcc, exec, s[2:3]
	s_cbranch_vccnz .LBB154_191
; %bb.187:
	s_cmp_gt_i32 s10, 0
	s_mov_b64 s[2:3], -1
	s_cbranch_scc0 .LBB154_189
; %bb.188:
	v_cvt_i16_f16_e32 v3, v2
	global_store_byte v[0:1], v3, off
	s_mov_b64 s[2:3], 0
.LBB154_189:
	s_andn2_b64 vcc, exec, s[2:3]
	s_cbranch_vccnz .LBB154_191
; %bb.190:
	v_cvt_f32_f16_e32 v2, v2
	v_cvt_i32_f32_e32 v2, v2
	global_store_byte v[0:1], v2, off
.LBB154_191:
.LBB154_192:
	v_add_u32_e32 v8, 0x80, v8
	s_mov_b64 s[2:3], -1
	s_branch .LBB154_303
.LBB154_193:
	s_mov_b64 s[8:9], -1
                                        ; implicit-def: $vgpr3
.LBB154_194:
	s_mov_b64 s[2:3], 0
.LBB154_195:
	s_and_b64 vcc, exec, s[2:3]
	s_cbranch_vccz .LBB154_199
; %bb.196:
	s_cmp_eq_u32 s12, 29
	s_cbranch_scc0 .LBB154_198
; %bb.197:
	global_load_dwordx2 v[3:4], v[1:2], off
	s_mov_b64 s[0:1], -1
	s_mov_b64 s[8:9], 0
	s_mov_b64 s[2:3], 0
	s_waitcnt vmcnt(0)
	v_ffbh_u32_e32 v5, v4
	v_min_u32_e32 v5, 32, v5
	v_lshlrev_b64 v[3:4], v5, v[3:4]
	v_min_u32_e32 v3, 1, v3
	v_or_b32_e32 v3, v4, v3
	v_cvt_f32_u32_e32 v3, v3
	v_sub_u32_e32 v4, 32, v5
	v_ldexp_f32 v3, v3, v4
	v_cvt_f16_f32_e32 v3, v3
	s_branch .LBB154_200
.LBB154_198:
	s_mov_b64 s[8:9], -1
                                        ; implicit-def: $vgpr3
.LBB154_199:
	s_mov_b64 s[2:3], 0
.LBB154_200:
	s_and_b64 vcc, exec, s[2:3]
	s_cbranch_vccz .LBB154_218
; %bb.201:
	s_cmp_lt_i32 s12, 27
	s_cbranch_scc1 .LBB154_204
; %bb.202:
	s_cmp_gt_i32 s12, 27
	s_cbranch_scc0 .LBB154_205
; %bb.203:
	global_load_dword v3, v[1:2], off
	s_mov_b64 s[0:1], 0
	s_waitcnt vmcnt(0)
	v_cvt_f32_u32_e32 v3, v3
	v_cvt_f16_f32_e32 v3, v3
	s_branch .LBB154_206
.LBB154_204:
	s_mov_b64 s[0:1], -1
                                        ; implicit-def: $vgpr3
	s_branch .LBB154_209
.LBB154_205:
	s_mov_b64 s[0:1], -1
                                        ; implicit-def: $vgpr3
.LBB154_206:
	s_andn2_b64 vcc, exec, s[0:1]
	s_cbranch_vccnz .LBB154_208
; %bb.207:
	global_load_ushort v3, v[1:2], off
	s_waitcnt vmcnt(0)
	v_cvt_f16_u16_e32 v3, v3
.LBB154_208:
	s_mov_b64 s[0:1], 0
.LBB154_209:
	s_andn2_b64 vcc, exec, s[0:1]
	s_cbranch_vccnz .LBB154_217
; %bb.210:
	global_load_ubyte v4, v[1:2], off
	s_movk_i32 s0, 0x7f
	s_waitcnt vmcnt(0)
	v_cmp_lt_i16_e32 vcc, s0, v4
	s_mov_b64 s[0:1], 0
	s_and_saveexec_b64 s[2:3], vcc
	s_xor_b64 s[2:3], exec, s[2:3]
	s_cbranch_execz .LBB154_230
; %bb.211:
	s_movk_i32 s0, 0x80
	v_cmp_eq_u16_e32 vcc, s0, v4
	s_mov_b64 s[0:1], -1
	s_and_saveexec_b64 s[10:11], vcc
; %bb.212:
	s_xor_b64 s[0:1], exec, -1
; %bb.213:
	s_or_b64 exec, exec, s[10:11]
	s_and_b64 s[0:1], s[0:1], exec
	s_or_saveexec_b64 s[2:3], s[2:3]
	v_mov_b32_e32 v3, 0x7e00
	s_xor_b64 exec, exec, s[2:3]
	s_cbranch_execnz .LBB154_231
.LBB154_214:
	s_or_b64 exec, exec, s[2:3]
	s_and_saveexec_b64 s[2:3], s[0:1]
	s_cbranch_execz .LBB154_216
.LBB154_215:
	v_lshlrev_b32_e32 v3, 24, v4
	v_and_b32_e32 v4, 0xffff, v4
	v_and_b32_e32 v5, 7, v4
	v_ffbh_u32_e32 v7, v5
	v_min_u32_e32 v7, 32, v7
	v_subrev_u32_e32 v9, 28, v7
	v_bfe_u32 v6, v4, 3, 4
	v_lshlrev_b32_e32 v4, v9, v4
	v_sub_u32_e32 v7, 29, v7
	v_and_b32_e32 v4, 7, v4
	v_cmp_eq_u32_e32 vcc, 0, v6
	v_cndmask_b32_e32 v6, v6, v7, vcc
	v_cndmask_b32_e32 v4, v5, v4, vcc
	v_mov_b32_e32 v5, 0x3b800000
	v_lshlrev_b32_e32 v4, 20, v4
	v_and_b32_e32 v3, 0x80000000, v3
	v_lshl_add_u32 v5, v6, 23, v5
	v_or3_b32 v3, v3, v5, v4
	v_cvt_f16_f32_e32 v3, v3
.LBB154_216:
	s_or_b64 exec, exec, s[2:3]
.LBB154_217:
	s_mov_b64 s[0:1], -1
.LBB154_218:
	s_branch .LBB154_253
.LBB154_219:
	s_cmp_gt_i32 s12, 22
	s_cbranch_scc0 .LBB154_229
; %bb.220:
	s_cmp_lt_i32 s12, 24
	s_cbranch_scc1 .LBB154_232
; %bb.221:
	s_cmp_gt_i32 s12, 24
	s_cbranch_scc0 .LBB154_233
; %bb.222:
	global_load_ubyte v4, v[1:2], off
	s_movk_i32 s0, 0x7f
	s_waitcnt vmcnt(0)
	v_cmp_lt_i16_e32 vcc, s0, v4
	s_mov_b64 s[0:1], 0
	s_and_saveexec_b64 s[2:3], vcc
	s_xor_b64 s[2:3], exec, s[2:3]
	s_cbranch_execz .LBB154_245
; %bb.223:
	s_movk_i32 s0, 0x80
	v_cmp_eq_u16_e32 vcc, s0, v4
	s_mov_b64 s[0:1], -1
	s_and_saveexec_b64 s[10:11], vcc
; %bb.224:
	s_xor_b64 s[0:1], exec, -1
; %bb.225:
	s_or_b64 exec, exec, s[10:11]
	s_and_b64 s[0:1], s[0:1], exec
	s_or_saveexec_b64 s[2:3], s[2:3]
	v_mov_b32_e32 v3, 0x7e00
	s_xor_b64 exec, exec, s[2:3]
	s_cbranch_execnz .LBB154_246
.LBB154_226:
	s_or_b64 exec, exec, s[2:3]
	s_and_saveexec_b64 s[2:3], s[0:1]
	s_cbranch_execz .LBB154_228
.LBB154_227:
	v_lshlrev_b32_e32 v3, 24, v4
	v_and_b32_e32 v4, 0xffff, v4
	v_and_b32_e32 v5, 3, v4
	v_ffbh_u32_e32 v7, v5
	v_min_u32_e32 v7, 32, v7
	v_subrev_u32_e32 v9, 29, v7
	v_bfe_u32 v6, v4, 2, 5
	v_lshlrev_b32_e32 v4, v9, v4
	v_sub_u32_e32 v7, 30, v7
	v_and_b32_e32 v4, 3, v4
	v_cmp_eq_u32_e32 vcc, 0, v6
	v_cndmask_b32_e32 v6, v6, v7, vcc
	v_cndmask_b32_e32 v4, v5, v4, vcc
	v_mov_b32_e32 v5, 0x37800000
	v_lshlrev_b32_e32 v4, 21, v4
	v_and_b32_e32 v3, 0x80000000, v3
	v_lshl_add_u32 v5, v6, 23, v5
	v_or3_b32 v3, v3, v5, v4
	v_cvt_f16_f32_e32 v3, v3
.LBB154_228:
	s_or_b64 exec, exec, s[2:3]
	s_mov_b64 s[0:1], 0
	s_branch .LBB154_234
.LBB154_229:
	s_mov_b64 s[2:3], -1
                                        ; implicit-def: $vgpr3
	s_branch .LBB154_240
.LBB154_230:
	s_or_saveexec_b64 s[2:3], s[2:3]
	v_mov_b32_e32 v3, 0x7e00
	s_xor_b64 exec, exec, s[2:3]
	s_cbranch_execz .LBB154_214
.LBB154_231:
	v_cmp_ne_u16_e32 vcc, 0, v4
	s_andn2_b64 s[0:1], s[0:1], exec
	s_and_b64 s[10:11], vcc, exec
	s_or_b64 s[0:1], s[0:1], s[10:11]
	v_mov_b32_e32 v3, v4
	s_or_b64 exec, exec, s[2:3]
	s_and_saveexec_b64 s[2:3], s[0:1]
	s_cbranch_execnz .LBB154_215
	s_branch .LBB154_216
.LBB154_232:
	s_mov_b64 s[0:1], -1
                                        ; implicit-def: $vgpr3
	s_branch .LBB154_237
.LBB154_233:
	s_mov_b64 s[0:1], -1
                                        ; implicit-def: $vgpr3
.LBB154_234:
	s_and_b64 vcc, exec, s[0:1]
	s_cbranch_vccz .LBB154_236
; %bb.235:
	global_load_ubyte v3, v[1:2], off
	s_mov_b32 s0, 0x7f800000
	s_waitcnt vmcnt(0)
	v_lshlrev_b32_e32 v3, 24, v3
	v_and_b32_e32 v4, 0x7f000000, v3
	v_ffbh_u32_e32 v5, v4
	v_min_u32_e32 v5, 32, v5
	v_sub_u32_e64 v5, v5, 4 clamp
	v_lshlrev_b32_e32 v7, v5, v4
	v_lshlrev_b32_e32 v5, 23, v5
	v_lshrrev_b32_e32 v7, 4, v7
	v_add_u32_e32 v6, 0x1000000, v4
	v_sub_u32_e32 v5, v7, v5
	v_ashrrev_i32_e32 v6, 8, v6
	v_add_u32_e32 v5, 0x3c000000, v5
	v_and_or_b32 v5, v6, s0, v5
	v_cmp_ne_u32_e32 vcc, 0, v4
	v_cndmask_b32_e32 v4, 0, v5, vcc
	s_brev_b32 s0, 1
	v_and_or_b32 v3, v3, s0, v4
	v_cvt_f16_f32_e32 v3, v3
.LBB154_236:
	s_mov_b64 s[0:1], 0
.LBB154_237:
	s_andn2_b64 vcc, exec, s[0:1]
	s_cbranch_vccnz .LBB154_239
; %bb.238:
	global_load_ubyte v3, v[1:2], off
	s_movk_i32 s0, 0x7f00
	s_brev_b32 s1, 16
	s_waitcnt vmcnt(0)
	v_lshlrev_b16_e32 v4, 8, v3
	v_lshlrev_b32_e32 v3, 25, v3
	v_lshrrev_b32_e32 v5, 4, v3
	v_and_or_b32 v6, v4, s0, 0.5
	v_or_b32_e32 v5, 0x70000000, v5
	v_add_f32_e32 v6, -0.5, v6
	v_mul_f32_e32 v5, 0x7800000, v5
	v_cmp_gt_u32_e32 vcc, s1, v3
	v_bfe_i32 v4, v4, 0, 16
	v_cndmask_b32_e32 v3, v5, v6, vcc
	s_brev_b32 s0, 1
	v_and_or_b32 v3, v4, s0, v3
	v_cvt_f16_f32_e32 v3, v3
.LBB154_239:
	s_mov_b64 s[2:3], 0
	s_mov_b64 s[0:1], -1
.LBB154_240:
	s_andn2_b64 vcc, exec, s[2:3]
	s_cbranch_vccnz .LBB154_253
; %bb.241:
	s_cmp_gt_i32 s12, 14
	s_cbranch_scc0 .LBB154_244
; %bb.242:
	s_cmp_eq_u32 s12, 15
	s_cbranch_scc0 .LBB154_247
; %bb.243:
	global_load_ushort v3, v[1:2], off
	s_mov_b64 s[0:1], -1
	s_mov_b64 s[8:9], 0
	s_waitcnt vmcnt(0)
	v_lshlrev_b32_e32 v3, 16, v3
	v_cvt_f16_f32_e32 v3, v3
	s_branch .LBB154_248
.LBB154_244:
	s_mov_b64 s[2:3], -1
                                        ; implicit-def: $vgpr3
	s_branch .LBB154_249
.LBB154_245:
	s_or_saveexec_b64 s[2:3], s[2:3]
	v_mov_b32_e32 v3, 0x7e00
	s_xor_b64 exec, exec, s[2:3]
	s_cbranch_execz .LBB154_226
.LBB154_246:
	v_cmp_ne_u16_e32 vcc, 0, v4
	s_andn2_b64 s[0:1], s[0:1], exec
	s_and_b64 s[10:11], vcc, exec
	s_or_b64 s[0:1], s[0:1], s[10:11]
	v_mov_b32_e32 v3, v4
	s_or_b64 exec, exec, s[2:3]
	s_and_saveexec_b64 s[2:3], s[0:1]
	s_cbranch_execnz .LBB154_227
	s_branch .LBB154_228
.LBB154_247:
	s_mov_b64 s[8:9], -1
                                        ; implicit-def: $vgpr3
.LBB154_248:
	s_mov_b64 s[2:3], 0
.LBB154_249:
	s_and_b64 vcc, exec, s[2:3]
	s_cbranch_vccz .LBB154_253
; %bb.250:
	s_cmp_eq_u32 s12, 11
	s_cbranch_scc0 .LBB154_252
; %bb.251:
	global_load_ubyte v3, v[1:2], off
	v_mov_b32_e32 v4, 0x3c00
	s_mov_b64 s[0:1], -1
	s_mov_b64 s[8:9], 0
	s_waitcnt vmcnt(0)
	v_cmp_ne_u16_e32 vcc, 0, v3
	v_cndmask_b32_e32 v3, 0, v4, vcc
	s_branch .LBB154_253
.LBB154_252:
	s_mov_b64 s[8:9], -1
                                        ; implicit-def: $vgpr3
.LBB154_253:
	s_branch .LBB154_24
.LBB154_254:
	s_cmp_lt_i32 s12, 5
	s_cbranch_scc1 .LBB154_259
; %bb.255:
	s_cmp_lt_i32 s12, 8
	s_cbranch_scc1 .LBB154_260
; %bb.256:
	;; [unrolled: 3-line block ×3, first 2 shown]
	s_cmp_gt_i32 s12, 9
	s_cbranch_scc0 .LBB154_262
; %bb.258:
	global_load_dwordx2 v[3:4], v[1:2], off
	s_movk_i32 s0, 0x1ff
	s_movk_i32 s1, 0xffe
	v_mov_b32_e32 v5, 0x7c00
	v_mov_b32_e32 v6, 0x7e00
	s_movk_i32 s2, 0x40f
	s_mov_b32 s3, 0x8000
	s_waitcnt vmcnt(0)
	v_and_or_b32 v3, v4, s0, v3
	v_cmp_ne_u32_e32 vcc, 0, v3
	v_lshrrev_b32_e32 v7, 8, v4
	v_bfe_u32 v9, v4, 20, 11
	v_cndmask_b32_e64 v3, 0, 1, vcc
	v_sub_u32_e32 v10, 0x3f1, v9
	v_and_or_b32 v3, v7, s1, v3
	v_add_u32_e32 v9, 0xfffffc10, v9
	v_med3_i32 v7, v10, 0, 13
	v_or_b32_e32 v10, 0x1000, v3
	v_cmp_ne_u32_e32 vcc, 0, v3
	v_lshl_or_b32 v11, v9, 12, v3
	v_cndmask_b32_e32 v3, v5, v6, vcc
	v_lshrrev_b32_e32 v6, v7, v10
	v_lshlrev_b32_e32 v7, v7, v6
	v_cmp_ne_u32_e32 vcc, v7, v10
	v_cndmask_b32_e64 v7, 0, 1, vcc
	v_or_b32_e32 v6, v6, v7
	v_cmp_gt_i32_e32 vcc, 1, v9
	v_cndmask_b32_e32 v6, v11, v6, vcc
	v_and_b32_e32 v7, 7, v6
	v_cmp_lt_i32_e32 vcc, 5, v7
	v_cndmask_b32_e64 v10, 0, 1, vcc
	v_cmp_eq_u32_e32 vcc, 3, v7
	v_cndmask_b32_e64 v7, 0, 1, vcc
	v_lshrrev_b32_e32 v6, 2, v6
	v_or_b32_e32 v7, v7, v10
	v_add_u32_e32 v6, v6, v7
	v_cmp_gt_i32_e32 vcc, 31, v9
	v_cndmask_b32_e32 v5, v5, v6, vcc
	v_cmp_eq_u32_e32 vcc, s2, v9
	v_lshrrev_b32_e32 v4, 16, v4
	v_cndmask_b32_e32 v3, v5, v3, vcc
	v_and_or_b32 v3, v4, s3, v3
	s_mov_b64 s[0:1], 0
	s_branch .LBB154_263
.LBB154_259:
                                        ; implicit-def: $vgpr3
	s_branch .LBB154_281
.LBB154_260:
	s_mov_b64 s[0:1], -1
                                        ; implicit-def: $vgpr3
	s_branch .LBB154_269
.LBB154_261:
	s_mov_b64 s[0:1], -1
                                        ; implicit-def: $vgpr3
	s_branch .LBB154_266
.LBB154_262:
	s_mov_b64 s[0:1], -1
                                        ; implicit-def: $vgpr3
.LBB154_263:
	s_andn2_b64 vcc, exec, s[0:1]
	s_cbranch_vccnz .LBB154_265
; %bb.264:
	global_load_dword v3, v[1:2], off
	s_waitcnt vmcnt(0)
	v_cvt_f16_f32_e32 v3, v3
.LBB154_265:
	s_mov_b64 s[0:1], 0
.LBB154_266:
	s_andn2_b64 vcc, exec, s[0:1]
	s_cbranch_vccnz .LBB154_268
; %bb.267:
	global_load_dword v3, v[1:2], off
.LBB154_268:
	s_mov_b64 s[0:1], 0
.LBB154_269:
	s_andn2_b64 vcc, exec, s[0:1]
	s_cbranch_vccnz .LBB154_280
; %bb.270:
	s_cmp_lt_i32 s12, 6
	s_cbranch_scc1 .LBB154_273
; %bb.271:
	s_cmp_gt_i32 s12, 6
	s_cbranch_scc0 .LBB154_274
; %bb.272:
	global_load_dwordx2 v[3:4], v[1:2], off
	s_movk_i32 s0, 0x1ff
	s_movk_i32 s1, 0xffe
	v_mov_b32_e32 v5, 0x7c00
	v_mov_b32_e32 v6, 0x7e00
	s_movk_i32 s2, 0x40f
	s_mov_b32 s3, 0x8000
	s_waitcnt vmcnt(0)
	v_and_or_b32 v3, v4, s0, v3
	v_cmp_ne_u32_e32 vcc, 0, v3
	v_lshrrev_b32_e32 v7, 8, v4
	v_bfe_u32 v9, v4, 20, 11
	v_cndmask_b32_e64 v3, 0, 1, vcc
	v_sub_u32_e32 v10, 0x3f1, v9
	v_and_or_b32 v3, v7, s1, v3
	v_add_u32_e32 v9, 0xfffffc10, v9
	v_med3_i32 v7, v10, 0, 13
	v_or_b32_e32 v10, 0x1000, v3
	v_cmp_ne_u32_e32 vcc, 0, v3
	v_lshl_or_b32 v11, v9, 12, v3
	v_cndmask_b32_e32 v3, v5, v6, vcc
	v_lshrrev_b32_e32 v6, v7, v10
	v_lshlrev_b32_e32 v7, v7, v6
	v_cmp_ne_u32_e32 vcc, v7, v10
	v_cndmask_b32_e64 v7, 0, 1, vcc
	v_or_b32_e32 v6, v6, v7
	v_cmp_gt_i32_e32 vcc, 1, v9
	v_cndmask_b32_e32 v6, v11, v6, vcc
	v_and_b32_e32 v7, 7, v6
	v_cmp_lt_i32_e32 vcc, 5, v7
	v_cndmask_b32_e64 v10, 0, 1, vcc
	v_cmp_eq_u32_e32 vcc, 3, v7
	v_cndmask_b32_e64 v7, 0, 1, vcc
	v_lshrrev_b32_e32 v6, 2, v6
	v_or_b32_e32 v7, v7, v10
	v_add_u32_e32 v6, v6, v7
	v_cmp_gt_i32_e32 vcc, 31, v9
	v_cndmask_b32_e32 v5, v5, v6, vcc
	v_cmp_eq_u32_e32 vcc, s2, v9
	v_lshrrev_b32_e32 v4, 16, v4
	v_cndmask_b32_e32 v3, v5, v3, vcc
	v_and_or_b32 v3, v4, s3, v3
	s_mov_b64 s[0:1], 0
	s_branch .LBB154_275
.LBB154_273:
	s_mov_b64 s[0:1], -1
                                        ; implicit-def: $vgpr3
	s_branch .LBB154_278
.LBB154_274:
	s_mov_b64 s[0:1], -1
                                        ; implicit-def: $vgpr3
.LBB154_275:
	s_andn2_b64 vcc, exec, s[0:1]
	s_cbranch_vccnz .LBB154_277
; %bb.276:
	global_load_dword v3, v[1:2], off
	s_waitcnt vmcnt(0)
	v_cvt_f16_f32_e32 v3, v3
.LBB154_277:
	s_mov_b64 s[0:1], 0
.LBB154_278:
	s_andn2_b64 vcc, exec, s[0:1]
	s_cbranch_vccnz .LBB154_280
; %bb.279:
	global_load_ushort v3, v[1:2], off
.LBB154_280:
	s_cbranch_execnz .LBB154_300
.LBB154_281:
	s_cmp_lt_i32 s12, 2
	s_cbranch_scc1 .LBB154_285
; %bb.282:
	s_cmp_lt_i32 s12, 3
	s_cbranch_scc1 .LBB154_286
; %bb.283:
	s_cmp_gt_i32 s12, 3
	s_cbranch_scc0 .LBB154_287
; %bb.284:
	global_load_dwordx2 v[3:4], v[1:2], off
	s_mov_b64 s[0:1], 0
	s_waitcnt vmcnt(0)
	v_xor_b32_e32 v6, v3, v4
	v_ffbh_i32_e32 v5, v4
	v_ashrrev_i32_e32 v6, 31, v6
	v_add_u32_e32 v5, -1, v5
	v_add_u32_e32 v6, 32, v6
	v_min_u32_e32 v5, v5, v6
	v_lshlrev_b64 v[3:4], v5, v[3:4]
	v_min_u32_e32 v3, 1, v3
	v_or_b32_e32 v3, v4, v3
	v_cvt_f32_i32_e32 v3, v3
	v_sub_u32_e32 v4, 32, v5
	v_ldexp_f32 v3, v3, v4
	v_cvt_f16_f32_e32 v3, v3
	s_branch .LBB154_288
.LBB154_285:
	s_mov_b64 s[0:1], -1
                                        ; implicit-def: $vgpr3
	s_branch .LBB154_294
.LBB154_286:
	s_mov_b64 s[0:1], -1
                                        ; implicit-def: $vgpr3
	s_branch .LBB154_291
.LBB154_287:
	s_mov_b64 s[0:1], -1
                                        ; implicit-def: $vgpr3
.LBB154_288:
	s_andn2_b64 vcc, exec, s[0:1]
	s_cbranch_vccnz .LBB154_290
; %bb.289:
	global_load_dword v3, v[1:2], off
	s_waitcnt vmcnt(0)
	v_cvt_f32_i32_e32 v3, v3
	v_cvt_f16_f32_e32 v3, v3
.LBB154_290:
	s_mov_b64 s[0:1], 0
.LBB154_291:
	s_andn2_b64 vcc, exec, s[0:1]
	s_cbranch_vccnz .LBB154_293
; %bb.292:
	global_load_ushort v3, v[1:2], off
	s_waitcnt vmcnt(0)
	v_cvt_f16_i16_e32 v3, v3
.LBB154_293:
	s_mov_b64 s[0:1], 0
.LBB154_294:
	s_andn2_b64 vcc, exec, s[0:1]
	s_cbranch_vccnz .LBB154_300
; %bb.295:
	s_cmp_gt_i32 s12, 0
	s_cbranch_scc0 .LBB154_297
; %bb.296:
	global_load_sbyte v3, v[1:2], off
	s_mov_b64 s[0:1], 0
	s_waitcnt vmcnt(0)
	v_cvt_f16_i16_e32 v3, v3
	s_branch .LBB154_298
.LBB154_297:
	s_mov_b64 s[0:1], -1
                                        ; implicit-def: $vgpr3
.LBB154_298:
	s_andn2_b64 vcc, exec, s[0:1]
	s_cbranch_vccnz .LBB154_300
; %bb.299:
	global_load_ubyte v1, v[1:2], off
	s_waitcnt vmcnt(0)
	v_cvt_f16_u16_e32 v3, v1
.LBB154_300:
	s_branch .LBB154_25
.LBB154_301:
	s_mov_b64 s[0:1], 0
.LBB154_302:
	s_mov_b64 s[2:3], 0
                                        ; implicit-def: $vgpr8
.LBB154_303:
	s_and_b64 s[52:53], s[0:1], exec
	s_and_b64 s[54:55], s[8:9], exec
	s_orn2_b64 s[2:3], s[2:3], exec
.LBB154_304:
	s_or_b64 exec, exec, s[56:57]
	s_mov_b64 s[10:11], 0
	s_mov_b64 s[0:1], 0
                                        ; implicit-def: $vgpr1_vgpr2
                                        ; implicit-def: $vgpr0
                                        ; implicit-def: $vgpr3
	s_and_saveexec_b64 s[56:57], s[2:3]
	s_cbranch_execz .LBB154_311
; %bb.305:
	v_cmp_gt_i32_e32 vcc, s70, v8
	s_mov_b64 s[0:1], -1
	s_mov_b64 s[58:59], s[54:55]
	s_mov_b64 s[60:61], s[52:53]
	s_and_saveexec_b64 s[62:63], vcc
	s_cbranch_execz .LBB154_618
; %bb.306:
	s_andn2_b64 vcc, exec, s[40:41]
	s_cbranch_vccnz .LBB154_314
; %bb.307:
	s_andn2_b64 vcc, exec, s[50:51]
	s_cbranch_vccnz .LBB154_315
; %bb.308:
	s_add_i32 s65, s75, 1
	s_cmp_eq_u32 s72, 2
	s_cbranch_scc1 .LBB154_316
; %bb.309:
	s_and_b32 s64, s65, 28
	v_mov_b32_e32 v2, 0
	s_mov_b32 s66, 0
	s_mov_b64 s[58:59], s[34:35]
	s_mov_b64 s[60:61], s[48:49]
	v_mov_b32_e32 v0, 0
	v_mov_b32_e32 v1, v8
.LBB154_310:                            ; =>This Inner Loop Header: Depth=1
	s_load_dwordx8 s[16:23], s[58:59], 0x4
	s_load_dwordx4 s[0:3], s[58:59], 0x24
	s_load_dwordx8 s[8:15], s[60:61], 0x0
	s_add_u32 s58, s58, 48
	s_addc_u32 s59, s59, 0
	s_waitcnt vmcnt(0) lgkmcnt(0)
	v_mul_hi_u32 v3, s17, v1
	s_add_i32 s66, s66, 4
	s_add_u32 s60, s60, 32
	s_addc_u32 s61, s61, 0
	v_add_u32_e32 v3, v1, v3
	v_lshrrev_b32_e32 v3, s18, v3
	v_mul_lo_u32 v4, v3, s16
	v_mul_hi_u32 v5, s20, v3
	s_cmp_eq_u32 s64, s66
	v_sub_u32_e32 v1, v1, v4
	v_add_u32_e32 v4, v3, v5
	v_mul_lo_u32 v5, v1, s8
	v_mul_lo_u32 v6, v1, s9
	v_lshrrev_b32_e32 v1, s21, v4
	v_mul_lo_u32 v4, v1, s19
	v_mul_hi_u32 v7, s23, v1
	v_sub_u32_e32 v3, v3, v4
	v_add_u32_e32 v4, v1, v7
	v_lshrrev_b32_e32 v4, s0, v4
	v_mul_hi_u32 v9, s2, v4
	v_mul_lo_u32 v10, v4, s22
	v_mul_lo_u32 v7, v3, s10
	v_mul_lo_u32 v3, v3, s11
	v_sub_u32_e32 v10, v1, v10
	v_add_u32_e32 v1, v4, v9
	v_lshrrev_b32_e32 v1, s3, v1
	v_mul_lo_u32 v9, v1, s1
	v_mul_lo_u32 v11, v10, s12
	;; [unrolled: 1-line block ×3, first 2 shown]
	v_add3_u32 v0, v5, v0, v7
	v_sub_u32_e32 v4, v4, v9
	v_mul_lo_u32 v9, v4, s14
	v_mul_lo_u32 v4, v4, s15
	v_add3_u32 v2, v6, v2, v3
	v_add3_u32 v0, v11, v0, v9
	;; [unrolled: 1-line block ×3, first 2 shown]
	s_cbranch_scc0 .LBB154_310
	s_branch .LBB154_317
.LBB154_311:
	s_or_b64 exec, exec, s[56:57]
	s_mov_b64 s[8:9], 0
	s_and_saveexec_b64 s[2:3], s[54:55]
	s_cbranch_execnz .LBB154_1032
.LBB154_312:
	s_or_b64 exec, exec, s[2:3]
	s_and_saveexec_b64 s[2:3], s[60:61]
	s_xor_b64 s[2:3], exec, s[2:3]
	s_cbranch_execz .LBB154_1033
.LBB154_313:
	global_load_ubyte v3, v[1:2], off
	v_mov_b32_e32 v4, 0x3c00
	s_or_b64 s[0:1], s[0:1], exec
	s_waitcnt vmcnt(0)
	v_cmp_ne_u16_e32 vcc, 0, v3
	v_cndmask_b32_e32 v3, 0, v4, vcc
	s_or_b64 exec, exec, s[2:3]
	s_and_saveexec_b64 s[2:3], s[10:11]
	s_cbranch_execz .LBB154_1079
	s_branch .LBB154_1034
.LBB154_314:
                                        ; implicit-def: $vgpr0
                                        ; implicit-def: $vgpr2
	s_andn2_b64 vcc, exec, s[0:1]
	s_cbranch_vccz .LBB154_321
	s_branch .LBB154_323
.LBB154_315:
	v_mov_b32_e32 v0, 0
	v_mov_b32_e32 v2, 0
	s_branch .LBB154_320
.LBB154_316:
	s_mov_b32 s64, 0
	v_mov_b32_e32 v0, 0
	v_mov_b32_e32 v2, 0
	;; [unrolled: 1-line block ×3, first 2 shown]
.LBB154_317:
	s_and_b32 s8, s65, 3
	s_cmp_eq_u32 s8, 0
	s_cbranch_scc1 .LBB154_320
; %bb.318:
	s_lshl_b32 s0, s64, 3
	s_add_u32 s0, s34, s0
	s_addc_u32 s1, s35, 0
	s_add_u32 s0, s0, 0xc4
	s_addc_u32 s1, s1, 0
	s_mul_i32 s2, s64, 12
	s_add_u32 s2, s34, s2
	s_addc_u32 s3, s35, 0
.LBB154_319:                            ; =>This Inner Loop Header: Depth=1
	s_load_dwordx2 s[10:11], s[2:3], 0x4
	s_load_dword s9, s[2:3], 0xc
	s_load_dwordx2 s[12:13], s[0:1], 0x0
	s_add_u32 s2, s2, 12
	s_addc_u32 s3, s3, 0
	s_waitcnt vmcnt(0) lgkmcnt(0)
	v_mul_hi_u32 v3, s11, v1
	s_add_u32 s0, s0, 8
	s_addc_u32 s1, s1, 0
	s_add_i32 s8, s8, -1
	v_add_u32_e32 v3, v1, v3
	v_lshrrev_b32_e32 v4, s9, v3
	v_mul_lo_u32 v3, v4, s10
	s_cmp_lg_u32 s8, 0
	v_sub_u32_e32 v3, v1, v3
	v_mad_u64_u32 v[0:1], s[10:11], v3, s12, v[0:1]
	v_mad_u64_u32 v[2:3], s[10:11], v3, s13, v[2:3]
	v_mov_b32_e32 v1, v4
	s_cbranch_scc1 .LBB154_319
.LBB154_320:
	s_cbranch_execnz .LBB154_323
.LBB154_321:
	s_waitcnt lgkmcnt(0)
	v_mul_hi_u32 v0, s37, v8
	s_andn2_b64 vcc, exec, s[46:47]
	v_add_u32_e32 v0, v8, v0
	v_lshrrev_b32_e32 v1, s38, v0
	v_mul_lo_u32 v0, v1, s36
	v_sub_u32_e32 v2, v8, v0
	v_mul_lo_u32 v0, v2, s28
	v_mul_lo_u32 v2, v2, s29
	s_cbranch_vccnz .LBB154_323
; %bb.322:
	s_waitcnt vmcnt(0)
	v_mul_hi_u32 v3, s44, v1
	v_add_u32_e32 v3, v1, v3
	v_lshrrev_b32_e32 v3, s45, v3
	v_mul_lo_u32 v3, v3, s39
	v_sub_u32_e32 v3, v1, v3
	v_mad_u64_u32 v[0:1], s[0:1], v3, s30, v[0:1]
	v_mad_u64_u32 v[2:3], s[0:1], v3, s31, v[2:3]
.LBB154_323:
	s_waitcnt vmcnt(0) lgkmcnt(0)
	v_mov_b32_e32 v3, s27
	s_and_b32 s12, 0xffff, s74
	v_add_co_u32_e32 v1, vcc, s26, v2
	s_cmp_lt_i32 s12, 11
	v_addc_co_u32_e32 v2, vcc, 0, v3, vcc
	s_cbranch_scc1 .LBB154_330
; %bb.324:
	s_cmp_gt_i32 s12, 25
	s_cbranch_scc0 .LBB154_377
; %bb.325:
	s_cmp_gt_i32 s12, 28
	s_cbranch_scc0 .LBB154_379
	;; [unrolled: 3-line block ×4, first 2 shown]
; %bb.328:
	s_cmp_eq_u32 s12, 46
	s_mov_b64 s[2:3], 0
	s_cbranch_scc0 .LBB154_389
; %bb.329:
	global_load_dword v3, v[1:2], off
	s_mov_b64 s[0:1], -1
	s_mov_b64 s[8:9], 0
	s_waitcnt vmcnt(0)
	v_lshlrev_b32_e32 v3, 16, v3
	v_cvt_f16_f32_e32 v3, v3
	s_branch .LBB154_390
.LBB154_330:
	s_mov_b64 s[0:1], 0
                                        ; implicit-def: $vgpr3
	s_mov_b64 s[8:9], s[54:55]
	s_cbranch_execnz .LBB154_567
.LBB154_331:
	s_andn2_b64 vcc, exec, s[0:1]
	s_cbranch_vccnz .LBB154_615
.LBB154_332:
	s_waitcnt vmcnt(0)
	v_cvt_f32_f16_e32 v1, v3
	s_mov_b32 s0, 0x3c800000
                                        ; implicit-def: $vgpr4
	v_and_b32_e32 v2, 0x7fffffff, v1
	v_cmp_nlt_f32_e64 s[0:1], |v1|, s0
	s_and_saveexec_b64 s[2:3], s[0:1]
	s_xor_b64 s[2:3], exec, s[2:3]
	s_cbranch_execz .LBB154_362
; %bb.333:
	v_cmp_nlt_f32_e64 s[0:1], |v1|, 2.0
                                        ; implicit-def: $vgpr4
	s_and_saveexec_b64 s[10:11], s[0:1]
	s_xor_b64 s[10:11], exec, s[10:11]
	s_cbranch_execz .LBB154_343
; %bb.334:
	s_mov_b32 s0, 0x41000000
	v_cmp_nlt_f32_e64 s[0:1], |v1|, s0
                                        ; implicit-def: $vgpr4
	s_and_saveexec_b64 s[12:13], s[0:1]
	s_xor_b64 s[12:13], exec, s[12:13]
	s_cbranch_execz .LBB154_340
; %bb.335:
	s_mov_b32 s0, 0x5c800000
	v_cmp_nlt_f32_e64 s[0:1], |v1|, s0
                                        ; implicit-def: $vgpr4
	s_and_saveexec_b64 s[14:15], s[0:1]
	s_xor_b64 s[14:15], exec, s[14:15]
	s_cbranch_execz .LBB154_337
; %bb.336:
	s_mov_b32 s0, 0x800000
	v_cmp_lt_f32_e64 vcc, |v1|, s0
	v_cndmask_b32_e64 v4, 0, 32, vcc
	v_ldexp_f32 v4, |v1|, v4
	v_log_f32_e32 v4, v4
	s_mov_b32 s0, 0x3f317217
	s_mov_b32 s1, 0x7f800000
	v_mul_f32_e32 v5, 0x3f317217, v4
	v_fma_f32 v6, v4, s0, -v5
	v_fmac_f32_e32 v6, 0x3377d1cf, v4
	v_add_f32_e32 v5, v5, v6
	v_cmp_lt_f32_e64 s[0:1], |v4|, s1
	v_cndmask_b32_e64 v4, v4, v5, s[0:1]
	v_mov_b32_e32 v5, 0x41b17218
	v_cndmask_b32_e32 v5, 0, v5, vcc
	v_sub_f32_e32 v4, v4, v5
	v_fma_f32 v4, |v1|, v4, -|v1|
.LBB154_337:
	s_andn2_saveexec_b64 s[14:15], s[14:15]
	s_cbranch_execz .LBB154_339
; %bb.338:
	v_rcp_f32_e64 v5, |v1|
	v_mov_b32_e32 v4, 0x3a5b3dd2
	v_mov_b32_e32 v6, 0xba1c065c
	;; [unrolled: 1-line block ×3, first 2 shown]
	v_mul_f32_e32 v9, v5, v5
	v_fmac_f32_e32 v4, 0xbad5c4e8, v9
	v_fmac_f32_e32 v6, v9, v4
	s_mov_b32 s0, 0x800000
	v_fmac_f32_e32 v7, v9, v6
	v_mov_b32_e32 v4, 0xbb360b61
	v_cmp_lt_f32_e64 vcc, |v1|, s0
	v_fmac_f32_e32 v4, v9, v7
	v_cndmask_b32_e64 v7, 0, 32, vcc
	v_ldexp_f32 v7, |v1|, v7
	v_log_f32_e32 v7, v7
	v_mov_b32_e32 v6, 0x3daaaaab
	v_fmac_f32_e32 v6, v9, v4
	v_mov_b32_e32 v4, 0x3ed67f1d
	v_fmac_f32_e32 v4, v5, v6
	s_mov_b32 s0, 0x3f317217
	v_mul_f32_e32 v6, 0x3f317217, v7
	v_fma_f32 v9, v7, s0, -v6
	v_fmac_f32_e32 v9, 0x3377d1cf, v7
	s_mov_b32 s0, 0x7f800000
	v_add_f32_e32 v6, v6, v9
	v_cmp_lt_f32_e64 s[0:1], |v7|, s0
	v_cndmask_b32_e64 v6, v7, v6, s[0:1]
	v_mov_b32_e32 v7, 0x41b17218
	v_cndmask_b32_e32 v7, 0, v7, vcc
	v_sub_f32_e32 v6, v6, v7
	v_add_f32_e64 v5, |v1|, -0.5
	v_add_f32_e32 v6, -1.0, v6
	v_fmac_f32_e32 v4, v5, v6
.LBB154_339:
	s_or_b64 exec, exec, s[14:15]
.LBB154_340:
	s_andn2_saveexec_b64 s[12:13], s[12:13]
	s_cbranch_execz .LBB154_342
; %bb.341:
	v_cvt_i32_f32_e32 v4, v2
	v_mov_b32_e32 v5, 0x3af135b4
	v_mov_b32_e32 v6, 0x3cda40e4
	;; [unrolled: 1-line block ×3, first 2 shown]
	v_cvt_f32_i32_e32 v9, v4
	v_mov_b32_e32 v10, 0x3ea6cc7a
	v_mov_b32_e32 v11, 0x3e5c245a
	v_cmp_lt_i32_e32 vcc, 2, v4
	v_sub_f32_e64 v9, |v1|, v9
	v_fmac_f32_e32 v5, 0x3805ff67, v9
	v_fmac_f32_e32 v6, v9, v5
	;; [unrolled: 1-line block ×3, first 2 shown]
	v_mov_b32_e32 v6, 0x3a4beed6
	v_fmac_f32_e32 v10, v9, v7
	v_fmac_f32_e32 v6, 0x36f5d7bd, v9
	v_mov_b32_e32 v7, 0x3c98bf54
	v_fmac_f32_e32 v7, v9, v6
	v_mov_b32_e32 v6, 0x3e300f6e
	;; [unrolled: 2-line block ×4, first 2 shown]
	v_fmac_f32_e32 v6, v9, v7
	v_add_f32_e32 v7, 2.0, v9
	v_mov_b32_e32 v12, 0xbd9e233f
	v_fmac_f32_e32 v11, v9, v10
	v_add_f32_e32 v10, 0x40400000, v9
	v_cndmask_b32_e32 v7, 1.0, v7, vcc
	v_cmp_lt_i32_e32 vcc, 3, v4
	v_fmac_f32_e32 v12, v9, v11
	v_add_f32_e32 v11, 4.0, v9
	v_cndmask_b32_e32 v10, 1.0, v10, vcc
	v_cmp_lt_i32_e32 vcc, 4, v4
	v_mul_f32_e32 v5, v9, v12
	v_add_f32_e32 v12, 0x40a00000, v9
	v_mul_f32_e32 v7, v7, v10
	v_cndmask_b32_e32 v10, 1.0, v11, vcc
	v_cmp_lt_i32_e32 vcc, 5, v4
	v_add_f32_e32 v13, 0x40c00000, v9
	v_mul_f32_e32 v7, v10, v7
	v_cndmask_b32_e32 v10, 1.0, v12, vcc
	v_cmp_lt_i32_e32 vcc, 6, v4
	v_mul_f32_e32 v7, v10, v7
	v_cndmask_b32_e32 v4, 1.0, v13, vcc
	v_mul_f32_e32 v4, v4, v7
	s_mov_b32 s0, 0x800000
	v_cmp_gt_f32_e32 vcc, s0, v4
	v_cndmask_b32_e64 v7, 0, 32, vcc
	v_fma_f32 v6, v9, v6, 1.0
	v_ldexp_f32 v4, v4, v7
	v_rcp_f32_e32 v6, v6
	v_log_f32_e32 v4, v4
	s_mov_b32 s0, 0x3f317217
	v_mul_f32_e32 v5, v5, v6
	v_mul_f32_e32 v6, 0x3f317217, v4
	v_fma_f32 v7, v4, s0, -v6
	v_fmac_f32_e32 v7, 0x3377d1cf, v4
	s_mov_b32 s0, 0x7f800000
	v_add_f32_e32 v6, v6, v7
	v_cmp_lt_f32_e64 s[0:1], |v4|, s0
	v_cndmask_b32_e64 v4, v4, v6, s[0:1]
	v_mov_b32_e32 v6, 0x41b17218
	v_cndmask_b32_e32 v6, 0, v6, vcc
	v_fmac_f32_e32 v5, 0.5, v9
	v_sub_f32_e32 v4, v4, v6
	v_add_f32_e32 v4, v4, v5
.LBB154_342:
	s_or_b64 exec, exec, s[12:13]
.LBB154_343:
	s_andn2_saveexec_b64 s[10:11], s[10:11]
	s_cbranch_execz .LBB154_361
; %bb.344:
	s_mov_b32 s0, 0x3f666666
	v_cmp_le_f32_e64 s[0:1], |v1|, s0
                                        ; implicit-def: $vgpr4
                                        ; implicit-def: $vgpr6
                                        ; implicit-def: $vgpr5
	s_and_saveexec_b64 s[12:13], s[0:1]
	s_xor_b64 s[12:13], exec, s[12:13]
	s_cbranch_execz .LBB154_346
; %bb.345:
	s_mov_b32 s0, 0x800000
	v_cmp_lt_f32_e64 vcc, |v1|, s0
	v_cndmask_b32_e64 v4, 0, 32, vcc
	v_ldexp_f32 v4, |v1|, v4
	v_log_f32_e32 v4, v4
	s_mov_b32 s0, 0x3f317217
	s_mov_b32 s1, 0x7f800000
	v_mul_f32_e32 v5, 0x3f317217, v4
	v_fma_f32 v6, v4, s0, -v5
	v_fmac_f32_e32 v6, 0x3377d1cf, v4
	v_add_f32_e32 v5, v5, v6
	v_cmp_lt_f32_e64 s[0:1], |v4|, s1
	v_cndmask_b32_e64 v4, v4, v5, s[0:1]
	v_mov_b32_e32 v5, 0x41b17218
	v_cndmask_b32_e32 v5, 0, v5, vcc
	s_mov_b32 s0, 0x3f3b4a23
	s_mov_b32 s1, 0xbeec5b0c
	v_sub_f32_e32 v4, v4, v5
	v_sub_f32_e64 v5, 1.0, |v1|
	v_add_f32_e64 v6, |v1|, s1
	v_cmp_lt_f32_e64 vcc, |v1|, s0
	s_mov_b32 s0, 0x3e6d3309
	v_cndmask_b32_e32 v5, v5, v6, vcc
	v_cndmask_b32_e64 v6, 0, 1, vcc
	v_cmp_lt_f32_e64 s[0:1], |v1|, s0
	v_xor_b32_e32 v4, 0x80000000, v4
	v_cndmask_b32_e64 v5, v5, |v1|, s[0:1]
	v_cndmask_b32_e64 v6, v6, 2, s[0:1]
.LBB154_346:
	s_andn2_saveexec_b64 s[0:1], s[12:13]
	s_cbranch_execz .LBB154_348
; %bb.347:
	s_mov_b32 s12, 0x3fdda512
	s_mov_b32 s13, 0xbfbb16c3
	v_sub_f32_e64 v4, 2.0, |v1|
	v_add_f32_e64 v5, |v1|, s13
	v_cmp_lt_f32_e64 vcc, |v1|, s12
	v_cndmask_b32_e32 v5, v4, v5, vcc
	v_cndmask_b32_e64 v4, v4, 1.0, vcc
	v_cvt_i32_f32_e32 v4, v4
	s_mov_b32 s12, 0x3f9d70a4
	v_add_f32_e64 v6, |v1|, -1.0
	v_cmp_lt_f32_e64 vcc, |v1|, s12
	v_cndmask_b32_e32 v5, v5, v6, vcc
	v_cndmask_b32_e64 v6, v4, 2, vcc
	v_mov_b32_e32 v4, 0
.LBB154_348:
	s_or_b64 exec, exec, s[0:1]
	v_cmp_lt_i32_e32 vcc, 0, v6
	s_and_saveexec_b64 s[0:1], vcc
	s_xor_b64 s[0:1], exec, s[0:1]
	s_cbranch_execz .LBB154_356
; %bb.349:
	v_cmp_lt_i32_e32 vcc, 1, v6
	s_and_saveexec_b64 s[12:13], vcc
	s_xor_b64 s[12:13], exec, s[12:13]
	s_cbranch_execz .LBB154_353
; %bb.350:
	v_cmp_eq_u32_e32 vcc, 2, v6
	s_and_saveexec_b64 s[14:15], vcc
	s_cbranch_execz .LBB154_352
; %bb.351:
	v_mov_b32_e32 v6, 0x3e6a7578
	v_fmac_f32_e32 v6, 0x3c5b3c5e, v5
	v_mov_b32_e32 v7, 0x3f7a4bb2
	v_fmac_f32_e32 v7, v5, v6
	;; [unrolled: 2-line block ×8, first 2 shown]
	v_fma_f32 v6, v5, v9, 1.0
	v_rcp_f32_e32 v6, v6
	v_mov_b32_e32 v9, 0xbd9e233f
	v_fmac_f32_e32 v9, v5, v7
	v_mul_f32_e32 v7, v5, v9
	v_mul_f32_e32 v6, v7, v6
	v_fmac_f32_e32 v6, -0.5, v5
	v_add_f32_e32 v4, v4, v6
.LBB154_352:
	s_or_b64 exec, exec, s[14:15]
                                        ; implicit-def: $vgpr5
.LBB154_353:
	s_andn2_saveexec_b64 s[12:13], s[12:13]
	s_cbranch_execz .LBB154_355
; %bb.354:
	v_mul_f32_e32 v6, v5, v5
	v_mul_f32_e32 v7, v5, v6
	v_mov_b32_e32 v9, 0xbab7f476
	v_fmac_f32_e32 v9, 0x39a57b6b, v7
	v_mov_b32_e32 v10, 0x3bc7e707
	v_fmac_f32_e32 v10, v7, v9
	;; [unrolled: 2-line block ×12, first 2 shown]
	v_fmac_f32_e32 v11, v5, v12
	s_mov_b32 s14, 0xa2863e55
	v_fma_f32 v5, v7, -v11, s14
	v_fma_f32 v5, v6, v10, -v5
	v_add_f32_e32 v5, 0xbdf8cdce, v5
	v_add_f32_e32 v4, v4, v5
.LBB154_355:
	s_or_b64 exec, exec, s[12:13]
                                        ; implicit-def: $vgpr6
                                        ; implicit-def: $vgpr5
.LBB154_356:
	s_andn2_saveexec_b64 s[0:1], s[0:1]
	s_cbranch_execz .LBB154_360
; %bb.357:
	v_cmp_eq_u32_e32 vcc, 0, v6
	s_and_saveexec_b64 s[12:13], vcc
	s_cbranch_execz .LBB154_359
; %bb.358:
	v_mul_f32_e32 v6, v5, v5
	v_mov_b32_e32 v7, 0x39679767
	v_fmac_f32_e32 v7, 0x37d383a2, v6
	v_mov_b32_e32 v9, 0x3a9c54a1
	v_fmac_f32_e32 v9, v6, v7
	;; [unrolled: 2-line block ×10, first 2 shown]
	v_mul_f32_e32 v6, v6, v9
	v_fmac_f32_e32 v6, v5, v7
	v_fmac_f32_e32 v6, -0.5, v5
	v_add_f32_e32 v4, v4, v6
.LBB154_359:
	s_or_b64 exec, exec, s[12:13]
.LBB154_360:
	s_or_b64 exec, exec, s[0:1]
.LBB154_361:
	s_or_b64 exec, exec, s[10:11]
.LBB154_362:
	s_andn2_saveexec_b64 s[2:3], s[2:3]
	s_cbranch_execz .LBB154_364
; %bb.363:
	s_mov_b32 s0, 0x3e8a8991
	v_mov_b32_e32 v4, 0xbecd26ab
	v_fma_f32 v4, |v1|, s0, v4
	s_mov_b32 s0, 0x3f528d33
	v_fma_f32 v4, |v1|, v4, s0
	s_mov_b32 s0, 0x800000
	v_cmp_lt_f32_e64 vcc, |v1|, s0
	v_cndmask_b32_e64 v5, 0, 32, vcc
	v_ldexp_f32 v5, |v1|, v5
	v_log_f32_e32 v5, v5
	s_mov_b32 s0, 0xbf13c468
	v_fma_f32 v4, |v1|, v4, s0
	s_mov_b32 s0, 0x3f317217
	v_mul_f32_e32 v6, 0x3f317217, v5
	v_fma_f32 v7, v5, s0, -v6
	v_fmac_f32_e32 v7, 0x3377d1cf, v5
	s_mov_b32 s0, 0x7f800000
	v_add_f32_e32 v6, v6, v7
	v_cmp_lt_f32_e64 s[0:1], |v5|, s0
	v_cndmask_b32_e64 v5, v5, v6, s[0:1]
	v_mov_b32_e32 v6, 0x41b17218
	v_cndmask_b32_e32 v6, 0, v6, vcc
	v_sub_f32_e32 v5, v5, v6
	v_fma_f32 v4, |v1|, v4, -v5
.LBB154_364:
	s_or_b64 exec, exec, s[2:3]
	v_cmp_le_f16_e32 vcc, 0, v3
	v_cmp_nle_f16_e64 s[0:1], 0, v3
	s_and_saveexec_b64 s[2:3], s[0:1]
	s_xor_b64 s[10:11], exec, s[2:3]
	s_cbranch_execz .LBB154_368
; %bb.365:
	s_mov_b32 s0, 0x4b000000
	s_mov_b32 s2, 0x35000000
	v_cmp_lt_f32_e64 s[0:1], |v1|, s0
	v_cmp_gt_f32_e64 s[2:3], |v1|, s2
	s_and_b64 s[0:1], s[0:1], s[2:3]
	s_and_saveexec_b64 s[12:13], s[0:1]
	s_cbranch_execz .LBB154_367
; %bb.366:
	v_mul_f32_e64 v5, |v1|, 0.5
	v_floor_f32_e32 v6, v5
	v_sub_f32_e32 v6, v5, v6
	v_min_f32_e32 v6, 0x3f7fffff, v6
	s_mov_b32 s2, 0x7f800000
	v_add_f32_e32 v6, v6, v6
	v_cmp_neq_f32_e64 s[0:1], s2, v5
	v_cndmask_b32_e64 v5, 0, v6, s[0:1]
	v_cmp_gt_f32_e64 s[0:1], |v1|, 1.0
	v_cndmask_b32_e64 v5, |v1|, v5, s[0:1]
	v_add_f32_e32 v6, v5, v5
	v_rndne_f32_e32 v6, v6
	v_fmac_f32_e32 v5, -0.5, v6
	v_mul_f32_e32 v7, v5, v5
	v_mov_b32_e32 v9, 0xbf1f24be
	v_fmac_f32_e32 v9, 0x3e75aa41, v7
	v_mov_b32_e32 v10, 0x40234736
	v_fmac_f32_e32 v10, v7, v9
	;; [unrolled: 2-line block ×3, first 2 shown]
	v_mul_f32_e32 v10, v5, v7
	v_mul_f32_e32 v9, v10, v9
	v_fmac_f32_e32 v9, 0x40490fdb, v5
	v_mov_b32_e32 v5, 0x3e642e9d
	v_cvt_i32_f32_e32 v6, v6
	v_fmac_f32_e32 v5, 0x3d4be544, v7
	v_mov_b32_e32 v10, 0xbfaad1da
	v_fmac_f32_e32 v10, v7, v5
	v_mov_b32_e32 v5, 0x4081e0d3
	;; [unrolled: 2-line block ×3, first 2 shown]
	v_fmac_f32_e32 v10, v7, v5
	v_fma_f32 v5, v7, v10, 1.0
	v_and_b32_e32 v7, 1, v6
	v_lshlrev_b32_e32 v6, 30, v6
	v_cmp_eq_u32_e64 s[0:1], 0, v7
	v_and_b32_e32 v6, 0x80000000, v6
	v_xor_b32_e32 v2, v2, v1
	v_cndmask_b32_e64 v5, v5, v9, s[0:1]
	v_xor_b32_e32 v2, v2, v6
	v_xor_b32_e32 v2, v2, v5
	v_mul_f32_e32 v2, v1, v2
	v_frexp_mant_f32_e64 v5, |v2|
	v_rcp_f32_e32 v5, v5
	v_frexp_exp_i32_f32_e32 v2, v2
	v_sub_u32_e32 v2, 2, v2
	s_mov_b32 s0, 0x800000
	v_mul_f32_e32 v5, 0x3f490fdb, v5
	v_ldexp_f32 v2, v5, v2
	v_cmp_gt_f32_e64 s[0:1], s0, v2
	v_cndmask_b32_e64 v5, 0, 32, s[0:1]
	v_ldexp_f32 v2, v2, v5
	v_log_f32_e32 v2, v2
	s_mov_b32 s3, 0x3f317217
	v_mul_f32_e32 v5, 0x3f317217, v2
	v_fma_f32 v6, v2, s3, -v5
	v_fmac_f32_e32 v6, 0x3377d1cf, v2
	v_add_f32_e32 v5, v5, v6
	v_cmp_lt_f32_e64 s[2:3], |v2|, s2
	v_cndmask_b32_e64 v2, v2, v5, s[2:3]
	v_mov_b32_e32 v5, 0x41b17218
	v_cndmask_b32_e64 v5, 0, v5, s[0:1]
	v_sub_f32_e32 v2, v2, v5
	v_sub_f32_e32 v2, v2, v4
	v_floor_f32_e32 v4, v1
	v_sub_f32_e32 v4, v1, v4
	v_min_f32_e32 v4, 0x3f7fffff, v4
	v_mov_b32_e32 v5, 0x7f800000
	v_cmp_neq_f32_e64 s[0:1], 0, v4
	v_cndmask_b32_e64 v4, v5, v2, s[0:1]
.LBB154_367:
	s_or_b64 exec, exec, s[12:13]
.LBB154_368:
	s_andn2_saveexec_b64 s[10:11], s[10:11]
; %bb.369:
	v_cmp_eq_f16_e64 s[0:1], 1.0, v3
	v_cmp_eq_f16_e64 s[2:3], 2.0, v3
	s_or_b64 s[0:1], s[0:1], s[2:3]
	v_cndmask_b32_e64 v4, v4, 0, s[0:1]
; %bb.370:
	s_or_b64 exec, exec, s[10:11]
	v_cvt_f16_f32_e32 v4, v4
	s_mov_b32 s0, 0x4b000000
	v_cmp_lt_f32_e64 s[0:1], |v1|, s0
	v_mov_b32_e32 v2, 0x264
	v_mov_b32_e32 v5, 0x7c00
	s_or_b64 vcc, vcc, s[0:1]
	v_cndmask_b32_e32 v4, v5, v4, vcc
	v_cmp_class_f32_e32 vcc, v1, v2
	v_cndmask_b32_e32 v1, v4, v5, vcc
	v_cmp_u_f16_e32 vcc, v3, v3
	v_cndmask_b32_e32 v2, v1, v3, vcc
	v_mov_b32_e32 v1, s25
	s_and_b32 s14, s73, 0xff
	v_add_co_u32_e32 v0, vcc, s24, v0
	s_cmp_lt_i32 s14, 11
	v_addc_co_u32_e32 v1, vcc, 0, v1, vcc
	s_cbranch_scc1 .LBB154_378
; %bb.371:
	s_and_b32 s15, 0xffff, s14
	s_cmp_gt_i32 s15, 25
	s_cbranch_scc0 .LBB154_380
; %bb.372:
	s_cmp_gt_i32 s15, 28
	s_cbranch_scc0 .LBB154_382
; %bb.373:
	s_cmp_gt_i32 s15, 43
	s_cbranch_scc0 .LBB154_386
; %bb.374:
	s_cmp_gt_i32 s15, 45
	s_cbranch_scc0 .LBB154_393
; %bb.375:
	s_mov_b64 s[10:11], 0
	s_mov_b64 s[0:1], -1
	s_cmp_eq_u32 s15, 46
	s_mov_b64 s[2:3], 0
	s_cbranch_scc0 .LBB154_394
; %bb.376:
	v_cvt_f32_f16_e32 v3, v2
	s_movk_i32 s0, 0x7fff
	v_cmp_o_f16_e32 vcc, v2, v2
	v_mov_b32_e32 v4, 0x7fc0
	v_bfe_u32 v5, v3, 16, 1
	v_add3_u32 v3, v3, v5, s0
	v_cndmask_b32_sdwa v3, v4, v3, vcc dst_sel:DWORD dst_unused:UNUSED_PAD src0_sel:DWORD src1_sel:WORD_1
	global_store_dword v[0:1], v3, off
	s_mov_b64 s[2:3], -1
	s_mov_b64 s[0:1], 0
	s_branch .LBB154_394
.LBB154_377:
	s_mov_b64 s[2:3], -1
	s_mov_b64 s[0:1], 0
	s_mov_b64 s[8:9], s[54:55]
                                        ; implicit-def: $vgpr3
	s_branch .LBB154_531
.LBB154_378:
	s_mov_b64 s[10:11], -1
	s_mov_b64 s[2:3], 0
	s_mov_b64 s[0:1], s[52:53]
	s_branch .LBB154_463
.LBB154_379:
	s_mov_b64 s[2:3], -1
	s_mov_b64 s[0:1], 0
	s_mov_b64 s[8:9], s[54:55]
                                        ; implicit-def: $vgpr3
	s_branch .LBB154_512
.LBB154_380:
	s_mov_b64 s[10:11], -1
	s_mov_b64 s[2:3], 0
	s_mov_b64 s[0:1], s[52:53]
	s_branch .LBB154_421
.LBB154_381:
	s_mov_b64 s[2:3], -1
	s_mov_b64 s[0:1], 0
	s_mov_b64 s[8:9], s[54:55]
                                        ; implicit-def: $vgpr3
	s_branch .LBB154_507
.LBB154_382:
	s_mov_b64 s[10:11], -1
	s_mov_b64 s[2:3], 0
	s_mov_b64 s[0:1], s[52:53]
	s_branch .LBB154_404
.LBB154_383:
	s_andn2_saveexec_b64 s[12:13], s[12:13]
	s_cbranch_execz .LBB154_106
.LBB154_384:
	s_mov_b32 s16, 0x46000000
	v_add_f32_e64 v4, |v3|, s16
	v_and_b32_e32 v4, 0xff, v4
	v_cmp_ne_u32_e32 vcc, 0, v4
	s_andn2_b64 s[10:11], s[10:11], exec
	s_and_b64 s[16:17], vcc, exec
	s_or_b64 s[10:11], s[10:11], s[16:17]
	s_or_b64 exec, exec, s[12:13]
	v_mov_b32_e32 v5, 0
	s_and_saveexec_b64 s[12:13], s[10:11]
	s_cbranch_execnz .LBB154_107
	s_branch .LBB154_108
.LBB154_385:
	s_mov_b64 s[2:3], -1
	s_mov_b64 s[0:1], 0
	s_mov_b64 s[8:9], s[54:55]
                                        ; implicit-def: $vgpr3
	s_branch .LBB154_390
.LBB154_386:
	s_mov_b64 s[10:11], -1
	s_mov_b64 s[2:3], 0
	s_mov_b64 s[0:1], s[52:53]
	s_branch .LBB154_400
.LBB154_387:
	s_andn2_saveexec_b64 s[12:13], s[12:13]
	s_cbranch_execz .LBB154_119
.LBB154_388:
	s_mov_b32 s16, 0x42800000
	v_add_f32_e64 v4, |v3|, s16
	v_and_b32_e32 v4, 0xff, v4
	v_cmp_ne_u32_e32 vcc, 0, v4
	s_andn2_b64 s[10:11], s[10:11], exec
	s_and_b64 s[16:17], vcc, exec
	s_or_b64 s[10:11], s[10:11], s[16:17]
	s_or_b64 exec, exec, s[12:13]
	v_mov_b32_e32 v5, 0
	s_and_saveexec_b64 s[12:13], s[10:11]
	s_cbranch_execnz .LBB154_120
	s_branch .LBB154_121
.LBB154_389:
	s_mov_b64 s[8:9], -1
                                        ; implicit-def: $vgpr3
	s_mov_b64 s[0:1], 0
.LBB154_390:
	s_and_b64 vcc, exec, s[2:3]
	s_cbranch_vccz .LBB154_506
; %bb.391:
	s_cmp_eq_u32 s12, 44
	s_cbranch_scc0 .LBB154_505
; %bb.392:
	global_load_ubyte v3, v[1:2], off
	s_movk_i32 s2, 0xff
	v_mov_b32_e32 v5, 0x7e00
	s_mov_b64 s[0:1], -1
	s_mov_b64 s[8:9], 0
	s_waitcnt vmcnt(0)
	v_lshlrev_b32_e32 v4, 23, v3
	v_cvt_f16_f32_e32 v4, v4
	v_cmp_ne_u32_e32 vcc, s2, v3
	v_cndmask_b32_e32 v4, v5, v4, vcc
	v_cmp_ne_u32_e32 vcc, 0, v3
	v_cndmask_b32_e32 v3, 0, v4, vcc
	s_branch .LBB154_506
.LBB154_393:
	s_mov_b64 s[10:11], -1
	s_mov_b64 s[2:3], 0
	s_mov_b64 s[0:1], s[52:53]
.LBB154_394:
	s_and_b64 vcc, exec, s[10:11]
	s_cbranch_vccz .LBB154_399
; %bb.395:
	s_cmp_eq_u32 s15, 44
	s_mov_b64 s[0:1], -1
	s_cbranch_scc0 .LBB154_399
; %bb.396:
	v_cvt_f32_f16_e32 v3, v2
	s_movk_i32 s0, 0xff
	v_mov_b32_e32 v5, 0xff
	v_bfe_u32 v4, v3, 23, 8
	v_cmp_ne_u32_e32 vcc, s0, v4
	s_and_saveexec_b64 s[2:3], vcc
; %bb.397:
	s_mov_b32 s0, 0x3fffff
	v_lshrrev_b32_e32 v5, 23, v3
	v_and_b32_e32 v6, 0x400000, v3
	v_and_or_b32 v3, v3, s0, v4
	v_cmp_ne_u32_e32 vcc, 0, v6
	v_cmp_ne_u32_e64 s[0:1], 0, v3
	s_and_b64 s[0:1], vcc, s[0:1]
	v_cndmask_b32_e64 v3, 0, 1, s[0:1]
	v_add_u32_e32 v5, v5, v3
; %bb.398:
	s_or_b64 exec, exec, s[2:3]
	s_mov_b64 s[2:3], -1
	s_mov_b64 s[0:1], 0
	global_store_byte v[0:1], v5, off
.LBB154_399:
	s_mov_b64 s[10:11], 0
.LBB154_400:
	s_and_b64 vcc, exec, s[10:11]
	s_cbranch_vccz .LBB154_403
; %bb.401:
	s_cmp_eq_u32 s15, 29
	s_mov_b64 s[0:1], -1
	s_cbranch_scc0 .LBB154_403
; %bb.402:
	v_cvt_f32_f16_e32 v3, v2
	v_mov_b32_e32 v4, 0
	s_mov_b64 s[2:3], -1
	s_mov_b64 s[0:1], 0
	v_cvt_u32_f32_e32 v3, v3
	s_mov_b64 s[10:11], 0
	global_store_dwordx2 v[0:1], v[3:4], off
	s_branch .LBB154_404
.LBB154_403:
	s_mov_b64 s[10:11], 0
.LBB154_404:
	s_and_b64 vcc, exec, s[10:11]
	s_cbranch_vccz .LBB154_420
; %bb.405:
	s_cmp_lt_i32 s15, 27
	s_mov_b64 s[2:3], -1
	s_cbranch_scc1 .LBB154_411
; %bb.406:
	s_cmp_gt_i32 s15, 27
	s_cbranch_scc0 .LBB154_408
; %bb.407:
	v_cvt_f32_f16_e32 v3, v2
	s_mov_b64 s[2:3], 0
	v_cvt_u32_f32_e32 v3, v3
	global_store_dword v[0:1], v3, off
.LBB154_408:
	s_andn2_b64 vcc, exec, s[2:3]
	s_cbranch_vccnz .LBB154_410
; %bb.409:
	v_cvt_u16_f16_e32 v3, v2
	global_store_short v[0:1], v3, off
.LBB154_410:
	s_mov_b64 s[2:3], 0
.LBB154_411:
	s_andn2_b64 vcc, exec, s[2:3]
	s_cbranch_vccnz .LBB154_419
; %bb.412:
	v_cvt_f32_f16_e32 v3, v2
	s_mov_b32 s2, 0x43800000
	v_mov_b32_e32 v5, 0x80
	v_and_b32_e32 v4, 0x7fffffff, v3
	v_cmp_gt_u32_e32 vcc, s2, v4
	s_and_saveexec_b64 s[2:3], vcc
	s_cbranch_execz .LBB154_418
; %bb.413:
	s_mov_b32 s10, 0x3bffffff
	v_cmp_lt_u32_e32 vcc, s10, v4
	s_mov_b64 s[10:11], 0
                                        ; implicit-def: $vgpr4
	s_and_saveexec_b64 s[12:13], vcc
	s_xor_b64 s[12:13], exec, s[12:13]
	s_cbranch_execz .LBB154_646
; %bb.414:
	v_bfe_u32 v4, v3, 20, 1
	s_mov_b32 s16, 0x487ffff
	v_add3_u32 v4, v3, v4, s16
	s_mov_b64 s[10:11], exec
	v_lshrrev_b32_e32 v4, 20, v4
	s_andn2_saveexec_b64 s[12:13], s[12:13]
	s_cbranch_execnz .LBB154_647
.LBB154_415:
	s_or_b64 exec, exec, s[12:13]
	v_mov_b32_e32 v5, 0
	s_and_saveexec_b64 s[12:13], s[10:11]
.LBB154_416:
	v_lshrrev_b32_e32 v3, 24, v3
	s_movk_i32 s10, 0x80
	v_and_or_b32 v5, v3, s10, v4
.LBB154_417:
	s_or_b64 exec, exec, s[12:13]
.LBB154_418:
	s_or_b64 exec, exec, s[2:3]
	global_store_byte v[0:1], v5, off
.LBB154_419:
	s_mov_b64 s[2:3], -1
.LBB154_420:
	s_mov_b64 s[10:11], 0
.LBB154_421:
	s_and_b64 vcc, exec, s[10:11]
	s_cbranch_vccz .LBB154_462
; %bb.422:
	s_cmp_gt_i32 s15, 22
	s_mov_b64 s[10:11], -1
	s_cbranch_scc0 .LBB154_454
; %bb.423:
	s_cmp_lt_i32 s15, 24
	s_mov_b64 s[2:3], -1
	s_cbranch_scc1 .LBB154_443
; %bb.424:
	s_cmp_gt_i32 s15, 24
	s_cbranch_scc0 .LBB154_432
; %bb.425:
	v_cvt_f32_f16_e32 v3, v2
	s_mov_b32 s2, 0x47800000
	v_mov_b32_e32 v5, 0x80
	v_and_b32_e32 v4, 0x7fffffff, v3
	v_cmp_gt_u32_e32 vcc, s2, v4
	s_and_saveexec_b64 s[2:3], vcc
	s_cbranch_execz .LBB154_431
; %bb.426:
	s_mov_b32 s10, 0x37ffffff
	v_cmp_lt_u32_e32 vcc, s10, v4
	s_mov_b64 s[10:11], 0
                                        ; implicit-def: $vgpr4
	s_and_saveexec_b64 s[12:13], vcc
	s_xor_b64 s[12:13], exec, s[12:13]
	s_cbranch_execz .LBB154_649
; %bb.427:
	v_bfe_u32 v4, v3, 21, 1
	s_mov_b32 s16, 0x88fffff
	v_add3_u32 v4, v3, v4, s16
	s_mov_b64 s[10:11], exec
	v_lshrrev_b32_e32 v4, 21, v4
	s_andn2_saveexec_b64 s[12:13], s[12:13]
	s_cbranch_execnz .LBB154_650
.LBB154_428:
	s_or_b64 exec, exec, s[12:13]
	v_mov_b32_e32 v5, 0
	s_and_saveexec_b64 s[12:13], s[10:11]
.LBB154_429:
	v_lshrrev_b32_e32 v3, 24, v3
	s_movk_i32 s10, 0x80
	v_and_or_b32 v5, v3, s10, v4
.LBB154_430:
	s_or_b64 exec, exec, s[12:13]
.LBB154_431:
	s_or_b64 exec, exec, s[2:3]
	s_mov_b64 s[2:3], 0
	global_store_byte v[0:1], v5, off
.LBB154_432:
	s_and_b64 vcc, exec, s[2:3]
	s_cbranch_vccz .LBB154_442
; %bb.433:
	v_cvt_f32_f16_e32 v3, v2
	s_mov_b32 s2, 0x43f00000
                                        ; implicit-def: $vgpr4
	v_and_b32_e32 v5, 0x7fffffff, v3
	v_cmp_gt_u32_e32 vcc, s2, v5
	s_and_saveexec_b64 s[2:3], vcc
	s_xor_b64 s[2:3], exec, s[2:3]
	s_cbranch_execz .LBB154_439
; %bb.434:
	s_mov_b32 s10, 0x3c7fffff
	v_cmp_lt_u32_e32 vcc, s10, v5
                                        ; implicit-def: $vgpr4
	s_and_saveexec_b64 s[10:11], vcc
	s_xor_b64 s[10:11], exec, s[10:11]
; %bb.435:
	v_bfe_u32 v4, v3, 20, 1
	s_mov_b32 s12, 0x407ffff
	v_add3_u32 v4, v3, v4, s12
	v_lshrrev_b32_e32 v5, 20, v4
	v_and_b32_e32 v4, 0xff00000, v4
	s_mov_b32 s12, 0x7f00000
	v_mov_b32_e32 v6, 0x7e
	v_cmp_ne_u32_e32 vcc, s12, v4
	v_cndmask_b32_e32 v4, v6, v5, vcc
; %bb.436:
	s_andn2_saveexec_b64 s[10:11], s[10:11]
; %bb.437:
	s_mov_b32 s12, 0x46800000
	v_add_f32_e64 v4, |v3|, s12
; %bb.438:
	s_or_b64 exec, exec, s[10:11]
                                        ; implicit-def: $vgpr5
.LBB154_439:
	s_andn2_saveexec_b64 s[2:3], s[2:3]
; %bb.440:
	s_mov_b32 s10, 0x7f800000
	v_mov_b32_e32 v4, 0x7e
	v_mov_b32_e32 v6, 0x7f
	v_cmp_lt_u32_e32 vcc, s10, v5
	v_cndmask_b32_e32 v4, v4, v6, vcc
; %bb.441:
	s_or_b64 exec, exec, s[2:3]
	v_lshrrev_b32_e32 v3, 24, v3
	s_movk_i32 s2, 0x80
	v_and_or_b32 v3, v3, s2, v4
	global_store_byte v[0:1], v3, off
.LBB154_442:
	s_mov_b64 s[2:3], 0
.LBB154_443:
	s_andn2_b64 vcc, exec, s[2:3]
	s_cbranch_vccnz .LBB154_453
; %bb.444:
	v_cvt_f32_f16_e32 v3, v2
	s_mov_b32 s2, 0x47800000
                                        ; implicit-def: $vgpr4
	v_and_b32_e32 v5, 0x7fffffff, v3
	v_cmp_gt_u32_e32 vcc, s2, v5
	s_and_saveexec_b64 s[2:3], vcc
	s_xor_b64 s[2:3], exec, s[2:3]
	s_cbranch_execz .LBB154_450
; %bb.445:
	s_mov_b32 s10, 0x387fffff
	v_cmp_lt_u32_e32 vcc, s10, v5
                                        ; implicit-def: $vgpr4
	s_and_saveexec_b64 s[10:11], vcc
	s_xor_b64 s[10:11], exec, s[10:11]
; %bb.446:
	v_bfe_u32 v4, v3, 21, 1
	s_mov_b32 s12, 0x80fffff
	v_add3_u32 v4, v3, v4, s12
	v_lshrrev_b32_e32 v4, 21, v4
; %bb.447:
	s_andn2_saveexec_b64 s[10:11], s[10:11]
; %bb.448:
	s_mov_b32 s12, 0x43000000
	v_add_f32_e64 v4, |v3|, s12
; %bb.449:
	s_or_b64 exec, exec, s[10:11]
                                        ; implicit-def: $vgpr5
.LBB154_450:
	s_andn2_saveexec_b64 s[2:3], s[2:3]
; %bb.451:
	s_mov_b32 s10, 0x7f800000
	v_mov_b32_e32 v4, 0x7c
	v_mov_b32_e32 v6, 0x7f
	v_cmp_lt_u32_e32 vcc, s10, v5
	v_cndmask_b32_e32 v4, v4, v6, vcc
; %bb.452:
	s_or_b64 exec, exec, s[2:3]
	v_lshrrev_b32_e32 v3, 24, v3
	s_movk_i32 s2, 0x80
	v_and_or_b32 v3, v3, s2, v4
	global_store_byte v[0:1], v3, off
.LBB154_453:
	s_mov_b64 s[10:11], 0
	s_mov_b64 s[2:3], -1
.LBB154_454:
	s_andn2_b64 vcc, exec, s[10:11]
	s_cbranch_vccnz .LBB154_462
; %bb.455:
	s_cmp_gt_i32 s15, 14
	s_mov_b64 s[10:11], -1
	s_cbranch_scc0 .LBB154_459
; %bb.456:
	s_cmp_eq_u32 s15, 15
	s_mov_b64 s[0:1], -1
	s_cbranch_scc0 .LBB154_458
; %bb.457:
	v_cvt_f32_f16_e32 v3, v2
	s_movk_i32 s0, 0x7fff
	v_cmp_o_f16_e32 vcc, v2, v2
	v_mov_b32_e32 v4, 0x7fc0
	v_bfe_u32 v5, v3, 16, 1
	v_add3_u32 v3, v3, v5, s0
	v_cndmask_b32_sdwa v3, v4, v3, vcc dst_sel:DWORD dst_unused:UNUSED_PAD src0_sel:DWORD src1_sel:WORD_1
	global_store_short v[0:1], v3, off
	s_mov_b64 s[2:3], -1
	s_mov_b64 s[0:1], 0
.LBB154_458:
	s_mov_b64 s[10:11], 0
.LBB154_459:
	s_and_b64 vcc, exec, s[10:11]
	s_cbranch_vccz .LBB154_462
; %bb.460:
	s_cmp_eq_u32 s15, 11
	s_mov_b64 s[0:1], -1
	s_cbranch_scc0 .LBB154_462
; %bb.461:
	v_cmp_neq_f16_e32 vcc, 0, v2
	v_cndmask_b32_e64 v3, 0, 1, vcc
	s_mov_b64 s[2:3], -1
	s_mov_b64 s[0:1], 0
	global_store_byte v[0:1], v3, off
.LBB154_462:
	s_mov_b64 s[10:11], 0
.LBB154_463:
	s_and_b64 vcc, exec, s[10:11]
	s_cbranch_vccz .LBB154_502
; %bb.464:
	s_and_b32 s10, 0xffff, s14
	s_cmp_lt_i32 s10, 5
	s_mov_b64 s[2:3], -1
	s_cbranch_scc1 .LBB154_485
; %bb.465:
	s_cmp_lt_i32 s10, 8
	s_cbranch_scc1 .LBB154_475
; %bb.466:
	s_cmp_lt_i32 s10, 9
	s_cbranch_scc1 .LBB154_472
; %bb.467:
	s_cmp_gt_i32 s10, 9
	s_cbranch_scc0 .LBB154_469
; %bb.468:
	v_cvt_f32_f16_e32 v3, v2
	v_mov_b32_e32 v5, 0
	v_mov_b32_e32 v6, v5
	s_mov_b64 s[2:3], 0
	v_cvt_f64_f32_e32 v[3:4], v3
	global_store_dwordx4 v[0:1], v[3:6], off
.LBB154_469:
	s_andn2_b64 vcc, exec, s[2:3]
	s_cbranch_vccnz .LBB154_471
; %bb.470:
	v_cvt_f32_f16_e32 v3, v2
	v_mov_b32_e32 v4, 0
	global_store_dwordx2 v[0:1], v[3:4], off
.LBB154_471:
	s_mov_b64 s[2:3], 0
.LBB154_472:
	s_andn2_b64 vcc, exec, s[2:3]
	s_cbranch_vccnz .LBB154_474
; %bb.473:
	v_and_b32_e32 v3, 0xffff, v2
	global_store_dword v[0:1], v3, off
.LBB154_474:
	s_mov_b64 s[2:3], 0
.LBB154_475:
	s_andn2_b64 vcc, exec, s[2:3]
	s_cbranch_vccnz .LBB154_484
; %bb.476:
	s_cmp_lt_i32 s10, 6
	s_mov_b64 s[2:3], -1
	s_cbranch_scc1 .LBB154_482
; %bb.477:
	s_cmp_gt_i32 s10, 6
	s_cbranch_scc0 .LBB154_479
; %bb.478:
	v_cvt_f32_f16_e32 v3, v2
	s_mov_b64 s[2:3], 0
	v_cvt_f64_f32_e32 v[3:4], v3
	global_store_dwordx2 v[0:1], v[3:4], off
.LBB154_479:
	s_andn2_b64 vcc, exec, s[2:3]
	s_cbranch_vccnz .LBB154_481
; %bb.480:
	v_cvt_f32_f16_e32 v3, v2
	global_store_dword v[0:1], v3, off
.LBB154_481:
	s_mov_b64 s[2:3], 0
.LBB154_482:
	s_andn2_b64 vcc, exec, s[2:3]
	s_cbranch_vccnz .LBB154_484
; %bb.483:
	global_store_short v[0:1], v2, off
.LBB154_484:
	s_mov_b64 s[2:3], 0
.LBB154_485:
	s_andn2_b64 vcc, exec, s[2:3]
	s_cbranch_vccnz .LBB154_501
; %bb.486:
	s_cmp_lt_i32 s10, 2
	s_mov_b64 s[2:3], -1
	s_cbranch_scc1 .LBB154_496
; %bb.487:
	s_cmp_lt_i32 s10, 3
	s_cbranch_scc1 .LBB154_493
; %bb.488:
	s_cmp_gt_i32 s10, 3
	s_cbranch_scc0 .LBB154_490
; %bb.489:
	v_cvt_f32_f16_e32 v3, v2
	s_mov_b64 s[2:3], 0
	v_cvt_i32_f32_e32 v3, v3
	v_ashrrev_i32_e32 v4, 31, v3
	global_store_dwordx2 v[0:1], v[3:4], off
.LBB154_490:
	s_andn2_b64 vcc, exec, s[2:3]
	s_cbranch_vccnz .LBB154_492
; %bb.491:
	v_cvt_f32_f16_e32 v3, v2
	v_cvt_i32_f32_e32 v3, v3
	global_store_dword v[0:1], v3, off
.LBB154_492:
	s_mov_b64 s[2:3], 0
.LBB154_493:
	s_andn2_b64 vcc, exec, s[2:3]
	s_cbranch_vccnz .LBB154_495
; %bb.494:
	v_cvt_i16_f16_e32 v3, v2
	global_store_short v[0:1], v3, off
.LBB154_495:
	s_mov_b64 s[2:3], 0
.LBB154_496:
	s_andn2_b64 vcc, exec, s[2:3]
	s_cbranch_vccnz .LBB154_501
; %bb.497:
	s_cmp_gt_i32 s10, 0
	s_mov_b64 s[2:3], -1
	s_cbranch_scc0 .LBB154_499
; %bb.498:
	v_cvt_i16_f16_e32 v3, v2
	s_mov_b64 s[2:3], 0
	global_store_byte v[0:1], v3, off
.LBB154_499:
	s_andn2_b64 vcc, exec, s[2:3]
	s_cbranch_vccnz .LBB154_501
; %bb.500:
	v_cvt_f32_f16_e32 v2, v2
	v_cvt_i32_f32_e32 v2, v2
	global_store_byte v[0:1], v2, off
.LBB154_501:
	s_mov_b64 s[2:3], -1
.LBB154_502:
	s_andn2_b64 vcc, exec, s[2:3]
	s_cbranch_vccnz .LBB154_504
; %bb.503:
	v_add_u32_e32 v8, 0x80, v8
	s_mov_b64 s[2:3], -1
	s_branch .LBB154_617
.LBB154_504:
	s_mov_b64 s[2:3], 0
	s_branch .LBB154_616
.LBB154_505:
	s_mov_b64 s[8:9], -1
                                        ; implicit-def: $vgpr3
.LBB154_506:
	s_mov_b64 s[2:3], 0
.LBB154_507:
	s_and_b64 vcc, exec, s[2:3]
	s_cbranch_vccz .LBB154_511
; %bb.508:
	s_cmp_eq_u32 s12, 29
	s_cbranch_scc0 .LBB154_510
; %bb.509:
	global_load_dwordx2 v[3:4], v[1:2], off
	s_mov_b64 s[0:1], -1
	s_mov_b64 s[8:9], 0
	s_mov_b64 s[2:3], 0
	s_waitcnt vmcnt(0)
	v_ffbh_u32_e32 v5, v4
	v_min_u32_e32 v5, 32, v5
	v_lshlrev_b64 v[3:4], v5, v[3:4]
	v_min_u32_e32 v3, 1, v3
	v_or_b32_e32 v3, v4, v3
	v_cvt_f32_u32_e32 v3, v3
	v_sub_u32_e32 v4, 32, v5
	v_ldexp_f32 v3, v3, v4
	v_cvt_f16_f32_e32 v3, v3
	s_branch .LBB154_512
.LBB154_510:
	s_mov_b64 s[8:9], -1
                                        ; implicit-def: $vgpr3
.LBB154_511:
	s_mov_b64 s[2:3], 0
.LBB154_512:
	s_and_b64 vcc, exec, s[2:3]
	s_cbranch_vccz .LBB154_530
; %bb.513:
	s_cmp_lt_i32 s12, 27
	s_cbranch_scc1 .LBB154_516
; %bb.514:
	s_cmp_gt_i32 s12, 27
	s_cbranch_scc0 .LBB154_517
; %bb.515:
	global_load_dword v3, v[1:2], off
	s_mov_b64 s[0:1], 0
	s_waitcnt vmcnt(0)
	v_cvt_f32_u32_e32 v3, v3
	v_cvt_f16_f32_e32 v3, v3
	s_branch .LBB154_518
.LBB154_516:
	s_mov_b64 s[0:1], -1
                                        ; implicit-def: $vgpr3
	s_branch .LBB154_521
.LBB154_517:
	s_mov_b64 s[0:1], -1
                                        ; implicit-def: $vgpr3
.LBB154_518:
	s_andn2_b64 vcc, exec, s[0:1]
	s_cbranch_vccnz .LBB154_520
; %bb.519:
	global_load_ushort v3, v[1:2], off
	s_waitcnt vmcnt(0)
	v_cvt_f16_u16_e32 v3, v3
.LBB154_520:
	s_mov_b64 s[0:1], 0
.LBB154_521:
	s_andn2_b64 vcc, exec, s[0:1]
	s_cbranch_vccnz .LBB154_529
; %bb.522:
	global_load_ubyte v4, v[1:2], off
	s_movk_i32 s0, 0x7f
	s_waitcnt vmcnt(0)
	v_cmp_lt_i16_e32 vcc, s0, v4
	s_mov_b64 s[0:1], 0
	s_and_saveexec_b64 s[2:3], vcc
	s_xor_b64 s[2:3], exec, s[2:3]
	s_cbranch_execz .LBB154_543
; %bb.523:
	s_movk_i32 s0, 0x80
	v_cmp_eq_u16_e32 vcc, s0, v4
	s_mov_b64 s[0:1], -1
	s_and_saveexec_b64 s[10:11], vcc
; %bb.524:
	s_xor_b64 s[0:1], exec, -1
; %bb.525:
	s_or_b64 exec, exec, s[10:11]
	s_and_b64 s[0:1], s[0:1], exec
	s_or_saveexec_b64 s[2:3], s[2:3]
	v_mov_b32_e32 v3, 0x7e00
	s_xor_b64 exec, exec, s[2:3]
	s_cbranch_execnz .LBB154_544
.LBB154_526:
	s_or_b64 exec, exec, s[2:3]
	s_and_saveexec_b64 s[2:3], s[0:1]
	s_cbranch_execz .LBB154_528
.LBB154_527:
	v_lshlrev_b32_e32 v3, 24, v4
	v_and_b32_e32 v4, 0xffff, v4
	v_and_b32_e32 v5, 7, v4
	v_ffbh_u32_e32 v7, v5
	v_min_u32_e32 v7, 32, v7
	v_subrev_u32_e32 v9, 28, v7
	v_bfe_u32 v6, v4, 3, 4
	v_lshlrev_b32_e32 v4, v9, v4
	v_sub_u32_e32 v7, 29, v7
	v_and_b32_e32 v4, 7, v4
	v_cmp_eq_u32_e32 vcc, 0, v6
	v_cndmask_b32_e32 v6, v6, v7, vcc
	v_cndmask_b32_e32 v4, v5, v4, vcc
	v_mov_b32_e32 v5, 0x3b800000
	v_lshlrev_b32_e32 v4, 20, v4
	v_and_b32_e32 v3, 0x80000000, v3
	v_lshl_add_u32 v5, v6, 23, v5
	v_or3_b32 v3, v3, v5, v4
	v_cvt_f16_f32_e32 v3, v3
.LBB154_528:
	s_or_b64 exec, exec, s[2:3]
.LBB154_529:
	s_mov_b64 s[0:1], -1
.LBB154_530:
	s_mov_b64 s[2:3], 0
.LBB154_531:
	s_and_b64 vcc, exec, s[2:3]
	s_cbranch_vccz .LBB154_566
; %bb.532:
	s_cmp_gt_i32 s12, 22
	s_cbranch_scc0 .LBB154_542
; %bb.533:
	s_cmp_lt_i32 s12, 24
	s_cbranch_scc1 .LBB154_545
; %bb.534:
	s_cmp_gt_i32 s12, 24
	s_cbranch_scc0 .LBB154_546
; %bb.535:
	global_load_ubyte v4, v[1:2], off
	s_movk_i32 s0, 0x7f
	s_waitcnt vmcnt(0)
	v_cmp_lt_i16_e32 vcc, s0, v4
	s_mov_b64 s[0:1], 0
	s_and_saveexec_b64 s[2:3], vcc
	s_xor_b64 s[2:3], exec, s[2:3]
	s_cbranch_execz .LBB154_558
; %bb.536:
	s_movk_i32 s0, 0x80
	v_cmp_eq_u16_e32 vcc, s0, v4
	s_mov_b64 s[0:1], -1
	s_and_saveexec_b64 s[10:11], vcc
; %bb.537:
	s_xor_b64 s[0:1], exec, -1
; %bb.538:
	s_or_b64 exec, exec, s[10:11]
	s_and_b64 s[0:1], s[0:1], exec
	s_or_saveexec_b64 s[2:3], s[2:3]
	v_mov_b32_e32 v3, 0x7e00
	s_xor_b64 exec, exec, s[2:3]
	s_cbranch_execnz .LBB154_559
.LBB154_539:
	s_or_b64 exec, exec, s[2:3]
	s_and_saveexec_b64 s[2:3], s[0:1]
	s_cbranch_execz .LBB154_541
.LBB154_540:
	v_lshlrev_b32_e32 v3, 24, v4
	v_and_b32_e32 v4, 0xffff, v4
	v_and_b32_e32 v5, 3, v4
	v_ffbh_u32_e32 v7, v5
	v_min_u32_e32 v7, 32, v7
	v_subrev_u32_e32 v9, 29, v7
	v_bfe_u32 v6, v4, 2, 5
	v_lshlrev_b32_e32 v4, v9, v4
	v_sub_u32_e32 v7, 30, v7
	v_and_b32_e32 v4, 3, v4
	v_cmp_eq_u32_e32 vcc, 0, v6
	v_cndmask_b32_e32 v6, v6, v7, vcc
	v_cndmask_b32_e32 v4, v5, v4, vcc
	v_mov_b32_e32 v5, 0x37800000
	v_lshlrev_b32_e32 v4, 21, v4
	v_and_b32_e32 v3, 0x80000000, v3
	v_lshl_add_u32 v5, v6, 23, v5
	v_or3_b32 v3, v3, v5, v4
	v_cvt_f16_f32_e32 v3, v3
.LBB154_541:
	s_or_b64 exec, exec, s[2:3]
	s_mov_b64 s[0:1], 0
	s_branch .LBB154_547
.LBB154_542:
	s_mov_b64 s[2:3], -1
                                        ; implicit-def: $vgpr3
	s_branch .LBB154_553
.LBB154_543:
	s_or_saveexec_b64 s[2:3], s[2:3]
	v_mov_b32_e32 v3, 0x7e00
	s_xor_b64 exec, exec, s[2:3]
	s_cbranch_execz .LBB154_526
.LBB154_544:
	v_cmp_ne_u16_e32 vcc, 0, v4
	s_andn2_b64 s[0:1], s[0:1], exec
	s_and_b64 s[10:11], vcc, exec
	s_or_b64 s[0:1], s[0:1], s[10:11]
	v_mov_b32_e32 v3, v4
	s_or_b64 exec, exec, s[2:3]
	s_and_saveexec_b64 s[2:3], s[0:1]
	s_cbranch_execnz .LBB154_527
	s_branch .LBB154_528
.LBB154_545:
	s_mov_b64 s[0:1], -1
                                        ; implicit-def: $vgpr3
	s_branch .LBB154_550
.LBB154_546:
	s_mov_b64 s[0:1], -1
                                        ; implicit-def: $vgpr3
.LBB154_547:
	s_and_b64 vcc, exec, s[0:1]
	s_cbranch_vccz .LBB154_549
; %bb.548:
	global_load_ubyte v3, v[1:2], off
	s_mov_b32 s0, 0x7f800000
	s_waitcnt vmcnt(0)
	v_lshlrev_b32_e32 v3, 24, v3
	v_and_b32_e32 v4, 0x7f000000, v3
	v_ffbh_u32_e32 v5, v4
	v_min_u32_e32 v5, 32, v5
	v_sub_u32_e64 v5, v5, 4 clamp
	v_lshlrev_b32_e32 v7, v5, v4
	v_lshlrev_b32_e32 v5, 23, v5
	v_lshrrev_b32_e32 v7, 4, v7
	v_add_u32_e32 v6, 0x1000000, v4
	v_sub_u32_e32 v5, v7, v5
	v_ashrrev_i32_e32 v6, 8, v6
	v_add_u32_e32 v5, 0x3c000000, v5
	v_and_or_b32 v5, v6, s0, v5
	v_cmp_ne_u32_e32 vcc, 0, v4
	v_cndmask_b32_e32 v4, 0, v5, vcc
	s_brev_b32 s0, 1
	v_and_or_b32 v3, v3, s0, v4
	v_cvt_f16_f32_e32 v3, v3
.LBB154_549:
	s_mov_b64 s[0:1], 0
.LBB154_550:
	s_andn2_b64 vcc, exec, s[0:1]
	s_cbranch_vccnz .LBB154_552
; %bb.551:
	global_load_ubyte v3, v[1:2], off
	s_movk_i32 s0, 0x7f00
	s_brev_b32 s1, 16
	s_waitcnt vmcnt(0)
	v_lshlrev_b16_e32 v4, 8, v3
	v_lshlrev_b32_e32 v3, 25, v3
	v_lshrrev_b32_e32 v5, 4, v3
	v_and_or_b32 v6, v4, s0, 0.5
	v_or_b32_e32 v5, 0x70000000, v5
	v_add_f32_e32 v6, -0.5, v6
	v_mul_f32_e32 v5, 0x7800000, v5
	v_cmp_gt_u32_e32 vcc, s1, v3
	v_bfe_i32 v4, v4, 0, 16
	v_cndmask_b32_e32 v3, v5, v6, vcc
	s_brev_b32 s0, 1
	v_and_or_b32 v3, v4, s0, v3
	v_cvt_f16_f32_e32 v3, v3
.LBB154_552:
	s_mov_b64 s[2:3], 0
	s_mov_b64 s[0:1], -1
.LBB154_553:
	s_andn2_b64 vcc, exec, s[2:3]
	s_cbranch_vccnz .LBB154_566
; %bb.554:
	s_cmp_gt_i32 s12, 14
	s_cbranch_scc0 .LBB154_557
; %bb.555:
	s_cmp_eq_u32 s12, 15
	s_cbranch_scc0 .LBB154_560
; %bb.556:
	global_load_ushort v3, v[1:2], off
	s_mov_b64 s[0:1], -1
	s_mov_b64 s[8:9], 0
	s_waitcnt vmcnt(0)
	v_lshlrev_b32_e32 v3, 16, v3
	v_cvt_f16_f32_e32 v3, v3
	s_branch .LBB154_561
.LBB154_557:
	s_mov_b64 s[2:3], -1
                                        ; implicit-def: $vgpr3
	s_branch .LBB154_562
.LBB154_558:
	s_or_saveexec_b64 s[2:3], s[2:3]
	v_mov_b32_e32 v3, 0x7e00
	s_xor_b64 exec, exec, s[2:3]
	s_cbranch_execz .LBB154_539
.LBB154_559:
	v_cmp_ne_u16_e32 vcc, 0, v4
	s_andn2_b64 s[0:1], s[0:1], exec
	s_and_b64 s[10:11], vcc, exec
	s_or_b64 s[0:1], s[0:1], s[10:11]
	v_mov_b32_e32 v3, v4
	s_or_b64 exec, exec, s[2:3]
	s_and_saveexec_b64 s[2:3], s[0:1]
	s_cbranch_execnz .LBB154_540
	s_branch .LBB154_541
.LBB154_560:
	s_mov_b64 s[8:9], -1
                                        ; implicit-def: $vgpr3
.LBB154_561:
	s_mov_b64 s[2:3], 0
.LBB154_562:
	s_and_b64 vcc, exec, s[2:3]
	s_cbranch_vccz .LBB154_566
; %bb.563:
	s_cmp_eq_u32 s12, 11
	s_cbranch_scc0 .LBB154_565
; %bb.564:
	global_load_ubyte v3, v[1:2], off
	v_mov_b32_e32 v4, 0x3c00
	s_mov_b64 s[0:1], -1
	s_mov_b64 s[8:9], 0
	s_waitcnt vmcnt(0)
	v_cmp_ne_u16_e32 vcc, 0, v3
	v_cndmask_b32_e32 v3, 0, v4, vcc
	s_branch .LBB154_566
.LBB154_565:
	s_mov_b64 s[8:9], -1
                                        ; implicit-def: $vgpr3
.LBB154_566:
	s_branch .LBB154_331
.LBB154_567:
	s_cmp_lt_i32 s12, 5
	s_cbranch_scc1 .LBB154_572
; %bb.568:
	s_cmp_lt_i32 s12, 8
	s_cbranch_scc1 .LBB154_573
; %bb.569:
	;; [unrolled: 3-line block ×3, first 2 shown]
	s_cmp_gt_i32 s12, 9
	s_cbranch_scc0 .LBB154_575
; %bb.571:
	global_load_dwordx2 v[3:4], v[1:2], off
	s_movk_i32 s0, 0x1ff
	s_movk_i32 s1, 0xffe
	v_mov_b32_e32 v5, 0x7c00
	v_mov_b32_e32 v6, 0x7e00
	s_movk_i32 s2, 0x40f
	s_mov_b32 s3, 0x8000
	s_waitcnt vmcnt(0)
	v_and_or_b32 v3, v4, s0, v3
	v_cmp_ne_u32_e32 vcc, 0, v3
	v_lshrrev_b32_e32 v7, 8, v4
	v_bfe_u32 v9, v4, 20, 11
	v_cndmask_b32_e64 v3, 0, 1, vcc
	v_sub_u32_e32 v10, 0x3f1, v9
	v_and_or_b32 v3, v7, s1, v3
	v_add_u32_e32 v9, 0xfffffc10, v9
	v_med3_i32 v7, v10, 0, 13
	v_or_b32_e32 v10, 0x1000, v3
	v_cmp_ne_u32_e32 vcc, 0, v3
	v_lshl_or_b32 v11, v9, 12, v3
	v_cndmask_b32_e32 v3, v5, v6, vcc
	v_lshrrev_b32_e32 v6, v7, v10
	v_lshlrev_b32_e32 v7, v7, v6
	v_cmp_ne_u32_e32 vcc, v7, v10
	v_cndmask_b32_e64 v7, 0, 1, vcc
	v_or_b32_e32 v6, v6, v7
	v_cmp_gt_i32_e32 vcc, 1, v9
	v_cndmask_b32_e32 v6, v11, v6, vcc
	v_and_b32_e32 v7, 7, v6
	v_cmp_lt_i32_e32 vcc, 5, v7
	v_cndmask_b32_e64 v10, 0, 1, vcc
	v_cmp_eq_u32_e32 vcc, 3, v7
	v_cndmask_b32_e64 v7, 0, 1, vcc
	v_lshrrev_b32_e32 v6, 2, v6
	v_or_b32_e32 v7, v7, v10
	v_add_u32_e32 v6, v6, v7
	v_cmp_gt_i32_e32 vcc, 31, v9
	v_cndmask_b32_e32 v5, v5, v6, vcc
	v_cmp_eq_u32_e32 vcc, s2, v9
	v_lshrrev_b32_e32 v4, 16, v4
	v_cndmask_b32_e32 v3, v5, v3, vcc
	v_and_or_b32 v3, v4, s3, v3
	s_mov_b64 s[0:1], 0
	s_branch .LBB154_576
.LBB154_572:
	s_mov_b64 s[0:1], -1
                                        ; implicit-def: $vgpr3
	s_branch .LBB154_594
.LBB154_573:
	s_mov_b64 s[0:1], -1
                                        ; implicit-def: $vgpr3
	s_branch .LBB154_582
.LBB154_574:
	s_mov_b64 s[0:1], -1
                                        ; implicit-def: $vgpr3
	s_branch .LBB154_579
.LBB154_575:
	s_mov_b64 s[0:1], -1
                                        ; implicit-def: $vgpr3
.LBB154_576:
	s_andn2_b64 vcc, exec, s[0:1]
	s_cbranch_vccnz .LBB154_578
; %bb.577:
	global_load_dword v3, v[1:2], off
	s_waitcnt vmcnt(0)
	v_cvt_f16_f32_e32 v3, v3
.LBB154_578:
	s_mov_b64 s[0:1], 0
.LBB154_579:
	s_andn2_b64 vcc, exec, s[0:1]
	s_cbranch_vccnz .LBB154_581
; %bb.580:
	global_load_dword v3, v[1:2], off
.LBB154_581:
	s_mov_b64 s[0:1], 0
.LBB154_582:
	s_andn2_b64 vcc, exec, s[0:1]
	s_cbranch_vccnz .LBB154_593
; %bb.583:
	s_cmp_lt_i32 s12, 6
	s_cbranch_scc1 .LBB154_586
; %bb.584:
	s_cmp_gt_i32 s12, 6
	s_cbranch_scc0 .LBB154_587
; %bb.585:
	global_load_dwordx2 v[3:4], v[1:2], off
	s_movk_i32 s0, 0x1ff
	s_movk_i32 s1, 0xffe
	v_mov_b32_e32 v5, 0x7c00
	v_mov_b32_e32 v6, 0x7e00
	s_movk_i32 s2, 0x40f
	s_mov_b32 s3, 0x8000
	s_waitcnt vmcnt(0)
	v_and_or_b32 v3, v4, s0, v3
	v_cmp_ne_u32_e32 vcc, 0, v3
	v_lshrrev_b32_e32 v7, 8, v4
	v_bfe_u32 v9, v4, 20, 11
	v_cndmask_b32_e64 v3, 0, 1, vcc
	v_sub_u32_e32 v10, 0x3f1, v9
	v_and_or_b32 v3, v7, s1, v3
	v_add_u32_e32 v9, 0xfffffc10, v9
	v_med3_i32 v7, v10, 0, 13
	v_or_b32_e32 v10, 0x1000, v3
	v_cmp_ne_u32_e32 vcc, 0, v3
	v_lshl_or_b32 v11, v9, 12, v3
	v_cndmask_b32_e32 v3, v5, v6, vcc
	v_lshrrev_b32_e32 v6, v7, v10
	v_lshlrev_b32_e32 v7, v7, v6
	v_cmp_ne_u32_e32 vcc, v7, v10
	v_cndmask_b32_e64 v7, 0, 1, vcc
	v_or_b32_e32 v6, v6, v7
	v_cmp_gt_i32_e32 vcc, 1, v9
	v_cndmask_b32_e32 v6, v11, v6, vcc
	v_and_b32_e32 v7, 7, v6
	v_cmp_lt_i32_e32 vcc, 5, v7
	v_cndmask_b32_e64 v10, 0, 1, vcc
	v_cmp_eq_u32_e32 vcc, 3, v7
	v_cndmask_b32_e64 v7, 0, 1, vcc
	v_lshrrev_b32_e32 v6, 2, v6
	v_or_b32_e32 v7, v7, v10
	v_add_u32_e32 v6, v6, v7
	v_cmp_gt_i32_e32 vcc, 31, v9
	v_cndmask_b32_e32 v5, v5, v6, vcc
	v_cmp_eq_u32_e32 vcc, s2, v9
	v_lshrrev_b32_e32 v4, 16, v4
	v_cndmask_b32_e32 v3, v5, v3, vcc
	v_and_or_b32 v3, v4, s3, v3
	s_mov_b64 s[0:1], 0
	s_branch .LBB154_588
.LBB154_586:
	s_mov_b64 s[0:1], -1
                                        ; implicit-def: $vgpr3
	s_branch .LBB154_591
.LBB154_587:
	s_mov_b64 s[0:1], -1
                                        ; implicit-def: $vgpr3
.LBB154_588:
	s_andn2_b64 vcc, exec, s[0:1]
	s_cbranch_vccnz .LBB154_590
; %bb.589:
	global_load_dword v3, v[1:2], off
	s_waitcnt vmcnt(0)
	v_cvt_f16_f32_e32 v3, v3
.LBB154_590:
	s_mov_b64 s[0:1], 0
.LBB154_591:
	s_andn2_b64 vcc, exec, s[0:1]
	s_cbranch_vccnz .LBB154_593
; %bb.592:
	global_load_ushort v3, v[1:2], off
.LBB154_593:
	s_mov_b64 s[0:1], 0
.LBB154_594:
	s_andn2_b64 vcc, exec, s[0:1]
	s_cbranch_vccnz .LBB154_614
; %bb.595:
	s_cmp_lt_i32 s12, 2
	s_cbranch_scc1 .LBB154_599
; %bb.596:
	s_cmp_lt_i32 s12, 3
	s_cbranch_scc1 .LBB154_600
; %bb.597:
	s_cmp_gt_i32 s12, 3
	s_cbranch_scc0 .LBB154_601
; %bb.598:
	global_load_dwordx2 v[3:4], v[1:2], off
	s_mov_b64 s[0:1], 0
	s_waitcnt vmcnt(0)
	v_xor_b32_e32 v6, v3, v4
	v_ffbh_i32_e32 v5, v4
	v_ashrrev_i32_e32 v6, 31, v6
	v_add_u32_e32 v5, -1, v5
	v_add_u32_e32 v6, 32, v6
	v_min_u32_e32 v5, v5, v6
	v_lshlrev_b64 v[3:4], v5, v[3:4]
	v_min_u32_e32 v3, 1, v3
	v_or_b32_e32 v3, v4, v3
	v_cvt_f32_i32_e32 v3, v3
	v_sub_u32_e32 v4, 32, v5
	v_ldexp_f32 v3, v3, v4
	v_cvt_f16_f32_e32 v3, v3
	s_branch .LBB154_602
.LBB154_599:
	s_mov_b64 s[0:1], -1
                                        ; implicit-def: $vgpr3
	s_branch .LBB154_608
.LBB154_600:
	s_mov_b64 s[0:1], -1
                                        ; implicit-def: $vgpr3
	s_branch .LBB154_605
.LBB154_601:
	s_mov_b64 s[0:1], -1
                                        ; implicit-def: $vgpr3
.LBB154_602:
	s_andn2_b64 vcc, exec, s[0:1]
	s_cbranch_vccnz .LBB154_604
; %bb.603:
	global_load_dword v3, v[1:2], off
	s_waitcnt vmcnt(0)
	v_cvt_f32_i32_e32 v3, v3
	v_cvt_f16_f32_e32 v3, v3
.LBB154_604:
	s_mov_b64 s[0:1], 0
.LBB154_605:
	s_andn2_b64 vcc, exec, s[0:1]
	s_cbranch_vccnz .LBB154_607
; %bb.606:
	global_load_ushort v3, v[1:2], off
	s_waitcnt vmcnt(0)
	v_cvt_f16_i16_e32 v3, v3
.LBB154_607:
	s_mov_b64 s[0:1], 0
.LBB154_608:
	s_andn2_b64 vcc, exec, s[0:1]
	s_cbranch_vccnz .LBB154_614
; %bb.609:
	s_cmp_gt_i32 s12, 0
	s_cbranch_scc0 .LBB154_611
; %bb.610:
	global_load_sbyte v3, v[1:2], off
	s_mov_b64 s[0:1], 0
	s_waitcnt vmcnt(0)
	v_cvt_f16_i16_e32 v3, v3
	s_branch .LBB154_612
.LBB154_611:
	s_mov_b64 s[0:1], -1
                                        ; implicit-def: $vgpr3
.LBB154_612:
	s_andn2_b64 vcc, exec, s[0:1]
	s_cbranch_vccnz .LBB154_614
; %bb.613:
	global_load_ubyte v1, v[1:2], off
	s_waitcnt vmcnt(0)
	v_cvt_f16_u16_e32 v3, v1
.LBB154_614:
	s_branch .LBB154_332
.LBB154_615:
	s_mov_b64 s[2:3], 0
	s_mov_b64 s[0:1], s[52:53]
.LBB154_616:
                                        ; implicit-def: $vgpr8
.LBB154_617:
	s_andn2_b64 s[10:11], s[52:53], exec
	s_and_b64 s[0:1], s[0:1], exec
	s_or_b64 s[60:61], s[10:11], s[0:1]
	s_andn2_b64 s[0:1], s[54:55], exec
	s_and_b64 s[8:9], s[8:9], exec
	s_or_b64 s[58:59], s[0:1], s[8:9]
	s_orn2_b64 s[0:1], s[2:3], exec
.LBB154_618:
	s_or_b64 exec, exec, s[62:63]
	s_mov_b64 s[2:3], 0
	s_mov_b64 s[8:9], 0
	;; [unrolled: 1-line block ×3, first 2 shown]
                                        ; implicit-def: $vgpr1_vgpr2
                                        ; implicit-def: $vgpr0
                                        ; implicit-def: $vgpr3
	s_and_saveexec_b64 s[62:63], s[0:1]
	s_cbranch_execz .LBB154_1031
; %bb.619:
	v_cmp_gt_i32_e32 vcc, s70, v8
	s_mov_b64 s[2:3], -1
	s_mov_b64 s[66:67], s[58:59]
	s_mov_b64 s[68:69], s[60:61]
	s_and_saveexec_b64 s[64:65], vcc
	s_cbranch_execz .LBB154_931
; %bb.620:
	s_andn2_b64 vcc, exec, s[40:41]
	s_cbranch_vccnz .LBB154_625
; %bb.621:
	s_andn2_b64 vcc, exec, s[50:51]
	s_cbranch_vccnz .LBB154_626
; %bb.622:
	s_add_i32 s76, s75, 1
	s_cmp_eq_u32 s72, 2
	s_cbranch_scc1 .LBB154_627
; %bb.623:
	s_and_b32 s71, s76, 28
	v_mov_b32_e32 v2, 0
	s_mov_b32 s77, 0
	s_mov_b64 s[66:67], s[34:35]
	s_mov_b64 s[68:69], s[48:49]
	v_mov_b32_e32 v0, 0
	v_mov_b32_e32 v1, v8
.LBB154_624:                            ; =>This Inner Loop Header: Depth=1
	s_load_dwordx8 s[16:23], s[66:67], 0x4
	s_load_dwordx4 s[0:3], s[66:67], 0x24
	s_load_dwordx8 s[8:15], s[68:69], 0x0
	s_add_u32 s66, s66, 48
	s_addc_u32 s67, s67, 0
	s_waitcnt vmcnt(0) lgkmcnt(0)
	v_mul_hi_u32 v3, s17, v1
	s_add_i32 s77, s77, 4
	s_add_u32 s68, s68, 32
	s_addc_u32 s69, s69, 0
	v_add_u32_e32 v3, v1, v3
	v_lshrrev_b32_e32 v3, s18, v3
	v_mul_lo_u32 v4, v3, s16
	v_mul_hi_u32 v5, s20, v3
	s_cmp_eq_u32 s71, s77
	v_sub_u32_e32 v1, v1, v4
	v_add_u32_e32 v4, v3, v5
	v_mul_lo_u32 v5, v1, s8
	v_mul_lo_u32 v6, v1, s9
	v_lshrrev_b32_e32 v1, s21, v4
	v_mul_lo_u32 v4, v1, s19
	v_mul_hi_u32 v7, s23, v1
	v_sub_u32_e32 v3, v3, v4
	v_add_u32_e32 v4, v1, v7
	v_lshrrev_b32_e32 v4, s0, v4
	v_mul_hi_u32 v9, s2, v4
	v_mul_lo_u32 v10, v4, s22
	v_mul_lo_u32 v7, v3, s10
	;; [unrolled: 1-line block ×3, first 2 shown]
	v_sub_u32_e32 v10, v1, v10
	v_add_u32_e32 v1, v4, v9
	v_lshrrev_b32_e32 v1, s3, v1
	v_mul_lo_u32 v9, v1, s1
	v_mul_lo_u32 v11, v10, s12
	;; [unrolled: 1-line block ×3, first 2 shown]
	v_add3_u32 v0, v5, v0, v7
	v_sub_u32_e32 v4, v4, v9
	v_mul_lo_u32 v9, v4, s14
	v_mul_lo_u32 v4, v4, s15
	v_add3_u32 v2, v6, v2, v3
	v_add3_u32 v0, v11, v0, v9
	;; [unrolled: 1-line block ×3, first 2 shown]
	s_cbranch_scc0 .LBB154_624
	s_branch .LBB154_628
.LBB154_625:
	s_mov_b64 s[0:1], -1
                                        ; implicit-def: $vgpr0
                                        ; implicit-def: $vgpr2
	s_branch .LBB154_632
.LBB154_626:
	v_mov_b32_e32 v0, 0
	v_mov_b32_e32 v2, 0
	s_branch .LBB154_631
.LBB154_627:
	s_mov_b32 s71, 0
	v_mov_b32_e32 v0, 0
	v_mov_b32_e32 v2, 0
	v_mov_b32_e32 v1, v8
.LBB154_628:
	s_and_b32 s8, s76, 3
	s_cmp_eq_u32 s8, 0
	s_cbranch_scc1 .LBB154_631
; %bb.629:
	s_lshl_b32 s0, s71, 3
	s_add_u32 s0, s34, s0
	s_addc_u32 s1, s35, 0
	s_add_u32 s0, s0, 0xc4
	s_addc_u32 s1, s1, 0
	s_mul_i32 s2, s71, 12
	s_add_u32 s2, s34, s2
	s_addc_u32 s3, s35, 0
.LBB154_630:                            ; =>This Inner Loop Header: Depth=1
	s_load_dwordx2 s[10:11], s[2:3], 0x4
	s_load_dword s9, s[2:3], 0xc
	s_load_dwordx2 s[12:13], s[0:1], 0x0
	s_add_u32 s2, s2, 12
	s_addc_u32 s3, s3, 0
	s_waitcnt vmcnt(0) lgkmcnt(0)
	v_mul_hi_u32 v3, s11, v1
	s_add_u32 s0, s0, 8
	s_addc_u32 s1, s1, 0
	s_add_i32 s8, s8, -1
	v_add_u32_e32 v3, v1, v3
	v_lshrrev_b32_e32 v4, s9, v3
	v_mul_lo_u32 v3, v4, s10
	s_cmp_lg_u32 s8, 0
	v_sub_u32_e32 v3, v1, v3
	v_mad_u64_u32 v[0:1], s[10:11], v3, s12, v[0:1]
	v_mad_u64_u32 v[2:3], s[10:11], v3, s13, v[2:3]
	v_mov_b32_e32 v1, v4
	s_cbranch_scc1 .LBB154_630
.LBB154_631:
	s_mov_b64 s[0:1], 0
.LBB154_632:
	s_andn2_b64 vcc, exec, s[0:1]
	s_cbranch_vccnz .LBB154_635
; %bb.633:
	s_waitcnt lgkmcnt(0)
	v_mul_hi_u32 v0, s37, v8
	s_andn2_b64 vcc, exec, s[46:47]
	v_add_u32_e32 v0, v8, v0
	v_lshrrev_b32_e32 v1, s38, v0
	v_mul_lo_u32 v0, v1, s36
	v_sub_u32_e32 v2, v8, v0
	v_mul_lo_u32 v0, v2, s28
	v_mul_lo_u32 v2, v2, s29
	s_cbranch_vccnz .LBB154_635
; %bb.634:
	s_waitcnt vmcnt(0)
	v_mul_hi_u32 v3, s44, v1
	v_add_u32_e32 v3, v1, v3
	v_lshrrev_b32_e32 v3, s45, v3
	v_mul_lo_u32 v3, v3, s39
	v_sub_u32_e32 v3, v1, v3
	v_mad_u64_u32 v[0:1], s[0:1], v3, s30, v[0:1]
	v_mad_u64_u32 v[2:3], s[0:1], v3, s31, v[2:3]
.LBB154_635:
	s_waitcnt vmcnt(0) lgkmcnt(0)
	v_mov_b32_e32 v3, s27
	s_and_b32 s12, 0xffff, s74
	v_add_co_u32_e32 v1, vcc, s26, v2
	s_cmp_lt_i32 s12, 11
	v_addc_co_u32_e32 v2, vcc, 0, v3, vcc
	s_cbranch_scc1 .LBB154_642
; %bb.636:
	s_cmp_gt_i32 s12, 25
	s_cbranch_scc0 .LBB154_643
; %bb.637:
	s_cmp_gt_i32 s12, 28
	s_cbranch_scc0 .LBB154_644
	;; [unrolled: 3-line block ×4, first 2 shown]
; %bb.640:
	s_cmp_eq_u32 s12, 46
	s_mov_b64 s[2:3], 0
	s_cbranch_scc0 .LBB154_651
; %bb.641:
	global_load_dword v3, v[1:2], off
	s_mov_b64 s[0:1], -1
	s_mov_b64 s[8:9], 0
	s_waitcnt vmcnt(0)
	v_lshlrev_b32_e32 v3, 16, v3
	v_cvt_f16_f32_e32 v3, v3
	s_branch .LBB154_652
.LBB154_642:
	s_mov_b64 s[2:3], -1
	s_mov_b64 s[0:1], 0
                                        ; implicit-def: $vgpr3
	s_mov_b64 s[8:9], s[58:59]
	s_branch .LBB154_717
.LBB154_643:
	s_mov_b64 s[2:3], -1
	s_mov_b64 s[0:1], 0
	s_mov_b64 s[8:9], s[58:59]
                                        ; implicit-def: $vgpr3
	s_branch .LBB154_681
.LBB154_644:
	s_mov_b64 s[2:3], -1
	s_mov_b64 s[0:1], 0
	s_mov_b64 s[8:9], s[58:59]
                                        ; implicit-def: $vgpr3
	s_branch .LBB154_662
.LBB154_645:
	s_mov_b64 s[2:3], -1
	s_mov_b64 s[0:1], 0
	s_mov_b64 s[8:9], s[58:59]
                                        ; implicit-def: $vgpr3
	s_branch .LBB154_657
.LBB154_646:
	s_andn2_saveexec_b64 s[12:13], s[12:13]
	s_cbranch_execz .LBB154_415
.LBB154_647:
	s_mov_b32 s16, 0x46000000
	v_add_f32_e64 v4, |v3|, s16
	v_and_b32_e32 v4, 0xff, v4
	v_cmp_ne_u32_e32 vcc, 0, v4
	s_andn2_b64 s[10:11], s[10:11], exec
	s_and_b64 s[16:17], vcc, exec
	s_or_b64 s[10:11], s[10:11], s[16:17]
	s_or_b64 exec, exec, s[12:13]
	v_mov_b32_e32 v5, 0
	s_and_saveexec_b64 s[12:13], s[10:11]
	s_cbranch_execnz .LBB154_416
	s_branch .LBB154_417
.LBB154_648:
	s_mov_b64 s[2:3], -1
	s_mov_b64 s[0:1], 0
	s_mov_b64 s[8:9], s[58:59]
                                        ; implicit-def: $vgpr3
	s_branch .LBB154_652
.LBB154_649:
	s_andn2_saveexec_b64 s[12:13], s[12:13]
	s_cbranch_execz .LBB154_428
.LBB154_650:
	s_mov_b32 s16, 0x42800000
	v_add_f32_e64 v4, |v3|, s16
	v_and_b32_e32 v4, 0xff, v4
	v_cmp_ne_u32_e32 vcc, 0, v4
	s_andn2_b64 s[10:11], s[10:11], exec
	s_and_b64 s[16:17], vcc, exec
	s_or_b64 s[10:11], s[10:11], s[16:17]
	s_or_b64 exec, exec, s[12:13]
	v_mov_b32_e32 v5, 0
	s_and_saveexec_b64 s[12:13], s[10:11]
	s_cbranch_execnz .LBB154_429
	s_branch .LBB154_430
.LBB154_651:
	s_mov_b64 s[8:9], -1
                                        ; implicit-def: $vgpr3
	s_mov_b64 s[0:1], 0
.LBB154_652:
	s_and_b64 vcc, exec, s[2:3]
	s_cbranch_vccz .LBB154_656
; %bb.653:
	s_cmp_eq_u32 s12, 44
	s_cbranch_scc0 .LBB154_655
; %bb.654:
	global_load_ubyte v3, v[1:2], off
	s_movk_i32 s2, 0xff
	v_mov_b32_e32 v5, 0x7e00
	s_mov_b64 s[0:1], -1
	s_mov_b64 s[8:9], 0
	s_waitcnt vmcnt(0)
	v_lshlrev_b32_e32 v4, 23, v3
	v_cvt_f16_f32_e32 v4, v4
	v_cmp_ne_u32_e32 vcc, s2, v3
	v_cndmask_b32_e32 v4, v5, v4, vcc
	v_cmp_ne_u32_e32 vcc, 0, v3
	v_cndmask_b32_e32 v3, 0, v4, vcc
	s_branch .LBB154_656
.LBB154_655:
	s_mov_b64 s[8:9], -1
                                        ; implicit-def: $vgpr3
.LBB154_656:
	s_mov_b64 s[2:3], 0
.LBB154_657:
	s_and_b64 vcc, exec, s[2:3]
	s_cbranch_vccz .LBB154_661
; %bb.658:
	s_cmp_eq_u32 s12, 29
	s_cbranch_scc0 .LBB154_660
; %bb.659:
	global_load_dwordx2 v[3:4], v[1:2], off
	s_mov_b64 s[0:1], -1
	s_mov_b64 s[8:9], 0
	s_mov_b64 s[2:3], 0
	s_waitcnt vmcnt(0)
	v_ffbh_u32_e32 v5, v4
	v_min_u32_e32 v5, 32, v5
	v_lshlrev_b64 v[3:4], v5, v[3:4]
	v_min_u32_e32 v3, 1, v3
	v_or_b32_e32 v3, v4, v3
	v_cvt_f32_u32_e32 v3, v3
	v_sub_u32_e32 v4, 32, v5
	v_ldexp_f32 v3, v3, v4
	v_cvt_f16_f32_e32 v3, v3
	s_branch .LBB154_662
.LBB154_660:
	s_mov_b64 s[8:9], -1
                                        ; implicit-def: $vgpr3
.LBB154_661:
	s_mov_b64 s[2:3], 0
.LBB154_662:
	s_and_b64 vcc, exec, s[2:3]
	s_cbranch_vccz .LBB154_680
; %bb.663:
	s_cmp_lt_i32 s12, 27
	s_cbranch_scc1 .LBB154_666
; %bb.664:
	s_cmp_gt_i32 s12, 27
	s_cbranch_scc0 .LBB154_667
; %bb.665:
	global_load_dword v3, v[1:2], off
	s_mov_b64 s[0:1], 0
	s_waitcnt vmcnt(0)
	v_cvt_f32_u32_e32 v3, v3
	v_cvt_f16_f32_e32 v3, v3
	s_branch .LBB154_668
.LBB154_666:
	s_mov_b64 s[0:1], -1
                                        ; implicit-def: $vgpr3
	s_branch .LBB154_671
.LBB154_667:
	s_mov_b64 s[0:1], -1
                                        ; implicit-def: $vgpr3
.LBB154_668:
	s_andn2_b64 vcc, exec, s[0:1]
	s_cbranch_vccnz .LBB154_670
; %bb.669:
	global_load_ushort v3, v[1:2], off
	s_waitcnt vmcnt(0)
	v_cvt_f16_u16_e32 v3, v3
.LBB154_670:
	s_mov_b64 s[0:1], 0
.LBB154_671:
	s_andn2_b64 vcc, exec, s[0:1]
	s_cbranch_vccnz .LBB154_679
; %bb.672:
	global_load_ubyte v4, v[1:2], off
	s_movk_i32 s0, 0x7f
	s_waitcnt vmcnt(0)
	v_cmp_lt_i16_e32 vcc, s0, v4
	s_mov_b64 s[0:1], 0
	s_and_saveexec_b64 s[2:3], vcc
	s_xor_b64 s[2:3], exec, s[2:3]
	s_cbranch_execz .LBB154_693
; %bb.673:
	s_movk_i32 s0, 0x80
	v_cmp_eq_u16_e32 vcc, s0, v4
	s_mov_b64 s[0:1], -1
	s_and_saveexec_b64 s[10:11], vcc
; %bb.674:
	s_xor_b64 s[0:1], exec, -1
; %bb.675:
	s_or_b64 exec, exec, s[10:11]
	s_and_b64 s[0:1], s[0:1], exec
	s_or_saveexec_b64 s[2:3], s[2:3]
	v_mov_b32_e32 v3, 0x7e00
	s_xor_b64 exec, exec, s[2:3]
	s_cbranch_execnz .LBB154_694
.LBB154_676:
	s_or_b64 exec, exec, s[2:3]
	s_and_saveexec_b64 s[2:3], s[0:1]
	s_cbranch_execz .LBB154_678
.LBB154_677:
	v_lshlrev_b32_e32 v3, 24, v4
	v_and_b32_e32 v4, 0xffff, v4
	v_and_b32_e32 v5, 7, v4
	v_ffbh_u32_e32 v7, v5
	v_min_u32_e32 v7, 32, v7
	v_subrev_u32_e32 v9, 28, v7
	v_bfe_u32 v6, v4, 3, 4
	v_lshlrev_b32_e32 v4, v9, v4
	v_sub_u32_e32 v7, 29, v7
	v_and_b32_e32 v4, 7, v4
	v_cmp_eq_u32_e32 vcc, 0, v6
	v_cndmask_b32_e32 v6, v6, v7, vcc
	v_cndmask_b32_e32 v4, v5, v4, vcc
	v_mov_b32_e32 v5, 0x3b800000
	v_lshlrev_b32_e32 v4, 20, v4
	v_and_b32_e32 v3, 0x80000000, v3
	v_lshl_add_u32 v5, v6, 23, v5
	v_or3_b32 v3, v3, v5, v4
	v_cvt_f16_f32_e32 v3, v3
.LBB154_678:
	s_or_b64 exec, exec, s[2:3]
.LBB154_679:
	s_mov_b64 s[0:1], -1
.LBB154_680:
	s_mov_b64 s[2:3], 0
.LBB154_681:
	s_and_b64 vcc, exec, s[2:3]
	s_cbranch_vccz .LBB154_716
; %bb.682:
	s_cmp_gt_i32 s12, 22
	s_cbranch_scc0 .LBB154_692
; %bb.683:
	s_cmp_lt_i32 s12, 24
	s_cbranch_scc1 .LBB154_695
; %bb.684:
	s_cmp_gt_i32 s12, 24
	s_cbranch_scc0 .LBB154_696
; %bb.685:
	global_load_ubyte v4, v[1:2], off
	s_movk_i32 s0, 0x7f
	s_waitcnt vmcnt(0)
	v_cmp_lt_i16_e32 vcc, s0, v4
	s_mov_b64 s[0:1], 0
	s_and_saveexec_b64 s[2:3], vcc
	s_xor_b64 s[2:3], exec, s[2:3]
	s_cbranch_execz .LBB154_708
; %bb.686:
	s_movk_i32 s0, 0x80
	v_cmp_eq_u16_e32 vcc, s0, v4
	s_mov_b64 s[0:1], -1
	s_and_saveexec_b64 s[10:11], vcc
; %bb.687:
	s_xor_b64 s[0:1], exec, -1
; %bb.688:
	s_or_b64 exec, exec, s[10:11]
	s_and_b64 s[0:1], s[0:1], exec
	s_or_saveexec_b64 s[2:3], s[2:3]
	v_mov_b32_e32 v3, 0x7e00
	s_xor_b64 exec, exec, s[2:3]
	s_cbranch_execnz .LBB154_709
.LBB154_689:
	s_or_b64 exec, exec, s[2:3]
	s_and_saveexec_b64 s[2:3], s[0:1]
	s_cbranch_execz .LBB154_691
.LBB154_690:
	v_lshlrev_b32_e32 v3, 24, v4
	v_and_b32_e32 v4, 0xffff, v4
	v_and_b32_e32 v5, 3, v4
	v_ffbh_u32_e32 v7, v5
	v_min_u32_e32 v7, 32, v7
	v_subrev_u32_e32 v9, 29, v7
	v_bfe_u32 v6, v4, 2, 5
	v_lshlrev_b32_e32 v4, v9, v4
	v_sub_u32_e32 v7, 30, v7
	v_and_b32_e32 v4, 3, v4
	v_cmp_eq_u32_e32 vcc, 0, v6
	v_cndmask_b32_e32 v6, v6, v7, vcc
	v_cndmask_b32_e32 v4, v5, v4, vcc
	v_mov_b32_e32 v5, 0x37800000
	v_lshlrev_b32_e32 v4, 21, v4
	v_and_b32_e32 v3, 0x80000000, v3
	v_lshl_add_u32 v5, v6, 23, v5
	v_or3_b32 v3, v3, v5, v4
	v_cvt_f16_f32_e32 v3, v3
.LBB154_691:
	s_or_b64 exec, exec, s[2:3]
	s_mov_b64 s[0:1], 0
	s_branch .LBB154_697
.LBB154_692:
	s_mov_b64 s[2:3], -1
                                        ; implicit-def: $vgpr3
	s_branch .LBB154_703
.LBB154_693:
	s_or_saveexec_b64 s[2:3], s[2:3]
	v_mov_b32_e32 v3, 0x7e00
	s_xor_b64 exec, exec, s[2:3]
	s_cbranch_execz .LBB154_676
.LBB154_694:
	v_cmp_ne_u16_e32 vcc, 0, v4
	s_andn2_b64 s[0:1], s[0:1], exec
	s_and_b64 s[10:11], vcc, exec
	s_or_b64 s[0:1], s[0:1], s[10:11]
	v_mov_b32_e32 v3, v4
	s_or_b64 exec, exec, s[2:3]
	s_and_saveexec_b64 s[2:3], s[0:1]
	s_cbranch_execnz .LBB154_677
	s_branch .LBB154_678
.LBB154_695:
	s_mov_b64 s[0:1], -1
                                        ; implicit-def: $vgpr3
	s_branch .LBB154_700
.LBB154_696:
	s_mov_b64 s[0:1], -1
                                        ; implicit-def: $vgpr3
.LBB154_697:
	s_and_b64 vcc, exec, s[0:1]
	s_cbranch_vccz .LBB154_699
; %bb.698:
	global_load_ubyte v3, v[1:2], off
	s_mov_b32 s0, 0x7f800000
	s_waitcnt vmcnt(0)
	v_lshlrev_b32_e32 v3, 24, v3
	v_and_b32_e32 v4, 0x7f000000, v3
	v_ffbh_u32_e32 v5, v4
	v_min_u32_e32 v5, 32, v5
	v_sub_u32_e64 v5, v5, 4 clamp
	v_lshlrev_b32_e32 v7, v5, v4
	v_lshlrev_b32_e32 v5, 23, v5
	v_lshrrev_b32_e32 v7, 4, v7
	v_add_u32_e32 v6, 0x1000000, v4
	v_sub_u32_e32 v5, v7, v5
	v_ashrrev_i32_e32 v6, 8, v6
	v_add_u32_e32 v5, 0x3c000000, v5
	v_and_or_b32 v5, v6, s0, v5
	v_cmp_ne_u32_e32 vcc, 0, v4
	v_cndmask_b32_e32 v4, 0, v5, vcc
	s_brev_b32 s0, 1
	v_and_or_b32 v3, v3, s0, v4
	v_cvt_f16_f32_e32 v3, v3
.LBB154_699:
	s_mov_b64 s[0:1], 0
.LBB154_700:
	s_andn2_b64 vcc, exec, s[0:1]
	s_cbranch_vccnz .LBB154_702
; %bb.701:
	global_load_ubyte v3, v[1:2], off
	s_movk_i32 s0, 0x7f00
	s_brev_b32 s1, 16
	s_waitcnt vmcnt(0)
	v_lshlrev_b16_e32 v4, 8, v3
	v_lshlrev_b32_e32 v3, 25, v3
	v_lshrrev_b32_e32 v5, 4, v3
	v_and_or_b32 v6, v4, s0, 0.5
	v_or_b32_e32 v5, 0x70000000, v5
	v_add_f32_e32 v6, -0.5, v6
	v_mul_f32_e32 v5, 0x7800000, v5
	v_cmp_gt_u32_e32 vcc, s1, v3
	v_bfe_i32 v4, v4, 0, 16
	v_cndmask_b32_e32 v3, v5, v6, vcc
	s_brev_b32 s0, 1
	v_and_or_b32 v3, v4, s0, v3
	v_cvt_f16_f32_e32 v3, v3
.LBB154_702:
	s_mov_b64 s[2:3], 0
	s_mov_b64 s[0:1], -1
.LBB154_703:
	s_andn2_b64 vcc, exec, s[2:3]
	s_cbranch_vccnz .LBB154_716
; %bb.704:
	s_cmp_gt_i32 s12, 14
	s_cbranch_scc0 .LBB154_707
; %bb.705:
	s_cmp_eq_u32 s12, 15
	s_cbranch_scc0 .LBB154_710
; %bb.706:
	global_load_ushort v3, v[1:2], off
	s_mov_b64 s[0:1], -1
	s_mov_b64 s[8:9], 0
	s_waitcnt vmcnt(0)
	v_lshlrev_b32_e32 v3, 16, v3
	v_cvt_f16_f32_e32 v3, v3
	s_branch .LBB154_711
.LBB154_707:
	s_mov_b64 s[2:3], -1
                                        ; implicit-def: $vgpr3
	s_branch .LBB154_712
.LBB154_708:
	s_or_saveexec_b64 s[2:3], s[2:3]
	v_mov_b32_e32 v3, 0x7e00
	s_xor_b64 exec, exec, s[2:3]
	s_cbranch_execz .LBB154_689
.LBB154_709:
	v_cmp_ne_u16_e32 vcc, 0, v4
	s_andn2_b64 s[0:1], s[0:1], exec
	s_and_b64 s[10:11], vcc, exec
	s_or_b64 s[0:1], s[0:1], s[10:11]
	v_mov_b32_e32 v3, v4
	s_or_b64 exec, exec, s[2:3]
	s_and_saveexec_b64 s[2:3], s[0:1]
	s_cbranch_execnz .LBB154_690
	s_branch .LBB154_691
.LBB154_710:
	s_mov_b64 s[8:9], -1
                                        ; implicit-def: $vgpr3
.LBB154_711:
	s_mov_b64 s[2:3], 0
.LBB154_712:
	s_and_b64 vcc, exec, s[2:3]
	s_cbranch_vccz .LBB154_716
; %bb.713:
	s_cmp_eq_u32 s12, 11
	s_cbranch_scc0 .LBB154_715
; %bb.714:
	global_load_ubyte v3, v[1:2], off
	v_mov_b32_e32 v4, 0x3c00
	s_mov_b64 s[0:1], -1
	s_mov_b64 s[8:9], 0
	s_waitcnt vmcnt(0)
	v_cmp_ne_u16_e32 vcc, 0, v3
	v_cndmask_b32_e32 v3, 0, v4, vcc
	s_branch .LBB154_716
.LBB154_715:
	s_mov_b64 s[8:9], -1
                                        ; implicit-def: $vgpr3
.LBB154_716:
	s_mov_b64 s[2:3], 0
.LBB154_717:
	s_and_b64 vcc, exec, s[2:3]
	s_cbranch_vccz .LBB154_766
; %bb.718:
	s_cmp_lt_i32 s12, 5
	s_cbranch_scc1 .LBB154_723
; %bb.719:
	s_cmp_lt_i32 s12, 8
	s_cbranch_scc1 .LBB154_724
; %bb.720:
	s_cmp_lt_i32 s12, 9
	s_cbranch_scc1 .LBB154_725
; %bb.721:
	s_cmp_gt_i32 s12, 9
	s_cbranch_scc0 .LBB154_726
; %bb.722:
	global_load_dwordx2 v[3:4], v[1:2], off
	s_movk_i32 s0, 0x1ff
	s_movk_i32 s1, 0xffe
	v_mov_b32_e32 v5, 0x7c00
	v_mov_b32_e32 v6, 0x7e00
	s_movk_i32 s2, 0x40f
	s_mov_b32 s3, 0x8000
	s_waitcnt vmcnt(0)
	v_and_or_b32 v3, v4, s0, v3
	v_cmp_ne_u32_e32 vcc, 0, v3
	v_lshrrev_b32_e32 v7, 8, v4
	v_bfe_u32 v9, v4, 20, 11
	v_cndmask_b32_e64 v3, 0, 1, vcc
	v_sub_u32_e32 v10, 0x3f1, v9
	v_and_or_b32 v3, v7, s1, v3
	v_add_u32_e32 v9, 0xfffffc10, v9
	v_med3_i32 v7, v10, 0, 13
	v_or_b32_e32 v10, 0x1000, v3
	v_cmp_ne_u32_e32 vcc, 0, v3
	v_lshl_or_b32 v11, v9, 12, v3
	v_cndmask_b32_e32 v3, v5, v6, vcc
	v_lshrrev_b32_e32 v6, v7, v10
	v_lshlrev_b32_e32 v7, v7, v6
	v_cmp_ne_u32_e32 vcc, v7, v10
	v_cndmask_b32_e64 v7, 0, 1, vcc
	v_or_b32_e32 v6, v6, v7
	v_cmp_gt_i32_e32 vcc, 1, v9
	v_cndmask_b32_e32 v6, v11, v6, vcc
	v_and_b32_e32 v7, 7, v6
	v_cmp_lt_i32_e32 vcc, 5, v7
	v_cndmask_b32_e64 v10, 0, 1, vcc
	v_cmp_eq_u32_e32 vcc, 3, v7
	v_cndmask_b32_e64 v7, 0, 1, vcc
	v_lshrrev_b32_e32 v6, 2, v6
	v_or_b32_e32 v7, v7, v10
	v_add_u32_e32 v6, v6, v7
	v_cmp_gt_i32_e32 vcc, 31, v9
	v_cndmask_b32_e32 v5, v5, v6, vcc
	v_cmp_eq_u32_e32 vcc, s2, v9
	v_lshrrev_b32_e32 v4, 16, v4
	v_cndmask_b32_e32 v3, v5, v3, vcc
	v_and_or_b32 v3, v4, s3, v3
	s_mov_b64 s[0:1], 0
	s_branch .LBB154_727
.LBB154_723:
	s_mov_b64 s[0:1], -1
                                        ; implicit-def: $vgpr3
	s_branch .LBB154_745
.LBB154_724:
	s_mov_b64 s[0:1], -1
                                        ; implicit-def: $vgpr3
	s_branch .LBB154_733
.LBB154_725:
	s_mov_b64 s[0:1], -1
                                        ; implicit-def: $vgpr3
	s_branch .LBB154_730
.LBB154_726:
	s_mov_b64 s[0:1], -1
                                        ; implicit-def: $vgpr3
.LBB154_727:
	s_andn2_b64 vcc, exec, s[0:1]
	s_cbranch_vccnz .LBB154_729
; %bb.728:
	global_load_dword v3, v[1:2], off
	s_waitcnt vmcnt(0)
	v_cvt_f16_f32_e32 v3, v3
.LBB154_729:
	s_mov_b64 s[0:1], 0
.LBB154_730:
	s_andn2_b64 vcc, exec, s[0:1]
	s_cbranch_vccnz .LBB154_732
; %bb.731:
	global_load_dword v3, v[1:2], off
.LBB154_732:
	s_mov_b64 s[0:1], 0
.LBB154_733:
	s_andn2_b64 vcc, exec, s[0:1]
	s_cbranch_vccnz .LBB154_744
; %bb.734:
	s_cmp_lt_i32 s12, 6
	s_cbranch_scc1 .LBB154_737
; %bb.735:
	s_cmp_gt_i32 s12, 6
	s_cbranch_scc0 .LBB154_738
; %bb.736:
	global_load_dwordx2 v[3:4], v[1:2], off
	s_movk_i32 s0, 0x1ff
	s_movk_i32 s1, 0xffe
	v_mov_b32_e32 v5, 0x7c00
	v_mov_b32_e32 v6, 0x7e00
	s_movk_i32 s2, 0x40f
	s_mov_b32 s3, 0x8000
	s_waitcnt vmcnt(0)
	v_and_or_b32 v3, v4, s0, v3
	v_cmp_ne_u32_e32 vcc, 0, v3
	v_lshrrev_b32_e32 v7, 8, v4
	v_bfe_u32 v9, v4, 20, 11
	v_cndmask_b32_e64 v3, 0, 1, vcc
	v_sub_u32_e32 v10, 0x3f1, v9
	v_and_or_b32 v3, v7, s1, v3
	v_add_u32_e32 v9, 0xfffffc10, v9
	v_med3_i32 v7, v10, 0, 13
	v_or_b32_e32 v10, 0x1000, v3
	v_cmp_ne_u32_e32 vcc, 0, v3
	v_lshl_or_b32 v11, v9, 12, v3
	v_cndmask_b32_e32 v3, v5, v6, vcc
	v_lshrrev_b32_e32 v6, v7, v10
	v_lshlrev_b32_e32 v7, v7, v6
	v_cmp_ne_u32_e32 vcc, v7, v10
	v_cndmask_b32_e64 v7, 0, 1, vcc
	v_or_b32_e32 v6, v6, v7
	v_cmp_gt_i32_e32 vcc, 1, v9
	v_cndmask_b32_e32 v6, v11, v6, vcc
	v_and_b32_e32 v7, 7, v6
	v_cmp_lt_i32_e32 vcc, 5, v7
	v_cndmask_b32_e64 v10, 0, 1, vcc
	v_cmp_eq_u32_e32 vcc, 3, v7
	v_cndmask_b32_e64 v7, 0, 1, vcc
	v_lshrrev_b32_e32 v6, 2, v6
	v_or_b32_e32 v7, v7, v10
	v_add_u32_e32 v6, v6, v7
	v_cmp_gt_i32_e32 vcc, 31, v9
	v_cndmask_b32_e32 v5, v5, v6, vcc
	v_cmp_eq_u32_e32 vcc, s2, v9
	v_lshrrev_b32_e32 v4, 16, v4
	v_cndmask_b32_e32 v3, v5, v3, vcc
	v_and_or_b32 v3, v4, s3, v3
	s_mov_b64 s[0:1], 0
	s_branch .LBB154_739
.LBB154_737:
	s_mov_b64 s[0:1], -1
                                        ; implicit-def: $vgpr3
	s_branch .LBB154_742
.LBB154_738:
	s_mov_b64 s[0:1], -1
                                        ; implicit-def: $vgpr3
.LBB154_739:
	s_andn2_b64 vcc, exec, s[0:1]
	s_cbranch_vccnz .LBB154_741
; %bb.740:
	global_load_dword v3, v[1:2], off
	s_waitcnt vmcnt(0)
	v_cvt_f16_f32_e32 v3, v3
.LBB154_741:
	s_mov_b64 s[0:1], 0
.LBB154_742:
	s_andn2_b64 vcc, exec, s[0:1]
	s_cbranch_vccnz .LBB154_744
; %bb.743:
	global_load_ushort v3, v[1:2], off
.LBB154_744:
	s_mov_b64 s[0:1], 0
.LBB154_745:
	s_andn2_b64 vcc, exec, s[0:1]
	s_cbranch_vccnz .LBB154_765
; %bb.746:
	s_cmp_lt_i32 s12, 2
	s_cbranch_scc1 .LBB154_750
; %bb.747:
	s_cmp_lt_i32 s12, 3
	s_cbranch_scc1 .LBB154_751
; %bb.748:
	s_cmp_gt_i32 s12, 3
	s_cbranch_scc0 .LBB154_752
; %bb.749:
	global_load_dwordx2 v[3:4], v[1:2], off
	s_mov_b64 s[0:1], 0
	s_waitcnt vmcnt(0)
	v_xor_b32_e32 v6, v3, v4
	v_ffbh_i32_e32 v5, v4
	v_ashrrev_i32_e32 v6, 31, v6
	v_add_u32_e32 v5, -1, v5
	v_add_u32_e32 v6, 32, v6
	v_min_u32_e32 v5, v5, v6
	v_lshlrev_b64 v[3:4], v5, v[3:4]
	v_min_u32_e32 v3, 1, v3
	v_or_b32_e32 v3, v4, v3
	v_cvt_f32_i32_e32 v3, v3
	v_sub_u32_e32 v4, 32, v5
	v_ldexp_f32 v3, v3, v4
	v_cvt_f16_f32_e32 v3, v3
	s_branch .LBB154_753
.LBB154_750:
	s_mov_b64 s[0:1], -1
                                        ; implicit-def: $vgpr3
	s_branch .LBB154_759
.LBB154_751:
	s_mov_b64 s[0:1], -1
                                        ; implicit-def: $vgpr3
	s_branch .LBB154_756
.LBB154_752:
	s_mov_b64 s[0:1], -1
                                        ; implicit-def: $vgpr3
.LBB154_753:
	s_andn2_b64 vcc, exec, s[0:1]
	s_cbranch_vccnz .LBB154_755
; %bb.754:
	global_load_dword v3, v[1:2], off
	s_waitcnt vmcnt(0)
	v_cvt_f32_i32_e32 v3, v3
	v_cvt_f16_f32_e32 v3, v3
.LBB154_755:
	s_mov_b64 s[0:1], 0
.LBB154_756:
	s_andn2_b64 vcc, exec, s[0:1]
	s_cbranch_vccnz .LBB154_758
; %bb.757:
	global_load_ushort v3, v[1:2], off
	s_waitcnt vmcnt(0)
	v_cvt_f16_i16_e32 v3, v3
.LBB154_758:
	s_mov_b64 s[0:1], 0
.LBB154_759:
	s_andn2_b64 vcc, exec, s[0:1]
	s_cbranch_vccnz .LBB154_765
; %bb.760:
	s_cmp_gt_i32 s12, 0
	s_cbranch_scc0 .LBB154_762
; %bb.761:
	global_load_sbyte v3, v[1:2], off
	s_mov_b64 s[0:1], 0
	s_waitcnt vmcnt(0)
	v_cvt_f16_i16_e32 v3, v3
	s_branch .LBB154_763
.LBB154_762:
	s_mov_b64 s[0:1], -1
                                        ; implicit-def: $vgpr3
.LBB154_763:
	s_andn2_b64 vcc, exec, s[0:1]
	s_cbranch_vccnz .LBB154_765
; %bb.764:
	global_load_ubyte v1, v[1:2], off
	s_waitcnt vmcnt(0)
	v_cvt_f16_u16_e32 v3, v1
.LBB154_765:
	s_mov_b64 s[0:1], -1
.LBB154_766:
	s_andn2_b64 vcc, exec, s[0:1]
	s_cbranch_vccnz .LBB154_812
; %bb.767:
	s_waitcnt vmcnt(0)
	v_cvt_f32_f16_e32 v1, v3
	s_mov_b32 s0, 0x3c800000
                                        ; implicit-def: $vgpr4
	v_and_b32_e32 v2, 0x7fffffff, v1
	v_cmp_nlt_f32_e64 s[0:1], |v1|, s0
	s_and_saveexec_b64 s[2:3], s[0:1]
	s_xor_b64 s[2:3], exec, s[2:3]
	s_cbranch_execz .LBB154_797
; %bb.768:
	v_cmp_nlt_f32_e64 s[0:1], |v1|, 2.0
                                        ; implicit-def: $vgpr4
	s_and_saveexec_b64 s[10:11], s[0:1]
	s_xor_b64 s[10:11], exec, s[10:11]
	s_cbranch_execz .LBB154_778
; %bb.769:
	s_mov_b32 s0, 0x41000000
	v_cmp_nlt_f32_e64 s[0:1], |v1|, s0
                                        ; implicit-def: $vgpr4
	s_and_saveexec_b64 s[12:13], s[0:1]
	s_xor_b64 s[12:13], exec, s[12:13]
	s_cbranch_execz .LBB154_775
; %bb.770:
	s_mov_b32 s0, 0x5c800000
	v_cmp_nlt_f32_e64 s[0:1], |v1|, s0
                                        ; implicit-def: $vgpr4
	s_and_saveexec_b64 s[14:15], s[0:1]
	s_xor_b64 s[14:15], exec, s[14:15]
	s_cbranch_execz .LBB154_772
; %bb.771:
	s_mov_b32 s0, 0x800000
	v_cmp_lt_f32_e64 vcc, |v1|, s0
	v_cndmask_b32_e64 v4, 0, 32, vcc
	v_ldexp_f32 v4, |v1|, v4
	v_log_f32_e32 v4, v4
	s_mov_b32 s0, 0x3f317217
	s_mov_b32 s1, 0x7f800000
	v_mul_f32_e32 v5, 0x3f317217, v4
	v_fma_f32 v6, v4, s0, -v5
	v_fmac_f32_e32 v6, 0x3377d1cf, v4
	v_add_f32_e32 v5, v5, v6
	v_cmp_lt_f32_e64 s[0:1], |v4|, s1
	v_cndmask_b32_e64 v4, v4, v5, s[0:1]
	v_mov_b32_e32 v5, 0x41b17218
	v_cndmask_b32_e32 v5, 0, v5, vcc
	v_sub_f32_e32 v4, v4, v5
	v_fma_f32 v4, |v1|, v4, -|v1|
.LBB154_772:
	s_andn2_saveexec_b64 s[14:15], s[14:15]
	s_cbranch_execz .LBB154_774
; %bb.773:
	v_rcp_f32_e64 v5, |v1|
	v_mov_b32_e32 v4, 0x3a5b3dd2
	v_mov_b32_e32 v6, 0xba1c065c
	;; [unrolled: 1-line block ×3, first 2 shown]
	v_mul_f32_e32 v9, v5, v5
	v_fmac_f32_e32 v4, 0xbad5c4e8, v9
	v_fmac_f32_e32 v6, v9, v4
	s_mov_b32 s0, 0x800000
	v_fmac_f32_e32 v7, v9, v6
	v_mov_b32_e32 v4, 0xbb360b61
	v_cmp_lt_f32_e64 vcc, |v1|, s0
	v_fmac_f32_e32 v4, v9, v7
	v_cndmask_b32_e64 v7, 0, 32, vcc
	v_ldexp_f32 v7, |v1|, v7
	v_log_f32_e32 v7, v7
	v_mov_b32_e32 v6, 0x3daaaaab
	v_fmac_f32_e32 v6, v9, v4
	v_mov_b32_e32 v4, 0x3ed67f1d
	v_fmac_f32_e32 v4, v5, v6
	s_mov_b32 s0, 0x3f317217
	v_mul_f32_e32 v6, 0x3f317217, v7
	v_fma_f32 v9, v7, s0, -v6
	v_fmac_f32_e32 v9, 0x3377d1cf, v7
	s_mov_b32 s0, 0x7f800000
	v_add_f32_e32 v6, v6, v9
	v_cmp_lt_f32_e64 s[0:1], |v7|, s0
	v_cndmask_b32_e64 v6, v7, v6, s[0:1]
	v_mov_b32_e32 v7, 0x41b17218
	v_cndmask_b32_e32 v7, 0, v7, vcc
	v_sub_f32_e32 v6, v6, v7
	v_add_f32_e64 v5, |v1|, -0.5
	v_add_f32_e32 v6, -1.0, v6
	v_fmac_f32_e32 v4, v5, v6
.LBB154_774:
	s_or_b64 exec, exec, s[14:15]
.LBB154_775:
	s_andn2_saveexec_b64 s[12:13], s[12:13]
	s_cbranch_execz .LBB154_777
; %bb.776:
	v_cvt_i32_f32_e32 v4, v2
	v_mov_b32_e32 v5, 0x3af135b4
	v_mov_b32_e32 v6, 0x3cda40e4
	;; [unrolled: 1-line block ×3, first 2 shown]
	v_cvt_f32_i32_e32 v9, v4
	v_mov_b32_e32 v10, 0x3ea6cc7a
	v_mov_b32_e32 v11, 0x3e5c245a
	v_cmp_lt_i32_e32 vcc, 2, v4
	v_sub_f32_e64 v9, |v1|, v9
	v_fmac_f32_e32 v5, 0x3805ff67, v9
	v_fmac_f32_e32 v6, v9, v5
	;; [unrolled: 1-line block ×3, first 2 shown]
	v_mov_b32_e32 v6, 0x3a4beed6
	v_fmac_f32_e32 v10, v9, v7
	v_fmac_f32_e32 v6, 0x36f5d7bd, v9
	v_mov_b32_e32 v7, 0x3c98bf54
	v_fmac_f32_e32 v7, v9, v6
	v_mov_b32_e32 v6, 0x3e300f6e
	v_fmac_f32_e32 v6, v9, v7
	v_mov_b32_e32 v7, 0x3f38d0c5
	v_fmac_f32_e32 v7, v9, v6
	v_mov_b32_e32 v6, 0x3fb22d3b
	v_fmac_f32_e32 v6, v9, v7
	v_add_f32_e32 v7, 2.0, v9
	v_mov_b32_e32 v12, 0xbd9e233f
	v_fmac_f32_e32 v11, v9, v10
	v_add_f32_e32 v10, 0x40400000, v9
	v_cndmask_b32_e32 v7, 1.0, v7, vcc
	v_cmp_lt_i32_e32 vcc, 3, v4
	v_fmac_f32_e32 v12, v9, v11
	v_add_f32_e32 v11, 4.0, v9
	v_cndmask_b32_e32 v10, 1.0, v10, vcc
	v_cmp_lt_i32_e32 vcc, 4, v4
	v_mul_f32_e32 v5, v9, v12
	v_add_f32_e32 v12, 0x40a00000, v9
	v_mul_f32_e32 v7, v7, v10
	v_cndmask_b32_e32 v10, 1.0, v11, vcc
	v_cmp_lt_i32_e32 vcc, 5, v4
	v_add_f32_e32 v13, 0x40c00000, v9
	v_mul_f32_e32 v7, v10, v7
	v_cndmask_b32_e32 v10, 1.0, v12, vcc
	v_cmp_lt_i32_e32 vcc, 6, v4
	v_mul_f32_e32 v7, v10, v7
	v_cndmask_b32_e32 v4, 1.0, v13, vcc
	v_mul_f32_e32 v4, v4, v7
	s_mov_b32 s0, 0x800000
	v_cmp_gt_f32_e32 vcc, s0, v4
	v_cndmask_b32_e64 v7, 0, 32, vcc
	v_fma_f32 v6, v9, v6, 1.0
	v_ldexp_f32 v4, v4, v7
	v_rcp_f32_e32 v6, v6
	v_log_f32_e32 v4, v4
	s_mov_b32 s0, 0x3f317217
	v_mul_f32_e32 v5, v5, v6
	v_mul_f32_e32 v6, 0x3f317217, v4
	v_fma_f32 v7, v4, s0, -v6
	v_fmac_f32_e32 v7, 0x3377d1cf, v4
	s_mov_b32 s0, 0x7f800000
	v_add_f32_e32 v6, v6, v7
	v_cmp_lt_f32_e64 s[0:1], |v4|, s0
	v_cndmask_b32_e64 v4, v4, v6, s[0:1]
	v_mov_b32_e32 v6, 0x41b17218
	v_cndmask_b32_e32 v6, 0, v6, vcc
	v_fmac_f32_e32 v5, 0.5, v9
	v_sub_f32_e32 v4, v4, v6
	v_add_f32_e32 v4, v4, v5
.LBB154_777:
	s_or_b64 exec, exec, s[12:13]
.LBB154_778:
	s_andn2_saveexec_b64 s[10:11], s[10:11]
	s_cbranch_execz .LBB154_796
; %bb.779:
	s_mov_b32 s0, 0x3f666666
	v_cmp_le_f32_e64 s[0:1], |v1|, s0
                                        ; implicit-def: $vgpr4
                                        ; implicit-def: $vgpr6
                                        ; implicit-def: $vgpr5
	s_and_saveexec_b64 s[12:13], s[0:1]
	s_xor_b64 s[12:13], exec, s[12:13]
	s_cbranch_execz .LBB154_781
; %bb.780:
	s_mov_b32 s0, 0x800000
	v_cmp_lt_f32_e64 vcc, |v1|, s0
	v_cndmask_b32_e64 v4, 0, 32, vcc
	v_ldexp_f32 v4, |v1|, v4
	v_log_f32_e32 v4, v4
	s_mov_b32 s0, 0x3f317217
	s_mov_b32 s1, 0x7f800000
	v_mul_f32_e32 v5, 0x3f317217, v4
	v_fma_f32 v6, v4, s0, -v5
	v_fmac_f32_e32 v6, 0x3377d1cf, v4
	v_add_f32_e32 v5, v5, v6
	v_cmp_lt_f32_e64 s[0:1], |v4|, s1
	v_cndmask_b32_e64 v4, v4, v5, s[0:1]
	v_mov_b32_e32 v5, 0x41b17218
	v_cndmask_b32_e32 v5, 0, v5, vcc
	s_mov_b32 s0, 0x3f3b4a23
	s_mov_b32 s1, 0xbeec5b0c
	v_sub_f32_e32 v4, v4, v5
	v_sub_f32_e64 v5, 1.0, |v1|
	v_add_f32_e64 v6, |v1|, s1
	v_cmp_lt_f32_e64 vcc, |v1|, s0
	s_mov_b32 s0, 0x3e6d3309
	v_cndmask_b32_e32 v5, v5, v6, vcc
	v_cndmask_b32_e64 v6, 0, 1, vcc
	v_cmp_lt_f32_e64 s[0:1], |v1|, s0
	v_xor_b32_e32 v4, 0x80000000, v4
	v_cndmask_b32_e64 v5, v5, |v1|, s[0:1]
	v_cndmask_b32_e64 v6, v6, 2, s[0:1]
.LBB154_781:
	s_andn2_saveexec_b64 s[0:1], s[12:13]
	s_cbranch_execz .LBB154_783
; %bb.782:
	s_mov_b32 s12, 0x3fdda512
	s_mov_b32 s13, 0xbfbb16c3
	v_sub_f32_e64 v4, 2.0, |v1|
	v_add_f32_e64 v5, |v1|, s13
	v_cmp_lt_f32_e64 vcc, |v1|, s12
	v_cndmask_b32_e32 v5, v4, v5, vcc
	v_cndmask_b32_e64 v4, v4, 1.0, vcc
	v_cvt_i32_f32_e32 v4, v4
	s_mov_b32 s12, 0x3f9d70a4
	v_add_f32_e64 v6, |v1|, -1.0
	v_cmp_lt_f32_e64 vcc, |v1|, s12
	v_cndmask_b32_e32 v5, v5, v6, vcc
	v_cndmask_b32_e64 v6, v4, 2, vcc
	v_mov_b32_e32 v4, 0
.LBB154_783:
	s_or_b64 exec, exec, s[0:1]
	v_cmp_lt_i32_e32 vcc, 0, v6
	s_and_saveexec_b64 s[0:1], vcc
	s_xor_b64 s[0:1], exec, s[0:1]
	s_cbranch_execz .LBB154_791
; %bb.784:
	v_cmp_lt_i32_e32 vcc, 1, v6
	s_and_saveexec_b64 s[12:13], vcc
	s_xor_b64 s[12:13], exec, s[12:13]
	s_cbranch_execz .LBB154_788
; %bb.785:
	v_cmp_eq_u32_e32 vcc, 2, v6
	s_and_saveexec_b64 s[14:15], vcc
	s_cbranch_execz .LBB154_787
; %bb.786:
	v_mov_b32_e32 v6, 0x3e6a7578
	v_fmac_f32_e32 v6, 0x3c5b3c5e, v5
	v_mov_b32_e32 v7, 0x3f7a4bb2
	v_fmac_f32_e32 v7, v5, v6
	;; [unrolled: 2-line block ×8, first 2 shown]
	v_fma_f32 v6, v5, v9, 1.0
	v_rcp_f32_e32 v6, v6
	v_mov_b32_e32 v9, 0xbd9e233f
	v_fmac_f32_e32 v9, v5, v7
	v_mul_f32_e32 v7, v5, v9
	v_mul_f32_e32 v6, v7, v6
	v_fmac_f32_e32 v6, -0.5, v5
	v_add_f32_e32 v4, v4, v6
.LBB154_787:
	s_or_b64 exec, exec, s[14:15]
                                        ; implicit-def: $vgpr5
.LBB154_788:
	s_andn2_saveexec_b64 s[12:13], s[12:13]
	s_cbranch_execz .LBB154_790
; %bb.789:
	v_mul_f32_e32 v6, v5, v5
	v_mul_f32_e32 v7, v5, v6
	v_mov_b32_e32 v9, 0xbab7f476
	v_fmac_f32_e32 v9, 0x39a57b6b, v7
	v_mov_b32_e32 v10, 0x3bc7e707
	v_fmac_f32_e32 v10, v7, v9
	;; [unrolled: 2-line block ×12, first 2 shown]
	v_fmac_f32_e32 v11, v5, v12
	s_mov_b32 s14, 0xa2863e55
	v_fma_f32 v5, v7, -v11, s14
	v_fma_f32 v5, v6, v10, -v5
	v_add_f32_e32 v5, 0xbdf8cdce, v5
	v_add_f32_e32 v4, v4, v5
.LBB154_790:
	s_or_b64 exec, exec, s[12:13]
                                        ; implicit-def: $vgpr6
                                        ; implicit-def: $vgpr5
.LBB154_791:
	s_andn2_saveexec_b64 s[0:1], s[0:1]
	s_cbranch_execz .LBB154_795
; %bb.792:
	v_cmp_eq_u32_e32 vcc, 0, v6
	s_and_saveexec_b64 s[12:13], vcc
	s_cbranch_execz .LBB154_794
; %bb.793:
	v_mul_f32_e32 v6, v5, v5
	v_mov_b32_e32 v7, 0x39679767
	v_fmac_f32_e32 v7, 0x37d383a2, v6
	v_mov_b32_e32 v9, 0x3a9c54a1
	v_fmac_f32_e32 v9, v6, v7
	;; [unrolled: 2-line block ×10, first 2 shown]
	v_mul_f32_e32 v6, v6, v9
	v_fmac_f32_e32 v6, v5, v7
	v_fmac_f32_e32 v6, -0.5, v5
	v_add_f32_e32 v4, v4, v6
.LBB154_794:
	s_or_b64 exec, exec, s[12:13]
.LBB154_795:
	s_or_b64 exec, exec, s[0:1]
.LBB154_796:
	s_or_b64 exec, exec, s[10:11]
.LBB154_797:
	s_andn2_saveexec_b64 s[2:3], s[2:3]
	s_cbranch_execz .LBB154_799
; %bb.798:
	s_mov_b32 s0, 0x3e8a8991
	v_mov_b32_e32 v4, 0xbecd26ab
	v_fma_f32 v4, |v1|, s0, v4
	s_mov_b32 s0, 0x3f528d33
	v_fma_f32 v4, |v1|, v4, s0
	s_mov_b32 s0, 0x800000
	v_cmp_lt_f32_e64 vcc, |v1|, s0
	v_cndmask_b32_e64 v5, 0, 32, vcc
	v_ldexp_f32 v5, |v1|, v5
	v_log_f32_e32 v5, v5
	s_mov_b32 s0, 0xbf13c468
	v_fma_f32 v4, |v1|, v4, s0
	s_mov_b32 s0, 0x3f317217
	v_mul_f32_e32 v6, 0x3f317217, v5
	v_fma_f32 v7, v5, s0, -v6
	v_fmac_f32_e32 v7, 0x3377d1cf, v5
	s_mov_b32 s0, 0x7f800000
	v_add_f32_e32 v6, v6, v7
	v_cmp_lt_f32_e64 s[0:1], |v5|, s0
	v_cndmask_b32_e64 v5, v5, v6, s[0:1]
	v_mov_b32_e32 v6, 0x41b17218
	v_cndmask_b32_e32 v6, 0, v6, vcc
	v_sub_f32_e32 v5, v5, v6
	v_fma_f32 v4, |v1|, v4, -v5
.LBB154_799:
	s_or_b64 exec, exec, s[2:3]
	v_cmp_le_f16_e32 vcc, 0, v3
	v_cmp_nle_f16_e64 s[0:1], 0, v3
	s_and_saveexec_b64 s[2:3], s[0:1]
	s_xor_b64 s[10:11], exec, s[2:3]
	s_cbranch_execz .LBB154_803
; %bb.800:
	s_mov_b32 s0, 0x4b000000
	s_mov_b32 s2, 0x35000000
	v_cmp_lt_f32_e64 s[0:1], |v1|, s0
	v_cmp_gt_f32_e64 s[2:3], |v1|, s2
	s_and_b64 s[0:1], s[0:1], s[2:3]
	s_and_saveexec_b64 s[12:13], s[0:1]
	s_cbranch_execz .LBB154_802
; %bb.801:
	v_mul_f32_e64 v5, |v1|, 0.5
	v_floor_f32_e32 v6, v5
	v_sub_f32_e32 v6, v5, v6
	v_min_f32_e32 v6, 0x3f7fffff, v6
	s_mov_b32 s2, 0x7f800000
	v_add_f32_e32 v6, v6, v6
	v_cmp_neq_f32_e64 s[0:1], s2, v5
	v_cndmask_b32_e64 v5, 0, v6, s[0:1]
	v_cmp_gt_f32_e64 s[0:1], |v1|, 1.0
	v_cndmask_b32_e64 v5, |v1|, v5, s[0:1]
	v_add_f32_e32 v6, v5, v5
	v_rndne_f32_e32 v6, v6
	v_fmac_f32_e32 v5, -0.5, v6
	v_mul_f32_e32 v7, v5, v5
	v_mov_b32_e32 v9, 0xbf1f24be
	v_fmac_f32_e32 v9, 0x3e75aa41, v7
	v_mov_b32_e32 v10, 0x40234736
	v_fmac_f32_e32 v10, v7, v9
	v_mov_b32_e32 v9, 0xc0a55e0e
	v_fmac_f32_e32 v9, v7, v10
	v_mul_f32_e32 v10, v5, v7
	v_mul_f32_e32 v9, v10, v9
	v_fmac_f32_e32 v9, 0x40490fdb, v5
	v_mov_b32_e32 v5, 0x3e642e9d
	v_cvt_i32_f32_e32 v6, v6
	v_fmac_f32_e32 v5, 0x3d4be544, v7
	v_mov_b32_e32 v10, 0xbfaad1da
	v_fmac_f32_e32 v10, v7, v5
	v_mov_b32_e32 v5, 0x4081e0d3
	v_fmac_f32_e32 v5, v7, v10
	v_mov_b32_e32 v10, 0xc09de9e6
	v_fmac_f32_e32 v10, v7, v5
	v_fma_f32 v5, v7, v10, 1.0
	v_and_b32_e32 v7, 1, v6
	v_lshlrev_b32_e32 v6, 30, v6
	v_cmp_eq_u32_e64 s[0:1], 0, v7
	v_and_b32_e32 v6, 0x80000000, v6
	v_xor_b32_e32 v2, v2, v1
	v_cndmask_b32_e64 v5, v5, v9, s[0:1]
	v_xor_b32_e32 v2, v2, v6
	v_xor_b32_e32 v2, v2, v5
	v_mul_f32_e32 v2, v1, v2
	v_frexp_mant_f32_e64 v5, |v2|
	v_rcp_f32_e32 v5, v5
	v_frexp_exp_i32_f32_e32 v2, v2
	v_sub_u32_e32 v2, 2, v2
	s_mov_b32 s0, 0x800000
	v_mul_f32_e32 v5, 0x3f490fdb, v5
	v_ldexp_f32 v2, v5, v2
	v_cmp_gt_f32_e64 s[0:1], s0, v2
	v_cndmask_b32_e64 v5, 0, 32, s[0:1]
	v_ldexp_f32 v2, v2, v5
	v_log_f32_e32 v2, v2
	s_mov_b32 s3, 0x3f317217
	v_mul_f32_e32 v5, 0x3f317217, v2
	v_fma_f32 v6, v2, s3, -v5
	v_fmac_f32_e32 v6, 0x3377d1cf, v2
	v_add_f32_e32 v5, v5, v6
	v_cmp_lt_f32_e64 s[2:3], |v2|, s2
	v_cndmask_b32_e64 v2, v2, v5, s[2:3]
	v_mov_b32_e32 v5, 0x41b17218
	v_cndmask_b32_e64 v5, 0, v5, s[0:1]
	v_sub_f32_e32 v2, v2, v5
	v_sub_f32_e32 v2, v2, v4
	v_floor_f32_e32 v4, v1
	v_sub_f32_e32 v4, v1, v4
	v_min_f32_e32 v4, 0x3f7fffff, v4
	v_mov_b32_e32 v5, 0x7f800000
	v_cmp_neq_f32_e64 s[0:1], 0, v4
	v_cndmask_b32_e64 v4, v5, v2, s[0:1]
.LBB154_802:
	s_or_b64 exec, exec, s[12:13]
.LBB154_803:
	s_andn2_saveexec_b64 s[10:11], s[10:11]
; %bb.804:
	v_cmp_eq_f16_e64 s[0:1], 1.0, v3
	v_cmp_eq_f16_e64 s[2:3], 2.0, v3
	s_or_b64 s[0:1], s[0:1], s[2:3]
	v_cndmask_b32_e64 v4, v4, 0, s[0:1]
; %bb.805:
	s_or_b64 exec, exec, s[10:11]
	v_cvt_f16_f32_e32 v4, v4
	s_mov_b32 s0, 0x4b000000
	v_cmp_lt_f32_e64 s[0:1], |v1|, s0
	v_mov_b32_e32 v2, 0x264
	v_mov_b32_e32 v5, 0x7c00
	s_or_b64 vcc, vcc, s[0:1]
	v_cndmask_b32_e32 v4, v5, v4, vcc
	v_cmp_class_f32_e32 vcc, v1, v2
	v_cndmask_b32_e32 v1, v4, v5, vcc
	v_cmp_u_f16_e32 vcc, v3, v3
	v_cndmask_b32_e32 v2, v1, v3, vcc
	v_mov_b32_e32 v1, s25
	s_and_b32 s14, s73, 0xff
	v_add_co_u32_e32 v0, vcc, s24, v0
	s_cmp_lt_i32 s14, 11
	v_addc_co_u32_e32 v1, vcc, 0, v1, vcc
	s_cbranch_scc1 .LBB154_813
; %bb.806:
	s_and_b32 s15, 0xffff, s14
	s_cmp_gt_i32 s15, 25
	s_cbranch_scc0 .LBB154_814
; %bb.807:
	s_cmp_gt_i32 s15, 28
	s_cbranch_scc0 .LBB154_815
; %bb.808:
	;; [unrolled: 3-line block ×4, first 2 shown]
	s_mov_b64 s[10:11], 0
	s_mov_b64 s[0:1], -1
	s_cmp_eq_u32 s15, 46
	s_mov_b64 s[2:3], 0
	s_cbranch_scc0 .LBB154_818
; %bb.811:
	v_cvt_f32_f16_e32 v3, v2
	s_movk_i32 s0, 0x7fff
	v_cmp_o_f16_e32 vcc, v2, v2
	v_mov_b32_e32 v4, 0x7fc0
	v_bfe_u32 v5, v3, 16, 1
	v_add3_u32 v3, v3, v5, s0
	v_cndmask_b32_sdwa v3, v4, v3, vcc dst_sel:DWORD dst_unused:UNUSED_PAD src0_sel:DWORD src1_sel:WORD_1
	global_store_dword v[0:1], v3, off
	s_mov_b64 s[2:3], -1
	s_mov_b64 s[0:1], 0
	s_branch .LBB154_818
.LBB154_812:
	s_mov_b64 s[2:3], 0
	s_mov_b64 s[0:1], s[60:61]
	s_branch .LBB154_929
.LBB154_813:
	s_mov_b64 s[10:11], -1
	s_mov_b64 s[2:3], 0
	s_mov_b64 s[0:1], s[60:61]
	s_branch .LBB154_887
.LBB154_814:
	s_mov_b64 s[10:11], -1
	s_mov_b64 s[2:3], 0
	s_mov_b64 s[0:1], s[60:61]
	s_branch .LBB154_845
.LBB154_815:
	s_mov_b64 s[10:11], -1
	s_mov_b64 s[2:3], 0
	s_mov_b64 s[0:1], s[60:61]
	s_branch .LBB154_828
.LBB154_816:
	s_mov_b64 s[10:11], -1
	s_mov_b64 s[2:3], 0
	s_mov_b64 s[0:1], s[60:61]
	s_branch .LBB154_824
.LBB154_817:
	s_mov_b64 s[10:11], -1
	s_mov_b64 s[2:3], 0
	s_mov_b64 s[0:1], s[60:61]
.LBB154_818:
	s_and_b64 vcc, exec, s[10:11]
	s_cbranch_vccz .LBB154_823
; %bb.819:
	s_cmp_eq_u32 s15, 44
	s_mov_b64 s[0:1], -1
	s_cbranch_scc0 .LBB154_823
; %bb.820:
	v_cvt_f32_f16_e32 v3, v2
	s_movk_i32 s0, 0xff
	v_mov_b32_e32 v5, 0xff
	v_bfe_u32 v4, v3, 23, 8
	v_cmp_ne_u32_e32 vcc, s0, v4
	s_and_saveexec_b64 s[2:3], vcc
; %bb.821:
	s_mov_b32 s0, 0x3fffff
	v_lshrrev_b32_e32 v5, 23, v3
	v_and_b32_e32 v6, 0x400000, v3
	v_and_or_b32 v3, v3, s0, v4
	v_cmp_ne_u32_e32 vcc, 0, v6
	v_cmp_ne_u32_e64 s[0:1], 0, v3
	s_and_b64 s[0:1], vcc, s[0:1]
	v_cndmask_b32_e64 v3, 0, 1, s[0:1]
	v_add_u32_e32 v5, v5, v3
; %bb.822:
	s_or_b64 exec, exec, s[2:3]
	s_mov_b64 s[2:3], -1
	s_mov_b64 s[0:1], 0
	global_store_byte v[0:1], v5, off
.LBB154_823:
	s_mov_b64 s[10:11], 0
.LBB154_824:
	s_and_b64 vcc, exec, s[10:11]
	s_cbranch_vccz .LBB154_827
; %bb.825:
	s_cmp_eq_u32 s15, 29
	s_mov_b64 s[0:1], -1
	s_cbranch_scc0 .LBB154_827
; %bb.826:
	v_cvt_f32_f16_e32 v3, v2
	v_mov_b32_e32 v4, 0
	s_mov_b64 s[2:3], -1
	s_mov_b64 s[0:1], 0
	v_cvt_u32_f32_e32 v3, v3
	s_mov_b64 s[10:11], 0
	global_store_dwordx2 v[0:1], v[3:4], off
	s_branch .LBB154_828
.LBB154_827:
	s_mov_b64 s[10:11], 0
.LBB154_828:
	s_and_b64 vcc, exec, s[10:11]
	s_cbranch_vccz .LBB154_844
; %bb.829:
	s_cmp_lt_i32 s15, 27
	s_mov_b64 s[2:3], -1
	s_cbranch_scc1 .LBB154_835
; %bb.830:
	s_cmp_gt_i32 s15, 27
	s_cbranch_scc0 .LBB154_832
; %bb.831:
	v_cvt_f32_f16_e32 v3, v2
	s_mov_b64 s[2:3], 0
	v_cvt_u32_f32_e32 v3, v3
	global_store_dword v[0:1], v3, off
.LBB154_832:
	s_andn2_b64 vcc, exec, s[2:3]
	s_cbranch_vccnz .LBB154_834
; %bb.833:
	v_cvt_u16_f16_e32 v3, v2
	global_store_short v[0:1], v3, off
.LBB154_834:
	s_mov_b64 s[2:3], 0
.LBB154_835:
	s_andn2_b64 vcc, exec, s[2:3]
	s_cbranch_vccnz .LBB154_843
; %bb.836:
	v_cvt_f32_f16_e32 v3, v2
	s_mov_b32 s2, 0x43800000
	v_mov_b32_e32 v5, 0x80
	v_and_b32_e32 v4, 0x7fffffff, v3
	v_cmp_gt_u32_e32 vcc, s2, v4
	s_and_saveexec_b64 s[2:3], vcc
	s_cbranch_execz .LBB154_842
; %bb.837:
	s_mov_b32 s10, 0x3bffffff
	v_cmp_lt_u32_e32 vcc, s10, v4
	s_mov_b64 s[10:11], 0
                                        ; implicit-def: $vgpr4
	s_and_saveexec_b64 s[12:13], vcc
	s_xor_b64 s[12:13], exec, s[12:13]
	s_cbranch_execz .LBB154_959
; %bb.838:
	v_bfe_u32 v4, v3, 20, 1
	s_mov_b32 s16, 0x487ffff
	v_add3_u32 v4, v3, v4, s16
	s_mov_b64 s[10:11], exec
	v_lshrrev_b32_e32 v4, 20, v4
	s_andn2_saveexec_b64 s[12:13], s[12:13]
	s_cbranch_execnz .LBB154_960
.LBB154_839:
	s_or_b64 exec, exec, s[12:13]
	v_mov_b32_e32 v5, 0
	s_and_saveexec_b64 s[12:13], s[10:11]
.LBB154_840:
	v_lshrrev_b32_e32 v3, 24, v3
	s_movk_i32 s10, 0x80
	v_and_or_b32 v5, v3, s10, v4
.LBB154_841:
	s_or_b64 exec, exec, s[12:13]
.LBB154_842:
	s_or_b64 exec, exec, s[2:3]
	global_store_byte v[0:1], v5, off
.LBB154_843:
	s_mov_b64 s[2:3], -1
.LBB154_844:
	s_mov_b64 s[10:11], 0
.LBB154_845:
	s_and_b64 vcc, exec, s[10:11]
	s_cbranch_vccz .LBB154_886
; %bb.846:
	s_cmp_gt_i32 s15, 22
	s_mov_b64 s[10:11], -1
	s_cbranch_scc0 .LBB154_878
; %bb.847:
	s_cmp_lt_i32 s15, 24
	s_mov_b64 s[2:3], -1
	s_cbranch_scc1 .LBB154_867
; %bb.848:
	s_cmp_gt_i32 s15, 24
	s_cbranch_scc0 .LBB154_856
; %bb.849:
	v_cvt_f32_f16_e32 v3, v2
	s_mov_b32 s2, 0x47800000
	v_mov_b32_e32 v5, 0x80
	v_and_b32_e32 v4, 0x7fffffff, v3
	v_cmp_gt_u32_e32 vcc, s2, v4
	s_and_saveexec_b64 s[2:3], vcc
	s_cbranch_execz .LBB154_855
; %bb.850:
	s_mov_b32 s10, 0x37ffffff
	v_cmp_lt_u32_e32 vcc, s10, v4
	s_mov_b64 s[10:11], 0
                                        ; implicit-def: $vgpr4
	s_and_saveexec_b64 s[12:13], vcc
	s_xor_b64 s[12:13], exec, s[12:13]
	s_cbranch_execz .LBB154_962
; %bb.851:
	v_bfe_u32 v4, v3, 21, 1
	s_mov_b32 s16, 0x88fffff
	v_add3_u32 v4, v3, v4, s16
	s_mov_b64 s[10:11], exec
	v_lshrrev_b32_e32 v4, 21, v4
	s_andn2_saveexec_b64 s[12:13], s[12:13]
	s_cbranch_execnz .LBB154_963
.LBB154_852:
	s_or_b64 exec, exec, s[12:13]
	v_mov_b32_e32 v5, 0
	s_and_saveexec_b64 s[12:13], s[10:11]
.LBB154_853:
	v_lshrrev_b32_e32 v3, 24, v3
	s_movk_i32 s10, 0x80
	v_and_or_b32 v5, v3, s10, v4
.LBB154_854:
	s_or_b64 exec, exec, s[12:13]
.LBB154_855:
	s_or_b64 exec, exec, s[2:3]
	s_mov_b64 s[2:3], 0
	global_store_byte v[0:1], v5, off
.LBB154_856:
	s_and_b64 vcc, exec, s[2:3]
	s_cbranch_vccz .LBB154_866
; %bb.857:
	v_cvt_f32_f16_e32 v3, v2
	s_mov_b32 s2, 0x43f00000
                                        ; implicit-def: $vgpr4
	v_and_b32_e32 v5, 0x7fffffff, v3
	v_cmp_gt_u32_e32 vcc, s2, v5
	s_and_saveexec_b64 s[2:3], vcc
	s_xor_b64 s[2:3], exec, s[2:3]
	s_cbranch_execz .LBB154_863
; %bb.858:
	s_mov_b32 s10, 0x3c7fffff
	v_cmp_lt_u32_e32 vcc, s10, v5
                                        ; implicit-def: $vgpr4
	s_and_saveexec_b64 s[10:11], vcc
	s_xor_b64 s[10:11], exec, s[10:11]
; %bb.859:
	v_bfe_u32 v4, v3, 20, 1
	s_mov_b32 s12, 0x407ffff
	v_add3_u32 v4, v3, v4, s12
	v_lshrrev_b32_e32 v5, 20, v4
	v_and_b32_e32 v4, 0xff00000, v4
	s_mov_b32 s12, 0x7f00000
	v_mov_b32_e32 v6, 0x7e
	v_cmp_ne_u32_e32 vcc, s12, v4
	v_cndmask_b32_e32 v4, v6, v5, vcc
; %bb.860:
	s_andn2_saveexec_b64 s[10:11], s[10:11]
; %bb.861:
	s_mov_b32 s12, 0x46800000
	v_add_f32_e64 v4, |v3|, s12
; %bb.862:
	s_or_b64 exec, exec, s[10:11]
                                        ; implicit-def: $vgpr5
.LBB154_863:
	s_andn2_saveexec_b64 s[2:3], s[2:3]
; %bb.864:
	s_mov_b32 s10, 0x7f800000
	v_mov_b32_e32 v4, 0x7e
	v_mov_b32_e32 v6, 0x7f
	v_cmp_lt_u32_e32 vcc, s10, v5
	v_cndmask_b32_e32 v4, v4, v6, vcc
; %bb.865:
	s_or_b64 exec, exec, s[2:3]
	v_lshrrev_b32_e32 v3, 24, v3
	s_movk_i32 s2, 0x80
	v_and_or_b32 v3, v3, s2, v4
	global_store_byte v[0:1], v3, off
.LBB154_866:
	s_mov_b64 s[2:3], 0
.LBB154_867:
	s_andn2_b64 vcc, exec, s[2:3]
	s_cbranch_vccnz .LBB154_877
; %bb.868:
	v_cvt_f32_f16_e32 v3, v2
	s_mov_b32 s2, 0x47800000
                                        ; implicit-def: $vgpr4
	v_and_b32_e32 v5, 0x7fffffff, v3
	v_cmp_gt_u32_e32 vcc, s2, v5
	s_and_saveexec_b64 s[2:3], vcc
	s_xor_b64 s[2:3], exec, s[2:3]
	s_cbranch_execz .LBB154_874
; %bb.869:
	s_mov_b32 s10, 0x387fffff
	v_cmp_lt_u32_e32 vcc, s10, v5
                                        ; implicit-def: $vgpr4
	s_and_saveexec_b64 s[10:11], vcc
	s_xor_b64 s[10:11], exec, s[10:11]
; %bb.870:
	v_bfe_u32 v4, v3, 21, 1
	s_mov_b32 s12, 0x80fffff
	v_add3_u32 v4, v3, v4, s12
	v_lshrrev_b32_e32 v4, 21, v4
; %bb.871:
	s_andn2_saveexec_b64 s[10:11], s[10:11]
; %bb.872:
	s_mov_b32 s12, 0x43000000
	v_add_f32_e64 v4, |v3|, s12
; %bb.873:
	s_or_b64 exec, exec, s[10:11]
                                        ; implicit-def: $vgpr5
.LBB154_874:
	s_andn2_saveexec_b64 s[2:3], s[2:3]
; %bb.875:
	s_mov_b32 s10, 0x7f800000
	v_mov_b32_e32 v4, 0x7c
	v_mov_b32_e32 v6, 0x7f
	v_cmp_lt_u32_e32 vcc, s10, v5
	v_cndmask_b32_e32 v4, v4, v6, vcc
; %bb.876:
	s_or_b64 exec, exec, s[2:3]
	v_lshrrev_b32_e32 v3, 24, v3
	s_movk_i32 s2, 0x80
	v_and_or_b32 v3, v3, s2, v4
	global_store_byte v[0:1], v3, off
.LBB154_877:
	s_mov_b64 s[10:11], 0
	s_mov_b64 s[2:3], -1
.LBB154_878:
	s_andn2_b64 vcc, exec, s[10:11]
	s_cbranch_vccnz .LBB154_886
; %bb.879:
	s_cmp_gt_i32 s15, 14
	s_mov_b64 s[10:11], -1
	s_cbranch_scc0 .LBB154_883
; %bb.880:
	s_cmp_eq_u32 s15, 15
	s_mov_b64 s[0:1], -1
	s_cbranch_scc0 .LBB154_882
; %bb.881:
	v_cvt_f32_f16_e32 v3, v2
	s_movk_i32 s0, 0x7fff
	v_cmp_o_f16_e32 vcc, v2, v2
	v_mov_b32_e32 v4, 0x7fc0
	v_bfe_u32 v5, v3, 16, 1
	v_add3_u32 v3, v3, v5, s0
	v_cndmask_b32_sdwa v3, v4, v3, vcc dst_sel:DWORD dst_unused:UNUSED_PAD src0_sel:DWORD src1_sel:WORD_1
	global_store_short v[0:1], v3, off
	s_mov_b64 s[2:3], -1
	s_mov_b64 s[0:1], 0
.LBB154_882:
	s_mov_b64 s[10:11], 0
.LBB154_883:
	s_and_b64 vcc, exec, s[10:11]
	s_cbranch_vccz .LBB154_886
; %bb.884:
	s_cmp_eq_u32 s15, 11
	s_mov_b64 s[0:1], -1
	s_cbranch_scc0 .LBB154_886
; %bb.885:
	v_cmp_neq_f16_e32 vcc, 0, v2
	v_cndmask_b32_e64 v3, 0, 1, vcc
	s_mov_b64 s[2:3], -1
	s_mov_b64 s[0:1], 0
	global_store_byte v[0:1], v3, off
.LBB154_886:
	s_mov_b64 s[10:11], 0
.LBB154_887:
	s_and_b64 vcc, exec, s[10:11]
	s_cbranch_vccz .LBB154_926
; %bb.888:
	s_and_b32 s10, 0xffff, s14
	s_cmp_lt_i32 s10, 5
	s_mov_b64 s[2:3], -1
	s_cbranch_scc1 .LBB154_909
; %bb.889:
	s_cmp_lt_i32 s10, 8
	s_cbranch_scc1 .LBB154_899
; %bb.890:
	s_cmp_lt_i32 s10, 9
	s_cbranch_scc1 .LBB154_896
; %bb.891:
	s_cmp_gt_i32 s10, 9
	s_cbranch_scc0 .LBB154_893
; %bb.892:
	v_cvt_f32_f16_e32 v3, v2
	v_mov_b32_e32 v5, 0
	v_mov_b32_e32 v6, v5
	s_mov_b64 s[2:3], 0
	v_cvt_f64_f32_e32 v[3:4], v3
	global_store_dwordx4 v[0:1], v[3:6], off
.LBB154_893:
	s_andn2_b64 vcc, exec, s[2:3]
	s_cbranch_vccnz .LBB154_895
; %bb.894:
	v_cvt_f32_f16_e32 v3, v2
	v_mov_b32_e32 v4, 0
	global_store_dwordx2 v[0:1], v[3:4], off
.LBB154_895:
	s_mov_b64 s[2:3], 0
.LBB154_896:
	s_andn2_b64 vcc, exec, s[2:3]
	s_cbranch_vccnz .LBB154_898
; %bb.897:
	v_and_b32_e32 v3, 0xffff, v2
	global_store_dword v[0:1], v3, off
.LBB154_898:
	s_mov_b64 s[2:3], 0
.LBB154_899:
	s_andn2_b64 vcc, exec, s[2:3]
	s_cbranch_vccnz .LBB154_908
; %bb.900:
	s_cmp_lt_i32 s10, 6
	s_mov_b64 s[2:3], -1
	s_cbranch_scc1 .LBB154_906
; %bb.901:
	s_cmp_gt_i32 s10, 6
	s_cbranch_scc0 .LBB154_903
; %bb.902:
	v_cvt_f32_f16_e32 v3, v2
	s_mov_b64 s[2:3], 0
	v_cvt_f64_f32_e32 v[3:4], v3
	global_store_dwordx2 v[0:1], v[3:4], off
.LBB154_903:
	s_andn2_b64 vcc, exec, s[2:3]
	s_cbranch_vccnz .LBB154_905
; %bb.904:
	v_cvt_f32_f16_e32 v3, v2
	global_store_dword v[0:1], v3, off
.LBB154_905:
	s_mov_b64 s[2:3], 0
.LBB154_906:
	s_andn2_b64 vcc, exec, s[2:3]
	s_cbranch_vccnz .LBB154_908
; %bb.907:
	global_store_short v[0:1], v2, off
.LBB154_908:
	s_mov_b64 s[2:3], 0
.LBB154_909:
	s_andn2_b64 vcc, exec, s[2:3]
	s_cbranch_vccnz .LBB154_925
; %bb.910:
	s_cmp_lt_i32 s10, 2
	s_mov_b64 s[2:3], -1
	s_cbranch_scc1 .LBB154_920
; %bb.911:
	s_cmp_lt_i32 s10, 3
	s_cbranch_scc1 .LBB154_917
; %bb.912:
	s_cmp_gt_i32 s10, 3
	s_cbranch_scc0 .LBB154_914
; %bb.913:
	v_cvt_f32_f16_e32 v3, v2
	s_mov_b64 s[2:3], 0
	v_cvt_i32_f32_e32 v3, v3
	v_ashrrev_i32_e32 v4, 31, v3
	global_store_dwordx2 v[0:1], v[3:4], off
.LBB154_914:
	s_andn2_b64 vcc, exec, s[2:3]
	s_cbranch_vccnz .LBB154_916
; %bb.915:
	v_cvt_f32_f16_e32 v3, v2
	v_cvt_i32_f32_e32 v3, v3
	global_store_dword v[0:1], v3, off
.LBB154_916:
	s_mov_b64 s[2:3], 0
.LBB154_917:
	s_andn2_b64 vcc, exec, s[2:3]
	s_cbranch_vccnz .LBB154_919
; %bb.918:
	v_cvt_i16_f16_e32 v3, v2
	global_store_short v[0:1], v3, off
.LBB154_919:
	s_mov_b64 s[2:3], 0
.LBB154_920:
	s_andn2_b64 vcc, exec, s[2:3]
	s_cbranch_vccnz .LBB154_925
; %bb.921:
	s_cmp_gt_i32 s10, 0
	s_mov_b64 s[2:3], -1
	s_cbranch_scc0 .LBB154_923
; %bb.922:
	v_cvt_i16_f16_e32 v3, v2
	s_mov_b64 s[2:3], 0
	global_store_byte v[0:1], v3, off
.LBB154_923:
	s_andn2_b64 vcc, exec, s[2:3]
	s_cbranch_vccnz .LBB154_925
; %bb.924:
	v_cvt_f32_f16_e32 v2, v2
	v_cvt_i32_f32_e32 v2, v2
	global_store_byte v[0:1], v2, off
.LBB154_925:
	s_mov_b64 s[2:3], -1
.LBB154_926:
	s_andn2_b64 vcc, exec, s[2:3]
	s_cbranch_vccnz .LBB154_928
; %bb.927:
	v_add_u32_e32 v8, 0x80, v8
	s_mov_b64 s[2:3], -1
	s_branch .LBB154_930
.LBB154_928:
	s_mov_b64 s[2:3], 0
.LBB154_929:
                                        ; implicit-def: $vgpr8
.LBB154_930:
	s_andn2_b64 s[10:11], s[60:61], exec
	s_and_b64 s[0:1], s[0:1], exec
	s_or_b64 s[68:69], s[10:11], s[0:1]
	s_andn2_b64 s[0:1], s[58:59], exec
	s_and_b64 s[8:9], s[8:9], exec
	s_or_b64 s[66:67], s[0:1], s[8:9]
	s_orn2_b64 s[2:3], s[2:3], exec
.LBB154_931:
	s_or_b64 exec, exec, s[64:65]
	s_mov_b64 s[0:1], 0
	s_mov_b64 s[8:9], 0
	;; [unrolled: 1-line block ×3, first 2 shown]
                                        ; implicit-def: $vgpr1_vgpr2
                                        ; implicit-def: $vgpr0
                                        ; implicit-def: $vgpr3
	s_and_saveexec_b64 s[64:65], s[2:3]
	s_cbranch_execz .LBB154_1030
; %bb.932:
	v_cmp_gt_i32_e32 vcc, s70, v8
	s_mov_b64 s[2:3], 0
	s_mov_b64 s[12:13], s[66:67]
                                        ; implicit-def: $vgpr1_vgpr2
                                        ; implicit-def: $vgpr0
                                        ; implicit-def: $vgpr3
	s_and_saveexec_b64 s[70:71], vcc
	s_cbranch_execz .LBB154_1029
; %bb.933:
	s_andn2_b64 vcc, exec, s[40:41]
	s_cbranch_vccnz .LBB154_938
; %bb.934:
	s_andn2_b64 vcc, exec, s[50:51]
	s_cbranch_vccnz .LBB154_939
; %bb.935:
	s_add_i32 s76, s75, 1
	s_cmp_eq_u32 s72, 2
	s_cbranch_scc1 .LBB154_940
; %bb.936:
	s_and_b32 s75, s76, 28
	v_mov_b32_e32 v2, 0
	s_mov_b32 s77, 0
	s_mov_b64 s[50:51], s[34:35]
	v_mov_b32_e32 v0, 0
	v_mov_b32_e32 v1, v8
.LBB154_937:                            ; =>This Inner Loop Header: Depth=1
	s_load_dwordx8 s[16:23], s[50:51], 0x4
	s_load_dwordx4 s[0:3], s[50:51], 0x24
	s_load_dwordx8 s[8:15], s[48:49], 0x0
	s_add_u32 s50, s50, 48
	s_addc_u32 s51, s51, 0
	s_waitcnt vmcnt(0) lgkmcnt(0)
	v_mul_hi_u32 v3, s17, v1
	s_add_i32 s77, s77, 4
	s_add_u32 s48, s48, 32
	s_addc_u32 s49, s49, 0
	v_add_u32_e32 v3, v1, v3
	v_lshrrev_b32_e32 v3, s18, v3
	v_mul_lo_u32 v4, v3, s16
	v_mul_hi_u32 v5, s20, v3
	s_cmp_eq_u32 s75, s77
	v_sub_u32_e32 v1, v1, v4
	v_add_u32_e32 v4, v3, v5
	v_mul_lo_u32 v5, v1, s8
	v_mul_lo_u32 v6, v1, s9
	v_lshrrev_b32_e32 v1, s21, v4
	v_mul_lo_u32 v4, v1, s19
	v_mul_hi_u32 v7, s23, v1
	v_sub_u32_e32 v3, v3, v4
	v_add_u32_e32 v4, v1, v7
	v_lshrrev_b32_e32 v4, s0, v4
	v_mul_hi_u32 v9, s2, v4
	v_mul_lo_u32 v10, v4, s22
	v_mul_lo_u32 v7, v3, s10
	;; [unrolled: 1-line block ×3, first 2 shown]
	v_sub_u32_e32 v10, v1, v10
	v_add_u32_e32 v1, v4, v9
	v_lshrrev_b32_e32 v1, s3, v1
	v_mul_lo_u32 v9, v1, s1
	v_mul_lo_u32 v11, v10, s12
	;; [unrolled: 1-line block ×3, first 2 shown]
	v_add3_u32 v0, v5, v0, v7
	v_sub_u32_e32 v4, v4, v9
	v_mul_lo_u32 v9, v4, s14
	v_mul_lo_u32 v4, v4, s15
	v_add3_u32 v2, v6, v2, v3
	v_add3_u32 v0, v11, v0, v9
	;; [unrolled: 1-line block ×3, first 2 shown]
	s_cbranch_scc0 .LBB154_937
	s_branch .LBB154_941
.LBB154_938:
	s_mov_b64 s[0:1], -1
                                        ; implicit-def: $vgpr0
                                        ; implicit-def: $vgpr2
	s_branch .LBB154_945
.LBB154_939:
	v_mov_b32_e32 v0, 0
	v_mov_b32_e32 v2, 0
	s_branch .LBB154_944
.LBB154_940:
	s_mov_b32 s75, 0
	v_mov_b32_e32 v0, 0
	v_mov_b32_e32 v2, 0
	;; [unrolled: 1-line block ×3, first 2 shown]
.LBB154_941:
	s_and_b32 s8, s76, 3
	s_cmp_eq_u32 s8, 0
	s_cbranch_scc1 .LBB154_944
; %bb.942:
	s_lshl_b32 s0, s75, 3
	s_add_u32 s0, s34, s0
	s_addc_u32 s1, s35, 0
	s_add_u32 s0, s0, 0xc4
	s_addc_u32 s1, s1, 0
	s_mul_i32 s2, s75, 12
	s_add_u32 s2, s34, s2
	s_addc_u32 s3, s35, 0
.LBB154_943:                            ; =>This Inner Loop Header: Depth=1
	s_load_dwordx2 s[10:11], s[2:3], 0x4
	s_load_dword s9, s[2:3], 0xc
	s_load_dwordx2 s[12:13], s[0:1], 0x0
	s_add_u32 s2, s2, 12
	s_addc_u32 s3, s3, 0
	s_waitcnt vmcnt(0) lgkmcnt(0)
	v_mul_hi_u32 v3, s11, v1
	s_add_u32 s0, s0, 8
	s_addc_u32 s1, s1, 0
	s_add_i32 s8, s8, -1
	v_add_u32_e32 v3, v1, v3
	v_lshrrev_b32_e32 v4, s9, v3
	v_mul_lo_u32 v3, v4, s10
	s_cmp_lg_u32 s8, 0
	v_sub_u32_e32 v3, v1, v3
	v_mad_u64_u32 v[0:1], s[10:11], v3, s12, v[0:1]
	v_mad_u64_u32 v[2:3], s[10:11], v3, s13, v[2:3]
	v_mov_b32_e32 v1, v4
	s_cbranch_scc1 .LBB154_943
.LBB154_944:
	s_mov_b64 s[0:1], 0
.LBB154_945:
	s_andn2_b64 vcc, exec, s[0:1]
	s_cbranch_vccnz .LBB154_948
; %bb.946:
	s_waitcnt lgkmcnt(0)
	v_mul_hi_u32 v0, s37, v8
	s_andn2_b64 vcc, exec, s[46:47]
	v_add_u32_e32 v0, v8, v0
	v_lshrrev_b32_e32 v1, s38, v0
	v_mul_lo_u32 v0, v1, s36
	v_sub_u32_e32 v2, v8, v0
	v_mul_lo_u32 v0, v2, s28
	v_mul_lo_u32 v2, v2, s29
	s_cbranch_vccnz .LBB154_948
; %bb.947:
	s_waitcnt vmcnt(0)
	v_mul_hi_u32 v3, s44, v1
	v_add_u32_e32 v3, v1, v3
	v_lshrrev_b32_e32 v3, s45, v3
	v_mul_lo_u32 v3, v3, s39
	v_sub_u32_e32 v3, v1, v3
	v_mad_u64_u32 v[0:1], s[0:1], v3, s30, v[0:1]
	v_mad_u64_u32 v[2:3], s[0:1], v3, s31, v[2:3]
.LBB154_948:
	s_waitcnt vmcnt(0) lgkmcnt(0)
	v_mov_b32_e32 v3, s27
	s_and_b32 s14, 0xffff, s74
	v_add_co_u32_e32 v1, vcc, s26, v2
	s_cmp_lt_i32 s14, 11
	v_addc_co_u32_e32 v2, vcc, 0, v3, vcc
	s_cbranch_scc1 .LBB154_955
; %bb.949:
	s_cmp_gt_i32 s14, 25
	s_mov_b64 s[2:3], 0
	s_cbranch_scc0 .LBB154_956
; %bb.950:
	s_cmp_gt_i32 s14, 28
	s_cbranch_scc0 .LBB154_957
; %bb.951:
	s_cmp_gt_i32 s14, 43
	;; [unrolled: 3-line block ×3, first 2 shown]
	s_cbranch_scc0 .LBB154_961
; %bb.953:
	s_cmp_eq_u32 s14, 46
	s_mov_b64 s[10:11], 0
	s_cbranch_scc0 .LBB154_964
; %bb.954:
	global_load_dword v3, v[1:2], off
	s_mov_b64 s[0:1], 0
	s_mov_b64 s[8:9], -1
	s_waitcnt vmcnt(0)
	v_lshlrev_b32_e32 v3, 16, v3
	v_cvt_f16_f32_e32 v3, v3
	s_branch .LBB154_965
.LBB154_955:
	s_mov_b64 s[12:13], -1
	s_mov_b64 s[8:9], 0
	s_mov_b64 s[2:3], 0
	;; [unrolled: 1-line block ×3, first 2 shown]
                                        ; implicit-def: $vgpr3
	s_branch .LBB154_1028
.LBB154_956:
	s_mov_b64 s[10:11], -1
	s_mov_b64 s[8:9], 0
	s_mov_b64 s[0:1], s[66:67]
                                        ; implicit-def: $vgpr3
	s_branch .LBB154_994
.LBB154_957:
	s_mov_b64 s[10:11], -1
	s_mov_b64 s[8:9], 0
	s_mov_b64 s[0:1], s[66:67]
                                        ; implicit-def: $vgpr3
	s_branch .LBB154_975
.LBB154_958:
	s_mov_b64 s[10:11], -1
	s_mov_b64 s[8:9], 0
	s_mov_b64 s[0:1], s[66:67]
                                        ; implicit-def: $vgpr3
	s_branch .LBB154_970
.LBB154_959:
	s_andn2_saveexec_b64 s[12:13], s[12:13]
	s_cbranch_execz .LBB154_839
.LBB154_960:
	s_mov_b32 s16, 0x46000000
	v_add_f32_e64 v4, |v3|, s16
	v_and_b32_e32 v4, 0xff, v4
	v_cmp_ne_u32_e32 vcc, 0, v4
	s_andn2_b64 s[10:11], s[10:11], exec
	s_and_b64 s[16:17], vcc, exec
	s_or_b64 s[10:11], s[10:11], s[16:17]
	s_or_b64 exec, exec, s[12:13]
	v_mov_b32_e32 v5, 0
	s_and_saveexec_b64 s[12:13], s[10:11]
	s_cbranch_execnz .LBB154_840
	s_branch .LBB154_841
.LBB154_961:
	s_mov_b64 s[10:11], -1
	s_mov_b64 s[8:9], 0
	s_mov_b64 s[0:1], s[66:67]
                                        ; implicit-def: $vgpr3
	s_branch .LBB154_965
.LBB154_962:
	s_andn2_saveexec_b64 s[12:13], s[12:13]
	s_cbranch_execz .LBB154_852
.LBB154_963:
	s_mov_b32 s16, 0x42800000
	v_add_f32_e64 v4, |v3|, s16
	v_and_b32_e32 v4, 0xff, v4
	v_cmp_ne_u32_e32 vcc, 0, v4
	s_andn2_b64 s[10:11], s[10:11], exec
	s_and_b64 s[16:17], vcc, exec
	s_or_b64 s[10:11], s[10:11], s[16:17]
	s_or_b64 exec, exec, s[12:13]
	v_mov_b32_e32 v5, 0
	s_and_saveexec_b64 s[12:13], s[10:11]
	s_cbranch_execnz .LBB154_853
	s_branch .LBB154_854
.LBB154_964:
	s_mov_b64 s[0:1], -1
                                        ; implicit-def: $vgpr3
	s_mov_b64 s[8:9], 0
.LBB154_965:
	s_and_b64 vcc, exec, s[10:11]
	s_cbranch_vccz .LBB154_969
; %bb.966:
	s_cmp_eq_u32 s14, 44
	s_cbranch_scc0 .LBB154_968
; %bb.967:
	global_load_ubyte v3, v[1:2], off
	s_movk_i32 s8, 0xff
	v_mov_b32_e32 v5, 0x7e00
	s_mov_b64 s[0:1], 0
	s_waitcnt vmcnt(0)
	v_lshlrev_b32_e32 v4, 23, v3
	v_cvt_f16_f32_e32 v4, v4
	v_cmp_ne_u32_e32 vcc, s8, v3
	s_mov_b64 s[8:9], -1
	v_cndmask_b32_e32 v4, v5, v4, vcc
	v_cmp_ne_u32_e32 vcc, 0, v3
	v_cndmask_b32_e32 v3, 0, v4, vcc
	s_branch .LBB154_969
.LBB154_968:
	s_mov_b64 s[0:1], -1
                                        ; implicit-def: $vgpr3
.LBB154_969:
	s_mov_b64 s[10:11], 0
.LBB154_970:
	s_and_b64 vcc, exec, s[10:11]
	s_cbranch_vccz .LBB154_974
; %bb.971:
	s_cmp_eq_u32 s14, 29
	s_cbranch_scc0 .LBB154_973
; %bb.972:
	global_load_dwordx2 v[3:4], v[1:2], off
	s_mov_b64 s[0:1], 0
	s_mov_b64 s[8:9], -1
	s_mov_b64 s[10:11], 0
	s_waitcnt vmcnt(0)
	v_ffbh_u32_e32 v5, v4
	v_min_u32_e32 v5, 32, v5
	v_lshlrev_b64 v[3:4], v5, v[3:4]
	v_min_u32_e32 v3, 1, v3
	v_or_b32_e32 v3, v4, v3
	v_cvt_f32_u32_e32 v3, v3
	v_sub_u32_e32 v4, 32, v5
	v_ldexp_f32 v3, v3, v4
	v_cvt_f16_f32_e32 v3, v3
	s_branch .LBB154_975
.LBB154_973:
	s_mov_b64 s[0:1], -1
                                        ; implicit-def: $vgpr3
.LBB154_974:
	s_mov_b64 s[10:11], 0
.LBB154_975:
	s_and_b64 vcc, exec, s[10:11]
	s_cbranch_vccz .LBB154_993
; %bb.976:
	s_cmp_lt_i32 s14, 27
	s_cbranch_scc1 .LBB154_979
; %bb.977:
	s_cmp_gt_i32 s14, 27
	s_cbranch_scc0 .LBB154_980
; %bb.978:
	global_load_dword v3, v[1:2], off
	s_mov_b64 s[8:9], 0
	s_waitcnt vmcnt(0)
	v_cvt_f32_u32_e32 v3, v3
	v_cvt_f16_f32_e32 v3, v3
	s_branch .LBB154_981
.LBB154_979:
	s_mov_b64 s[8:9], -1
                                        ; implicit-def: $vgpr3
	s_branch .LBB154_984
.LBB154_980:
	s_mov_b64 s[8:9], -1
                                        ; implicit-def: $vgpr3
.LBB154_981:
	s_andn2_b64 vcc, exec, s[8:9]
	s_cbranch_vccnz .LBB154_983
; %bb.982:
	global_load_ushort v3, v[1:2], off
	s_waitcnt vmcnt(0)
	v_cvt_f16_u16_e32 v3, v3
.LBB154_983:
	s_mov_b64 s[8:9], 0
.LBB154_984:
	s_andn2_b64 vcc, exec, s[8:9]
	s_cbranch_vccnz .LBB154_992
; %bb.985:
	global_load_ubyte v4, v[1:2], off
	s_movk_i32 s8, 0x7f
	s_waitcnt vmcnt(0)
	v_cmp_lt_i16_e32 vcc, s8, v4
	s_mov_b64 s[8:9], 0
	s_and_saveexec_b64 s[10:11], vcc
	s_xor_b64 s[10:11], exec, s[10:11]
	s_cbranch_execz .LBB154_1006
; %bb.986:
	s_movk_i32 s8, 0x80
	v_cmp_eq_u16_e32 vcc, s8, v4
	s_mov_b64 s[8:9], -1
	s_and_saveexec_b64 s[12:13], vcc
; %bb.987:
	s_xor_b64 s[8:9], exec, -1
; %bb.988:
	s_or_b64 exec, exec, s[12:13]
	s_and_b64 s[8:9], s[8:9], exec
	s_or_saveexec_b64 s[10:11], s[10:11]
	v_mov_b32_e32 v3, 0x7e00
	s_xor_b64 exec, exec, s[10:11]
	s_cbranch_execnz .LBB154_1007
.LBB154_989:
	s_or_b64 exec, exec, s[10:11]
	s_and_saveexec_b64 s[10:11], s[8:9]
	s_cbranch_execz .LBB154_991
.LBB154_990:
	v_lshlrev_b32_e32 v3, 24, v4
	v_and_b32_e32 v4, 0xffff, v4
	v_and_b32_e32 v5, 7, v4
	v_ffbh_u32_e32 v7, v5
	v_min_u32_e32 v7, 32, v7
	v_subrev_u32_e32 v8, 28, v7
	v_bfe_u32 v6, v4, 3, 4
	v_lshlrev_b32_e32 v4, v8, v4
	v_sub_u32_e32 v7, 29, v7
	v_and_b32_e32 v4, 7, v4
	v_cmp_eq_u32_e32 vcc, 0, v6
	v_cndmask_b32_e32 v6, v6, v7, vcc
	v_cndmask_b32_e32 v4, v5, v4, vcc
	v_mov_b32_e32 v5, 0x3b800000
	v_lshlrev_b32_e32 v4, 20, v4
	v_and_b32_e32 v3, 0x80000000, v3
	v_lshl_add_u32 v5, v6, 23, v5
	v_or3_b32 v3, v3, v5, v4
	v_cvt_f16_f32_e32 v3, v3
.LBB154_991:
	s_or_b64 exec, exec, s[10:11]
.LBB154_992:
	s_mov_b64 s[8:9], -1
.LBB154_993:
	s_mov_b64 s[10:11], 0
.LBB154_994:
	s_and_b64 vcc, exec, s[10:11]
	s_cbranch_vccz .LBB154_1027
; %bb.995:
	s_cmp_gt_i32 s14, 22
	s_cbranch_scc0 .LBB154_1005
; %bb.996:
	s_cmp_lt_i32 s14, 24
	s_cbranch_scc1 .LBB154_1008
; %bb.997:
	s_cmp_gt_i32 s14, 24
	s_cbranch_scc0 .LBB154_1009
; %bb.998:
	global_load_ubyte v4, v[1:2], off
	s_movk_i32 s2, 0x7f
	s_waitcnt vmcnt(0)
	v_cmp_lt_i16_e32 vcc, s2, v4
	s_mov_b64 s[2:3], 0
	s_and_saveexec_b64 s[8:9], vcc
	s_xor_b64 s[8:9], exec, s[8:9]
	s_cbranch_execz .LBB154_1021
; %bb.999:
	s_movk_i32 s2, 0x80
	v_cmp_eq_u16_e32 vcc, s2, v4
	s_mov_b64 s[2:3], -1
	s_and_saveexec_b64 s[10:11], vcc
; %bb.1000:
	s_xor_b64 s[2:3], exec, -1
; %bb.1001:
	s_or_b64 exec, exec, s[10:11]
	s_and_b64 s[2:3], s[2:3], exec
	s_or_saveexec_b64 s[8:9], s[8:9]
	v_mov_b32_e32 v3, 0x7e00
	s_xor_b64 exec, exec, s[8:9]
	s_cbranch_execnz .LBB154_1022
.LBB154_1002:
	s_or_b64 exec, exec, s[8:9]
	s_and_saveexec_b64 s[8:9], s[2:3]
	s_cbranch_execz .LBB154_1004
.LBB154_1003:
	v_lshlrev_b32_e32 v3, 24, v4
	v_and_b32_e32 v4, 0xffff, v4
	v_and_b32_e32 v5, 3, v4
	v_ffbh_u32_e32 v7, v5
	v_min_u32_e32 v7, 32, v7
	v_subrev_u32_e32 v8, 29, v7
	v_bfe_u32 v6, v4, 2, 5
	v_lshlrev_b32_e32 v4, v8, v4
	v_sub_u32_e32 v7, 30, v7
	v_and_b32_e32 v4, 3, v4
	v_cmp_eq_u32_e32 vcc, 0, v6
	v_cndmask_b32_e32 v6, v6, v7, vcc
	v_cndmask_b32_e32 v4, v5, v4, vcc
	v_mov_b32_e32 v5, 0x37800000
	v_lshlrev_b32_e32 v4, 21, v4
	v_and_b32_e32 v3, 0x80000000, v3
	v_lshl_add_u32 v5, v6, 23, v5
	v_or3_b32 v3, v3, v5, v4
	v_cvt_f16_f32_e32 v3, v3
.LBB154_1004:
	s_or_b64 exec, exec, s[8:9]
	s_mov_b64 s[2:3], 0
	s_branch .LBB154_1010
.LBB154_1005:
	s_mov_b64 s[2:3], -1
                                        ; implicit-def: $vgpr3
	s_branch .LBB154_1016
.LBB154_1006:
	s_or_saveexec_b64 s[10:11], s[10:11]
	v_mov_b32_e32 v3, 0x7e00
	s_xor_b64 exec, exec, s[10:11]
	s_cbranch_execz .LBB154_989
.LBB154_1007:
	v_cmp_ne_u16_e32 vcc, 0, v4
	s_andn2_b64 s[8:9], s[8:9], exec
	s_and_b64 s[12:13], vcc, exec
	s_or_b64 s[8:9], s[8:9], s[12:13]
	v_mov_b32_e32 v3, v4
	s_or_b64 exec, exec, s[10:11]
	s_and_saveexec_b64 s[10:11], s[8:9]
	s_cbranch_execnz .LBB154_990
	s_branch .LBB154_991
.LBB154_1008:
	s_mov_b64 s[2:3], -1
                                        ; implicit-def: $vgpr3
	s_branch .LBB154_1013
.LBB154_1009:
	s_mov_b64 s[2:3], -1
                                        ; implicit-def: $vgpr3
.LBB154_1010:
	s_and_b64 vcc, exec, s[2:3]
	s_cbranch_vccz .LBB154_1012
; %bb.1011:
	global_load_ubyte v3, v[1:2], off
	s_mov_b32 s2, 0x7f800000
	s_waitcnt vmcnt(0)
	v_lshlrev_b32_e32 v3, 24, v3
	v_and_b32_e32 v4, 0x7f000000, v3
	v_ffbh_u32_e32 v5, v4
	v_min_u32_e32 v5, 32, v5
	v_sub_u32_e64 v5, v5, 4 clamp
	v_lshlrev_b32_e32 v7, v5, v4
	v_lshlrev_b32_e32 v5, 23, v5
	v_lshrrev_b32_e32 v7, 4, v7
	v_add_u32_e32 v6, 0x1000000, v4
	v_sub_u32_e32 v5, v7, v5
	v_ashrrev_i32_e32 v6, 8, v6
	v_add_u32_e32 v5, 0x3c000000, v5
	v_and_or_b32 v5, v6, s2, v5
	v_cmp_ne_u32_e32 vcc, 0, v4
	v_cndmask_b32_e32 v4, 0, v5, vcc
	s_brev_b32 s2, 1
	v_and_or_b32 v3, v3, s2, v4
	v_cvt_f16_f32_e32 v3, v3
.LBB154_1012:
	s_mov_b64 s[2:3], 0
.LBB154_1013:
	s_andn2_b64 vcc, exec, s[2:3]
	s_cbranch_vccnz .LBB154_1015
; %bb.1014:
	global_load_ubyte v3, v[1:2], off
	s_movk_i32 s2, 0x7f00
	s_brev_b32 s3, 16
	s_waitcnt vmcnt(0)
	v_lshlrev_b16_e32 v4, 8, v3
	v_lshlrev_b32_e32 v3, 25, v3
	v_lshrrev_b32_e32 v5, 4, v3
	v_and_or_b32 v6, v4, s2, 0.5
	v_or_b32_e32 v5, 0x70000000, v5
	v_add_f32_e32 v6, -0.5, v6
	v_mul_f32_e32 v5, 0x7800000, v5
	v_cmp_gt_u32_e32 vcc, s3, v3
	v_bfe_i32 v4, v4, 0, 16
	v_cndmask_b32_e32 v3, v5, v6, vcc
	s_brev_b32 s2, 1
	v_and_or_b32 v3, v4, s2, v3
	v_cvt_f16_f32_e32 v3, v3
.LBB154_1015:
	s_mov_b64 s[2:3], 0
	s_mov_b64 s[8:9], -1
.LBB154_1016:
	s_andn2_b64 vcc, exec, s[2:3]
	s_mov_b64 s[2:3], 0
	s_cbranch_vccnz .LBB154_1027
; %bb.1017:
	s_cmp_gt_i32 s14, 14
	s_cbranch_scc0 .LBB154_1020
; %bb.1018:
	s_cmp_eq_u32 s14, 15
	s_cbranch_scc0 .LBB154_1023
; %bb.1019:
	global_load_ushort v3, v[1:2], off
	s_mov_b64 s[0:1], 0
	s_mov_b64 s[8:9], -1
	s_waitcnt vmcnt(0)
	v_lshlrev_b32_e32 v3, 16, v3
	v_cvt_f16_f32_e32 v3, v3
	s_branch .LBB154_1024
.LBB154_1020:
	s_mov_b64 s[10:11], -1
                                        ; implicit-def: $vgpr3
	s_branch .LBB154_1025
.LBB154_1021:
	s_or_saveexec_b64 s[8:9], s[8:9]
	v_mov_b32_e32 v3, 0x7e00
	s_xor_b64 exec, exec, s[8:9]
	s_cbranch_execz .LBB154_1002
.LBB154_1022:
	v_cmp_ne_u16_e32 vcc, 0, v4
	s_andn2_b64 s[2:3], s[2:3], exec
	s_and_b64 s[10:11], vcc, exec
	s_or_b64 s[2:3], s[2:3], s[10:11]
	v_mov_b32_e32 v3, v4
	s_or_b64 exec, exec, s[8:9]
	s_and_saveexec_b64 s[8:9], s[2:3]
	s_cbranch_execnz .LBB154_1003
	s_branch .LBB154_1004
.LBB154_1023:
	s_mov_b64 s[0:1], -1
                                        ; implicit-def: $vgpr3
.LBB154_1024:
	s_mov_b64 s[10:11], 0
.LBB154_1025:
	s_and_b64 vcc, exec, s[10:11]
	s_cbranch_vccz .LBB154_1027
; %bb.1026:
	s_cmp_lg_u32 s14, 11
	s_cselect_b64 s[10:11], -1, 0
	s_andn2_b64 s[0:1], s[0:1], exec
	s_and_b64 s[10:11], s[10:11], exec
	s_mov_b64 s[2:3], -1
	s_or_b64 s[0:1], s[0:1], s[10:11]
.LBB154_1027:
	s_mov_b64 s[12:13], 0
.LBB154_1028:
	s_and_b64 s[10:11], s[8:9], exec
	s_and_b64 s[8:9], s[12:13], exec
	s_andn2_b64 s[12:13], s[66:67], exec
	s_and_b64 s[0:1], s[0:1], exec
	s_and_b64 s[2:3], s[2:3], exec
	s_or_b64 s[12:13], s[12:13], s[0:1]
.LBB154_1029:
	s_or_b64 exec, exec, s[70:71]
	s_and_b64 s[0:1], s[2:3], exec
	s_andn2_b64 s[2:3], s[66:67], exec
	s_and_b64 s[12:13], s[12:13], exec
	s_and_b64 s[10:11], s[10:11], exec
	;; [unrolled: 1-line block ×3, first 2 shown]
	s_or_b64 s[66:67], s[2:3], s[12:13]
.LBB154_1030:
	s_or_b64 exec, exec, s[64:65]
	s_andn2_b64 s[2:3], s[60:61], exec
	s_and_b64 s[12:13], s[68:69], exec
	s_or_b64 s[60:61], s[2:3], s[12:13]
	s_and_b64 s[2:3], s[0:1], exec
	s_andn2_b64 s[0:1], s[58:59], exec
	s_and_b64 s[12:13], s[66:67], exec
	s_and_b64 s[10:11], s[10:11], exec
	;; [unrolled: 1-line block ×3, first 2 shown]
	s_or_b64 s[58:59], s[0:1], s[12:13]
.LBB154_1031:
	s_or_b64 exec, exec, s[62:63]
	s_andn2_b64 s[0:1], s[52:53], exec
	s_and_b64 s[12:13], s[60:61], exec
	s_or_b64 s[52:53], s[0:1], s[12:13]
	s_and_b64 s[0:1], s[10:11], exec
	s_and_b64 s[10:11], s[8:9], exec
	;; [unrolled: 1-line block ×3, first 2 shown]
	s_andn2_b64 s[2:3], s[54:55], exec
	s_and_b64 s[8:9], s[58:59], exec
	s_or_b64 s[54:55], s[2:3], s[8:9]
	s_or_b64 exec, exec, s[56:57]
	s_mov_b64 s[8:9], 0
	s_and_saveexec_b64 s[2:3], s[54:55]
	s_cbranch_execz .LBB154_312
.LBB154_1032:
	s_mov_b64 s[8:9], exec
	s_andn2_b64 s[60:61], s[60:61], exec
	s_trap 2
	s_or_b64 exec, exec, s[2:3]
	s_and_saveexec_b64 s[2:3], s[60:61]
	s_xor_b64 s[2:3], exec, s[2:3]
	s_cbranch_execnz .LBB154_313
.LBB154_1033:
	s_or_b64 exec, exec, s[2:3]
	s_and_saveexec_b64 s[2:3], s[10:11]
	s_cbranch_execz .LBB154_1079
.LBB154_1034:
	s_sext_i32_i16 s10, s74
	s_cmp_lt_i32 s10, 5
	s_cbranch_scc1 .LBB154_1039
; %bb.1035:
	s_cmp_lt_i32 s10, 8
	s_cbranch_scc1 .LBB154_1040
; %bb.1036:
	;; [unrolled: 3-line block ×3, first 2 shown]
	s_cmp_gt_i32 s10, 9
	s_cbranch_scc0 .LBB154_1042
; %bb.1038:
	global_load_dwordx2 v[3:4], v[1:2], off
	s_movk_i32 s10, 0x1ff
	s_movk_i32 s11, 0xffe
	v_mov_b32_e32 v5, 0x7c00
	v_mov_b32_e32 v6, 0x7e00
	s_movk_i32 s12, 0x40f
	s_mov_b32 s13, 0x8000
	s_waitcnt vmcnt(0)
	v_and_or_b32 v3, v4, s10, v3
	v_cmp_ne_u32_e32 vcc, 0, v3
	v_lshrrev_b32_e32 v7, 8, v4
	v_bfe_u32 v8, v4, 20, 11
	v_cndmask_b32_e64 v3, 0, 1, vcc
	v_sub_u32_e32 v9, 0x3f1, v8
	v_and_or_b32 v3, v7, s11, v3
	v_add_u32_e32 v8, 0xfffffc10, v8
	v_med3_i32 v7, v9, 0, 13
	v_or_b32_e32 v9, 0x1000, v3
	v_cmp_ne_u32_e32 vcc, 0, v3
	v_lshl_or_b32 v10, v8, 12, v3
	v_cndmask_b32_e32 v3, v5, v6, vcc
	v_lshrrev_b32_e32 v6, v7, v9
	v_lshlrev_b32_e32 v7, v7, v6
	v_cmp_ne_u32_e32 vcc, v7, v9
	v_cndmask_b32_e64 v7, 0, 1, vcc
	v_or_b32_e32 v6, v6, v7
	v_cmp_gt_i32_e32 vcc, 1, v8
	v_cndmask_b32_e32 v6, v10, v6, vcc
	v_and_b32_e32 v7, 7, v6
	v_cmp_lt_i32_e32 vcc, 5, v7
	v_cndmask_b32_e64 v9, 0, 1, vcc
	v_cmp_eq_u32_e32 vcc, 3, v7
	v_cndmask_b32_e64 v7, 0, 1, vcc
	v_lshrrev_b32_e32 v6, 2, v6
	v_or_b32_e32 v7, v7, v9
	v_add_u32_e32 v6, v6, v7
	v_cmp_gt_i32_e32 vcc, 31, v8
	v_cndmask_b32_e32 v5, v5, v6, vcc
	v_cmp_eq_u32_e32 vcc, s12, v8
	v_lshrrev_b32_e32 v4, 16, v4
	v_cndmask_b32_e32 v3, v5, v3, vcc
	v_and_or_b32 v3, v4, s13, v3
	s_mov_b64 s[10:11], 0
	s_branch .LBB154_1043
.LBB154_1039:
                                        ; implicit-def: $vgpr3
	s_branch .LBB154_1060
.LBB154_1040:
                                        ; implicit-def: $vgpr3
	s_branch .LBB154_1049
.LBB154_1041:
	s_mov_b64 s[10:11], -1
                                        ; implicit-def: $vgpr3
	s_branch .LBB154_1046
.LBB154_1042:
	s_mov_b64 s[10:11], -1
                                        ; implicit-def: $vgpr3
.LBB154_1043:
	s_andn2_b64 vcc, exec, s[10:11]
	s_cbranch_vccnz .LBB154_1045
; %bb.1044:
	global_load_dword v3, v[1:2], off
	s_waitcnt vmcnt(0)
	v_cvt_f16_f32_e32 v3, v3
.LBB154_1045:
	s_mov_b64 s[10:11], 0
.LBB154_1046:
	s_andn2_b64 vcc, exec, s[10:11]
	s_cbranch_vccnz .LBB154_1048
; %bb.1047:
	global_load_dword v3, v[1:2], off
.LBB154_1048:
	s_cbranch_execnz .LBB154_1059
.LBB154_1049:
	s_sext_i32_i16 s10, s74
	s_cmp_lt_i32 s10, 6
	s_cbranch_scc1 .LBB154_1052
; %bb.1050:
	s_cmp_gt_i32 s10, 6
	s_cbranch_scc0 .LBB154_1053
; %bb.1051:
	global_load_dwordx2 v[3:4], v[1:2], off
	s_movk_i32 s10, 0x1ff
	s_movk_i32 s11, 0xffe
	v_mov_b32_e32 v5, 0x7c00
	v_mov_b32_e32 v6, 0x7e00
	s_movk_i32 s12, 0x40f
	s_mov_b32 s13, 0x8000
	s_waitcnt vmcnt(0)
	v_and_or_b32 v3, v4, s10, v3
	v_cmp_ne_u32_e32 vcc, 0, v3
	v_lshrrev_b32_e32 v7, 8, v4
	v_bfe_u32 v8, v4, 20, 11
	v_cndmask_b32_e64 v3, 0, 1, vcc
	v_sub_u32_e32 v9, 0x3f1, v8
	v_and_or_b32 v3, v7, s11, v3
	v_add_u32_e32 v8, 0xfffffc10, v8
	v_med3_i32 v7, v9, 0, 13
	v_or_b32_e32 v9, 0x1000, v3
	v_cmp_ne_u32_e32 vcc, 0, v3
	v_lshl_or_b32 v10, v8, 12, v3
	v_cndmask_b32_e32 v3, v5, v6, vcc
	v_lshrrev_b32_e32 v6, v7, v9
	v_lshlrev_b32_e32 v7, v7, v6
	v_cmp_ne_u32_e32 vcc, v7, v9
	v_cndmask_b32_e64 v7, 0, 1, vcc
	v_or_b32_e32 v6, v6, v7
	v_cmp_gt_i32_e32 vcc, 1, v8
	v_cndmask_b32_e32 v6, v10, v6, vcc
	v_and_b32_e32 v7, 7, v6
	v_cmp_lt_i32_e32 vcc, 5, v7
	v_cndmask_b32_e64 v9, 0, 1, vcc
	v_cmp_eq_u32_e32 vcc, 3, v7
	v_cndmask_b32_e64 v7, 0, 1, vcc
	v_lshrrev_b32_e32 v6, 2, v6
	v_or_b32_e32 v7, v7, v9
	v_add_u32_e32 v6, v6, v7
	v_cmp_gt_i32_e32 vcc, 31, v8
	v_cndmask_b32_e32 v5, v5, v6, vcc
	v_cmp_eq_u32_e32 vcc, s12, v8
	v_lshrrev_b32_e32 v4, 16, v4
	v_cndmask_b32_e32 v3, v5, v3, vcc
	v_and_or_b32 v3, v4, s13, v3
	s_mov_b64 s[10:11], 0
	s_branch .LBB154_1054
.LBB154_1052:
	s_mov_b64 s[10:11], -1
                                        ; implicit-def: $vgpr3
	s_branch .LBB154_1057
.LBB154_1053:
	s_mov_b64 s[10:11], -1
                                        ; implicit-def: $vgpr3
.LBB154_1054:
	s_andn2_b64 vcc, exec, s[10:11]
	s_cbranch_vccnz .LBB154_1056
; %bb.1055:
	global_load_dword v3, v[1:2], off
	s_waitcnt vmcnt(0)
	v_cvt_f16_f32_e32 v3, v3
.LBB154_1056:
	s_mov_b64 s[10:11], 0
.LBB154_1057:
	s_andn2_b64 vcc, exec, s[10:11]
	s_cbranch_vccnz .LBB154_1059
; %bb.1058:
	global_load_ushort v3, v[1:2], off
.LBB154_1059:
	s_cbranch_execnz .LBB154_1078
.LBB154_1060:
	s_sext_i32_i16 s10, s74
	s_cmp_lt_i32 s10, 2
	s_cbranch_scc1 .LBB154_1064
; %bb.1061:
	s_cmp_lt_i32 s10, 3
	s_cbranch_scc1 .LBB154_1065
; %bb.1062:
	s_cmp_gt_i32 s10, 3
	s_cbranch_scc0 .LBB154_1066
; %bb.1063:
	global_load_dwordx2 v[3:4], v[1:2], off
	s_mov_b64 s[10:11], 0
	s_waitcnt vmcnt(0)
	v_xor_b32_e32 v6, v3, v4
	v_ffbh_i32_e32 v5, v4
	v_ashrrev_i32_e32 v6, 31, v6
	v_add_u32_e32 v5, -1, v5
	v_add_u32_e32 v6, 32, v6
	v_min_u32_e32 v5, v5, v6
	v_lshlrev_b64 v[3:4], v5, v[3:4]
	v_min_u32_e32 v3, 1, v3
	v_or_b32_e32 v3, v4, v3
	v_cvt_f32_i32_e32 v3, v3
	v_sub_u32_e32 v4, 32, v5
	v_ldexp_f32 v3, v3, v4
	v_cvt_f16_f32_e32 v3, v3
	s_branch .LBB154_1067
.LBB154_1064:
                                        ; implicit-def: $vgpr3
	s_branch .LBB154_1073
.LBB154_1065:
	s_mov_b64 s[10:11], -1
                                        ; implicit-def: $vgpr3
	s_branch .LBB154_1070
.LBB154_1066:
	s_mov_b64 s[10:11], -1
                                        ; implicit-def: $vgpr3
.LBB154_1067:
	s_andn2_b64 vcc, exec, s[10:11]
	s_cbranch_vccnz .LBB154_1069
; %bb.1068:
	global_load_dword v3, v[1:2], off
	s_waitcnt vmcnt(0)
	v_cvt_f32_i32_e32 v3, v3
	v_cvt_f16_f32_e32 v3, v3
.LBB154_1069:
	s_mov_b64 s[10:11], 0
.LBB154_1070:
	s_andn2_b64 vcc, exec, s[10:11]
	s_cbranch_vccnz .LBB154_1072
; %bb.1071:
	global_load_ushort v3, v[1:2], off
	s_waitcnt vmcnt(0)
	v_cvt_f16_i16_e32 v3, v3
.LBB154_1072:
	s_cbranch_execnz .LBB154_1078
.LBB154_1073:
	s_sext_i32_i16 s10, s74
	s_cmp_gt_i32 s10, 0
	s_cbranch_scc0 .LBB154_1075
; %bb.1074:
	global_load_sbyte v3, v[1:2], off
	s_mov_b64 s[10:11], 0
	s_waitcnt vmcnt(0)
	v_cvt_f16_i16_e32 v3, v3
	s_branch .LBB154_1076
.LBB154_1075:
	s_mov_b64 s[10:11], -1
                                        ; implicit-def: $vgpr3
.LBB154_1076:
	s_andn2_b64 vcc, exec, s[10:11]
	s_cbranch_vccnz .LBB154_1078
; %bb.1077:
	global_load_ubyte v1, v[1:2], off
	s_waitcnt vmcnt(0)
	v_cvt_f16_u16_e32 v3, v1
.LBB154_1078:
	s_or_b64 s[0:1], s[0:1], exec
.LBB154_1079:
	s_or_b64 exec, exec, s[2:3]
	s_mov_b64 s[12:13], 0
	s_mov_b64 s[2:3], 0
                                        ; implicit-def: $sgpr18
                                        ; implicit-def: $vgpr1_vgpr2
                                        ; implicit-def: $vgpr4
	s_and_saveexec_b64 s[10:11], s[0:1]
	s_cbranch_execz .LBB154_1135
; %bb.1080:
	s_waitcnt vmcnt(0)
	v_cvt_f32_f16_e32 v1, v3
	s_mov_b32 s0, 0x3c800000
                                        ; implicit-def: $vgpr4
	v_and_b32_e32 v2, 0x7fffffff, v1
	v_cmp_nlt_f32_e64 s[0:1], |v1|, s0
	s_and_saveexec_b64 s[2:3], s[0:1]
	s_xor_b64 s[2:3], exec, s[2:3]
	s_cbranch_execz .LBB154_1110
; %bb.1081:
	v_cmp_nlt_f32_e64 s[0:1], |v1|, 2.0
                                        ; implicit-def: $vgpr4
	s_and_saveexec_b64 s[12:13], s[0:1]
	s_xor_b64 s[12:13], exec, s[12:13]
	s_cbranch_execz .LBB154_1091
; %bb.1082:
	s_mov_b32 s0, 0x41000000
	v_cmp_nlt_f32_e64 s[0:1], |v1|, s0
                                        ; implicit-def: $vgpr4
	s_and_saveexec_b64 s[14:15], s[0:1]
	s_xor_b64 s[14:15], exec, s[14:15]
	s_cbranch_execz .LBB154_1088
; %bb.1083:
	s_mov_b32 s0, 0x5c800000
	v_cmp_nlt_f32_e64 s[0:1], |v1|, s0
                                        ; implicit-def: $vgpr4
	s_and_saveexec_b64 s[16:17], s[0:1]
	s_xor_b64 s[16:17], exec, s[16:17]
	s_cbranch_execz .LBB154_1085
; %bb.1084:
	s_mov_b32 s0, 0x800000
	v_cmp_lt_f32_e64 vcc, |v1|, s0
	v_cndmask_b32_e64 v4, 0, 32, vcc
	v_ldexp_f32 v4, |v1|, v4
	v_log_f32_e32 v4, v4
	s_mov_b32 s0, 0x3f317217
	s_mov_b32 s1, 0x7f800000
	v_mul_f32_e32 v5, 0x3f317217, v4
	v_fma_f32 v6, v4, s0, -v5
	v_fmac_f32_e32 v6, 0x3377d1cf, v4
	v_add_f32_e32 v5, v5, v6
	v_cmp_lt_f32_e64 s[0:1], |v4|, s1
	v_cndmask_b32_e64 v4, v4, v5, s[0:1]
	v_mov_b32_e32 v5, 0x41b17218
	v_cndmask_b32_e32 v5, 0, v5, vcc
	v_sub_f32_e32 v4, v4, v5
	v_fma_f32 v4, |v1|, v4, -|v1|
.LBB154_1085:
	s_andn2_saveexec_b64 s[16:17], s[16:17]
	s_cbranch_execz .LBB154_1087
; %bb.1086:
	v_rcp_f32_e64 v5, |v1|
	v_mov_b32_e32 v4, 0x3a5b3dd2
	v_mov_b32_e32 v6, 0xba1c065c
	;; [unrolled: 1-line block ×3, first 2 shown]
	v_mul_f32_e32 v8, v5, v5
	v_fmac_f32_e32 v4, 0xbad5c4e8, v8
	v_fmac_f32_e32 v6, v8, v4
	s_mov_b32 s0, 0x800000
	v_fmac_f32_e32 v7, v8, v6
	v_mov_b32_e32 v4, 0xbb360b61
	v_cmp_lt_f32_e64 vcc, |v1|, s0
	v_fmac_f32_e32 v4, v8, v7
	v_cndmask_b32_e64 v7, 0, 32, vcc
	v_ldexp_f32 v7, |v1|, v7
	v_log_f32_e32 v7, v7
	v_mov_b32_e32 v6, 0x3daaaaab
	v_fmac_f32_e32 v6, v8, v4
	v_mov_b32_e32 v4, 0x3ed67f1d
	v_fmac_f32_e32 v4, v5, v6
	s_mov_b32 s0, 0x3f317217
	v_mul_f32_e32 v6, 0x3f317217, v7
	v_fma_f32 v8, v7, s0, -v6
	v_fmac_f32_e32 v8, 0x3377d1cf, v7
	s_mov_b32 s0, 0x7f800000
	v_add_f32_e32 v6, v6, v8
	v_cmp_lt_f32_e64 s[0:1], |v7|, s0
	v_cndmask_b32_e64 v6, v7, v6, s[0:1]
	v_mov_b32_e32 v7, 0x41b17218
	v_cndmask_b32_e32 v7, 0, v7, vcc
	v_sub_f32_e32 v6, v6, v7
	v_add_f32_e64 v5, |v1|, -0.5
	v_add_f32_e32 v6, -1.0, v6
	v_fmac_f32_e32 v4, v5, v6
.LBB154_1087:
	s_or_b64 exec, exec, s[16:17]
.LBB154_1088:
	s_andn2_saveexec_b64 s[14:15], s[14:15]
	s_cbranch_execz .LBB154_1090
; %bb.1089:
	v_cvt_i32_f32_e32 v4, v2
	v_mov_b32_e32 v5, 0x3af135b4
	v_mov_b32_e32 v6, 0x3cda40e4
	;; [unrolled: 1-line block ×3, first 2 shown]
	v_cvt_f32_i32_e32 v8, v4
	v_mov_b32_e32 v9, 0x3ea6cc7a
	v_mov_b32_e32 v10, 0x3e5c245a
	v_cmp_lt_i32_e32 vcc, 2, v4
	v_sub_f32_e64 v8, |v1|, v8
	v_fmac_f32_e32 v5, 0x3805ff67, v8
	v_fmac_f32_e32 v6, v8, v5
	;; [unrolled: 1-line block ×3, first 2 shown]
	v_mov_b32_e32 v6, 0x3a4beed6
	v_fmac_f32_e32 v9, v8, v7
	v_fmac_f32_e32 v6, 0x36f5d7bd, v8
	v_mov_b32_e32 v7, 0x3c98bf54
	v_fmac_f32_e32 v7, v8, v6
	v_mov_b32_e32 v6, 0x3e300f6e
	;; [unrolled: 2-line block ×4, first 2 shown]
	v_fmac_f32_e32 v6, v8, v7
	v_add_f32_e32 v7, 2.0, v8
	v_mov_b32_e32 v11, 0xbd9e233f
	v_fmac_f32_e32 v10, v8, v9
	v_add_f32_e32 v9, 0x40400000, v8
	v_cndmask_b32_e32 v7, 1.0, v7, vcc
	v_cmp_lt_i32_e32 vcc, 3, v4
	v_fmac_f32_e32 v11, v8, v10
	v_add_f32_e32 v10, 4.0, v8
	v_cndmask_b32_e32 v9, 1.0, v9, vcc
	v_cmp_lt_i32_e32 vcc, 4, v4
	v_mul_f32_e32 v5, v8, v11
	v_add_f32_e32 v11, 0x40a00000, v8
	v_mul_f32_e32 v7, v7, v9
	v_cndmask_b32_e32 v9, 1.0, v10, vcc
	v_cmp_lt_i32_e32 vcc, 5, v4
	v_add_f32_e32 v12, 0x40c00000, v8
	v_mul_f32_e32 v7, v9, v7
	v_cndmask_b32_e32 v9, 1.0, v11, vcc
	v_cmp_lt_i32_e32 vcc, 6, v4
	v_mul_f32_e32 v7, v9, v7
	v_cndmask_b32_e32 v4, 1.0, v12, vcc
	v_mul_f32_e32 v4, v4, v7
	s_mov_b32 s0, 0x800000
	v_cmp_gt_f32_e32 vcc, s0, v4
	v_cndmask_b32_e64 v7, 0, 32, vcc
	v_fma_f32 v6, v8, v6, 1.0
	v_ldexp_f32 v4, v4, v7
	v_rcp_f32_e32 v6, v6
	v_log_f32_e32 v4, v4
	s_mov_b32 s0, 0x3f317217
	v_mul_f32_e32 v5, v5, v6
	v_mul_f32_e32 v6, 0x3f317217, v4
	v_fma_f32 v7, v4, s0, -v6
	v_fmac_f32_e32 v7, 0x3377d1cf, v4
	s_mov_b32 s0, 0x7f800000
	v_add_f32_e32 v6, v6, v7
	v_cmp_lt_f32_e64 s[0:1], |v4|, s0
	v_cndmask_b32_e64 v4, v4, v6, s[0:1]
	v_mov_b32_e32 v6, 0x41b17218
	v_cndmask_b32_e32 v6, 0, v6, vcc
	v_fmac_f32_e32 v5, 0.5, v8
	v_sub_f32_e32 v4, v4, v6
	v_add_f32_e32 v4, v4, v5
.LBB154_1090:
	s_or_b64 exec, exec, s[14:15]
.LBB154_1091:
	s_andn2_saveexec_b64 s[12:13], s[12:13]
	s_cbranch_execz .LBB154_1109
; %bb.1092:
	s_mov_b32 s0, 0x3f666666
	v_cmp_le_f32_e64 s[0:1], |v1|, s0
                                        ; implicit-def: $vgpr4
                                        ; implicit-def: $vgpr6
                                        ; implicit-def: $vgpr5
	s_and_saveexec_b64 s[14:15], s[0:1]
	s_xor_b64 s[14:15], exec, s[14:15]
	s_cbranch_execz .LBB154_1094
; %bb.1093:
	s_mov_b32 s0, 0x800000
	v_cmp_lt_f32_e64 vcc, |v1|, s0
	v_cndmask_b32_e64 v4, 0, 32, vcc
	v_ldexp_f32 v4, |v1|, v4
	v_log_f32_e32 v4, v4
	s_mov_b32 s0, 0x3f317217
	s_mov_b32 s1, 0x7f800000
	v_mul_f32_e32 v5, 0x3f317217, v4
	v_fma_f32 v6, v4, s0, -v5
	v_fmac_f32_e32 v6, 0x3377d1cf, v4
	v_add_f32_e32 v5, v5, v6
	v_cmp_lt_f32_e64 s[0:1], |v4|, s1
	v_cndmask_b32_e64 v4, v4, v5, s[0:1]
	v_mov_b32_e32 v5, 0x41b17218
	v_cndmask_b32_e32 v5, 0, v5, vcc
	s_mov_b32 s0, 0x3f3b4a23
	s_mov_b32 s1, 0xbeec5b0c
	v_sub_f32_e32 v4, v4, v5
	v_sub_f32_e64 v5, 1.0, |v1|
	v_add_f32_e64 v6, |v1|, s1
	v_cmp_lt_f32_e64 vcc, |v1|, s0
	s_mov_b32 s0, 0x3e6d3309
	v_cndmask_b32_e32 v5, v5, v6, vcc
	v_cndmask_b32_e64 v6, 0, 1, vcc
	v_cmp_lt_f32_e64 s[0:1], |v1|, s0
	v_xor_b32_e32 v4, 0x80000000, v4
	v_cndmask_b32_e64 v5, v5, |v1|, s[0:1]
	v_cndmask_b32_e64 v6, v6, 2, s[0:1]
.LBB154_1094:
	s_andn2_saveexec_b64 s[0:1], s[14:15]
	s_cbranch_execz .LBB154_1096
; %bb.1095:
	s_mov_b32 s14, 0x3fdda512
	s_mov_b32 s15, 0xbfbb16c3
	v_sub_f32_e64 v4, 2.0, |v1|
	v_add_f32_e64 v5, |v1|, s15
	v_cmp_lt_f32_e64 vcc, |v1|, s14
	v_cndmask_b32_e32 v5, v4, v5, vcc
	v_cndmask_b32_e64 v4, v4, 1.0, vcc
	v_cvt_i32_f32_e32 v4, v4
	s_mov_b32 s14, 0x3f9d70a4
	v_add_f32_e64 v6, |v1|, -1.0
	v_cmp_lt_f32_e64 vcc, |v1|, s14
	v_cndmask_b32_e32 v5, v5, v6, vcc
	v_cndmask_b32_e64 v6, v4, 2, vcc
	v_mov_b32_e32 v4, 0
.LBB154_1096:
	s_or_b64 exec, exec, s[0:1]
	v_cmp_lt_i32_e32 vcc, 0, v6
	s_and_saveexec_b64 s[0:1], vcc
	s_xor_b64 s[0:1], exec, s[0:1]
	s_cbranch_execz .LBB154_1104
; %bb.1097:
	v_cmp_lt_i32_e32 vcc, 1, v6
	s_and_saveexec_b64 s[14:15], vcc
	s_xor_b64 s[14:15], exec, s[14:15]
	s_cbranch_execz .LBB154_1101
; %bb.1098:
	v_cmp_eq_u32_e32 vcc, 2, v6
	s_and_saveexec_b64 s[16:17], vcc
	s_cbranch_execz .LBB154_1100
; %bb.1099:
	v_mov_b32_e32 v6, 0x3e6a7578
	v_fmac_f32_e32 v6, 0x3c5b3c5e, v5
	v_mov_b32_e32 v7, 0x3f7a4bb2
	v_fmac_f32_e32 v7, v5, v6
	;; [unrolled: 2-line block ×8, first 2 shown]
	v_fma_f32 v6, v5, v8, 1.0
	v_rcp_f32_e32 v6, v6
	v_mov_b32_e32 v8, 0xbd9e233f
	v_fmac_f32_e32 v8, v5, v7
	v_mul_f32_e32 v7, v5, v8
	v_mul_f32_e32 v6, v7, v6
	v_fmac_f32_e32 v6, -0.5, v5
	v_add_f32_e32 v4, v4, v6
.LBB154_1100:
	s_or_b64 exec, exec, s[16:17]
                                        ; implicit-def: $vgpr5
.LBB154_1101:
	s_andn2_saveexec_b64 s[14:15], s[14:15]
	s_cbranch_execz .LBB154_1103
; %bb.1102:
	v_mul_f32_e32 v6, v5, v5
	v_mul_f32_e32 v7, v5, v6
	v_mov_b32_e32 v8, 0xbab7f476
	v_fmac_f32_e32 v8, 0x39a57b6b, v7
	v_mov_b32_e32 v9, 0x3bc7e707
	v_fmac_f32_e32 v9, v7, v8
	;; [unrolled: 2-line block ×12, first 2 shown]
	v_fmac_f32_e32 v10, v5, v11
	s_mov_b32 s16, 0xa2863e55
	v_fma_f32 v5, v7, -v10, s16
	v_fma_f32 v5, v6, v9, -v5
	v_add_f32_e32 v5, 0xbdf8cdce, v5
	v_add_f32_e32 v4, v4, v5
.LBB154_1103:
	s_or_b64 exec, exec, s[14:15]
                                        ; implicit-def: $vgpr6
                                        ; implicit-def: $vgpr5
.LBB154_1104:
	s_andn2_saveexec_b64 s[0:1], s[0:1]
	s_cbranch_execz .LBB154_1108
; %bb.1105:
	v_cmp_eq_u32_e32 vcc, 0, v6
	s_and_saveexec_b64 s[14:15], vcc
	s_cbranch_execz .LBB154_1107
; %bb.1106:
	v_mul_f32_e32 v6, v5, v5
	v_mov_b32_e32 v7, 0x39679767
	v_fmac_f32_e32 v7, 0x37d383a2, v6
	v_mov_b32_e32 v8, 0x3a9c54a1
	v_fmac_f32_e32 v8, v6, v7
	;; [unrolled: 2-line block ×10, first 2 shown]
	v_mul_f32_e32 v6, v6, v8
	v_fmac_f32_e32 v6, v5, v7
	v_fmac_f32_e32 v6, -0.5, v5
	v_add_f32_e32 v4, v4, v6
.LBB154_1107:
	s_or_b64 exec, exec, s[14:15]
.LBB154_1108:
	s_or_b64 exec, exec, s[0:1]
.LBB154_1109:
	s_or_b64 exec, exec, s[12:13]
.LBB154_1110:
	s_andn2_saveexec_b64 s[2:3], s[2:3]
	s_cbranch_execz .LBB154_1112
; %bb.1111:
	s_mov_b32 s0, 0x3e8a8991
	v_mov_b32_e32 v4, 0xbecd26ab
	v_fma_f32 v4, |v1|, s0, v4
	s_mov_b32 s0, 0x3f528d33
	v_fma_f32 v4, |v1|, v4, s0
	s_mov_b32 s0, 0x800000
	v_cmp_lt_f32_e64 vcc, |v1|, s0
	v_cndmask_b32_e64 v5, 0, 32, vcc
	v_ldexp_f32 v5, |v1|, v5
	v_log_f32_e32 v5, v5
	s_mov_b32 s0, 0xbf13c468
	v_fma_f32 v4, |v1|, v4, s0
	s_mov_b32 s0, 0x3f317217
	v_mul_f32_e32 v6, 0x3f317217, v5
	v_fma_f32 v7, v5, s0, -v6
	v_fmac_f32_e32 v7, 0x3377d1cf, v5
	s_mov_b32 s0, 0x7f800000
	v_add_f32_e32 v6, v6, v7
	v_cmp_lt_f32_e64 s[0:1], |v5|, s0
	v_cndmask_b32_e64 v5, v5, v6, s[0:1]
	v_mov_b32_e32 v6, 0x41b17218
	v_cndmask_b32_e32 v6, 0, v6, vcc
	v_sub_f32_e32 v5, v5, v6
	v_fma_f32 v4, |v1|, v4, -v5
.LBB154_1112:
	s_or_b64 exec, exec, s[2:3]
	v_cmp_le_f16_e32 vcc, 0, v3
	v_cmp_nle_f16_e64 s[0:1], 0, v3
	s_and_saveexec_b64 s[2:3], s[0:1]
	s_xor_b64 s[12:13], exec, s[2:3]
	s_cbranch_execz .LBB154_1116
; %bb.1113:
	s_mov_b32 s0, 0x4b000000
	s_mov_b32 s2, 0x35000000
	v_cmp_lt_f32_e64 s[0:1], |v1|, s0
	v_cmp_gt_f32_e64 s[2:3], |v1|, s2
	s_and_b64 s[0:1], s[0:1], s[2:3]
	s_and_saveexec_b64 s[14:15], s[0:1]
	s_cbranch_execz .LBB154_1115
; %bb.1114:
	v_mul_f32_e64 v5, |v1|, 0.5
	v_floor_f32_e32 v6, v5
	v_sub_f32_e32 v6, v5, v6
	v_min_f32_e32 v6, 0x3f7fffff, v6
	s_mov_b32 s2, 0x7f800000
	v_add_f32_e32 v6, v6, v6
	v_cmp_neq_f32_e64 s[0:1], s2, v5
	v_cndmask_b32_e64 v5, 0, v6, s[0:1]
	v_cmp_gt_f32_e64 s[0:1], |v1|, 1.0
	v_cndmask_b32_e64 v5, |v1|, v5, s[0:1]
	v_add_f32_e32 v6, v5, v5
	v_rndne_f32_e32 v6, v6
	v_fmac_f32_e32 v5, -0.5, v6
	v_mul_f32_e32 v7, v5, v5
	v_mov_b32_e32 v8, 0xbf1f24be
	v_fmac_f32_e32 v8, 0x3e75aa41, v7
	v_mov_b32_e32 v9, 0x40234736
	v_fmac_f32_e32 v9, v7, v8
	;; [unrolled: 2-line block ×3, first 2 shown]
	v_mul_f32_e32 v9, v5, v7
	v_mul_f32_e32 v8, v9, v8
	v_fmac_f32_e32 v8, 0x40490fdb, v5
	v_mov_b32_e32 v5, 0x3e642e9d
	v_cvt_i32_f32_e32 v6, v6
	v_fmac_f32_e32 v5, 0x3d4be544, v7
	v_mov_b32_e32 v9, 0xbfaad1da
	v_fmac_f32_e32 v9, v7, v5
	v_mov_b32_e32 v5, 0x4081e0d3
	;; [unrolled: 2-line block ×3, first 2 shown]
	v_fmac_f32_e32 v9, v7, v5
	v_fma_f32 v5, v7, v9, 1.0
	v_and_b32_e32 v7, 1, v6
	v_lshlrev_b32_e32 v6, 30, v6
	v_cmp_eq_u32_e64 s[0:1], 0, v7
	v_and_b32_e32 v6, 0x80000000, v6
	v_xor_b32_e32 v2, v2, v1
	v_cndmask_b32_e64 v5, v5, v8, s[0:1]
	v_xor_b32_e32 v2, v2, v6
	v_xor_b32_e32 v2, v2, v5
	v_mul_f32_e32 v2, v1, v2
	v_frexp_mant_f32_e64 v5, |v2|
	v_rcp_f32_e32 v5, v5
	v_frexp_exp_i32_f32_e32 v2, v2
	v_sub_u32_e32 v2, 2, v2
	s_mov_b32 s0, 0x800000
	v_mul_f32_e32 v5, 0x3f490fdb, v5
	v_ldexp_f32 v2, v5, v2
	v_cmp_gt_f32_e64 s[0:1], s0, v2
	v_cndmask_b32_e64 v5, 0, 32, s[0:1]
	v_ldexp_f32 v2, v2, v5
	v_log_f32_e32 v2, v2
	s_mov_b32 s3, 0x3f317217
	v_mul_f32_e32 v5, 0x3f317217, v2
	v_fma_f32 v6, v2, s3, -v5
	v_fmac_f32_e32 v6, 0x3377d1cf, v2
	v_add_f32_e32 v5, v5, v6
	v_cmp_lt_f32_e64 s[2:3], |v2|, s2
	v_cndmask_b32_e64 v2, v2, v5, s[2:3]
	v_mov_b32_e32 v5, 0x41b17218
	v_cndmask_b32_e64 v5, 0, v5, s[0:1]
	v_sub_f32_e32 v2, v2, v5
	v_sub_f32_e32 v2, v2, v4
	v_floor_f32_e32 v4, v1
	v_sub_f32_e32 v4, v1, v4
	v_min_f32_e32 v4, 0x3f7fffff, v4
	v_mov_b32_e32 v5, 0x7f800000
	v_cmp_neq_f32_e64 s[0:1], 0, v4
	v_cndmask_b32_e64 v4, v5, v2, s[0:1]
.LBB154_1115:
	s_or_b64 exec, exec, s[14:15]
.LBB154_1116:
	s_andn2_saveexec_b64 s[12:13], s[12:13]
; %bb.1117:
	v_cmp_eq_f16_e64 s[0:1], 1.0, v3
	v_cmp_eq_f16_e64 s[2:3], 2.0, v3
	s_or_b64 s[0:1], s[0:1], s[2:3]
	v_cndmask_b32_e64 v4, v4, 0, s[0:1]
; %bb.1118:
	s_or_b64 exec, exec, s[12:13]
	v_cvt_f16_f32_e32 v4, v4
	s_mov_b32 s0, 0x4b000000
	v_cmp_lt_f32_e64 s[0:1], |v1|, s0
	v_mov_b32_e32 v2, 0x264
	v_mov_b32_e32 v5, 0x7c00
	s_or_b64 vcc, vcc, s[0:1]
	v_cndmask_b32_e32 v4, v5, v4, vcc
	v_cmp_class_f32_e32 vcc, v1, v2
	v_cndmask_b32_e32 v1, v4, v5, vcc
	v_cmp_u_f16_e32 vcc, v3, v3
	v_cndmask_b32_e32 v4, v1, v3, vcc
	s_waitcnt lgkmcnt(0)
	v_mov_b32_e32 v2, s25
	s_and_b32 s18, s73, 0xff
	v_add_co_u32_e32 v1, vcc, s24, v0
	s_cmp_lt_i32 s18, 11
	v_addc_co_u32_e32 v2, vcc, 0, v2, vcc
	s_cbranch_scc1 .LBB154_1138
; %bb.1119:
	s_and_b32 s19, 0xffff, s18
	s_mov_b64 s[12:13], -1
	s_cmp_gt_i32 s19, 25
	s_mov_b64 s[0:1], s[52:53]
	s_cbranch_scc0 .LBB154_1156
; %bb.1120:
	s_mov_b64 s[2:3], -1
	s_cmp_gt_i32 s19, 28
	s_mov_b64 s[0:1], s[52:53]
	s_cbranch_scc0 .LBB154_1140
; %bb.1121:
	s_cmp_gt_i32 s19, 43
	s_mov_b64 s[0:1], s[52:53]
	s_cbranch_scc0 .LBB154_1132
; %bb.1122:
	;; [unrolled: 4-line block ×3, first 2 shown]
	s_cmp_eq_u32 s19, 46
	s_mov_b64 s[0:1], -1
	s_cbranch_scc0 .LBB154_1125
; %bb.1124:
	v_cvt_f32_f16_e32 v0, v4
	s_movk_i32 s0, 0x7fff
	v_cmp_o_f16_e32 vcc, v4, v4
	v_mov_b32_e32 v3, 0x7fc0
	v_bfe_u32 v5, v0, 16, 1
	v_add3_u32 v0, v0, v5, s0
	v_cndmask_b32_sdwa v0, v3, v0, vcc dst_sel:DWORD dst_unused:UNUSED_PAD src0_sel:DWORD src1_sel:WORD_1
	global_store_dword v[1:2], v0, off
	s_mov_b64 s[0:1], 0
.LBB154_1125:
	s_mov_b64 s[2:3], 0
.LBB154_1126:
	s_and_b64 vcc, exec, s[2:3]
	s_cbranch_vccz .LBB154_1131
; %bb.1127:
	s_cmp_eq_u32 s19, 44
	s_mov_b64 s[0:1], -1
	s_cbranch_scc0 .LBB154_1131
; %bb.1128:
	v_cvt_f32_f16_e32 v0, v4
	s_movk_i32 s0, 0xff
	v_mov_b32_e32 v5, 0xff
	v_bfe_u32 v3, v0, 23, 8
	v_cmp_ne_u32_e32 vcc, s0, v3
	s_and_saveexec_b64 s[2:3], vcc
; %bb.1129:
	s_mov_b32 s0, 0x3fffff
	v_lshrrev_b32_e32 v5, 23, v0
	v_and_b32_e32 v6, 0x400000, v0
	v_and_or_b32 v0, v0, s0, v3
	v_cmp_ne_u32_e32 vcc, 0, v6
	v_cmp_ne_u32_e64 s[0:1], 0, v0
	s_and_b64 s[0:1], vcc, s[0:1]
	v_cndmask_b32_e64 v0, 0, 1, s[0:1]
	v_add_u32_e32 v5, v5, v0
; %bb.1130:
	s_or_b64 exec, exec, s[2:3]
	s_mov_b64 s[0:1], 0
	global_store_byte v[1:2], v5, off
.LBB154_1131:
	s_mov_b64 s[2:3], 0
.LBB154_1132:
	s_and_b64 vcc, exec, s[2:3]
	s_cbranch_vccz .LBB154_1139
; %bb.1133:
	s_cmp_eq_u32 s19, 29
	s_mov_b64 s[0:1], -1
	s_cbranch_scc0 .LBB154_1139
; %bb.1134:
	v_cvt_f32_f16_e32 v0, v4
	v_mov_b32_e32 v6, 0
	s_mov_b64 s[0:1], 0
	s_mov_b64 s[2:3], 0
	v_cvt_u32_f32_e32 v5, v0
	global_store_dwordx2 v[1:2], v[5:6], off
	s_branch .LBB154_1140
.LBB154_1135:
	s_or_b64 exec, exec, s[10:11]
	s_and_saveexec_b64 s[0:1], s[52:53]
	s_cbranch_execnz .LBB154_1198
.LBB154_1136:
	s_or_b64 exec, exec, s[0:1]
	s_and_saveexec_b64 s[0:1], s[12:13]
	s_xor_b64 s[0:1], exec, s[0:1]
	s_cbranch_execz .LBB154_1199
.LBB154_1137:
	v_cmp_neq_f16_e32 vcc, 0, v4
	v_cndmask_b32_e64 v0, 0, 1, vcc
	global_store_byte v[1:2], v0, off
	s_or_b64 exec, exec, s[0:1]
	s_and_saveexec_b64 s[0:1], s[2:3]
	s_xor_b64 s[0:1], exec, s[0:1]
	s_cbranch_execz .LBB154_1237
	s_branch .LBB154_1200
.LBB154_1138:
	s_mov_b64 s[12:13], 0
	s_mov_b64 s[2:3], -1
	s_mov_b64 s[0:1], s[52:53]
	s_branch .LBB154_1197
.LBB154_1139:
	s_mov_b64 s[2:3], 0
.LBB154_1140:
	s_and_b64 vcc, exec, s[2:3]
	s_cbranch_vccz .LBB154_1155
; %bb.1141:
	s_cmp_lt_i32 s19, 27
	s_mov_b64 s[2:3], -1
	s_cbranch_scc1 .LBB154_1147
; %bb.1142:
	s_cmp_gt_i32 s19, 27
	s_cbranch_scc0 .LBB154_1144
; %bb.1143:
	v_cvt_f32_f16_e32 v0, v4
	s_mov_b64 s[2:3], 0
	v_cvt_u32_f32_e32 v0, v0
	global_store_dword v[1:2], v0, off
.LBB154_1144:
	s_andn2_b64 vcc, exec, s[2:3]
	s_cbranch_vccnz .LBB154_1146
; %bb.1145:
	v_cvt_u16_f16_e32 v0, v4
	global_store_short v[1:2], v0, off
.LBB154_1146:
	s_mov_b64 s[2:3], 0
.LBB154_1147:
	s_andn2_b64 vcc, exec, s[2:3]
	s_cbranch_vccnz .LBB154_1155
; %bb.1148:
	v_cvt_f32_f16_e32 v0, v4
	s_mov_b32 s2, 0x43800000
	v_mov_b32_e32 v5, 0x80
	v_and_b32_e32 v3, 0x7fffffff, v0
	v_cmp_gt_u32_e32 vcc, s2, v3
	s_and_saveexec_b64 s[2:3], vcc
	s_cbranch_execz .LBB154_1154
; %bb.1149:
	s_mov_b32 s12, 0x3bffffff
	v_cmp_lt_u32_e32 vcc, s12, v3
	s_mov_b64 s[12:13], 0
                                        ; implicit-def: $vgpr3
	s_and_saveexec_b64 s[14:15], vcc
	s_xor_b64 s[14:15], exec, s[14:15]
	s_cbranch_execz .LBB154_1308
; %bb.1150:
	v_bfe_u32 v3, v0, 20, 1
	s_mov_b32 s16, 0x487ffff
	v_add3_u32 v3, v0, v3, s16
	s_mov_b64 s[12:13], exec
	v_lshrrev_b32_e32 v3, 20, v3
	s_andn2_saveexec_b64 s[14:15], s[14:15]
	s_cbranch_execnz .LBB154_1309
.LBB154_1151:
	s_or_b64 exec, exec, s[14:15]
	v_mov_b32_e32 v5, 0
	s_and_saveexec_b64 s[14:15], s[12:13]
.LBB154_1152:
	v_lshrrev_b32_e32 v0, 24, v0
	s_movk_i32 s12, 0x80
	v_and_or_b32 v5, v0, s12, v3
.LBB154_1153:
	s_or_b64 exec, exec, s[14:15]
.LBB154_1154:
	s_or_b64 exec, exec, s[2:3]
	global_store_byte v[1:2], v5, off
.LBB154_1155:
	s_mov_b64 s[12:13], 0
.LBB154_1156:
	s_mov_b64 s[2:3], 0
	s_and_b64 vcc, exec, s[12:13]
	s_cbranch_vccz .LBB154_1196
; %bb.1157:
	s_cmp_gt_i32 s19, 22
	s_mov_b64 s[12:13], -1
	s_cbranch_scc0 .LBB154_1189
; %bb.1158:
	s_cmp_lt_i32 s19, 24
	s_cbranch_scc1 .LBB154_1178
; %bb.1159:
	s_cmp_gt_i32 s19, 24
	s_cbranch_scc0 .LBB154_1167
; %bb.1160:
	v_cvt_f32_f16_e32 v0, v4
	s_mov_b32 s12, 0x47800000
	v_mov_b32_e32 v5, 0x80
	v_and_b32_e32 v3, 0x7fffffff, v0
	v_cmp_gt_u32_e32 vcc, s12, v3
	s_and_saveexec_b64 s[12:13], vcc
	s_cbranch_execz .LBB154_1166
; %bb.1161:
	s_mov_b32 s14, 0x37ffffff
	v_cmp_lt_u32_e32 vcc, s14, v3
	s_mov_b64 s[14:15], 0
                                        ; implicit-def: $vgpr3
	s_and_saveexec_b64 s[16:17], vcc
	s_xor_b64 s[16:17], exec, s[16:17]
	s_cbranch_execz .LBB154_1471
; %bb.1162:
	v_bfe_u32 v3, v0, 21, 1
	s_mov_b32 s20, 0x88fffff
	v_add3_u32 v3, v0, v3, s20
	s_mov_b64 s[14:15], exec
	v_lshrrev_b32_e32 v3, 21, v3
	s_andn2_saveexec_b64 s[16:17], s[16:17]
	s_cbranch_execnz .LBB154_1472
.LBB154_1163:
	s_or_b64 exec, exec, s[16:17]
	v_mov_b32_e32 v5, 0
	s_and_saveexec_b64 s[16:17], s[14:15]
.LBB154_1164:
	v_lshrrev_b32_e32 v0, 24, v0
	s_movk_i32 s14, 0x80
	v_and_or_b32 v5, v0, s14, v3
.LBB154_1165:
	s_or_b64 exec, exec, s[16:17]
.LBB154_1166:
	s_or_b64 exec, exec, s[12:13]
	s_mov_b64 s[12:13], 0
	global_store_byte v[1:2], v5, off
.LBB154_1167:
	s_and_b64 vcc, exec, s[12:13]
	s_cbranch_vccz .LBB154_1177
; %bb.1168:
	v_cvt_f32_f16_e32 v0, v4
	s_mov_b32 s12, 0x43f00000
                                        ; implicit-def: $vgpr3
	v_and_b32_e32 v5, 0x7fffffff, v0
	v_cmp_gt_u32_e32 vcc, s12, v5
	s_and_saveexec_b64 s[12:13], vcc
	s_xor_b64 s[12:13], exec, s[12:13]
	s_cbranch_execz .LBB154_1174
; %bb.1169:
	s_mov_b32 s14, 0x3c7fffff
	v_cmp_lt_u32_e32 vcc, s14, v5
                                        ; implicit-def: $vgpr3
	s_and_saveexec_b64 s[14:15], vcc
	s_xor_b64 s[14:15], exec, s[14:15]
; %bb.1170:
	v_bfe_u32 v3, v0, 20, 1
	s_mov_b32 s16, 0x407ffff
	v_add3_u32 v3, v0, v3, s16
	v_lshrrev_b32_e32 v5, 20, v3
	v_and_b32_e32 v3, 0xff00000, v3
	s_mov_b32 s16, 0x7f00000
	v_mov_b32_e32 v6, 0x7e
	v_cmp_ne_u32_e32 vcc, s16, v3
	v_cndmask_b32_e32 v3, v6, v5, vcc
; %bb.1171:
	s_andn2_saveexec_b64 s[14:15], s[14:15]
; %bb.1172:
	s_mov_b32 s16, 0x46800000
	v_add_f32_e64 v3, |v0|, s16
; %bb.1173:
	s_or_b64 exec, exec, s[14:15]
                                        ; implicit-def: $vgpr5
.LBB154_1174:
	s_andn2_saveexec_b64 s[12:13], s[12:13]
; %bb.1175:
	s_mov_b32 s14, 0x7f800000
	v_mov_b32_e32 v3, 0x7e
	v_mov_b32_e32 v6, 0x7f
	v_cmp_lt_u32_e32 vcc, s14, v5
	v_cndmask_b32_e32 v3, v3, v6, vcc
; %bb.1176:
	s_or_b64 exec, exec, s[12:13]
	v_lshrrev_b32_e32 v0, 24, v0
	s_movk_i32 s12, 0x80
	v_and_or_b32 v0, v0, s12, v3
	global_store_byte v[1:2], v0, off
.LBB154_1177:
	s_mov_b64 s[12:13], 0
.LBB154_1178:
	s_andn2_b64 vcc, exec, s[12:13]
	s_cbranch_vccnz .LBB154_1188
; %bb.1179:
	v_cvt_f32_f16_e32 v0, v4
	s_mov_b32 s12, 0x47800000
                                        ; implicit-def: $vgpr3
	v_and_b32_e32 v5, 0x7fffffff, v0
	v_cmp_gt_u32_e32 vcc, s12, v5
	s_and_saveexec_b64 s[12:13], vcc
	s_xor_b64 s[12:13], exec, s[12:13]
	s_cbranch_execz .LBB154_1185
; %bb.1180:
	s_mov_b32 s14, 0x387fffff
	v_cmp_lt_u32_e32 vcc, s14, v5
                                        ; implicit-def: $vgpr3
	s_and_saveexec_b64 s[14:15], vcc
	s_xor_b64 s[14:15], exec, s[14:15]
; %bb.1181:
	v_bfe_u32 v3, v0, 21, 1
	s_mov_b32 s16, 0x80fffff
	v_add3_u32 v3, v0, v3, s16
	v_lshrrev_b32_e32 v3, 21, v3
; %bb.1182:
	s_andn2_saveexec_b64 s[14:15], s[14:15]
; %bb.1183:
	s_mov_b32 s16, 0x43000000
	v_add_f32_e64 v3, |v0|, s16
; %bb.1184:
	s_or_b64 exec, exec, s[14:15]
                                        ; implicit-def: $vgpr5
.LBB154_1185:
	s_andn2_saveexec_b64 s[12:13], s[12:13]
; %bb.1186:
	s_mov_b32 s14, 0x7f800000
	v_mov_b32_e32 v3, 0x7c
	v_mov_b32_e32 v6, 0x7f
	v_cmp_lt_u32_e32 vcc, s14, v5
	v_cndmask_b32_e32 v3, v3, v6, vcc
; %bb.1187:
	s_or_b64 exec, exec, s[12:13]
	v_lshrrev_b32_e32 v0, 24, v0
	s_movk_i32 s12, 0x80
	v_and_or_b32 v0, v0, s12, v3
	global_store_byte v[1:2], v0, off
.LBB154_1188:
	s_mov_b64 s[12:13], 0
.LBB154_1189:
	s_andn2_b64 vcc, exec, s[12:13]
	s_mov_b64 s[12:13], 0
	s_cbranch_vccnz .LBB154_1197
; %bb.1190:
	s_cmp_gt_i32 s19, 14
	s_mov_b64 s[14:15], -1
	s_cbranch_scc0 .LBB154_1194
; %bb.1191:
	s_cmp_eq_u32 s19, 15
	s_mov_b64 s[0:1], -1
	s_cbranch_scc0 .LBB154_1193
; %bb.1192:
	v_cvt_f32_f16_e32 v0, v4
	s_movk_i32 s0, 0x7fff
	v_cmp_o_f16_e32 vcc, v4, v4
	v_mov_b32_e32 v3, 0x7fc0
	v_bfe_u32 v5, v0, 16, 1
	v_add3_u32 v0, v0, v5, s0
	v_cndmask_b32_sdwa v0, v3, v0, vcc dst_sel:DWORD dst_unused:UNUSED_PAD src0_sel:DWORD src1_sel:WORD_1
	global_store_short v[1:2], v0, off
	s_mov_b64 s[0:1], 0
.LBB154_1193:
	s_mov_b64 s[14:15], 0
.LBB154_1194:
	s_and_b64 vcc, exec, s[14:15]
	s_cbranch_vccz .LBB154_1197
; %bb.1195:
	s_cmp_lg_u32 s19, 11
	s_cselect_b64 s[14:15], -1, 0
	s_andn2_b64 s[0:1], s[0:1], exec
	s_and_b64 s[14:15], s[14:15], exec
	s_mov_b64 s[12:13], -1
	s_or_b64 s[0:1], s[0:1], s[14:15]
	s_branch .LBB154_1197
.LBB154_1196:
	s_mov_b64 s[12:13], 0
.LBB154_1197:
	s_andn2_b64 s[14:15], s[52:53], exec
	s_and_b64 s[0:1], s[0:1], exec
	s_and_b64 s[2:3], s[2:3], exec
	;; [unrolled: 1-line block ×3, first 2 shown]
	s_or_b64 s[52:53], s[14:15], s[0:1]
	s_or_b64 exec, exec, s[10:11]
	s_and_saveexec_b64 s[0:1], s[52:53]
	s_cbranch_execz .LBB154_1136
.LBB154_1198:
	s_or_b64 s[8:9], s[8:9], exec
	s_andn2_b64 s[12:13], s[12:13], exec
	s_trap 2
	s_or_b64 exec, exec, s[0:1]
	s_and_saveexec_b64 s[0:1], s[12:13]
	s_xor_b64 s[0:1], exec, s[0:1]
	s_cbranch_execnz .LBB154_1137
.LBB154_1199:
	s_or_b64 exec, exec, s[0:1]
	s_and_saveexec_b64 s[0:1], s[2:3]
	s_xor_b64 s[0:1], exec, s[0:1]
	s_cbranch_execz .LBB154_1237
.LBB154_1200:
	s_sext_i32_i16 s10, s18
	s_cmp_lt_i32 s10, 5
	s_mov_b64 s[2:3], -1
	s_cbranch_scc1 .LBB154_1221
; %bb.1201:
	s_cmp_lt_i32 s10, 8
	s_cbranch_scc1 .LBB154_1211
; %bb.1202:
	s_cmp_lt_i32 s10, 9
	s_cbranch_scc1 .LBB154_1208
; %bb.1203:
	s_cmp_gt_i32 s10, 9
	s_cbranch_scc0 .LBB154_1205
; %bb.1204:
	v_cvt_f32_f16_e32 v0, v4
	v_mov_b32_e32 v7, 0
	v_mov_b32_e32 v8, v7
	s_mov_b64 s[2:3], 0
	v_cvt_f64_f32_e32 v[5:6], v0
	global_store_dwordx4 v[1:2], v[5:8], off
.LBB154_1205:
	s_andn2_b64 vcc, exec, s[2:3]
	s_cbranch_vccnz .LBB154_1207
; %bb.1206:
	v_cvt_f32_f16_e32 v5, v4
	v_mov_b32_e32 v6, 0
	global_store_dwordx2 v[1:2], v[5:6], off
.LBB154_1207:
	s_mov_b64 s[2:3], 0
.LBB154_1208:
	s_andn2_b64 vcc, exec, s[2:3]
	s_cbranch_vccnz .LBB154_1210
; %bb.1209:
	v_and_b32_e32 v0, 0xffff, v4
	global_store_dword v[1:2], v0, off
.LBB154_1210:
	s_mov_b64 s[2:3], 0
.LBB154_1211:
	s_andn2_b64 vcc, exec, s[2:3]
	s_cbranch_vccnz .LBB154_1220
; %bb.1212:
	s_sext_i32_i16 s10, s18
	s_cmp_lt_i32 s10, 6
	s_mov_b64 s[2:3], -1
	s_cbranch_scc1 .LBB154_1218
; %bb.1213:
	s_cmp_gt_i32 s10, 6
	s_cbranch_scc0 .LBB154_1215
; %bb.1214:
	v_cvt_f32_f16_e32 v0, v4
	s_mov_b64 s[2:3], 0
	v_cvt_f64_f32_e32 v[5:6], v0
	global_store_dwordx2 v[1:2], v[5:6], off
.LBB154_1215:
	s_andn2_b64 vcc, exec, s[2:3]
	s_cbranch_vccnz .LBB154_1217
; %bb.1216:
	v_cvt_f32_f16_e32 v0, v4
	global_store_dword v[1:2], v0, off
.LBB154_1217:
	s_mov_b64 s[2:3], 0
.LBB154_1218:
	s_andn2_b64 vcc, exec, s[2:3]
	s_cbranch_vccnz .LBB154_1220
; %bb.1219:
	global_store_short v[1:2], v4, off
.LBB154_1220:
	s_mov_b64 s[2:3], 0
.LBB154_1221:
	s_andn2_b64 vcc, exec, s[2:3]
	s_cbranch_vccnz .LBB154_1237
; %bb.1222:
	s_sext_i32_i16 s10, s18
	s_cmp_lt_i32 s10, 2
	s_mov_b64 s[2:3], -1
	s_cbranch_scc1 .LBB154_1232
; %bb.1223:
	s_cmp_lt_i32 s10, 3
	s_cbranch_scc1 .LBB154_1229
; %bb.1224:
	s_cmp_gt_i32 s10, 3
	s_cbranch_scc0 .LBB154_1226
; %bb.1225:
	v_cvt_f32_f16_e32 v0, v4
	s_mov_b64 s[2:3], 0
	v_cvt_i32_f32_e32 v5, v0
	v_ashrrev_i32_e32 v6, 31, v5
	global_store_dwordx2 v[1:2], v[5:6], off
.LBB154_1226:
	s_andn2_b64 vcc, exec, s[2:3]
	s_cbranch_vccnz .LBB154_1228
; %bb.1227:
	v_cvt_f32_f16_e32 v0, v4
	v_cvt_i32_f32_e32 v0, v0
	global_store_dword v[1:2], v0, off
.LBB154_1228:
	s_mov_b64 s[2:3], 0
.LBB154_1229:
	s_andn2_b64 vcc, exec, s[2:3]
	s_cbranch_vccnz .LBB154_1231
; %bb.1230:
	v_cvt_i16_f16_e32 v0, v4
	global_store_short v[1:2], v0, off
.LBB154_1231:
	s_mov_b64 s[2:3], 0
.LBB154_1232:
	s_andn2_b64 vcc, exec, s[2:3]
	s_cbranch_vccnz .LBB154_1237
; %bb.1233:
	s_sext_i32_i16 s2, s18
	s_cmp_gt_i32 s2, 0
	s_mov_b64 s[2:3], -1
	s_cbranch_scc0 .LBB154_1235
; %bb.1234:
	v_cvt_i16_f16_e32 v0, v4
	s_mov_b64 s[2:3], 0
	global_store_byte v[1:2], v0, off
.LBB154_1235:
	s_andn2_b64 vcc, exec, s[2:3]
	s_cbranch_vccnz .LBB154_1237
; %bb.1236:
	v_cvt_f32_f16_e32 v0, v4
	v_cvt_i32_f32_e32 v0, v0
	global_store_byte v[1:2], v0, off
.LBB154_1237:
	s_or_b64 exec, exec, s[0:1]
	s_waitcnt lgkmcnt(0)
	s_and_b64 s[28:29], s[8:9], exec
                                        ; implicit-def: $vgpr15
                                        ; implicit-def: $vgpr8
.LBB154_1238:
	s_or_saveexec_b64 s[30:31], s[42:43]
	s_mov_b64 s[0:1], 0
                                        ; implicit-def: $vgpr0_vgpr1
                                        ; implicit-def: $sgpr18
                                        ; implicit-def: $vgpr2
	s_xor_b64 exec, exec, s[30:31]
	s_cbranch_execz .LBB154_2394
; %bb.1239:
	v_cndmask_b32_e64 v0, 0, 1, s[40:41]
	v_cmp_ne_u32_e64 s[0:1], 1, v0
	s_andn2_b64 vcc, exec, s[40:41]
	s_cbranch_vccnz .LBB154_1245
; %bb.1240:
	s_cmp_lg_u32 s33, 0
	s_mov_b32 s36, 0
	s_cbranch_scc0 .LBB154_1246
; %bb.1241:
	s_min_u32 s37, s72, 15
	s_add_i32 s37, s37, 1
	s_cmp_eq_u32 s72, 2
	s_cbranch_scc1 .LBB154_1247
; %bb.1242:
	s_and_b32 s36, s37, 28
	s_add_u32 s2, s34, 0xc4
	s_addc_u32 s3, s35, 0
	v_mov_b32_e32 v13, 0
	s_mov_b32 s38, 0
	s_mov_b64 s[6:7], s[34:35]
	v_mov_b32_e32 v6, 0
	v_mov_b32_e32 v0, v8
.LBB154_1243:                           ; =>This Inner Loop Header: Depth=1
	s_load_dwordx8 s[16:23], s[6:7], 0x4
	s_load_dwordx4 s[24:27], s[6:7], 0x24
	s_load_dwordx8 s[8:15], s[2:3], 0x0
	s_add_u32 s6, s6, 48
	s_addc_u32 s7, s7, 0
	s_waitcnt lgkmcnt(0)
	v_mul_hi_u32 v1, s17, v0
	s_add_i32 s38, s38, 4
	s_add_u32 s2, s2, 32
	s_addc_u32 s3, s3, 0
	v_add_u32_e32 v1, v0, v1
	v_lshrrev_b32_e32 v1, s18, v1
	v_mul_lo_u32 v2, v1, s16
	s_waitcnt vmcnt(0)
	v_mul_hi_u32 v3, s20, v1
	s_cmp_lg_u32 s36, s38
	v_sub_u32_e32 v0, v0, v2
	v_add_u32_e32 v2, v1, v3
	v_mul_lo_u32 v3, v0, s8
	v_mul_lo_u32 v4, v0, s9
	v_lshrrev_b32_e32 v0, s21, v2
	v_mul_lo_u32 v2, v0, s19
	v_mul_hi_u32 v5, s23, v0
	v_sub_u32_e32 v1, v1, v2
	v_add_u32_e32 v2, v0, v5
	v_lshrrev_b32_e32 v2, s24, v2
	v_mul_hi_u32 v7, s26, v2
	v_mul_lo_u32 v9, v2, s22
	v_mul_lo_u32 v5, v1, s10
	;; [unrolled: 1-line block ×3, first 2 shown]
	v_sub_u32_e32 v9, v0, v9
	v_add_u32_e32 v0, v2, v7
	v_lshrrev_b32_e32 v0, s27, v0
	v_mul_lo_u32 v7, v0, s25
	v_mul_lo_u32 v10, v9, s12
	;; [unrolled: 1-line block ×3, first 2 shown]
	v_add3_u32 v3, v3, v6, v5
	v_sub_u32_e32 v2, v2, v7
	v_mul_lo_u32 v7, v2, s14
	v_mul_lo_u32 v2, v2, s15
	v_add3_u32 v1, v4, v13, v1
	v_add3_u32 v6, v10, v3, v7
	;; [unrolled: 1-line block ×3, first 2 shown]
	s_cbranch_scc1 .LBB154_1243
; %bb.1244:
	s_and_b32 s8, s37, 3
	s_cmp_eq_u32 s8, 0
	s_cbranch_scc0 .LBB154_1248
	s_branch .LBB154_1250
.LBB154_1245:
                                        ; implicit-def: $vgpr6
                                        ; implicit-def: $vgpr13
	s_branch .LBB154_1251
.LBB154_1246:
	v_mov_b32_e32 v6, 0
	v_mov_b32_e32 v13, 0
	s_branch .LBB154_1250
.LBB154_1247:
	v_mov_b32_e32 v6, 0
	v_mov_b32_e32 v13, 0
	;; [unrolled: 1-line block ×3, first 2 shown]
	s_and_b32 s8, s37, 3
	s_cmp_eq_u32 s8, 0
	s_cbranch_scc1 .LBB154_1250
.LBB154_1248:
	s_lshl_b32 s2, s36, 3
	s_add_u32 s2, s34, s2
	s_addc_u32 s3, s35, 0
	s_add_u32 s2, s2, 0xc4
	s_addc_u32 s3, s3, 0
	s_mul_i32 s6, s36, 12
	s_add_u32 s6, s34, s6
	s_addc_u32 s7, s35, 0
.LBB154_1249:                           ; =>This Inner Loop Header: Depth=1
	s_load_dwordx2 s[10:11], s[6:7], 0x4
	s_load_dword s9, s[6:7], 0xc
	s_load_dwordx2 s[12:13], s[2:3], 0x0
	s_add_u32 s6, s6, 12
	s_addc_u32 s7, s7, 0
	s_waitcnt lgkmcnt(0)
	v_mul_hi_u32 v1, s11, v0
	s_add_u32 s2, s2, 8
	s_addc_u32 s3, s3, 0
	s_add_i32 s8, s8, -1
	v_add_u32_e32 v1, v0, v1
	v_lshrrev_b32_e32 v1, s9, v1
	v_mul_lo_u32 v2, v1, s10
	s_cmp_lg_u32 s8, 0
	v_sub_u32_e32 v0, v0, v2
	v_mad_u64_u32 v[6:7], s[10:11], v0, s12, v[6:7]
	v_mad_u64_u32 v[13:14], s[10:11], v0, s13, v[13:14]
	v_mov_b32_e32 v0, v1
	s_cbranch_scc1 .LBB154_1249
.LBB154_1250:
	s_cbranch_execnz .LBB154_1253
.LBB154_1251:
	s_load_dwordx4 s[8:11], s[34:35], 0x4
	s_load_dwordx2 s[2:3], s[34:35], 0xc4
	s_cmp_lt_u32 s33, 2
	s_waitcnt lgkmcnt(0)
	v_mul_hi_u32 v0, s9, v8
	v_add_u32_e32 v0, v8, v0
	v_lshrrev_b32_e32 v0, s10, v0
	v_mul_lo_u32 v1, v0, s8
	v_sub_u32_e32 v1, v8, v1
	v_mul_lo_u32 v6, v1, s2
	v_mul_lo_u32 v13, v1, s3
	s_cbranch_scc1 .LBB154_1253
; %bb.1252:
	s_load_dwordx4 s[8:11], s[34:35], 0x10
	s_load_dwordx2 s[2:3], s[34:35], 0xcc
	s_waitcnt lgkmcnt(0)
	v_mul_hi_u32 v1, s9, v0
	v_add_u32_e32 v1, v0, v1
	v_lshrrev_b32_e32 v1, s10, v1
	v_mul_lo_u32 v1, v1, s8
	v_sub_u32_e32 v0, v0, v1
	v_mad_u64_u32 v[6:7], s[6:7], v0, s2, v[6:7]
	v_mad_u64_u32 v[13:14], s[2:3], v0, s3, v[13:14]
.LBB154_1253:
	s_and_b64 vcc, exec, s[0:1]
	v_add_u32_e32 v0, 0x80, v8
	s_cbranch_vccnz .LBB154_1259
; %bb.1254:
	s_cmp_lg_u32 s33, 0
	s_mov_b32 s36, 0
	s_cbranch_scc0 .LBB154_1260
; %bb.1255:
	s_min_u32 s37, s72, 15
	s_add_i32 s37, s37, 1
	s_cmp_eq_u32 s72, 2
	s_cbranch_scc1 .LBB154_1261
; %bb.1256:
	s_and_b32 s36, s37, 28
	s_add_u32 s2, s34, 0xc4
	s_addc_u32 s3, s35, 0
	v_mov_b32_e32 v11, 0
	s_mov_b32 s38, 0
	s_mov_b64 s[6:7], s[34:35]
	v_mov_b32_e32 v4, 0
	v_mov_b32_e32 v1, v0
.LBB154_1257:                           ; =>This Inner Loop Header: Depth=1
	s_load_dwordx8 s[16:23], s[6:7], 0x4
	s_load_dwordx4 s[24:27], s[6:7], 0x24
	s_load_dwordx8 s[8:15], s[2:3], 0x0
	s_add_u32 s6, s6, 48
	s_addc_u32 s7, s7, 0
	s_waitcnt lgkmcnt(0)
	v_mul_hi_u32 v2, s17, v1
	s_add_i32 s38, s38, 4
	s_add_u32 s2, s2, 32
	s_addc_u32 s3, s3, 0
	v_add_u32_e32 v2, v1, v2
	v_lshrrev_b32_e32 v2, s18, v2
	s_waitcnt vmcnt(0)
	v_mul_lo_u32 v3, v2, s16
	v_mul_hi_u32 v5, s20, v2
	s_cmp_lg_u32 s36, s38
	v_sub_u32_e32 v1, v1, v3
	v_add_u32_e32 v3, v2, v5
	v_mul_lo_u32 v5, v1, s8
	v_mul_lo_u32 v7, v1, s9
	v_lshrrev_b32_e32 v1, s21, v3
	v_mul_lo_u32 v3, v1, s19
	v_mul_hi_u32 v9, s23, v1
	v_sub_u32_e32 v2, v2, v3
	v_add_u32_e32 v3, v1, v9
	v_lshrrev_b32_e32 v3, s24, v3
	v_mul_hi_u32 v10, s26, v3
	v_mul_lo_u32 v12, v3, s22
	v_mul_lo_u32 v9, v2, s10
	;; [unrolled: 1-line block ×3, first 2 shown]
	v_sub_u32_e32 v12, v1, v12
	v_add_u32_e32 v1, v3, v10
	v_lshrrev_b32_e32 v1, s27, v1
	v_mul_lo_u32 v10, v1, s25
	v_mul_lo_u32 v14, v12, s12
	;; [unrolled: 1-line block ×3, first 2 shown]
	v_add3_u32 v4, v5, v4, v9
	v_sub_u32_e32 v3, v3, v10
	v_mul_lo_u32 v10, v3, s14
	v_mul_lo_u32 v3, v3, s15
	v_add3_u32 v2, v7, v11, v2
	v_add3_u32 v4, v14, v4, v10
	;; [unrolled: 1-line block ×3, first 2 shown]
	s_cbranch_scc1 .LBB154_1257
; %bb.1258:
	s_and_b32 s8, s37, 3
	s_cmp_eq_u32 s8, 0
	s_cbranch_scc0 .LBB154_1262
	s_branch .LBB154_1264
.LBB154_1259:
                                        ; implicit-def: $vgpr4
                                        ; implicit-def: $vgpr11
	s_branch .LBB154_1265
.LBB154_1260:
	v_mov_b32_e32 v4, 0
	v_mov_b32_e32 v11, 0
	s_branch .LBB154_1264
.LBB154_1261:
	v_mov_b32_e32 v4, 0
	v_mov_b32_e32 v11, 0
	;; [unrolled: 1-line block ×3, first 2 shown]
	s_and_b32 s8, s37, 3
	s_cmp_eq_u32 s8, 0
	s_cbranch_scc1 .LBB154_1264
.LBB154_1262:
	s_lshl_b32 s2, s36, 3
	s_add_u32 s2, s34, s2
	s_addc_u32 s3, s35, 0
	s_add_u32 s2, s2, 0xc4
	s_addc_u32 s3, s3, 0
	s_mul_i32 s6, s36, 12
	s_add_u32 s6, s34, s6
	s_addc_u32 s7, s35, 0
.LBB154_1263:                           ; =>This Inner Loop Header: Depth=1
	s_load_dwordx2 s[10:11], s[6:7], 0x4
	s_load_dword s9, s[6:7], 0xc
	s_load_dwordx2 s[12:13], s[2:3], 0x0
	s_add_u32 s6, s6, 12
	s_addc_u32 s7, s7, 0
	s_waitcnt lgkmcnt(0)
	v_mul_hi_u32 v2, s11, v1
	s_add_u32 s2, s2, 8
	s_addc_u32 s3, s3, 0
	s_add_i32 s8, s8, -1
	v_add_u32_e32 v2, v1, v2
	v_lshrrev_b32_e32 v2, s9, v2
	s_waitcnt vmcnt(0)
	v_mul_lo_u32 v3, v2, s10
	s_cmp_lg_u32 s8, 0
	v_sub_u32_e32 v1, v1, v3
	v_mad_u64_u32 v[4:5], s[10:11], v1, s12, v[4:5]
	v_mad_u64_u32 v[11:12], s[10:11], v1, s13, v[11:12]
	v_mov_b32_e32 v1, v2
	s_cbranch_scc1 .LBB154_1263
.LBB154_1264:
	s_cbranch_execnz .LBB154_1267
.LBB154_1265:
	s_load_dwordx4 s[8:11], s[34:35], 0x4
	s_load_dwordx2 s[2:3], s[34:35], 0xc4
	s_cmp_lt_u32 s33, 2
	s_waitcnt lgkmcnt(0)
	v_mul_hi_u32 v1, s9, v0
	v_add_u32_e32 v1, v0, v1
	v_lshrrev_b32_e32 v1, s10, v1
	v_mul_lo_u32 v2, v1, s8
	v_sub_u32_e32 v0, v0, v2
	v_mul_lo_u32 v4, v0, s2
	v_mul_lo_u32 v11, v0, s3
	s_cbranch_scc1 .LBB154_1267
; %bb.1266:
	s_load_dwordx4 s[8:11], s[34:35], 0x10
	s_load_dwordx2 s[2:3], s[34:35], 0xcc
	s_waitcnt lgkmcnt(0)
	v_mul_hi_u32 v0, s9, v1
	v_add_u32_e32 v0, v1, v0
	v_lshrrev_b32_e32 v0, s10, v0
	v_mul_lo_u32 v0, v0, s8
	v_sub_u32_e32 v0, v1, v0
	v_mad_u64_u32 v[4:5], s[6:7], v0, s2, v[4:5]
	v_mad_u64_u32 v[11:12], s[2:3], v0, s3, v[11:12]
.LBB154_1267:
	s_and_b64 vcc, exec, s[0:1]
	v_add_u32_e32 v0, 0x100, v8
	s_cbranch_vccnz .LBB154_1273
; %bb.1268:
	s_cmp_lg_u32 s33, 0
	s_mov_b32 s36, 0
	s_cbranch_scc0 .LBB154_1274
; %bb.1269:
	s_min_u32 s37, s72, 15
	s_add_i32 s37, s37, 1
	s_cmp_eq_u32 s72, 2
	s_cbranch_scc1 .LBB154_1275
; %bb.1270:
	s_and_b32 s36, s37, 28
	s_add_u32 s2, s34, 0xc4
	s_addc_u32 s3, s35, 0
	v_mov_b32_e32 v9, 0
	s_mov_b32 s38, 0
	s_mov_b64 s[6:7], s[34:35]
	v_mov_b32_e32 v2, 0
	v_mov_b32_e32 v1, v0
.LBB154_1271:                           ; =>This Inner Loop Header: Depth=1
	s_load_dwordx8 s[16:23], s[6:7], 0x4
	s_load_dwordx4 s[24:27], s[6:7], 0x24
	s_load_dwordx8 s[8:15], s[2:3], 0x0
	s_add_u32 s6, s6, 48
	s_addc_u32 s7, s7, 0
	s_waitcnt vmcnt(0) lgkmcnt(0)
	v_mul_hi_u32 v3, s17, v1
	s_add_i32 s38, s38, 4
	s_add_u32 s2, s2, 32
	s_addc_u32 s3, s3, 0
	v_add_u32_e32 v3, v1, v3
	v_lshrrev_b32_e32 v3, s18, v3
	v_mul_lo_u32 v5, v3, s16
	v_mul_hi_u32 v7, s20, v3
	s_cmp_lg_u32 s36, s38
	v_sub_u32_e32 v1, v1, v5
	v_add_u32_e32 v5, v3, v7
	v_mul_lo_u32 v7, v1, s8
	v_mul_lo_u32 v8, v1, s9
	v_lshrrev_b32_e32 v1, s21, v5
	v_mul_lo_u32 v5, v1, s19
	v_mul_hi_u32 v10, s23, v1
	v_sub_u32_e32 v3, v3, v5
	v_add_u32_e32 v5, v1, v10
	v_lshrrev_b32_e32 v5, s24, v5
	v_mul_hi_u32 v12, s26, v5
	v_mul_lo_u32 v14, v5, s22
	v_mul_lo_u32 v10, v3, s10
	;; [unrolled: 1-line block ×3, first 2 shown]
	v_sub_u32_e32 v14, v1, v14
	v_add_u32_e32 v1, v5, v12
	v_lshrrev_b32_e32 v1, s27, v1
	v_mul_lo_u32 v12, v1, s25
	v_mul_lo_u32 v16, v14, s12
	;; [unrolled: 1-line block ×3, first 2 shown]
	v_add3_u32 v2, v7, v2, v10
	v_sub_u32_e32 v5, v5, v12
	v_mul_lo_u32 v12, v5, s14
	v_mul_lo_u32 v5, v5, s15
	v_add3_u32 v3, v8, v9, v3
	v_add3_u32 v2, v16, v2, v12
	;; [unrolled: 1-line block ×3, first 2 shown]
	s_cbranch_scc1 .LBB154_1271
; %bb.1272:
	s_and_b32 s8, s37, 3
	s_cmp_eq_u32 s8, 0
	s_cbranch_scc0 .LBB154_1276
	s_branch .LBB154_1278
.LBB154_1273:
                                        ; implicit-def: $vgpr2
                                        ; implicit-def: $vgpr9
	s_branch .LBB154_1279
.LBB154_1274:
	v_mov_b32_e32 v2, 0
	v_mov_b32_e32 v9, 0
	s_branch .LBB154_1278
.LBB154_1275:
	v_mov_b32_e32 v2, 0
	v_mov_b32_e32 v9, 0
	;; [unrolled: 1-line block ×3, first 2 shown]
	s_and_b32 s8, s37, 3
	s_cmp_eq_u32 s8, 0
	s_cbranch_scc1 .LBB154_1278
.LBB154_1276:
	s_lshl_b32 s2, s36, 3
	s_add_u32 s2, s34, s2
	s_addc_u32 s3, s35, 0
	s_add_u32 s2, s2, 0xc4
	s_addc_u32 s3, s3, 0
	s_mul_i32 s6, s36, 12
	s_add_u32 s6, s34, s6
	s_addc_u32 s7, s35, 0
.LBB154_1277:                           ; =>This Inner Loop Header: Depth=1
	s_load_dwordx2 s[10:11], s[6:7], 0x4
	s_load_dword s9, s[6:7], 0xc
	s_load_dwordx2 s[12:13], s[2:3], 0x0
	s_add_u32 s6, s6, 12
	s_addc_u32 s7, s7, 0
	s_waitcnt vmcnt(0) lgkmcnt(0)
	v_mul_hi_u32 v3, s11, v1
	s_add_u32 s2, s2, 8
	s_addc_u32 s3, s3, 0
	s_add_i32 s8, s8, -1
	v_add_u32_e32 v3, v1, v3
	v_lshrrev_b32_e32 v5, s9, v3
	v_mul_lo_u32 v3, v5, s10
	s_cmp_lg_u32 s8, 0
	v_sub_u32_e32 v1, v1, v3
	v_mad_u64_u32 v[2:3], s[10:11], v1, s12, v[2:3]
	v_mad_u64_u32 v[9:10], s[10:11], v1, s13, v[9:10]
	v_mov_b32_e32 v1, v5
	s_cbranch_scc1 .LBB154_1277
.LBB154_1278:
	s_cbranch_execnz .LBB154_1281
.LBB154_1279:
	s_load_dwordx4 s[8:11], s[34:35], 0x4
	s_load_dwordx2 s[2:3], s[34:35], 0xc4
	s_cmp_lt_u32 s33, 2
	s_waitcnt lgkmcnt(0)
	v_mul_hi_u32 v1, s9, v0
	v_add_u32_e32 v1, v0, v1
	v_lshrrev_b32_e32 v1, s10, v1
	v_mul_lo_u32 v2, v1, s8
	v_sub_u32_e32 v0, v0, v2
	v_mul_lo_u32 v2, v0, s2
	v_mul_lo_u32 v9, v0, s3
	s_cbranch_scc1 .LBB154_1281
; %bb.1280:
	s_load_dwordx4 s[8:11], s[34:35], 0x10
	s_load_dwordx2 s[2:3], s[34:35], 0xcc
	s_waitcnt lgkmcnt(0)
	v_mul_hi_u32 v0, s9, v1
	v_add_u32_e32 v0, v1, v0
	v_lshrrev_b32_e32 v0, s10, v0
	v_mul_lo_u32 v0, v0, s8
	v_sub_u32_e32 v0, v1, v0
	s_waitcnt vmcnt(0)
	v_mad_u64_u32 v[2:3], s[6:7], v0, s2, v[2:3]
	v_mad_u64_u32 v[9:10], s[2:3], v0, s3, v[9:10]
.LBB154_1281:
	s_and_b64 vcc, exec, s[0:1]
	s_cbranch_vccnz .LBB154_1287
; %bb.1282:
	s_cmp_lg_u32 s33, 0
	s_mov_b32 s26, 0
	s_cbranch_scc0 .LBB154_1288
; %bb.1283:
	s_min_u32 s27, s72, 15
	s_add_i32 s27, s27, 1
	s_cmp_eq_u32 s72, 2
	s_cbranch_scc1 .LBB154_1289
; %bb.1284:
	s_and_b32 s26, s27, 28
	s_add_u32 s6, s34, 0xc4
	s_addc_u32 s7, s35, 0
	v_mov_b32_e32 v7, 0
	s_mov_b32 s36, 0
	s_mov_b64 s[24:25], s[34:35]
	v_mov_b32_e32 v0, 0
	v_mov_b32_e32 v1, v15
.LBB154_1285:                           ; =>This Inner Loop Header: Depth=1
	s_load_dwordx8 s[16:23], s[24:25], 0x4
	s_load_dwordx4 s[0:3], s[24:25], 0x24
	s_load_dwordx8 s[8:15], s[6:7], 0x0
	s_add_u32 s24, s24, 48
	s_addc_u32 s25, s25, 0
	s_waitcnt vmcnt(0) lgkmcnt(0)
	v_mul_hi_u32 v3, s17, v1
	s_add_i32 s36, s36, 4
	s_add_u32 s6, s6, 32
	s_addc_u32 s7, s7, 0
	v_add_u32_e32 v3, v1, v3
	v_lshrrev_b32_e32 v3, s18, v3
	v_mul_lo_u32 v5, v3, s16
	v_mul_hi_u32 v8, s20, v3
	s_cmp_lg_u32 s26, s36
	v_sub_u32_e32 v1, v1, v5
	v_add_u32_e32 v5, v3, v8
	v_mul_lo_u32 v8, v1, s8
	v_mul_lo_u32 v10, v1, s9
	v_lshrrev_b32_e32 v1, s21, v5
	v_mul_lo_u32 v5, v1, s19
	v_mul_hi_u32 v12, s23, v1
	v_sub_u32_e32 v3, v3, v5
	v_add_u32_e32 v5, v1, v12
	v_lshrrev_b32_e32 v5, s0, v5
	v_mul_hi_u32 v14, s2, v5
	v_mul_lo_u32 v16, v5, s22
	v_mul_lo_u32 v12, v3, s10
	;; [unrolled: 1-line block ×3, first 2 shown]
	v_sub_u32_e32 v16, v1, v16
	v_add_u32_e32 v1, v5, v14
	v_lshrrev_b32_e32 v1, s3, v1
	v_mul_lo_u32 v14, v1, s1
	v_mul_lo_u32 v17, v16, s12
	v_mul_lo_u32 v16, v16, s13
	v_add3_u32 v0, v8, v0, v12
	v_sub_u32_e32 v5, v5, v14
	v_mul_lo_u32 v14, v5, s14
	v_mul_lo_u32 v5, v5, s15
	v_add3_u32 v3, v10, v7, v3
	v_add3_u32 v0, v17, v0, v14
	;; [unrolled: 1-line block ×3, first 2 shown]
	s_cbranch_scc1 .LBB154_1285
; %bb.1286:
	s_and_b32 s6, s27, 3
	s_cmp_eq_u32 s6, 0
	s_cbranch_scc0 .LBB154_1290
	s_branch .LBB154_1292
.LBB154_1287:
                                        ; implicit-def: $vgpr0
                                        ; implicit-def: $vgpr7
	s_branch .LBB154_1293
.LBB154_1288:
	v_mov_b32_e32 v0, 0
	v_mov_b32_e32 v7, 0
	s_branch .LBB154_1292
.LBB154_1289:
	v_mov_b32_e32 v0, 0
	v_mov_b32_e32 v7, 0
	;; [unrolled: 1-line block ×3, first 2 shown]
	s_and_b32 s6, s27, 3
	s_cmp_eq_u32 s6, 0
	s_cbranch_scc1 .LBB154_1292
.LBB154_1290:
	s_lshl_b32 s0, s26, 3
	s_add_u32 s0, s34, s0
	s_addc_u32 s1, s35, 0
	s_add_u32 s0, s0, 0xc4
	s_addc_u32 s1, s1, 0
	s_mul_i32 s2, s26, 12
	s_add_u32 s2, s34, s2
	s_addc_u32 s3, s35, 0
.LBB154_1291:                           ; =>This Inner Loop Header: Depth=1
	s_load_dwordx2 s[8:9], s[2:3], 0x4
	s_load_dword s7, s[2:3], 0xc
	s_load_dwordx2 s[10:11], s[0:1], 0x0
	s_add_u32 s2, s2, 12
	s_addc_u32 s3, s3, 0
	s_waitcnt vmcnt(0) lgkmcnt(0)
	v_mul_hi_u32 v3, s9, v1
	s_add_u32 s0, s0, 8
	s_addc_u32 s1, s1, 0
	s_add_i32 s6, s6, -1
	v_add_u32_e32 v3, v1, v3
	v_lshrrev_b32_e32 v3, s7, v3
	v_mul_lo_u32 v5, v3, s8
	s_cmp_lg_u32 s6, 0
	v_sub_u32_e32 v5, v1, v5
	v_mad_u64_u32 v[0:1], s[8:9], v5, s10, v[0:1]
	v_mad_u64_u32 v[7:8], s[8:9], v5, s11, v[7:8]
	v_mov_b32_e32 v1, v3
	s_cbranch_scc1 .LBB154_1291
.LBB154_1292:
	s_cbranch_execnz .LBB154_1295
.LBB154_1293:
	s_load_dwordx4 s[0:3], s[34:35], 0x4
	s_load_dwordx2 s[6:7], s[34:35], 0xc4
	s_cmp_lt_u32 s33, 2
	s_waitcnt lgkmcnt(0)
	v_mul_hi_u32 v0, s1, v15
	v_add_u32_e32 v0, v15, v0
	v_lshrrev_b32_e32 v1, s2, v0
	v_mul_lo_u32 v0, v1, s0
	s_waitcnt vmcnt(0)
	v_sub_u32_e32 v3, v15, v0
	v_mul_lo_u32 v0, v3, s6
	v_mul_lo_u32 v7, v3, s7
	s_cbranch_scc1 .LBB154_1295
; %bb.1294:
	s_load_dwordx4 s[0:3], s[34:35], 0x10
	s_load_dwordx2 s[6:7], s[34:35], 0xcc
	s_waitcnt lgkmcnt(0)
	v_mul_hi_u32 v3, s1, v1
	v_add_u32_e32 v3, v1, v3
	v_lshrrev_b32_e32 v3, s2, v3
	v_mul_lo_u32 v3, v3, s0
	v_sub_u32_e32 v3, v1, v3
	v_mad_u64_u32 v[0:1], s[0:1], v3, s6, v[0:1]
	v_mad_u64_u32 v[7:8], s[0:1], v3, s7, v[7:8]
.LBB154_1295:
	s_load_dwordx4 s[12:15], s[34:35], 0x148
	s_load_dword s20, s[4:5], 0x160
	s_waitcnt lgkmcnt(0)
	v_mov_b32_e32 v1, s15
	s_bfe_u32 s16, s20, 0x80010
	v_add_co_u32_e32 v12, vcc, s14, v13
	s_cmp_lt_i32 s16, 11
	v_addc_co_u32_e32 v13, vcc, 0, v1, vcc
	s_cbranch_scc1 .LBB154_1302
; %bb.1296:
	s_and_b32 s10, 0xffff, s16
	s_cmp_gt_i32 s10, 25
	s_mov_b64 s[2:3], 0
	s_cbranch_scc0 .LBB154_1304
; %bb.1297:
	s_cmp_gt_i32 s10, 28
	s_cbranch_scc0 .LBB154_1305
; %bb.1298:
	s_cmp_gt_i32 s10, 43
	;; [unrolled: 3-line block ×3, first 2 shown]
	s_cbranch_scc0 .LBB154_1307
; %bb.1300:
	s_cmp_eq_u32 s10, 46
	s_mov_b64 s[6:7], 0
	s_cbranch_scc0 .LBB154_1310
; %bb.1301:
	global_load_dword v1, v[12:13], off
	s_mov_b64 s[0:1], 0
	s_mov_b64 s[4:5], -1
	s_waitcnt vmcnt(0)
	v_lshlrev_b32_e32 v1, 16, v1
	v_cvt_f16_f32_e32 v1, v1
	s_branch .LBB154_1311
.LBB154_1302:
	s_mov_b64 s[4:5], 0
                                        ; implicit-def: $vgpr1
	s_mov_b64 s[10:11], s[28:29]
	s_cbranch_execnz .LBB154_1374
.LBB154_1303:
	s_andn2_b64 vcc, exec, s[4:5]
	s_cbranch_vccz .LBB154_1419
	s_branch .LBB154_2392
.LBB154_1304:
	s_mov_b64 s[4:5], 0
	s_mov_b64 s[0:1], 0
                                        ; implicit-def: $vgpr1
	s_cbranch_execnz .LBB154_1339
	s_branch .LBB154_1370
.LBB154_1305:
	s_mov_b64 s[6:7], -1
	s_mov_b64 s[4:5], 0
	s_mov_b64 s[0:1], 0
                                        ; implicit-def: $vgpr1
	s_branch .LBB154_1320
.LBB154_1306:
	s_mov_b64 s[4:5], 0
	s_mov_b64 s[0:1], 0
                                        ; implicit-def: $vgpr1
	s_cbranch_execnz .LBB154_1316
	s_branch .LBB154_1319
.LBB154_1307:
	s_mov_b64 s[6:7], -1
	s_mov_b64 s[4:5], 0
	s_mov_b64 s[0:1], 0
                                        ; implicit-def: $vgpr1
	s_branch .LBB154_1311
.LBB154_1308:
	s_andn2_saveexec_b64 s[14:15], s[14:15]
	s_cbranch_execz .LBB154_1151
.LBB154_1309:
	s_mov_b32 s16, 0x46000000
	v_add_f32_e64 v3, |v0|, s16
	v_and_b32_e32 v3, 0xff, v3
	v_cmp_ne_u32_e32 vcc, 0, v3
	s_andn2_b64 s[12:13], s[12:13], exec
	s_and_b64 s[16:17], vcc, exec
	s_or_b64 s[12:13], s[12:13], s[16:17]
	s_or_b64 exec, exec, s[14:15]
	v_mov_b32_e32 v5, 0
	s_and_saveexec_b64 s[14:15], s[12:13]
	s_cbranch_execnz .LBB154_1152
	s_branch .LBB154_1153
.LBB154_1310:
	s_mov_b64 s[0:1], -1
                                        ; implicit-def: $vgpr1
	s_mov_b64 s[4:5], 0
.LBB154_1311:
	s_and_b64 vcc, exec, s[6:7]
	s_cbranch_vccz .LBB154_1314
; %bb.1312:
	s_cmp_eq_u32 s10, 44
	s_cbranch_scc0 .LBB154_1315
; %bb.1313:
	global_load_ubyte v1, v[12:13], off
	s_movk_i32 s4, 0xff
	v_mov_b32_e32 v5, 0x7e00
	s_mov_b64 s[0:1], 0
	s_waitcnt vmcnt(0)
	v_lshlrev_b32_e32 v3, 23, v1
	v_cvt_f16_f32_e32 v3, v3
	v_cmp_ne_u32_e32 vcc, s4, v1
	s_mov_b64 s[4:5], -1
	v_cndmask_b32_e32 v3, v5, v3, vcc
	v_cmp_ne_u32_e32 vcc, 0, v1
	v_cndmask_b32_e32 v1, 0, v3, vcc
.LBB154_1314:
	s_branch .LBB154_1319
.LBB154_1315:
	s_mov_b64 s[0:1], -1
                                        ; implicit-def: $vgpr1
	s_branch .LBB154_1319
.LBB154_1316:
	s_cmp_eq_u32 s10, 29
	s_cbranch_scc0 .LBB154_1318
; %bb.1317:
	global_load_dwordx2 v[14:15], v[12:13], off
	s_mov_b64 s[0:1], 0
	s_mov_b64 s[4:5], -1
	s_mov_b64 s[6:7], 0
	s_waitcnt vmcnt(0)
	v_ffbh_u32_e32 v1, v15
	v_min_u32_e32 v1, 32, v1
	v_lshlrev_b64 v[14:15], v1, v[14:15]
	v_sub_u32_e32 v1, 32, v1
	v_min_u32_e32 v3, 1, v14
	v_or_b32_e32 v3, v15, v3
	v_cvt_f32_u32_e32 v3, v3
	v_ldexp_f32 v1, v3, v1
	v_cvt_f16_f32_e32 v1, v1
	s_branch .LBB154_1320
.LBB154_1318:
	s_mov_b64 s[0:1], -1
                                        ; implicit-def: $vgpr1
.LBB154_1319:
	s_mov_b64 s[6:7], 0
.LBB154_1320:
	s_and_b64 vcc, exec, s[6:7]
	s_cbranch_vccz .LBB154_1338
; %bb.1321:
	s_cmp_lt_i32 s10, 27
	s_cbranch_scc1 .LBB154_1324
; %bb.1322:
	s_cmp_gt_i32 s10, 27
	s_cbranch_scc0 .LBB154_1325
; %bb.1323:
	global_load_dword v1, v[12:13], off
	s_mov_b64 s[4:5], 0
	s_waitcnt vmcnt(0)
	v_cvt_f32_u32_e32 v1, v1
	v_cvt_f16_f32_e32 v1, v1
	s_branch .LBB154_1326
.LBB154_1324:
	s_mov_b64 s[4:5], -1
                                        ; implicit-def: $vgpr1
	s_branch .LBB154_1329
.LBB154_1325:
	s_mov_b64 s[4:5], -1
                                        ; implicit-def: $vgpr1
.LBB154_1326:
	s_andn2_b64 vcc, exec, s[4:5]
	s_cbranch_vccnz .LBB154_1328
; %bb.1327:
	global_load_ushort v1, v[12:13], off
	s_waitcnt vmcnt(0)
	v_cvt_f16_u16_e32 v1, v1
.LBB154_1328:
	s_mov_b64 s[4:5], 0
.LBB154_1329:
	s_andn2_b64 vcc, exec, s[4:5]
	s_cbranch_vccnz .LBB154_1337
; %bb.1330:
	global_load_ubyte v3, v[12:13], off
	s_movk_i32 s4, 0x7f
	s_waitcnt vmcnt(0)
	v_cmp_lt_i16_e32 vcc, s4, v3
	s_mov_b64 s[4:5], 0
	s_and_saveexec_b64 s[6:7], vcc
	s_xor_b64 s[6:7], exec, s[6:7]
	s_cbranch_execz .LBB154_1350
; %bb.1331:
	s_movk_i32 s4, 0x80
	v_cmp_eq_u16_e32 vcc, s4, v3
	s_mov_b64 s[4:5], -1
	s_and_saveexec_b64 s[8:9], vcc
; %bb.1332:
	s_xor_b64 s[4:5], exec, -1
; %bb.1333:
	s_or_b64 exec, exec, s[8:9]
	s_and_b64 s[4:5], s[4:5], exec
	s_or_saveexec_b64 s[6:7], s[6:7]
	v_mov_b32_e32 v1, 0x7e00
	s_xor_b64 exec, exec, s[6:7]
	s_cbranch_execnz .LBB154_1351
.LBB154_1334:
	s_or_b64 exec, exec, s[6:7]
	s_and_saveexec_b64 s[6:7], s[4:5]
	s_cbranch_execz .LBB154_1336
.LBB154_1335:
	v_lshlrev_b32_e32 v1, 24, v3
	v_and_b32_e32 v3, 0xffff, v3
	v_and_b32_e32 v5, 7, v3
	v_ffbh_u32_e32 v10, v5
	v_min_u32_e32 v10, 32, v10
	v_subrev_u32_e32 v14, 28, v10
	v_bfe_u32 v8, v3, 3, 4
	v_lshlrev_b32_e32 v3, v14, v3
	v_sub_u32_e32 v10, 29, v10
	v_and_b32_e32 v3, 7, v3
	v_cmp_eq_u32_e32 vcc, 0, v8
	v_cndmask_b32_e32 v8, v8, v10, vcc
	v_cndmask_b32_e32 v3, v5, v3, vcc
	v_mov_b32_e32 v5, 0x3b800000
	v_lshlrev_b32_e32 v3, 20, v3
	v_and_b32_e32 v1, 0x80000000, v1
	v_lshl_add_u32 v5, v8, 23, v5
	v_or3_b32 v1, v1, v5, v3
	v_cvt_f16_f32_e32 v1, v1
.LBB154_1336:
	s_or_b64 exec, exec, s[6:7]
.LBB154_1337:
	s_mov_b64 s[4:5], -1
.LBB154_1338:
	s_branch .LBB154_1370
.LBB154_1339:
	s_cmp_gt_i32 s10, 22
	s_cbranch_scc0 .LBB154_1349
; %bb.1340:
	s_cmp_lt_i32 s10, 24
	s_cbranch_scc1 .LBB154_1352
; %bb.1341:
	s_cmp_gt_i32 s10, 24
	s_cbranch_scc0 .LBB154_1353
; %bb.1342:
	global_load_ubyte v3, v[12:13], off
	s_movk_i32 s2, 0x7f
	s_waitcnt vmcnt(0)
	v_cmp_lt_i16_e32 vcc, s2, v3
	s_mov_b64 s[2:3], 0
	s_and_saveexec_b64 s[4:5], vcc
	s_xor_b64 s[4:5], exec, s[4:5]
	s_cbranch_execz .LBB154_1364
; %bb.1343:
	s_movk_i32 s2, 0x80
	v_cmp_eq_u16_e32 vcc, s2, v3
	s_mov_b64 s[2:3], -1
	s_and_saveexec_b64 s[6:7], vcc
; %bb.1344:
	s_xor_b64 s[2:3], exec, -1
; %bb.1345:
	s_or_b64 exec, exec, s[6:7]
	s_and_b64 s[2:3], s[2:3], exec
	s_or_saveexec_b64 s[4:5], s[4:5]
	v_mov_b32_e32 v1, 0x7e00
	s_xor_b64 exec, exec, s[4:5]
	s_cbranch_execnz .LBB154_1365
.LBB154_1346:
	s_or_b64 exec, exec, s[4:5]
	s_and_saveexec_b64 s[4:5], s[2:3]
	s_cbranch_execz .LBB154_1348
.LBB154_1347:
	v_lshlrev_b32_e32 v1, 24, v3
	v_and_b32_e32 v3, 0xffff, v3
	v_and_b32_e32 v5, 3, v3
	v_ffbh_u32_e32 v10, v5
	v_min_u32_e32 v10, 32, v10
	v_subrev_u32_e32 v14, 29, v10
	v_bfe_u32 v8, v3, 2, 5
	v_lshlrev_b32_e32 v3, v14, v3
	v_sub_u32_e32 v10, 30, v10
	v_and_b32_e32 v3, 3, v3
	v_cmp_eq_u32_e32 vcc, 0, v8
	v_cndmask_b32_e32 v8, v8, v10, vcc
	v_cndmask_b32_e32 v3, v5, v3, vcc
	v_mov_b32_e32 v5, 0x37800000
	v_lshlrev_b32_e32 v3, 21, v3
	v_and_b32_e32 v1, 0x80000000, v1
	v_lshl_add_u32 v5, v8, 23, v5
	v_or3_b32 v1, v1, v5, v3
	v_cvt_f16_f32_e32 v1, v1
.LBB154_1348:
	s_or_b64 exec, exec, s[4:5]
	s_mov_b64 s[2:3], 0
	s_branch .LBB154_1354
.LBB154_1349:
                                        ; implicit-def: $vgpr1
	s_mov_b64 s[2:3], 0
	s_branch .LBB154_1360
.LBB154_1350:
	s_or_saveexec_b64 s[6:7], s[6:7]
	v_mov_b32_e32 v1, 0x7e00
	s_xor_b64 exec, exec, s[6:7]
	s_cbranch_execz .LBB154_1334
.LBB154_1351:
	v_cmp_ne_u16_e32 vcc, 0, v3
	s_andn2_b64 s[4:5], s[4:5], exec
	s_and_b64 s[8:9], vcc, exec
	s_or_b64 s[4:5], s[4:5], s[8:9]
	v_mov_b32_e32 v1, v3
	s_or_b64 exec, exec, s[6:7]
	s_and_saveexec_b64 s[6:7], s[4:5]
	s_cbranch_execnz .LBB154_1335
	s_branch .LBB154_1336
.LBB154_1352:
	s_mov_b64 s[2:3], -1
                                        ; implicit-def: $vgpr1
	s_branch .LBB154_1357
.LBB154_1353:
	s_mov_b64 s[2:3], -1
                                        ; implicit-def: $vgpr1
.LBB154_1354:
	s_and_b64 vcc, exec, s[2:3]
	s_cbranch_vccz .LBB154_1356
; %bb.1355:
	global_load_ubyte v1, v[12:13], off
	s_mov_b32 s2, 0x7f800000
	s_waitcnt vmcnt(0)
	v_lshlrev_b32_e32 v1, 24, v1
	v_and_b32_e32 v3, 0x7f000000, v1
	v_ffbh_u32_e32 v5, v3
	v_min_u32_e32 v5, 32, v5
	v_sub_u32_e64 v5, v5, 4 clamp
	v_lshlrev_b32_e32 v10, v5, v3
	v_lshlrev_b32_e32 v5, 23, v5
	v_lshrrev_b32_e32 v10, 4, v10
	v_add_u32_e32 v8, 0x1000000, v3
	v_sub_u32_e32 v5, v10, v5
	v_ashrrev_i32_e32 v8, 8, v8
	v_add_u32_e32 v5, 0x3c000000, v5
	v_and_or_b32 v5, v8, s2, v5
	v_cmp_ne_u32_e32 vcc, 0, v3
	v_cndmask_b32_e32 v3, 0, v5, vcc
	s_brev_b32 s2, 1
	v_and_or_b32 v1, v1, s2, v3
	v_cvt_f16_f32_e32 v1, v1
.LBB154_1356:
	s_mov_b64 s[2:3], 0
.LBB154_1357:
	s_andn2_b64 vcc, exec, s[2:3]
	s_cbranch_vccnz .LBB154_1359
; %bb.1358:
	global_load_ubyte v1, v[12:13], off
	s_movk_i32 s2, 0x7f00
	s_brev_b32 s3, 16
	s_waitcnt vmcnt(0)
	v_lshlrev_b16_e32 v3, 8, v1
	v_lshlrev_b32_e32 v1, 25, v1
	v_lshrrev_b32_e32 v5, 4, v1
	v_and_or_b32 v8, v3, s2, 0.5
	v_or_b32_e32 v5, 0x70000000, v5
	v_add_f32_e32 v8, -0.5, v8
	v_mul_f32_e32 v5, 0x7800000, v5
	v_cmp_gt_u32_e32 vcc, s3, v1
	v_bfe_i32 v3, v3, 0, 16
	v_cndmask_b32_e32 v1, v5, v8, vcc
	s_brev_b32 s2, 1
	v_and_or_b32 v1, v3, s2, v1
	v_cvt_f16_f32_e32 v1, v1
.LBB154_1359:
	s_mov_b64 s[4:5], -1
	s_mov_b64 s[2:3], 0
	s_cbranch_execnz .LBB154_1370
.LBB154_1360:
	s_cmp_gt_i32 s10, 14
	s_cbranch_scc0 .LBB154_1363
; %bb.1361:
	s_cmp_eq_u32 s10, 15
	s_cbranch_scc0 .LBB154_1366
; %bb.1362:
	global_load_ushort v1, v[12:13], off
	s_mov_b64 s[0:1], 0
	s_mov_b64 s[4:5], -1
	s_waitcnt vmcnt(0)
	v_lshlrev_b32_e32 v1, 16, v1
	v_cvt_f16_f32_e32 v1, v1
	s_branch .LBB154_1367
.LBB154_1363:
	s_mov_b64 s[6:7], -1
                                        ; implicit-def: $vgpr1
	s_branch .LBB154_1368
.LBB154_1364:
	s_or_saveexec_b64 s[4:5], s[4:5]
	v_mov_b32_e32 v1, 0x7e00
	s_xor_b64 exec, exec, s[4:5]
	s_cbranch_execz .LBB154_1346
.LBB154_1365:
	v_cmp_ne_u16_e32 vcc, 0, v3
	s_andn2_b64 s[2:3], s[2:3], exec
	s_and_b64 s[6:7], vcc, exec
	s_or_b64 s[2:3], s[2:3], s[6:7]
	v_mov_b32_e32 v1, v3
	s_or_b64 exec, exec, s[4:5]
	s_and_saveexec_b64 s[4:5], s[2:3]
	s_cbranch_execnz .LBB154_1347
	s_branch .LBB154_1348
.LBB154_1366:
	s_mov_b64 s[0:1], -1
                                        ; implicit-def: $vgpr1
.LBB154_1367:
	s_mov_b64 s[6:7], 0
.LBB154_1368:
	s_and_b64 vcc, exec, s[6:7]
	s_cbranch_vccz .LBB154_1370
; %bb.1369:
	s_cmp_lg_u32 s10, 11
	s_mov_b64 s[2:3], -1
	s_cselect_b64 s[0:1], -1, 0
.LBB154_1370:
	s_and_b64 vcc, exec, s[0:1]
	s_mov_b64 s[10:11], s[28:29]
	s_cbranch_vccnz .LBB154_1469
; %bb.1371:
	s_andn2_b64 vcc, exec, s[2:3]
	s_cbranch_vccnz .LBB154_1373
.LBB154_1372:
	global_load_ubyte v1, v[12:13], off
	s_waitcnt vmcnt(1)
	v_mov_b32_e32 v3, 0x3c00
	s_mov_b64 s[4:5], -1
	s_waitcnt vmcnt(0)
	v_cmp_ne_u16_e32 vcc, 0, v1
	v_cndmask_b32_e32 v1, 0, v3, vcc
.LBB154_1373:
	s_branch .LBB154_1303
.LBB154_1374:
	s_and_b32 s2, 0xffff, s16
	s_cmp_lt_i32 s2, 5
	s_cbranch_scc1 .LBB154_1379
; %bb.1375:
	s_cmp_lt_i32 s2, 8
	s_cbranch_scc1 .LBB154_1380
; %bb.1376:
	s_cmp_lt_i32 s2, 9
	s_cbranch_scc1 .LBB154_1381
; %bb.1377:
	s_cmp_gt_i32 s2, 9
	s_cbranch_scc0 .LBB154_1382
; %bb.1378:
	global_load_dwordx2 v[14:15], v[12:13], off
	s_movk_i32 s0, 0x1ff
	s_movk_i32 s1, 0xffe
	v_mov_b32_e32 v1, 0x7c00
	s_waitcnt vmcnt(1)
	v_mov_b32_e32 v3, 0x7e00
	s_movk_i32 s3, 0x40f
	s_mov_b32 s4, 0x8000
	s_waitcnt vmcnt(0)
	v_and_or_b32 v5, v15, s0, v14
	v_cmp_ne_u32_e32 vcc, 0, v5
	v_lshrrev_b32_e32 v8, 8, v15
	v_bfe_u32 v10, v15, 20, 11
	v_cndmask_b32_e64 v5, 0, 1, vcc
	v_lshrrev_b32_e32 v14, 16, v15
	v_sub_u32_e32 v15, 0x3f1, v10
	v_and_or_b32 v5, v8, s1, v5
	v_add_u32_e32 v10, 0xfffffc10, v10
	v_med3_i32 v8, v15, 0, 13
	v_or_b32_e32 v15, 0x1000, v5
	v_lshl_or_b32 v16, v10, 12, v5
	v_cmp_ne_u32_e32 vcc, 0, v5
	v_lshrrev_b32_e32 v5, v8, v15
	v_lshlrev_b32_e32 v8, v8, v5
	v_cndmask_b32_e32 v3, v1, v3, vcc
	v_cmp_ne_u32_e32 vcc, v8, v15
	v_cndmask_b32_e64 v8, 0, 1, vcc
	v_or_b32_e32 v5, v5, v8
	v_cmp_gt_i32_e32 vcc, 1, v10
	v_cndmask_b32_e32 v5, v16, v5, vcc
	v_and_b32_e32 v8, 7, v5
	v_cmp_lt_i32_e32 vcc, 5, v8
	v_cndmask_b32_e64 v15, 0, 1, vcc
	v_cmp_eq_u32_e32 vcc, 3, v8
	v_cndmask_b32_e64 v8, 0, 1, vcc
	v_lshrrev_b32_e32 v5, 2, v5
	v_or_b32_e32 v8, v8, v15
	v_add_u32_e32 v5, v5, v8
	v_cmp_gt_i32_e32 vcc, 31, v10
	v_cndmask_b32_e32 v1, v1, v5, vcc
	v_cmp_eq_u32_e32 vcc, s3, v10
	v_cndmask_b32_e32 v1, v1, v3, vcc
	v_and_or_b32 v1, v14, s4, v1
	s_mov_b64 s[0:1], 0
	s_branch .LBB154_1383
.LBB154_1379:
                                        ; implicit-def: $vgpr1
	s_branch .LBB154_1400
.LBB154_1380:
                                        ; implicit-def: $vgpr1
	s_branch .LBB154_1389
.LBB154_1381:
	s_mov_b64 s[0:1], -1
                                        ; implicit-def: $vgpr1
	s_branch .LBB154_1386
.LBB154_1382:
	s_mov_b64 s[0:1], -1
                                        ; implicit-def: $vgpr1
.LBB154_1383:
	s_andn2_b64 vcc, exec, s[0:1]
	s_cbranch_vccnz .LBB154_1385
; %bb.1384:
	global_load_dword v1, v[12:13], off
	s_waitcnt vmcnt(0)
	v_cvt_f16_f32_e32 v1, v1
.LBB154_1385:
	s_mov_b64 s[0:1], 0
.LBB154_1386:
	s_andn2_b64 vcc, exec, s[0:1]
	s_cbranch_vccnz .LBB154_1388
; %bb.1387:
	global_load_dword v1, v[12:13], off
.LBB154_1388:
	s_cbranch_execnz .LBB154_1399
.LBB154_1389:
	s_cmp_lt_i32 s2, 6
	s_cbranch_scc1 .LBB154_1392
; %bb.1390:
	s_cmp_gt_i32 s2, 6
	s_cbranch_scc0 .LBB154_1393
; %bb.1391:
	global_load_dwordx2 v[14:15], v[12:13], off
	s_movk_i32 s0, 0x1ff
	s_movk_i32 s1, 0xffe
	s_waitcnt vmcnt(1)
	v_mov_b32_e32 v1, 0x7c00
	v_mov_b32_e32 v3, 0x7e00
	s_movk_i32 s3, 0x40f
	s_mov_b32 s4, 0x8000
	s_waitcnt vmcnt(0)
	v_and_or_b32 v5, v15, s0, v14
	v_cmp_ne_u32_e32 vcc, 0, v5
	v_lshrrev_b32_e32 v8, 8, v15
	v_bfe_u32 v10, v15, 20, 11
	v_cndmask_b32_e64 v5, 0, 1, vcc
	v_lshrrev_b32_e32 v14, 16, v15
	v_sub_u32_e32 v15, 0x3f1, v10
	v_and_or_b32 v5, v8, s1, v5
	v_add_u32_e32 v10, 0xfffffc10, v10
	v_med3_i32 v8, v15, 0, 13
	v_or_b32_e32 v15, 0x1000, v5
	v_lshl_or_b32 v16, v10, 12, v5
	v_cmp_ne_u32_e32 vcc, 0, v5
	v_lshrrev_b32_e32 v5, v8, v15
	v_lshlrev_b32_e32 v8, v8, v5
	v_cndmask_b32_e32 v3, v1, v3, vcc
	v_cmp_ne_u32_e32 vcc, v8, v15
	v_cndmask_b32_e64 v8, 0, 1, vcc
	v_or_b32_e32 v5, v5, v8
	v_cmp_gt_i32_e32 vcc, 1, v10
	v_cndmask_b32_e32 v5, v16, v5, vcc
	v_and_b32_e32 v8, 7, v5
	v_cmp_lt_i32_e32 vcc, 5, v8
	v_cndmask_b32_e64 v15, 0, 1, vcc
	v_cmp_eq_u32_e32 vcc, 3, v8
	v_cndmask_b32_e64 v8, 0, 1, vcc
	v_lshrrev_b32_e32 v5, 2, v5
	v_or_b32_e32 v8, v8, v15
	v_add_u32_e32 v5, v5, v8
	v_cmp_gt_i32_e32 vcc, 31, v10
	v_cndmask_b32_e32 v1, v1, v5, vcc
	v_cmp_eq_u32_e32 vcc, s3, v10
	v_cndmask_b32_e32 v1, v1, v3, vcc
	v_and_or_b32 v1, v14, s4, v1
	s_mov_b64 s[0:1], 0
	s_branch .LBB154_1394
.LBB154_1392:
	s_mov_b64 s[0:1], -1
                                        ; implicit-def: $vgpr1
	s_branch .LBB154_1397
.LBB154_1393:
	s_mov_b64 s[0:1], -1
                                        ; implicit-def: $vgpr1
.LBB154_1394:
	s_andn2_b64 vcc, exec, s[0:1]
	s_cbranch_vccnz .LBB154_1396
; %bb.1395:
	global_load_dword v1, v[12:13], off
	s_waitcnt vmcnt(0)
	v_cvt_f16_f32_e32 v1, v1
.LBB154_1396:
	s_mov_b64 s[0:1], 0
.LBB154_1397:
	s_andn2_b64 vcc, exec, s[0:1]
	s_cbranch_vccnz .LBB154_1399
; %bb.1398:
	global_load_ushort v1, v[12:13], off
.LBB154_1399:
	s_cbranch_execnz .LBB154_1418
.LBB154_1400:
	s_cmp_lt_i32 s2, 2
	s_cbranch_scc1 .LBB154_1404
; %bb.1401:
	s_cmp_lt_i32 s2, 3
	s_cbranch_scc1 .LBB154_1405
; %bb.1402:
	s_cmp_gt_i32 s2, 3
	s_cbranch_scc0 .LBB154_1406
; %bb.1403:
	global_load_dwordx2 v[14:15], v[12:13], off
	s_mov_b64 s[0:1], 0
	s_waitcnt vmcnt(0)
	v_xor_b32_e32 v3, v14, v15
	v_ffbh_i32_e32 v1, v15
	v_ashrrev_i32_e32 v3, 31, v3
	v_add_u32_e32 v1, -1, v1
	v_add_u32_e32 v3, 32, v3
	v_min_u32_e32 v1, v1, v3
	v_lshlrev_b64 v[14:15], v1, v[14:15]
	v_sub_u32_e32 v1, 32, v1
	v_min_u32_e32 v3, 1, v14
	v_or_b32_e32 v3, v15, v3
	v_cvt_f32_i32_e32 v3, v3
	v_ldexp_f32 v1, v3, v1
	v_cvt_f16_f32_e32 v1, v1
	s_branch .LBB154_1407
.LBB154_1404:
                                        ; implicit-def: $vgpr1
	s_branch .LBB154_1413
.LBB154_1405:
	s_mov_b64 s[0:1], -1
                                        ; implicit-def: $vgpr1
	s_branch .LBB154_1410
.LBB154_1406:
	s_mov_b64 s[0:1], -1
                                        ; implicit-def: $vgpr1
.LBB154_1407:
	s_andn2_b64 vcc, exec, s[0:1]
	s_cbranch_vccnz .LBB154_1409
; %bb.1408:
	global_load_dword v1, v[12:13], off
	s_waitcnt vmcnt(0)
	v_cvt_f32_i32_e32 v1, v1
	v_cvt_f16_f32_e32 v1, v1
.LBB154_1409:
	s_mov_b64 s[0:1], 0
.LBB154_1410:
	s_andn2_b64 vcc, exec, s[0:1]
	s_cbranch_vccnz .LBB154_1412
; %bb.1411:
	global_load_ushort v1, v[12:13], off
	s_waitcnt vmcnt(0)
	v_cvt_f16_i16_e32 v1, v1
.LBB154_1412:
	s_cbranch_execnz .LBB154_1418
.LBB154_1413:
	s_cmp_gt_i32 s2, 0
	s_cbranch_scc0 .LBB154_1415
; %bb.1414:
	global_load_sbyte v1, v[12:13], off
	s_mov_b64 s[0:1], 0
	s_waitcnt vmcnt(0)
	v_cvt_f16_i16_e32 v1, v1
	s_branch .LBB154_1416
.LBB154_1415:
	s_mov_b64 s[0:1], -1
                                        ; implicit-def: $vgpr1
.LBB154_1416:
	s_andn2_b64 vcc, exec, s[0:1]
	s_cbranch_vccnz .LBB154_1418
; %bb.1417:
	global_load_ubyte v1, v[12:13], off
	s_waitcnt vmcnt(0)
	v_cvt_f16_u16_e32 v1, v1
.LBB154_1418:
.LBB154_1419:
	s_waitcnt vmcnt(0)
	v_cvt_f32_f16_e32 v3, v1
	s_mov_b32 s0, 0x3c800000
                                        ; implicit-def: $vgpr5
	v_and_b32_e32 v8, 0x7fffffff, v3
	v_cmp_nlt_f32_e64 s[0:1], |v3|, s0
	s_and_saveexec_b64 s[2:3], s[0:1]
	s_xor_b64 s[2:3], exec, s[2:3]
	s_cbranch_execz .LBB154_1449
; %bb.1420:
	v_cmp_nlt_f32_e64 s[0:1], |v3|, 2.0
                                        ; implicit-def: $vgpr5
	s_and_saveexec_b64 s[4:5], s[0:1]
	s_xor_b64 s[4:5], exec, s[4:5]
	s_cbranch_execz .LBB154_1430
; %bb.1421:
	s_mov_b32 s0, 0x41000000
	v_cmp_nlt_f32_e64 s[0:1], |v3|, s0
                                        ; implicit-def: $vgpr5
	s_and_saveexec_b64 s[6:7], s[0:1]
	s_xor_b64 s[6:7], exec, s[6:7]
	s_cbranch_execz .LBB154_1427
; %bb.1422:
	s_mov_b32 s0, 0x5c800000
	v_cmp_nlt_f32_e64 s[0:1], |v3|, s0
                                        ; implicit-def: $vgpr5
	s_and_saveexec_b64 s[8:9], s[0:1]
	s_xor_b64 s[8:9], exec, s[8:9]
	s_cbranch_execz .LBB154_1424
; %bb.1423:
	s_mov_b32 s0, 0x800000
	v_cmp_lt_f32_e64 vcc, |v3|, s0
	v_cndmask_b32_e64 v5, 0, 32, vcc
	v_ldexp_f32 v5, |v3|, v5
	v_log_f32_e32 v5, v5
	s_mov_b32 s0, 0x3f317217
	s_mov_b32 s1, 0x7f800000
	v_mul_f32_e32 v10, 0x3f317217, v5
	v_fma_f32 v12, v5, s0, -v10
	v_fmac_f32_e32 v12, 0x3377d1cf, v5
	v_add_f32_e32 v10, v10, v12
	v_cmp_lt_f32_e64 s[0:1], |v5|, s1
	v_cndmask_b32_e64 v5, v5, v10, s[0:1]
	v_mov_b32_e32 v10, 0x41b17218
	v_cndmask_b32_e32 v10, 0, v10, vcc
	v_sub_f32_e32 v5, v5, v10
	v_fma_f32 v5, |v3|, v5, -|v3|
.LBB154_1424:
	s_andn2_saveexec_b64 s[8:9], s[8:9]
	s_cbranch_execz .LBB154_1426
; %bb.1425:
	v_rcp_f32_e64 v10, |v3|
	v_mov_b32_e32 v5, 0x3a5b3dd2
	v_mov_b32_e32 v12, 0xba1c065c
	;; [unrolled: 1-line block ×3, first 2 shown]
	v_mul_f32_e32 v14, v10, v10
	v_fmac_f32_e32 v5, 0xbad5c4e8, v14
	v_fmac_f32_e32 v12, v14, v5
	s_mov_b32 s0, 0x800000
	v_fmac_f32_e32 v13, v14, v12
	v_mov_b32_e32 v5, 0xbb360b61
	v_cmp_lt_f32_e64 vcc, |v3|, s0
	v_fmac_f32_e32 v5, v14, v13
	v_cndmask_b32_e64 v13, 0, 32, vcc
	v_ldexp_f32 v13, |v3|, v13
	v_log_f32_e32 v13, v13
	v_mov_b32_e32 v12, 0x3daaaaab
	v_fmac_f32_e32 v12, v14, v5
	v_mov_b32_e32 v5, 0x3ed67f1d
	v_fmac_f32_e32 v5, v10, v12
	s_mov_b32 s0, 0x3f317217
	v_mul_f32_e32 v12, 0x3f317217, v13
	v_fma_f32 v14, v13, s0, -v12
	v_fmac_f32_e32 v14, 0x3377d1cf, v13
	s_mov_b32 s0, 0x7f800000
	v_add_f32_e32 v12, v12, v14
	v_cmp_lt_f32_e64 s[0:1], |v13|, s0
	v_cndmask_b32_e64 v12, v13, v12, s[0:1]
	v_mov_b32_e32 v13, 0x41b17218
	v_cndmask_b32_e32 v13, 0, v13, vcc
	v_sub_f32_e32 v12, v12, v13
	v_add_f32_e64 v10, |v3|, -0.5
	v_add_f32_e32 v12, -1.0, v12
	v_fmac_f32_e32 v5, v10, v12
.LBB154_1426:
	s_or_b64 exec, exec, s[8:9]
.LBB154_1427:
	s_andn2_saveexec_b64 s[6:7], s[6:7]
	s_cbranch_execz .LBB154_1429
; %bb.1428:
	v_cvt_i32_f32_e32 v5, v8
	v_mov_b32_e32 v10, 0x3af135b4
	v_mov_b32_e32 v12, 0x3cda40e4
	;; [unrolled: 1-line block ×3, first 2 shown]
	v_cvt_f32_i32_e32 v14, v5
	v_mov_b32_e32 v15, 0x3ea6cc7a
	v_mov_b32_e32 v16, 0x3e5c245a
	v_cmp_lt_i32_e32 vcc, 2, v5
	v_sub_f32_e64 v14, |v3|, v14
	v_fmac_f32_e32 v10, 0x3805ff67, v14
	v_fmac_f32_e32 v12, v14, v10
	;; [unrolled: 1-line block ×3, first 2 shown]
	v_mov_b32_e32 v12, 0x3a4beed6
	v_fmac_f32_e32 v15, v14, v13
	v_fmac_f32_e32 v12, 0x36f5d7bd, v14
	v_mov_b32_e32 v13, 0x3c98bf54
	v_fmac_f32_e32 v13, v14, v12
	v_mov_b32_e32 v12, 0x3e300f6e
	v_fmac_f32_e32 v12, v14, v13
	v_mov_b32_e32 v13, 0x3f38d0c5
	v_fmac_f32_e32 v13, v14, v12
	v_mov_b32_e32 v12, 0x3fb22d3b
	v_fmac_f32_e32 v12, v14, v13
	v_add_f32_e32 v13, 2.0, v14
	v_mov_b32_e32 v17, 0xbd9e233f
	v_fmac_f32_e32 v16, v14, v15
	v_add_f32_e32 v15, 0x40400000, v14
	v_cndmask_b32_e32 v13, 1.0, v13, vcc
	v_cmp_lt_i32_e32 vcc, 3, v5
	v_fmac_f32_e32 v17, v14, v16
	v_add_f32_e32 v16, 4.0, v14
	v_cndmask_b32_e32 v15, 1.0, v15, vcc
	v_cmp_lt_i32_e32 vcc, 4, v5
	v_mul_f32_e32 v10, v14, v17
	v_add_f32_e32 v17, 0x40a00000, v14
	v_mul_f32_e32 v13, v13, v15
	v_cndmask_b32_e32 v15, 1.0, v16, vcc
	v_cmp_lt_i32_e32 vcc, 5, v5
	v_add_f32_e32 v18, 0x40c00000, v14
	v_mul_f32_e32 v13, v15, v13
	v_cndmask_b32_e32 v15, 1.0, v17, vcc
	v_cmp_lt_i32_e32 vcc, 6, v5
	v_mul_f32_e32 v13, v15, v13
	v_cndmask_b32_e32 v5, 1.0, v18, vcc
	v_mul_f32_e32 v5, v5, v13
	s_mov_b32 s0, 0x800000
	v_cmp_gt_f32_e32 vcc, s0, v5
	v_cndmask_b32_e64 v13, 0, 32, vcc
	v_fma_f32 v12, v14, v12, 1.0
	v_ldexp_f32 v5, v5, v13
	v_rcp_f32_e32 v12, v12
	v_log_f32_e32 v5, v5
	s_mov_b32 s0, 0x3f317217
	v_mul_f32_e32 v10, v10, v12
	v_mul_f32_e32 v12, 0x3f317217, v5
	v_fma_f32 v13, v5, s0, -v12
	v_fmac_f32_e32 v13, 0x3377d1cf, v5
	s_mov_b32 s0, 0x7f800000
	v_add_f32_e32 v12, v12, v13
	v_cmp_lt_f32_e64 s[0:1], |v5|, s0
	v_cndmask_b32_e64 v5, v5, v12, s[0:1]
	v_mov_b32_e32 v12, 0x41b17218
	v_cndmask_b32_e32 v12, 0, v12, vcc
	v_fmac_f32_e32 v10, 0.5, v14
	v_sub_f32_e32 v5, v5, v12
	v_add_f32_e32 v5, v5, v10
.LBB154_1429:
	s_or_b64 exec, exec, s[6:7]
.LBB154_1430:
	s_andn2_saveexec_b64 s[4:5], s[4:5]
	s_cbranch_execz .LBB154_1448
; %bb.1431:
	s_mov_b32 s0, 0x3f666666
	v_cmp_le_f32_e64 s[0:1], |v3|, s0
                                        ; implicit-def: $vgpr5
                                        ; implicit-def: $vgpr12
                                        ; implicit-def: $vgpr10
	s_and_saveexec_b64 s[6:7], s[0:1]
	s_xor_b64 s[6:7], exec, s[6:7]
	s_cbranch_execz .LBB154_1433
; %bb.1432:
	s_mov_b32 s0, 0x800000
	v_cmp_lt_f32_e64 vcc, |v3|, s0
	v_cndmask_b32_e64 v5, 0, 32, vcc
	v_ldexp_f32 v5, |v3|, v5
	v_log_f32_e32 v5, v5
	s_mov_b32 s0, 0x3f317217
	s_mov_b32 s1, 0x7f800000
	v_mul_f32_e32 v10, 0x3f317217, v5
	v_fma_f32 v12, v5, s0, -v10
	v_fmac_f32_e32 v12, 0x3377d1cf, v5
	v_add_f32_e32 v10, v10, v12
	v_cmp_lt_f32_e64 s[0:1], |v5|, s1
	v_cndmask_b32_e64 v5, v5, v10, s[0:1]
	v_mov_b32_e32 v10, 0x41b17218
	v_cndmask_b32_e32 v10, 0, v10, vcc
	s_mov_b32 s0, 0x3f3b4a23
	s_mov_b32 s1, 0xbeec5b0c
	v_sub_f32_e32 v5, v5, v10
	v_sub_f32_e64 v10, 1.0, |v3|
	v_add_f32_e64 v12, |v3|, s1
	v_cmp_lt_f32_e64 vcc, |v3|, s0
	s_mov_b32 s0, 0x3e6d3309
	v_cndmask_b32_e32 v10, v10, v12, vcc
	v_cndmask_b32_e64 v12, 0, 1, vcc
	v_cmp_lt_f32_e64 s[0:1], |v3|, s0
	v_xor_b32_e32 v5, 0x80000000, v5
	v_cndmask_b32_e64 v10, v10, |v3|, s[0:1]
	v_cndmask_b32_e64 v12, v12, 2, s[0:1]
.LBB154_1433:
	s_andn2_saveexec_b64 s[0:1], s[6:7]
	s_cbranch_execz .LBB154_1435
; %bb.1434:
	s_mov_b32 s6, 0x3fdda512
	s_mov_b32 s7, 0xbfbb16c3
	v_sub_f32_e64 v5, 2.0, |v3|
	v_add_f32_e64 v10, |v3|, s7
	v_cmp_lt_f32_e64 vcc, |v3|, s6
	v_cndmask_b32_e32 v10, v5, v10, vcc
	v_cndmask_b32_e64 v5, v5, 1.0, vcc
	v_cvt_i32_f32_e32 v5, v5
	s_mov_b32 s6, 0x3f9d70a4
	v_add_f32_e64 v12, |v3|, -1.0
	v_cmp_lt_f32_e64 vcc, |v3|, s6
	v_cndmask_b32_e32 v10, v10, v12, vcc
	v_cndmask_b32_e64 v12, v5, 2, vcc
	v_mov_b32_e32 v5, 0
.LBB154_1435:
	s_or_b64 exec, exec, s[0:1]
	v_cmp_lt_i32_e32 vcc, 0, v12
	s_and_saveexec_b64 s[0:1], vcc
	s_xor_b64 s[0:1], exec, s[0:1]
	s_cbranch_execz .LBB154_1443
; %bb.1436:
	v_cmp_lt_i32_e32 vcc, 1, v12
	s_and_saveexec_b64 s[6:7], vcc
	s_xor_b64 s[6:7], exec, s[6:7]
	s_cbranch_execz .LBB154_1440
; %bb.1437:
	v_cmp_eq_u32_e32 vcc, 2, v12
	s_and_saveexec_b64 s[8:9], vcc
	s_cbranch_execz .LBB154_1439
; %bb.1438:
	v_mov_b32_e32 v12, 0x3e6a7578
	v_fmac_f32_e32 v12, 0x3c5b3c5e, v10
	v_mov_b32_e32 v13, 0x3f7a4bb2
	v_fmac_f32_e32 v13, v10, v12
	;; [unrolled: 2-line block ×8, first 2 shown]
	v_fma_f32 v12, v10, v14, 1.0
	v_rcp_f32_e32 v12, v12
	v_mov_b32_e32 v14, 0xbd9e233f
	v_fmac_f32_e32 v14, v10, v13
	v_mul_f32_e32 v13, v10, v14
	v_mul_f32_e32 v12, v13, v12
	v_fmac_f32_e32 v12, -0.5, v10
	v_add_f32_e32 v5, v5, v12
.LBB154_1439:
	s_or_b64 exec, exec, s[8:9]
                                        ; implicit-def: $vgpr10
.LBB154_1440:
	s_andn2_saveexec_b64 s[6:7], s[6:7]
	s_cbranch_execz .LBB154_1442
; %bb.1441:
	v_mul_f32_e32 v12, v10, v10
	v_mul_f32_e32 v13, v10, v12
	v_mov_b32_e32 v14, 0xbab7f476
	v_fmac_f32_e32 v14, 0x39a57b6b, v13
	v_mov_b32_e32 v15, 0x3bc7e707
	v_fmac_f32_e32 v15, v13, v14
	;; [unrolled: 2-line block ×12, first 2 shown]
	v_fmac_f32_e32 v16, v10, v17
	s_mov_b32 s8, 0xa2863e55
	v_fma_f32 v10, v13, -v16, s8
	v_fma_f32 v10, v12, v15, -v10
	v_add_f32_e32 v10, 0xbdf8cdce, v10
	v_add_f32_e32 v5, v5, v10
.LBB154_1442:
	s_or_b64 exec, exec, s[6:7]
                                        ; implicit-def: $vgpr12
                                        ; implicit-def: $vgpr10
.LBB154_1443:
	s_andn2_saveexec_b64 s[0:1], s[0:1]
	s_cbranch_execz .LBB154_1447
; %bb.1444:
	v_cmp_eq_u32_e32 vcc, 0, v12
	s_and_saveexec_b64 s[6:7], vcc
	s_cbranch_execz .LBB154_1446
; %bb.1445:
	v_mul_f32_e32 v12, v10, v10
	v_mov_b32_e32 v13, 0x39679767
	v_fmac_f32_e32 v13, 0x37d383a2, v12
	v_mov_b32_e32 v14, 0x3a9c54a1
	v_fmac_f32_e32 v14, v12, v13
	;; [unrolled: 2-line block ×10, first 2 shown]
	v_mul_f32_e32 v12, v12, v14
	v_fmac_f32_e32 v12, v10, v13
	v_fmac_f32_e32 v12, -0.5, v10
	v_add_f32_e32 v5, v5, v12
.LBB154_1446:
	s_or_b64 exec, exec, s[6:7]
.LBB154_1447:
	s_or_b64 exec, exec, s[0:1]
.LBB154_1448:
	s_or_b64 exec, exec, s[4:5]
.LBB154_1449:
	s_andn2_saveexec_b64 s[2:3], s[2:3]
	s_cbranch_execz .LBB154_1451
; %bb.1450:
	s_mov_b32 s0, 0x3e8a8991
	v_mov_b32_e32 v5, 0xbecd26ab
	v_fma_f32 v5, |v3|, s0, v5
	s_mov_b32 s0, 0x3f528d33
	v_fma_f32 v5, |v3|, v5, s0
	s_mov_b32 s0, 0x800000
	v_cmp_lt_f32_e64 vcc, |v3|, s0
	v_cndmask_b32_e64 v10, 0, 32, vcc
	v_ldexp_f32 v10, |v3|, v10
	v_log_f32_e32 v10, v10
	s_mov_b32 s0, 0xbf13c468
	v_fma_f32 v5, |v3|, v5, s0
	s_mov_b32 s0, 0x3f317217
	v_mul_f32_e32 v12, 0x3f317217, v10
	v_fma_f32 v13, v10, s0, -v12
	v_fmac_f32_e32 v13, 0x3377d1cf, v10
	s_mov_b32 s0, 0x7f800000
	v_add_f32_e32 v12, v12, v13
	v_cmp_lt_f32_e64 s[0:1], |v10|, s0
	v_cndmask_b32_e64 v10, v10, v12, s[0:1]
	v_mov_b32_e32 v12, 0x41b17218
	v_cndmask_b32_e32 v12, 0, v12, vcc
	v_sub_f32_e32 v10, v10, v12
	v_fma_f32 v5, |v3|, v5, -v10
.LBB154_1451:
	s_or_b64 exec, exec, s[2:3]
	v_cmp_le_f16_e64 s[0:1], 0, v1
	v_cmp_nle_f16_e32 vcc, 0, v1
	s_and_saveexec_b64 s[2:3], vcc
	s_xor_b64 s[4:5], exec, s[2:3]
	s_cbranch_execz .LBB154_1455
; %bb.1452:
	s_mov_b32 s2, 0x4b000000
	s_mov_b32 s6, 0x35000000
	v_cmp_lt_f32_e64 s[2:3], |v3|, s2
	v_cmp_gt_f32_e64 s[6:7], |v3|, s6
	s_and_b64 s[2:3], s[2:3], s[6:7]
	s_and_saveexec_b64 s[6:7], s[2:3]
	s_cbranch_execz .LBB154_1454
; %bb.1453:
	v_mul_f32_e64 v10, |v3|, 0.5
	v_floor_f32_e32 v12, v10
	v_sub_f32_e32 v12, v10, v12
	v_min_f32_e32 v12, 0x3f7fffff, v12
	s_mov_b32 s8, 0x7f800000
	v_add_f32_e32 v12, v12, v12
	v_cmp_neq_f32_e32 vcc, s8, v10
	v_cndmask_b32_e32 v10, 0, v12, vcc
	v_cmp_gt_f32_e64 s[2:3], |v3|, 1.0
	v_cndmask_b32_e64 v10, |v3|, v10, s[2:3]
	v_add_f32_e32 v12, v10, v10
	v_rndne_f32_e32 v12, v12
	v_fmac_f32_e32 v10, -0.5, v12
	v_mul_f32_e32 v13, v10, v10
	v_mov_b32_e32 v14, 0xbf1f24be
	v_fmac_f32_e32 v14, 0x3e75aa41, v13
	v_mov_b32_e32 v15, 0x40234736
	v_fmac_f32_e32 v15, v13, v14
	;; [unrolled: 2-line block ×3, first 2 shown]
	v_mul_f32_e32 v15, v10, v13
	v_mul_f32_e32 v14, v15, v14
	v_fmac_f32_e32 v14, 0x40490fdb, v10
	v_mov_b32_e32 v10, 0x3e642e9d
	v_cvt_i32_f32_e32 v12, v12
	v_fmac_f32_e32 v10, 0x3d4be544, v13
	v_mov_b32_e32 v15, 0xbfaad1da
	v_fmac_f32_e32 v15, v13, v10
	v_mov_b32_e32 v10, 0x4081e0d3
	;; [unrolled: 2-line block ×3, first 2 shown]
	v_fmac_f32_e32 v15, v13, v10
	v_fma_f32 v10, v13, v15, 1.0
	v_and_b32_e32 v13, 1, v12
	v_lshlrev_b32_e32 v12, 30, v12
	v_cmp_eq_u32_e32 vcc, 0, v13
	v_and_b32_e32 v12, 0x80000000, v12
	v_xor_b32_e32 v8, v8, v3
	v_cndmask_b32_e32 v10, v10, v14, vcc
	v_xor_b32_e32 v8, v8, v12
	v_xor_b32_e32 v8, v8, v10
	v_mul_f32_e32 v8, v3, v8
	v_frexp_mant_f32_e64 v10, |v8|
	v_rcp_f32_e32 v10, v10
	v_frexp_exp_i32_f32_e32 v8, v8
	v_sub_u32_e32 v8, 2, v8
	s_mov_b32 s2, 0x800000
	v_mul_f32_e32 v10, 0x3f490fdb, v10
	v_ldexp_f32 v8, v10, v8
	v_cmp_gt_f32_e32 vcc, s2, v8
	v_cndmask_b32_e64 v10, 0, 32, vcc
	v_ldexp_f32 v8, v8, v10
	v_log_f32_e32 v8, v8
	s_mov_b32 s2, 0x3f317217
	v_mul_f32_e32 v10, 0x3f317217, v8
	v_fma_f32 v12, v8, s2, -v10
	v_fmac_f32_e32 v12, 0x3377d1cf, v8
	v_add_f32_e32 v10, v10, v12
	v_cmp_lt_f32_e64 s[2:3], |v8|, s8
	v_cndmask_b32_e64 v8, v8, v10, s[2:3]
	v_mov_b32_e32 v10, 0x41b17218
	v_cndmask_b32_e32 v10, 0, v10, vcc
	v_sub_f32_e32 v8, v8, v10
	v_sub_f32_e32 v5, v8, v5
	v_floor_f32_e32 v8, v3
	v_sub_f32_e32 v8, v3, v8
	v_min_f32_e32 v8, 0x3f7fffff, v8
	v_mov_b32_e32 v10, 0x7f800000
	v_cmp_neq_f32_e32 vcc, 0, v8
	v_cndmask_b32_e32 v5, v10, v5, vcc
.LBB154_1454:
	s_or_b64 exec, exec, s[6:7]
.LBB154_1455:
	s_andn2_saveexec_b64 s[4:5], s[4:5]
; %bb.1456:
	v_cmp_eq_f16_e32 vcc, 1.0, v1
	v_cmp_eq_f16_e64 s[2:3], 2.0, v1
	s_or_b64 s[2:3], vcc, s[2:3]
	v_cndmask_b32_e64 v5, v5, 0, s[2:3]
; %bb.1457:
	s_or_b64 exec, exec, s[4:5]
	s_lshr_b32 s2, s20, 16
	v_mov_b32_e32 v8, s15
	s_and_b32 s21, s2, 0xff
	v_add_co_u32_e32 v10, vcc, s14, v11
	s_cmp_lt_i32 s21, 11
	v_addc_co_u32_e32 v11, vcc, 0, v8, vcc
	s_cbranch_scc1 .LBB154_1464
; %bb.1458:
	s_and_b32 s18, 0xffff, s21
	s_cmp_gt_i32 s18, 25
	s_mov_b64 s[4:5], 0
	s_cbranch_scc0 .LBB154_1466
; %bb.1459:
	s_cmp_gt_i32 s18, 28
	s_cbranch_scc0 .LBB154_1467
; %bb.1460:
	s_cmp_gt_i32 s18, 43
	s_cbranch_scc0 .LBB154_1468
; %bb.1461:
	s_cmp_gt_i32 s18, 45
	s_cbranch_scc0 .LBB154_1470
; %bb.1462:
	s_cmp_eq_u32 s18, 46
	s_mov_b64 s[8:9], 0
	s_cbranch_scc0 .LBB154_1473
; %bb.1463:
	global_load_dword v8, v[10:11], off
	s_mov_b64 s[2:3], 0
	s_mov_b64 s[6:7], -1
	s_waitcnt vmcnt(0)
	v_lshlrev_b32_e32 v8, 16, v8
	v_cvt_f16_f32_e32 v12, v8
	s_branch .LBB154_1474
.LBB154_1464:
	s_mov_b64 s[6:7], 0
                                        ; implicit-def: $vgpr12
	s_cbranch_execnz .LBB154_1539
.LBB154_1465:
	s_andn2_b64 vcc, exec, s[6:7]
	s_cbranch_vccnz .LBB154_2392
	s_branch .LBB154_1586
.LBB154_1466:
	s_mov_b64 s[6:7], 0
	s_mov_b64 s[2:3], 0
                                        ; implicit-def: $vgpr12
	s_cbranch_execnz .LBB154_1503
	s_branch .LBB154_1535
.LBB154_1467:
	s_mov_b64 s[8:9], -1
	s_mov_b64 s[6:7], 0
	s_mov_b64 s[2:3], 0
                                        ; implicit-def: $vgpr12
	s_branch .LBB154_1484
.LBB154_1468:
	s_mov_b64 s[8:9], -1
	s_mov_b64 s[6:7], 0
	s_mov_b64 s[2:3], 0
                                        ; implicit-def: $vgpr12
	s_branch .LBB154_1479
.LBB154_1469:
	s_or_b64 s[10:11], s[28:29], exec
	s_trap 2
	s_cbranch_execz .LBB154_1372
	s_branch .LBB154_1373
.LBB154_1470:
	s_mov_b64 s[8:9], -1
	s_mov_b64 s[6:7], 0
	s_mov_b64 s[2:3], 0
                                        ; implicit-def: $vgpr12
	s_branch .LBB154_1474
.LBB154_1471:
	s_andn2_saveexec_b64 s[16:17], s[16:17]
	s_cbranch_execz .LBB154_1163
.LBB154_1472:
	s_mov_b32 s20, 0x42800000
	v_add_f32_e64 v3, |v0|, s20
	v_and_b32_e32 v3, 0xff, v3
	v_cmp_ne_u32_e32 vcc, 0, v3
	s_andn2_b64 s[14:15], s[14:15], exec
	s_and_b64 s[20:21], vcc, exec
	s_or_b64 s[14:15], s[14:15], s[20:21]
	s_or_b64 exec, exec, s[16:17]
	v_mov_b32_e32 v5, 0
	s_and_saveexec_b64 s[16:17], s[14:15]
	s_cbranch_execnz .LBB154_1164
	s_branch .LBB154_1165
.LBB154_1473:
	s_mov_b64 s[2:3], -1
                                        ; implicit-def: $vgpr12
	s_mov_b64 s[6:7], 0
.LBB154_1474:
	s_and_b64 vcc, exec, s[8:9]
	s_cbranch_vccz .LBB154_1478
; %bb.1475:
	s_cmp_eq_u32 s18, 44
	s_cbranch_scc0 .LBB154_1477
; %bb.1476:
	global_load_ubyte v8, v[10:11], off
	s_movk_i32 s6, 0xff
	v_mov_b32_e32 v13, 0x7e00
	s_mov_b64 s[2:3], 0
	s_waitcnt vmcnt(0)
	v_lshlrev_b32_e32 v12, 23, v8
	v_cvt_f16_f32_e32 v12, v12
	v_cmp_ne_u32_e32 vcc, s6, v8
	s_mov_b64 s[6:7], -1
	v_cndmask_b32_e32 v12, v13, v12, vcc
	v_cmp_ne_u32_e32 vcc, 0, v8
	v_cndmask_b32_e32 v12, 0, v12, vcc
	s_branch .LBB154_1478
.LBB154_1477:
	s_mov_b64 s[2:3], -1
                                        ; implicit-def: $vgpr12
.LBB154_1478:
	s_mov_b64 s[8:9], 0
.LBB154_1479:
	s_and_b64 vcc, exec, s[8:9]
	s_cbranch_vccz .LBB154_1483
; %bb.1480:
	s_cmp_eq_u32 s18, 29
	s_cbranch_scc0 .LBB154_1482
; %bb.1481:
	global_load_dwordx2 v[12:13], v[10:11], off
	s_mov_b64 s[2:3], 0
	s_mov_b64 s[6:7], -1
	s_mov_b64 s[8:9], 0
	s_waitcnt vmcnt(0)
	v_ffbh_u32_e32 v8, v13
	v_min_u32_e32 v8, 32, v8
	v_lshlrev_b64 v[12:13], v8, v[12:13]
	v_sub_u32_e32 v8, 32, v8
	v_min_u32_e32 v12, 1, v12
	v_or_b32_e32 v12, v13, v12
	v_cvt_f32_u32_e32 v12, v12
	v_ldexp_f32 v8, v12, v8
	v_cvt_f16_f32_e32 v12, v8
	s_branch .LBB154_1484
.LBB154_1482:
	s_mov_b64 s[2:3], -1
                                        ; implicit-def: $vgpr12
.LBB154_1483:
	s_mov_b64 s[8:9], 0
.LBB154_1484:
	s_and_b64 vcc, exec, s[8:9]
	s_cbranch_vccz .LBB154_1502
; %bb.1485:
	s_cmp_lt_i32 s18, 27
	s_cbranch_scc1 .LBB154_1488
; %bb.1486:
	s_cmp_gt_i32 s18, 27
	s_cbranch_scc0 .LBB154_1489
; %bb.1487:
	global_load_dword v8, v[10:11], off
	s_mov_b64 s[6:7], 0
	s_waitcnt vmcnt(0)
	v_cvt_f32_u32_e32 v8, v8
	v_cvt_f16_f32_e32 v12, v8
	s_branch .LBB154_1490
.LBB154_1488:
	s_mov_b64 s[6:7], -1
                                        ; implicit-def: $vgpr12
	s_branch .LBB154_1493
.LBB154_1489:
	s_mov_b64 s[6:7], -1
                                        ; implicit-def: $vgpr12
.LBB154_1490:
	s_andn2_b64 vcc, exec, s[6:7]
	s_cbranch_vccnz .LBB154_1492
; %bb.1491:
	global_load_ushort v8, v[10:11], off
	s_waitcnt vmcnt(0)
	v_cvt_f16_u16_e32 v12, v8
.LBB154_1492:
	s_mov_b64 s[6:7], 0
.LBB154_1493:
	s_andn2_b64 vcc, exec, s[6:7]
	s_cbranch_vccnz .LBB154_1501
; %bb.1494:
	global_load_ubyte v8, v[10:11], off
	s_movk_i32 s6, 0x7f
	s_waitcnt vmcnt(0)
	v_cmp_lt_i16_e32 vcc, s6, v8
	s_mov_b64 s[6:7], 0
	s_and_saveexec_b64 s[8:9], vcc
	s_xor_b64 s[8:9], exec, s[8:9]
	s_cbranch_execz .LBB154_1514
; %bb.1495:
	s_movk_i32 s6, 0x80
	v_cmp_eq_u16_e32 vcc, s6, v8
	s_mov_b64 s[6:7], -1
	s_and_saveexec_b64 s[16:17], vcc
; %bb.1496:
	s_xor_b64 s[6:7], exec, -1
; %bb.1497:
	s_or_b64 exec, exec, s[16:17]
	s_and_b64 s[6:7], s[6:7], exec
	s_or_saveexec_b64 s[8:9], s[8:9]
	v_mov_b32_e32 v12, 0x7e00
	s_xor_b64 exec, exec, s[8:9]
	s_cbranch_execnz .LBB154_1515
.LBB154_1498:
	s_or_b64 exec, exec, s[8:9]
	s_and_saveexec_b64 s[8:9], s[6:7]
	s_cbranch_execz .LBB154_1500
.LBB154_1499:
	v_lshlrev_b32_e32 v12, 24, v8
	v_and_b32_e32 v8, 0xffff, v8
	v_and_b32_e32 v13, 7, v8
	v_ffbh_u32_e32 v15, v13
	v_min_u32_e32 v15, 32, v15
	v_subrev_u32_e32 v16, 28, v15
	v_bfe_u32 v14, v8, 3, 4
	v_lshlrev_b32_e32 v8, v16, v8
	v_sub_u32_e32 v15, 29, v15
	v_and_b32_e32 v8, 7, v8
	v_cmp_eq_u32_e32 vcc, 0, v14
	v_cndmask_b32_e32 v14, v14, v15, vcc
	v_cndmask_b32_e32 v8, v13, v8, vcc
	v_mov_b32_e32 v13, 0x3b800000
	v_lshlrev_b32_e32 v8, 20, v8
	v_and_b32_e32 v12, 0x80000000, v12
	v_lshl_add_u32 v13, v14, 23, v13
	v_or3_b32 v8, v12, v13, v8
	v_cvt_f16_f32_e32 v12, v8
.LBB154_1500:
	s_or_b64 exec, exec, s[8:9]
.LBB154_1501:
	s_mov_b64 s[6:7], -1
.LBB154_1502:
	s_branch .LBB154_1535
.LBB154_1503:
	s_cmp_gt_i32 s18, 22
	s_cbranch_scc0 .LBB154_1513
; %bb.1504:
	s_cmp_lt_i32 s18, 24
	s_cbranch_scc1 .LBB154_1516
; %bb.1505:
	s_cmp_gt_i32 s18, 24
	s_cbranch_scc0 .LBB154_1517
; %bb.1506:
	global_load_ubyte v8, v[10:11], off
	s_movk_i32 s4, 0x7f
	s_waitcnt vmcnt(0)
	v_cmp_lt_i16_e32 vcc, s4, v8
	s_mov_b64 s[4:5], 0
	s_and_saveexec_b64 s[6:7], vcc
	s_xor_b64 s[6:7], exec, s[6:7]
	s_cbranch_execz .LBB154_1529
; %bb.1507:
	s_movk_i32 s4, 0x80
	v_cmp_eq_u16_e32 vcc, s4, v8
	s_mov_b64 s[4:5], -1
	s_and_saveexec_b64 s[8:9], vcc
; %bb.1508:
	s_xor_b64 s[4:5], exec, -1
; %bb.1509:
	s_or_b64 exec, exec, s[8:9]
	s_and_b64 s[4:5], s[4:5], exec
	s_or_saveexec_b64 s[6:7], s[6:7]
	v_mov_b32_e32 v12, 0x7e00
	s_xor_b64 exec, exec, s[6:7]
	s_cbranch_execnz .LBB154_1530
.LBB154_1510:
	s_or_b64 exec, exec, s[6:7]
	s_and_saveexec_b64 s[6:7], s[4:5]
	s_cbranch_execz .LBB154_1512
.LBB154_1511:
	v_lshlrev_b32_e32 v12, 24, v8
	v_and_b32_e32 v8, 0xffff, v8
	v_and_b32_e32 v13, 3, v8
	v_ffbh_u32_e32 v15, v13
	v_min_u32_e32 v15, 32, v15
	v_subrev_u32_e32 v16, 29, v15
	v_bfe_u32 v14, v8, 2, 5
	v_lshlrev_b32_e32 v8, v16, v8
	v_sub_u32_e32 v15, 30, v15
	v_and_b32_e32 v8, 3, v8
	v_cmp_eq_u32_e32 vcc, 0, v14
	v_cndmask_b32_e32 v14, v14, v15, vcc
	v_cndmask_b32_e32 v8, v13, v8, vcc
	v_mov_b32_e32 v13, 0x37800000
	v_lshlrev_b32_e32 v8, 21, v8
	v_and_b32_e32 v12, 0x80000000, v12
	v_lshl_add_u32 v13, v14, 23, v13
	v_or3_b32 v8, v12, v13, v8
	v_cvt_f16_f32_e32 v12, v8
.LBB154_1512:
	s_or_b64 exec, exec, s[6:7]
	s_mov_b64 s[4:5], 0
	s_branch .LBB154_1518
.LBB154_1513:
	s_mov_b64 s[4:5], -1
                                        ; implicit-def: $vgpr12
	s_branch .LBB154_1524
.LBB154_1514:
	s_or_saveexec_b64 s[8:9], s[8:9]
	v_mov_b32_e32 v12, 0x7e00
	s_xor_b64 exec, exec, s[8:9]
	s_cbranch_execz .LBB154_1498
.LBB154_1515:
	v_cmp_ne_u16_e32 vcc, 0, v8
	s_andn2_b64 s[6:7], s[6:7], exec
	s_and_b64 s[16:17], vcc, exec
	s_or_b64 s[6:7], s[6:7], s[16:17]
	v_mov_b32_e32 v12, v8
	s_or_b64 exec, exec, s[8:9]
	s_and_saveexec_b64 s[8:9], s[6:7]
	s_cbranch_execnz .LBB154_1499
	s_branch .LBB154_1500
.LBB154_1516:
	s_mov_b64 s[4:5], -1
                                        ; implicit-def: $vgpr12
	s_branch .LBB154_1521
.LBB154_1517:
	s_mov_b64 s[4:5], -1
                                        ; implicit-def: $vgpr12
.LBB154_1518:
	s_and_b64 vcc, exec, s[4:5]
	s_cbranch_vccz .LBB154_1520
; %bb.1519:
	global_load_ubyte v8, v[10:11], off
	s_mov_b32 s4, 0x7f800000
	s_waitcnt vmcnt(0)
	v_lshlrev_b32_e32 v8, 24, v8
	v_and_b32_e32 v12, 0x7f000000, v8
	v_ffbh_u32_e32 v13, v12
	v_min_u32_e32 v13, 32, v13
	v_sub_u32_e64 v13, v13, 4 clamp
	v_lshlrev_b32_e32 v15, v13, v12
	v_lshlrev_b32_e32 v13, 23, v13
	v_lshrrev_b32_e32 v15, 4, v15
	v_add_u32_e32 v14, 0x1000000, v12
	v_sub_u32_e32 v13, v15, v13
	v_ashrrev_i32_e32 v14, 8, v14
	v_add_u32_e32 v13, 0x3c000000, v13
	v_and_or_b32 v13, v14, s4, v13
	v_cmp_ne_u32_e32 vcc, 0, v12
	v_cndmask_b32_e32 v12, 0, v13, vcc
	s_brev_b32 s4, 1
	v_and_or_b32 v8, v8, s4, v12
	v_cvt_f16_f32_e32 v12, v8
.LBB154_1520:
	s_mov_b64 s[4:5], 0
.LBB154_1521:
	s_andn2_b64 vcc, exec, s[4:5]
	s_cbranch_vccnz .LBB154_1523
; %bb.1522:
	global_load_ubyte v8, v[10:11], off
	s_movk_i32 s4, 0x7f00
	s_brev_b32 s5, 16
	s_waitcnt vmcnt(0)
	v_lshlrev_b16_e32 v12, 8, v8
	v_lshlrev_b32_e32 v8, 25, v8
	v_lshrrev_b32_e32 v13, 4, v8
	v_and_or_b32 v14, v12, s4, 0.5
	v_or_b32_e32 v13, 0x70000000, v13
	v_add_f32_e32 v14, -0.5, v14
	v_mul_f32_e32 v13, 0x7800000, v13
	v_cmp_gt_u32_e32 vcc, s5, v8
	v_bfe_i32 v12, v12, 0, 16
	v_cndmask_b32_e32 v8, v13, v14, vcc
	s_brev_b32 s4, 1
	v_and_or_b32 v8, v12, s4, v8
	v_cvt_f16_f32_e32 v12, v8
.LBB154_1523:
	s_mov_b64 s[4:5], 0
	s_mov_b64 s[6:7], -1
.LBB154_1524:
	s_andn2_b64 vcc, exec, s[4:5]
	s_mov_b64 s[4:5], 0
	s_cbranch_vccnz .LBB154_1535
; %bb.1525:
	s_cmp_gt_i32 s18, 14
	s_cbranch_scc0 .LBB154_1528
; %bb.1526:
	s_cmp_eq_u32 s18, 15
	s_cbranch_scc0 .LBB154_1531
; %bb.1527:
	global_load_ushort v8, v[10:11], off
	s_mov_b64 s[2:3], 0
	s_mov_b64 s[6:7], -1
	s_waitcnt vmcnt(0)
	v_lshlrev_b32_e32 v8, 16, v8
	v_cvt_f16_f32_e32 v12, v8
	s_branch .LBB154_1532
.LBB154_1528:
	s_mov_b64 s[8:9], -1
                                        ; implicit-def: $vgpr12
	s_branch .LBB154_1533
.LBB154_1529:
	s_or_saveexec_b64 s[6:7], s[6:7]
	v_mov_b32_e32 v12, 0x7e00
	s_xor_b64 exec, exec, s[6:7]
	s_cbranch_execz .LBB154_1510
.LBB154_1530:
	v_cmp_ne_u16_e32 vcc, 0, v8
	s_andn2_b64 s[4:5], s[4:5], exec
	s_and_b64 s[8:9], vcc, exec
	s_or_b64 s[4:5], s[4:5], s[8:9]
	v_mov_b32_e32 v12, v8
	s_or_b64 exec, exec, s[6:7]
	s_and_saveexec_b64 s[6:7], s[4:5]
	s_cbranch_execnz .LBB154_1511
	s_branch .LBB154_1512
.LBB154_1531:
	s_mov_b64 s[2:3], -1
                                        ; implicit-def: $vgpr12
.LBB154_1532:
	s_mov_b64 s[8:9], 0
.LBB154_1533:
	s_and_b64 vcc, exec, s[8:9]
	s_cbranch_vccz .LBB154_1535
; %bb.1534:
	s_cmp_lg_u32 s18, 11
	s_mov_b64 s[4:5], -1
	s_cselect_b64 s[2:3], -1, 0
.LBB154_1535:
	s_and_b64 vcc, exec, s[2:3]
	s_cbranch_vccnz .LBB154_1636
; %bb.1536:
	s_andn2_b64 vcc, exec, s[4:5]
	s_cbranch_vccnz .LBB154_1538
.LBB154_1537:
	global_load_ubyte v8, v[10:11], off
	v_mov_b32_e32 v12, 0x3c00
	s_mov_b64 s[6:7], -1
	s_waitcnt vmcnt(0)
	v_cmp_ne_u16_e32 vcc, 0, v8
	v_cndmask_b32_e32 v12, 0, v12, vcc
.LBB154_1538:
	s_branch .LBB154_1465
.LBB154_1539:
	s_and_b32 s4, 0xffff, s21
	s_cmp_lt_i32 s4, 5
	s_cbranch_scc1 .LBB154_1544
; %bb.1540:
	s_cmp_lt_i32 s4, 8
	s_cbranch_scc1 .LBB154_1545
; %bb.1541:
	;; [unrolled: 3-line block ×3, first 2 shown]
	s_cmp_gt_i32 s4, 9
	s_cbranch_scc0 .LBB154_1547
; %bb.1543:
	global_load_dwordx2 v[12:13], v[10:11], off
	s_movk_i32 s2, 0x1ff
	s_movk_i32 s3, 0xffe
	v_mov_b32_e32 v8, 0x7c00
	v_mov_b32_e32 v14, 0x7e00
	s_movk_i32 s5, 0x40f
	s_mov_b32 s6, 0x8000
	s_waitcnt vmcnt(0)
	v_and_or_b32 v12, v13, s2, v12
	v_cmp_ne_u32_e32 vcc, 0, v12
	v_lshrrev_b32_e32 v15, 8, v13
	v_bfe_u32 v16, v13, 20, 11
	v_cndmask_b32_e64 v12, 0, 1, vcc
	v_sub_u32_e32 v17, 0x3f1, v16
	v_and_or_b32 v12, v15, s3, v12
	v_add_u32_e32 v16, 0xfffffc10, v16
	v_med3_i32 v15, v17, 0, 13
	v_or_b32_e32 v17, 0x1000, v12
	v_cmp_ne_u32_e32 vcc, 0, v12
	v_lshl_or_b32 v18, v16, 12, v12
	v_cndmask_b32_e32 v12, v8, v14, vcc
	v_lshrrev_b32_e32 v14, v15, v17
	v_lshlrev_b32_e32 v15, v15, v14
	v_cmp_ne_u32_e32 vcc, v15, v17
	v_cndmask_b32_e64 v15, 0, 1, vcc
	v_or_b32_e32 v14, v14, v15
	v_cmp_gt_i32_e32 vcc, 1, v16
	v_cndmask_b32_e32 v14, v18, v14, vcc
	v_and_b32_e32 v15, 7, v14
	v_cmp_lt_i32_e32 vcc, 5, v15
	v_cndmask_b32_e64 v17, 0, 1, vcc
	v_cmp_eq_u32_e32 vcc, 3, v15
	v_cndmask_b32_e64 v15, 0, 1, vcc
	v_lshrrev_b32_e32 v14, 2, v14
	v_or_b32_e32 v15, v15, v17
	v_add_u32_e32 v14, v14, v15
	v_cmp_gt_i32_e32 vcc, 31, v16
	v_cndmask_b32_e32 v8, v8, v14, vcc
	v_cmp_eq_u32_e32 vcc, s5, v16
	v_lshrrev_b32_e32 v13, 16, v13
	v_cndmask_b32_e32 v8, v8, v12, vcc
	v_and_or_b32 v12, v13, s6, v8
	s_mov_b64 s[2:3], 0
	s_branch .LBB154_1548
.LBB154_1544:
                                        ; implicit-def: $vgpr12
	s_branch .LBB154_1566
.LBB154_1545:
	s_mov_b64 s[2:3], -1
                                        ; implicit-def: $vgpr12
	s_branch .LBB154_1554
.LBB154_1546:
	s_mov_b64 s[2:3], -1
                                        ; implicit-def: $vgpr12
	s_branch .LBB154_1551
.LBB154_1547:
	s_mov_b64 s[2:3], -1
                                        ; implicit-def: $vgpr12
.LBB154_1548:
	s_andn2_b64 vcc, exec, s[2:3]
	s_cbranch_vccnz .LBB154_1550
; %bb.1549:
	global_load_dword v8, v[10:11], off
	s_waitcnt vmcnt(0)
	v_cvt_f16_f32_e32 v12, v8
.LBB154_1550:
	s_mov_b64 s[2:3], 0
.LBB154_1551:
	s_andn2_b64 vcc, exec, s[2:3]
	s_cbranch_vccnz .LBB154_1553
; %bb.1552:
	global_load_dword v12, v[10:11], off
.LBB154_1553:
	s_mov_b64 s[2:3], 0
.LBB154_1554:
	s_andn2_b64 vcc, exec, s[2:3]
	s_cbranch_vccnz .LBB154_1565
; %bb.1555:
	s_cmp_lt_i32 s4, 6
	s_cbranch_scc1 .LBB154_1558
; %bb.1556:
	s_cmp_gt_i32 s4, 6
	s_cbranch_scc0 .LBB154_1559
; %bb.1557:
	global_load_dwordx2 v[12:13], v[10:11], off
	s_movk_i32 s2, 0x1ff
	s_movk_i32 s3, 0xffe
	v_mov_b32_e32 v8, 0x7c00
	v_mov_b32_e32 v14, 0x7e00
	s_movk_i32 s5, 0x40f
	s_mov_b32 s6, 0x8000
	s_waitcnt vmcnt(0)
	v_and_or_b32 v12, v13, s2, v12
	v_cmp_ne_u32_e32 vcc, 0, v12
	v_lshrrev_b32_e32 v15, 8, v13
	v_bfe_u32 v16, v13, 20, 11
	v_cndmask_b32_e64 v12, 0, 1, vcc
	v_sub_u32_e32 v17, 0x3f1, v16
	v_and_or_b32 v12, v15, s3, v12
	v_add_u32_e32 v16, 0xfffffc10, v16
	v_med3_i32 v15, v17, 0, 13
	v_or_b32_e32 v17, 0x1000, v12
	v_cmp_ne_u32_e32 vcc, 0, v12
	v_lshl_or_b32 v18, v16, 12, v12
	v_cndmask_b32_e32 v12, v8, v14, vcc
	v_lshrrev_b32_e32 v14, v15, v17
	v_lshlrev_b32_e32 v15, v15, v14
	v_cmp_ne_u32_e32 vcc, v15, v17
	v_cndmask_b32_e64 v15, 0, 1, vcc
	v_or_b32_e32 v14, v14, v15
	v_cmp_gt_i32_e32 vcc, 1, v16
	v_cndmask_b32_e32 v14, v18, v14, vcc
	v_and_b32_e32 v15, 7, v14
	v_cmp_lt_i32_e32 vcc, 5, v15
	v_cndmask_b32_e64 v17, 0, 1, vcc
	v_cmp_eq_u32_e32 vcc, 3, v15
	v_cndmask_b32_e64 v15, 0, 1, vcc
	v_lshrrev_b32_e32 v14, 2, v14
	v_or_b32_e32 v15, v15, v17
	v_add_u32_e32 v14, v14, v15
	v_cmp_gt_i32_e32 vcc, 31, v16
	v_cndmask_b32_e32 v8, v8, v14, vcc
	v_cmp_eq_u32_e32 vcc, s5, v16
	v_lshrrev_b32_e32 v13, 16, v13
	v_cndmask_b32_e32 v8, v8, v12, vcc
	v_and_or_b32 v12, v13, s6, v8
	s_mov_b64 s[2:3], 0
	s_branch .LBB154_1560
.LBB154_1558:
	s_mov_b64 s[2:3], -1
                                        ; implicit-def: $vgpr12
	s_branch .LBB154_1563
.LBB154_1559:
	s_mov_b64 s[2:3], -1
                                        ; implicit-def: $vgpr12
.LBB154_1560:
	s_andn2_b64 vcc, exec, s[2:3]
	s_cbranch_vccnz .LBB154_1562
; %bb.1561:
	global_load_dword v8, v[10:11], off
	s_waitcnt vmcnt(0)
	v_cvt_f16_f32_e32 v12, v8
.LBB154_1562:
	s_mov_b64 s[2:3], 0
.LBB154_1563:
	s_andn2_b64 vcc, exec, s[2:3]
	s_cbranch_vccnz .LBB154_1565
; %bb.1564:
	global_load_ushort v12, v[10:11], off
.LBB154_1565:
	s_cbranch_execnz .LBB154_1585
.LBB154_1566:
	s_cmp_lt_i32 s4, 2
	s_cbranch_scc1 .LBB154_1570
; %bb.1567:
	s_cmp_lt_i32 s4, 3
	s_cbranch_scc1 .LBB154_1571
; %bb.1568:
	s_cmp_gt_i32 s4, 3
	s_cbranch_scc0 .LBB154_1572
; %bb.1569:
	global_load_dwordx2 v[12:13], v[10:11], off
	s_mov_b64 s[2:3], 0
	s_waitcnt vmcnt(0)
	v_xor_b32_e32 v14, v12, v13
	v_ffbh_i32_e32 v8, v13
	v_ashrrev_i32_e32 v14, 31, v14
	v_add_u32_e32 v8, -1, v8
	v_add_u32_e32 v14, 32, v14
	v_min_u32_e32 v8, v8, v14
	v_lshlrev_b64 v[12:13], v8, v[12:13]
	v_sub_u32_e32 v8, 32, v8
	v_min_u32_e32 v12, 1, v12
	v_or_b32_e32 v12, v13, v12
	v_cvt_f32_i32_e32 v12, v12
	v_ldexp_f32 v8, v12, v8
	v_cvt_f16_f32_e32 v12, v8
	s_branch .LBB154_1573
.LBB154_1570:
	s_mov_b64 s[2:3], -1
                                        ; implicit-def: $vgpr12
	s_branch .LBB154_1579
.LBB154_1571:
	s_mov_b64 s[2:3], -1
                                        ; implicit-def: $vgpr12
	s_branch .LBB154_1576
.LBB154_1572:
	s_mov_b64 s[2:3], -1
                                        ; implicit-def: $vgpr12
.LBB154_1573:
	s_andn2_b64 vcc, exec, s[2:3]
	s_cbranch_vccnz .LBB154_1575
; %bb.1574:
	global_load_dword v8, v[10:11], off
	s_waitcnt vmcnt(0)
	v_cvt_f32_i32_e32 v8, v8
	v_cvt_f16_f32_e32 v12, v8
.LBB154_1575:
	s_mov_b64 s[2:3], 0
.LBB154_1576:
	s_andn2_b64 vcc, exec, s[2:3]
	s_cbranch_vccnz .LBB154_1578
; %bb.1577:
	global_load_ushort v8, v[10:11], off
	s_waitcnt vmcnt(0)
	v_cvt_f16_i16_e32 v12, v8
.LBB154_1578:
	s_mov_b64 s[2:3], 0
.LBB154_1579:
	s_andn2_b64 vcc, exec, s[2:3]
	s_cbranch_vccnz .LBB154_1585
; %bb.1580:
	s_cmp_gt_i32 s4, 0
	s_cbranch_scc0 .LBB154_1582
; %bb.1581:
	global_load_sbyte v8, v[10:11], off
	s_mov_b64 s[2:3], 0
	s_waitcnt vmcnt(0)
	v_cvt_f16_i16_e32 v12, v8
	s_branch .LBB154_1583
.LBB154_1582:
	s_mov_b64 s[2:3], -1
                                        ; implicit-def: $vgpr12
.LBB154_1583:
	s_andn2_b64 vcc, exec, s[2:3]
	s_cbranch_vccnz .LBB154_1585
; %bb.1584:
	global_load_ubyte v8, v[10:11], off
	s_waitcnt vmcnt(0)
	v_cvt_f16_u16_e32 v12, v8
.LBB154_1585:
.LBB154_1586:
	s_waitcnt vmcnt(0)
	v_cvt_f32_f16_e32 v10, v12
	s_mov_b32 s2, 0x3c800000
                                        ; implicit-def: $vgpr13
	v_and_b32_e32 v8, 0x7fffffff, v10
	v_cmp_nlt_f32_e64 s[2:3], |v10|, s2
	s_and_saveexec_b64 s[4:5], s[2:3]
	s_xor_b64 s[4:5], exec, s[4:5]
	s_cbranch_execz .LBB154_1616
; %bb.1587:
	v_cmp_nlt_f32_e64 s[2:3], |v10|, 2.0
                                        ; implicit-def: $vgpr13
	s_and_saveexec_b64 s[6:7], s[2:3]
	s_xor_b64 s[6:7], exec, s[6:7]
	s_cbranch_execz .LBB154_1597
; %bb.1588:
	s_mov_b32 s2, 0x41000000
	v_cmp_nlt_f32_e64 s[2:3], |v10|, s2
                                        ; implicit-def: $vgpr13
	s_and_saveexec_b64 s[8:9], s[2:3]
	s_xor_b64 s[8:9], exec, s[8:9]
	s_cbranch_execz .LBB154_1594
; %bb.1589:
	s_mov_b32 s2, 0x5c800000
	v_cmp_nlt_f32_e64 s[2:3], |v10|, s2
                                        ; implicit-def: $vgpr13
	s_and_saveexec_b64 s[16:17], s[2:3]
	s_xor_b64 s[16:17], exec, s[16:17]
	s_cbranch_execz .LBB154_1591
; %bb.1590:
	s_mov_b32 s2, 0x800000
	v_cmp_lt_f32_e64 vcc, |v10|, s2
	v_cndmask_b32_e64 v11, 0, 32, vcc
	v_ldexp_f32 v11, |v10|, v11
	v_log_f32_e32 v11, v11
	s_mov_b32 s2, 0x3f317217
	s_mov_b32 s3, 0x7f800000
	v_mul_f32_e32 v13, 0x3f317217, v11
	v_fma_f32 v14, v11, s2, -v13
	v_fmac_f32_e32 v14, 0x3377d1cf, v11
	v_add_f32_e32 v13, v13, v14
	v_cmp_lt_f32_e64 s[2:3], |v11|, s3
	v_cndmask_b32_e64 v11, v11, v13, s[2:3]
	v_mov_b32_e32 v13, 0x41b17218
	v_cndmask_b32_e32 v13, 0, v13, vcc
	v_sub_f32_e32 v11, v11, v13
	v_fma_f32 v13, |v10|, v11, -|v10|
.LBB154_1591:
	s_andn2_saveexec_b64 s[16:17], s[16:17]
	s_cbranch_execz .LBB154_1593
; %bb.1592:
	v_rcp_f32_e64 v11, |v10|
	v_mov_b32_e32 v13, 0x3a5b3dd2
	v_mov_b32_e32 v14, 0xba1c065c
	;; [unrolled: 1-line block ×3, first 2 shown]
	v_mul_f32_e32 v16, v11, v11
	v_fmac_f32_e32 v13, 0xbad5c4e8, v16
	v_fmac_f32_e32 v14, v16, v13
	s_mov_b32 s2, 0x800000
	v_fmac_f32_e32 v15, v16, v14
	v_mov_b32_e32 v13, 0xbb360b61
	v_cmp_lt_f32_e64 vcc, |v10|, s2
	v_fmac_f32_e32 v13, v16, v15
	v_cndmask_b32_e64 v15, 0, 32, vcc
	v_ldexp_f32 v15, |v10|, v15
	v_log_f32_e32 v15, v15
	v_mov_b32_e32 v14, 0x3daaaaab
	v_fmac_f32_e32 v14, v16, v13
	v_mov_b32_e32 v13, 0x3ed67f1d
	v_fmac_f32_e32 v13, v11, v14
	s_mov_b32 s2, 0x3f317217
	v_mul_f32_e32 v14, 0x3f317217, v15
	v_fma_f32 v16, v15, s2, -v14
	v_fmac_f32_e32 v16, 0x3377d1cf, v15
	s_mov_b32 s2, 0x7f800000
	v_add_f32_e32 v14, v14, v16
	v_cmp_lt_f32_e64 s[2:3], |v15|, s2
	v_cndmask_b32_e64 v14, v15, v14, s[2:3]
	v_mov_b32_e32 v15, 0x41b17218
	v_cndmask_b32_e32 v15, 0, v15, vcc
	v_sub_f32_e32 v14, v14, v15
	v_add_f32_e64 v11, |v10|, -0.5
	v_add_f32_e32 v14, -1.0, v14
	v_fmac_f32_e32 v13, v11, v14
.LBB154_1593:
	s_or_b64 exec, exec, s[16:17]
.LBB154_1594:
	s_andn2_saveexec_b64 s[8:9], s[8:9]
	s_cbranch_execz .LBB154_1596
; %bb.1595:
	v_cvt_i32_f32_e32 v11, v8
	v_mov_b32_e32 v13, 0x3af135b4
	v_mov_b32_e32 v14, 0x3cda40e4
	;; [unrolled: 1-line block ×3, first 2 shown]
	v_cvt_f32_i32_e32 v16, v11
	v_mov_b32_e32 v17, 0x3ea6cc7a
	v_mov_b32_e32 v18, 0x3e5c245a
	v_cmp_lt_i32_e32 vcc, 2, v11
	v_sub_f32_e64 v16, |v10|, v16
	v_fmac_f32_e32 v13, 0x3805ff67, v16
	v_fmac_f32_e32 v14, v16, v13
	;; [unrolled: 1-line block ×3, first 2 shown]
	v_mov_b32_e32 v14, 0x3a4beed6
	v_fmac_f32_e32 v17, v16, v15
	v_fmac_f32_e32 v14, 0x36f5d7bd, v16
	v_mov_b32_e32 v15, 0x3c98bf54
	v_fmac_f32_e32 v15, v16, v14
	v_mov_b32_e32 v14, 0x3e300f6e
	;; [unrolled: 2-line block ×4, first 2 shown]
	v_fmac_f32_e32 v14, v16, v15
	v_add_f32_e32 v15, 2.0, v16
	v_mov_b32_e32 v19, 0xbd9e233f
	v_fmac_f32_e32 v18, v16, v17
	v_add_f32_e32 v17, 0x40400000, v16
	v_cndmask_b32_e32 v15, 1.0, v15, vcc
	v_cmp_lt_i32_e32 vcc, 3, v11
	v_fmac_f32_e32 v19, v16, v18
	v_add_f32_e32 v18, 4.0, v16
	v_cndmask_b32_e32 v17, 1.0, v17, vcc
	v_cmp_lt_i32_e32 vcc, 4, v11
	v_mul_f32_e32 v13, v16, v19
	v_add_f32_e32 v19, 0x40a00000, v16
	v_mul_f32_e32 v15, v15, v17
	v_cndmask_b32_e32 v17, 1.0, v18, vcc
	v_cmp_lt_i32_e32 vcc, 5, v11
	v_add_f32_e32 v20, 0x40c00000, v16
	v_mul_f32_e32 v15, v17, v15
	v_cndmask_b32_e32 v17, 1.0, v19, vcc
	v_cmp_lt_i32_e32 vcc, 6, v11
	v_mul_f32_e32 v15, v17, v15
	v_cndmask_b32_e32 v11, 1.0, v20, vcc
	v_mul_f32_e32 v11, v11, v15
	s_mov_b32 s2, 0x800000
	v_cmp_gt_f32_e32 vcc, s2, v11
	v_cndmask_b32_e64 v15, 0, 32, vcc
	v_fma_f32 v14, v16, v14, 1.0
	v_ldexp_f32 v11, v11, v15
	v_rcp_f32_e32 v14, v14
	v_log_f32_e32 v11, v11
	s_mov_b32 s2, 0x3f317217
	v_mul_f32_e32 v13, v13, v14
	v_mul_f32_e32 v14, 0x3f317217, v11
	v_fma_f32 v15, v11, s2, -v14
	v_fmac_f32_e32 v15, 0x3377d1cf, v11
	s_mov_b32 s2, 0x7f800000
	v_add_f32_e32 v14, v14, v15
	v_cmp_lt_f32_e64 s[2:3], |v11|, s2
	v_cndmask_b32_e64 v11, v11, v14, s[2:3]
	v_mov_b32_e32 v14, 0x41b17218
	v_cndmask_b32_e32 v14, 0, v14, vcc
	v_fmac_f32_e32 v13, 0.5, v16
	v_sub_f32_e32 v11, v11, v14
	v_add_f32_e32 v13, v11, v13
.LBB154_1596:
	s_or_b64 exec, exec, s[8:9]
.LBB154_1597:
	s_andn2_saveexec_b64 s[6:7], s[6:7]
	s_cbranch_execz .LBB154_1615
; %bb.1598:
	s_mov_b32 s2, 0x3f666666
	v_cmp_le_f32_e64 s[2:3], |v10|, s2
                                        ; implicit-def: $vgpr13
                                        ; implicit-def: $vgpr14
                                        ; implicit-def: $vgpr11
	s_and_saveexec_b64 s[8:9], s[2:3]
	s_xor_b64 s[8:9], exec, s[8:9]
	s_cbranch_execz .LBB154_1600
; %bb.1599:
	s_mov_b32 s2, 0x800000
	v_cmp_lt_f32_e64 vcc, |v10|, s2
	v_cndmask_b32_e64 v11, 0, 32, vcc
	v_ldexp_f32 v11, |v10|, v11
	v_log_f32_e32 v11, v11
	s_mov_b32 s2, 0x3f317217
	s_mov_b32 s3, 0x7f800000
	v_mul_f32_e32 v13, 0x3f317217, v11
	v_fma_f32 v14, v11, s2, -v13
	v_fmac_f32_e32 v14, 0x3377d1cf, v11
	v_add_f32_e32 v13, v13, v14
	v_cmp_lt_f32_e64 s[2:3], |v11|, s3
	v_cndmask_b32_e64 v11, v11, v13, s[2:3]
	v_mov_b32_e32 v13, 0x41b17218
	v_cndmask_b32_e32 v13, 0, v13, vcc
	v_sub_f32_e32 v11, v11, v13
	s_mov_b32 s2, 0x3f3b4a23
	s_mov_b32 s3, 0xbeec5b0c
	v_xor_b32_e32 v13, 0x80000000, v11
	v_sub_f32_e64 v11, 1.0, |v10|
	v_add_f32_e64 v14, |v10|, s3
	v_cmp_lt_f32_e64 vcc, |v10|, s2
	s_mov_b32 s2, 0x3e6d3309
	v_cndmask_b32_e32 v11, v11, v14, vcc
	v_cndmask_b32_e64 v14, 0, 1, vcc
	v_cmp_lt_f32_e64 s[2:3], |v10|, s2
	v_cndmask_b32_e64 v11, v11, |v10|, s[2:3]
	v_cndmask_b32_e64 v14, v14, 2, s[2:3]
.LBB154_1600:
	s_andn2_saveexec_b64 s[2:3], s[8:9]
	s_cbranch_execz .LBB154_1602
; %bb.1601:
	s_mov_b32 s8, 0x3fdda512
	s_mov_b32 s9, 0xbfbb16c3
	v_sub_f32_e64 v11, 2.0, |v10|
	v_add_f32_e64 v13, |v10|, s9
	v_cmp_lt_f32_e64 vcc, |v10|, s8
	v_cndmask_b32_e32 v13, v11, v13, vcc
	v_cndmask_b32_e64 v11, v11, 1.0, vcc
	v_cvt_i32_f32_e32 v14, v11
	s_mov_b32 s8, 0x3f9d70a4
	v_add_f32_e64 v11, |v10|, -1.0
	v_cmp_lt_f32_e64 vcc, |v10|, s8
	v_cndmask_b32_e32 v11, v13, v11, vcc
	v_cndmask_b32_e64 v14, v14, 2, vcc
	v_mov_b32_e32 v13, 0
.LBB154_1602:
	s_or_b64 exec, exec, s[2:3]
	v_cmp_lt_i32_e32 vcc, 0, v14
	s_and_saveexec_b64 s[2:3], vcc
	s_xor_b64 s[2:3], exec, s[2:3]
	s_cbranch_execz .LBB154_1610
; %bb.1603:
	v_cmp_lt_i32_e32 vcc, 1, v14
	s_and_saveexec_b64 s[8:9], vcc
	s_xor_b64 s[8:9], exec, s[8:9]
	s_cbranch_execz .LBB154_1607
; %bb.1604:
	v_cmp_eq_u32_e32 vcc, 2, v14
	s_and_saveexec_b64 s[16:17], vcc
	s_cbranch_execz .LBB154_1606
; %bb.1605:
	v_mov_b32_e32 v14, 0x3e6a7578
	v_fmac_f32_e32 v14, 0x3c5b3c5e, v11
	v_mov_b32_e32 v15, 0x3f7a4bb2
	v_fmac_f32_e32 v15, v11, v14
	;; [unrolled: 2-line block ×8, first 2 shown]
	v_fma_f32 v14, v11, v16, 1.0
	v_rcp_f32_e32 v14, v14
	v_mov_b32_e32 v16, 0xbd9e233f
	v_fmac_f32_e32 v16, v11, v15
	v_mul_f32_e32 v15, v11, v16
	v_mul_f32_e32 v14, v15, v14
	v_fmac_f32_e32 v14, -0.5, v11
	v_add_f32_e32 v13, v13, v14
.LBB154_1606:
	s_or_b64 exec, exec, s[16:17]
                                        ; implicit-def: $vgpr11
.LBB154_1607:
	s_andn2_saveexec_b64 s[8:9], s[8:9]
	s_cbranch_execz .LBB154_1609
; %bb.1608:
	v_mul_f32_e32 v14, v11, v11
	v_mul_f32_e32 v15, v11, v14
	v_mov_b32_e32 v16, 0xbab7f476
	v_fmac_f32_e32 v16, 0x39a57b6b, v15
	v_mov_b32_e32 v17, 0x3bc7e707
	v_fmac_f32_e32 v17, v15, v16
	v_mov_b32_e32 v16, 0xbd064d47
	v_fmac_f32_e32 v16, v15, v17
	v_mov_b32_e32 v17, 0x3ef7b95e
	v_fmac_f32_e32 v17, v15, v16
	v_mov_b32_e32 v16, 0x3a66f867
	v_fmac_f32_e32 v16, 0xb9a3f927, v15
	v_mov_b32_e32 v18, 0xbb7177fe
	v_fmac_f32_e32 v18, v15, v16
	v_mov_b32_e32 v16, 0x3c93373d
	v_fmac_f32_e32 v16, v15, v18
	v_mov_b32_e32 v18, 0xbe17213c
	v_fmac_f32_e32 v18, v15, v16
	v_mov_b32_e32 v16, 0xba0d3085
	v_fmac_f32_e32 v16, 0x39afe9f7, v15
	v_mov_b32_e32 v19, 0x3b141699
	v_fmac_f32_e32 v19, v15, v16
	v_mov_b32_e32 v16, 0xbc28fcfe
	v_fmac_f32_e32 v16, v15, v19
	v_mov_b32_e32 v19, 0x3d845a15
	v_fmac_f32_e32 v19, v15, v16
	v_fmac_f32_e32 v18, v11, v19
	s_mov_b32 s16, 0xa2863e55
	v_fma_f32 v11, v15, -v18, s16
	v_fma_f32 v11, v14, v17, -v11
	v_add_f32_e32 v11, 0xbdf8cdce, v11
	v_add_f32_e32 v13, v13, v11
.LBB154_1609:
	s_or_b64 exec, exec, s[8:9]
                                        ; implicit-def: $vgpr14
                                        ; implicit-def: $vgpr11
.LBB154_1610:
	s_andn2_saveexec_b64 s[2:3], s[2:3]
	s_cbranch_execz .LBB154_1614
; %bb.1611:
	v_cmp_eq_u32_e32 vcc, 0, v14
	s_and_saveexec_b64 s[8:9], vcc
	s_cbranch_execz .LBB154_1613
; %bb.1612:
	v_mul_f32_e32 v14, v11, v11
	v_mov_b32_e32 v15, 0x39679767
	v_fmac_f32_e32 v15, 0x37d383a2, v14
	v_mov_b32_e32 v16, 0x3a9c54a1
	v_fmac_f32_e32 v16, v14, v15
	;; [unrolled: 2-line block ×10, first 2 shown]
	v_mul_f32_e32 v14, v14, v16
	v_fmac_f32_e32 v14, v11, v15
	v_fmac_f32_e32 v14, -0.5, v11
	v_add_f32_e32 v13, v13, v14
.LBB154_1613:
	s_or_b64 exec, exec, s[8:9]
.LBB154_1614:
	s_or_b64 exec, exec, s[2:3]
.LBB154_1615:
	s_or_b64 exec, exec, s[6:7]
.LBB154_1616:
	s_andn2_saveexec_b64 s[4:5], s[4:5]
	s_cbranch_execz .LBB154_1618
; %bb.1617:
	s_mov_b32 s2, 0x3e8a8991
	v_mov_b32_e32 v11, 0xbecd26ab
	v_fma_f32 v11, |v10|, s2, v11
	s_mov_b32 s2, 0x3f528d33
	v_fma_f32 v11, |v10|, v11, s2
	s_mov_b32 s2, 0x800000
	v_cmp_lt_f32_e64 vcc, |v10|, s2
	v_cndmask_b32_e64 v13, 0, 32, vcc
	v_ldexp_f32 v13, |v10|, v13
	v_log_f32_e32 v13, v13
	s_mov_b32 s2, 0xbf13c468
	v_fma_f32 v11, |v10|, v11, s2
	s_mov_b32 s2, 0x3f317217
	v_mul_f32_e32 v14, 0x3f317217, v13
	v_fma_f32 v15, v13, s2, -v14
	v_fmac_f32_e32 v15, 0x3377d1cf, v13
	s_mov_b32 s2, 0x7f800000
	v_add_f32_e32 v14, v14, v15
	v_cmp_lt_f32_e64 s[2:3], |v13|, s2
	v_cndmask_b32_e64 v13, v13, v14, s[2:3]
	v_mov_b32_e32 v14, 0x41b17218
	v_cndmask_b32_e32 v14, 0, v14, vcc
	v_sub_f32_e32 v13, v13, v14
	v_fma_f32 v13, |v10|, v11, -v13
.LBB154_1618:
	s_or_b64 exec, exec, s[4:5]
	v_cmp_le_f16_e64 s[2:3], 0, v12
	v_cmp_nle_f16_e32 vcc, 0, v12
	s_and_saveexec_b64 s[4:5], vcc
	s_xor_b64 s[6:7], exec, s[4:5]
	s_cbranch_execz .LBB154_1622
; %bb.1619:
	s_mov_b32 s4, 0x4b000000
	s_mov_b32 s8, 0x35000000
	v_cmp_lt_f32_e64 s[4:5], |v10|, s4
	v_cmp_gt_f32_e64 s[8:9], |v10|, s8
	s_and_b64 s[4:5], s[4:5], s[8:9]
	s_and_saveexec_b64 s[8:9], s[4:5]
	s_cbranch_execz .LBB154_1621
; %bb.1620:
	v_mul_f32_e64 v11, |v10|, 0.5
	v_floor_f32_e32 v14, v11
	v_sub_f32_e32 v14, v11, v14
	v_min_f32_e32 v14, 0x3f7fffff, v14
	s_mov_b32 s16, 0x7f800000
	v_add_f32_e32 v14, v14, v14
	v_cmp_neq_f32_e32 vcc, s16, v11
	v_cndmask_b32_e32 v11, 0, v14, vcc
	v_cmp_gt_f32_e64 s[4:5], |v10|, 1.0
	v_cndmask_b32_e64 v11, |v10|, v11, s[4:5]
	v_add_f32_e32 v14, v11, v11
	v_rndne_f32_e32 v14, v14
	v_fmac_f32_e32 v11, -0.5, v14
	v_mul_f32_e32 v15, v11, v11
	v_mov_b32_e32 v16, 0xbf1f24be
	v_fmac_f32_e32 v16, 0x3e75aa41, v15
	v_mov_b32_e32 v17, 0x40234736
	v_fmac_f32_e32 v17, v15, v16
	;; [unrolled: 2-line block ×3, first 2 shown]
	v_mul_f32_e32 v17, v11, v15
	v_mul_f32_e32 v16, v17, v16
	v_fmac_f32_e32 v16, 0x40490fdb, v11
	v_mov_b32_e32 v11, 0x3e642e9d
	v_cvt_i32_f32_e32 v14, v14
	v_fmac_f32_e32 v11, 0x3d4be544, v15
	v_mov_b32_e32 v17, 0xbfaad1da
	v_fmac_f32_e32 v17, v15, v11
	v_mov_b32_e32 v11, 0x4081e0d3
	;; [unrolled: 2-line block ×3, first 2 shown]
	v_fmac_f32_e32 v17, v15, v11
	v_fma_f32 v11, v15, v17, 1.0
	v_and_b32_e32 v15, 1, v14
	v_lshlrev_b32_e32 v14, 30, v14
	v_cmp_eq_u32_e32 vcc, 0, v15
	v_and_b32_e32 v14, 0x80000000, v14
	v_xor_b32_e32 v8, v8, v10
	v_cndmask_b32_e32 v11, v11, v16, vcc
	v_xor_b32_e32 v8, v8, v14
	v_xor_b32_e32 v8, v8, v11
	v_mul_f32_e32 v8, v10, v8
	v_frexp_mant_f32_e64 v11, |v8|
	v_rcp_f32_e32 v11, v11
	v_frexp_exp_i32_f32_e32 v8, v8
	v_sub_u32_e32 v8, 2, v8
	s_mov_b32 s4, 0x800000
	v_mul_f32_e32 v11, 0x3f490fdb, v11
	v_ldexp_f32 v8, v11, v8
	v_cmp_gt_f32_e32 vcc, s4, v8
	v_cndmask_b32_e64 v11, 0, 32, vcc
	v_ldexp_f32 v8, v8, v11
	v_log_f32_e32 v8, v8
	s_mov_b32 s4, 0x3f317217
	v_mul_f32_e32 v11, 0x3f317217, v8
	v_fma_f32 v14, v8, s4, -v11
	v_fmac_f32_e32 v14, 0x3377d1cf, v8
	v_add_f32_e32 v11, v11, v14
	v_cmp_lt_f32_e64 s[4:5], |v8|, s16
	v_cndmask_b32_e64 v8, v8, v11, s[4:5]
	v_mov_b32_e32 v11, 0x41b17218
	v_cndmask_b32_e32 v11, 0, v11, vcc
	v_sub_f32_e32 v8, v8, v11
	v_floor_f32_e32 v11, v10
	v_sub_f32_e32 v11, v10, v11
	v_min_f32_e32 v11, 0x3f7fffff, v11
	v_sub_f32_e32 v8, v8, v13
	v_mov_b32_e32 v13, 0x7f800000
	v_cmp_neq_f32_e32 vcc, 0, v11
	v_cndmask_b32_e32 v13, v13, v8, vcc
.LBB154_1621:
	s_or_b64 exec, exec, s[8:9]
.LBB154_1622:
	s_andn2_saveexec_b64 s[6:7], s[6:7]
; %bb.1623:
	v_cmp_eq_f16_e32 vcc, 1.0, v12
	v_cmp_eq_f16_e64 s[4:5], 2.0, v12
	s_or_b64 s[4:5], vcc, s[4:5]
	v_cndmask_b32_e64 v13, v13, 0, s[4:5]
; %bb.1624:
	s_or_b64 exec, exec, s[6:7]
	v_mov_b32_e32 v11, s15
	v_add_co_u32_e32 v8, vcc, s14, v9
	s_cmp_lt_i32 s21, 11
	v_addc_co_u32_e32 v9, vcc, 0, v11, vcc
	s_cbranch_scc1 .LBB154_1631
; %bb.1625:
	s_and_b32 s22, 0xffff, s21
	s_cmp_gt_i32 s22, 25
	s_mov_b64 s[6:7], 0
	s_cbranch_scc0 .LBB154_1633
; %bb.1626:
	s_cmp_gt_i32 s22, 28
	s_cbranch_scc0 .LBB154_1634
; %bb.1627:
	s_cmp_gt_i32 s22, 43
	;; [unrolled: 3-line block ×3, first 2 shown]
	s_cbranch_scc0 .LBB154_1637
; %bb.1629:
	s_cmp_eq_u32 s22, 46
	s_mov_b64 s[16:17], 0
	s_cbranch_scc0 .LBB154_1638
; %bb.1630:
	global_load_dword v11, v[8:9], off
	s_mov_b64 s[4:5], 0
	s_mov_b64 s[8:9], -1
	s_waitcnt vmcnt(0)
	v_lshlrev_b32_e32 v11, 16, v11
	v_cvt_f16_f32_e32 v11, v11
	s_branch .LBB154_1639
.LBB154_1631:
	s_mov_b64 s[8:9], 0
                                        ; implicit-def: $vgpr11
	s_cbranch_execnz .LBB154_1705
.LBB154_1632:
	s_andn2_b64 vcc, exec, s[8:9]
	s_cbranch_vccnz .LBB154_2392
	s_branch .LBB154_1753
.LBB154_1633:
	s_mov_b64 s[16:17], -1
	s_mov_b64 s[8:9], 0
	s_mov_b64 s[4:5], 0
                                        ; implicit-def: $vgpr11
	s_branch .LBB154_1668
.LBB154_1634:
	s_mov_b64 s[16:17], -1
	s_mov_b64 s[8:9], 0
	s_mov_b64 s[4:5], 0
                                        ; implicit-def: $vgpr11
	s_branch .LBB154_1649
.LBB154_1635:
	s_mov_b64 s[16:17], -1
	s_mov_b64 s[8:9], 0
	s_mov_b64 s[4:5], 0
                                        ; implicit-def: $vgpr11
	s_branch .LBB154_1644
.LBB154_1636:
	s_trap 2
	s_or_b64 s[10:11], s[10:11], exec
	s_cbranch_execz .LBB154_1537
	s_branch .LBB154_1538
.LBB154_1637:
	s_mov_b64 s[16:17], -1
	s_mov_b64 s[8:9], 0
	s_mov_b64 s[4:5], 0
                                        ; implicit-def: $vgpr11
	s_branch .LBB154_1639
.LBB154_1638:
	s_mov_b64 s[4:5], -1
                                        ; implicit-def: $vgpr11
	s_mov_b64 s[8:9], 0
.LBB154_1639:
	s_and_b64 vcc, exec, s[16:17]
	s_cbranch_vccz .LBB154_1643
; %bb.1640:
	s_cmp_eq_u32 s22, 44
	s_cbranch_scc0 .LBB154_1642
; %bb.1641:
	global_load_ubyte v11, v[8:9], off
	s_movk_i32 s8, 0xff
	v_mov_b32_e32 v15, 0x7e00
	s_mov_b64 s[4:5], 0
	s_waitcnt vmcnt(0)
	v_lshlrev_b32_e32 v14, 23, v11
	v_cvt_f16_f32_e32 v14, v14
	v_cmp_ne_u32_e32 vcc, s8, v11
	s_mov_b64 s[8:9], -1
	v_cndmask_b32_e32 v14, v15, v14, vcc
	v_cmp_ne_u32_e32 vcc, 0, v11
	v_cndmask_b32_e32 v11, 0, v14, vcc
	s_branch .LBB154_1643
.LBB154_1642:
	s_mov_b64 s[4:5], -1
                                        ; implicit-def: $vgpr11
.LBB154_1643:
	s_mov_b64 s[16:17], 0
.LBB154_1644:
	s_and_b64 vcc, exec, s[16:17]
	s_cbranch_vccz .LBB154_1648
; %bb.1645:
	s_cmp_eq_u32 s22, 29
	s_cbranch_scc0 .LBB154_1647
; %bb.1646:
	global_load_dwordx2 v[14:15], v[8:9], off
	s_mov_b64 s[4:5], 0
	s_mov_b64 s[8:9], -1
	s_mov_b64 s[16:17], 0
	s_waitcnt vmcnt(0)
	v_ffbh_u32_e32 v11, v15
	v_min_u32_e32 v11, 32, v11
	v_lshlrev_b64 v[14:15], v11, v[14:15]
	v_sub_u32_e32 v11, 32, v11
	v_min_u32_e32 v14, 1, v14
	v_or_b32_e32 v14, v15, v14
	v_cvt_f32_u32_e32 v14, v14
	v_ldexp_f32 v11, v14, v11
	v_cvt_f16_f32_e32 v11, v11
	s_branch .LBB154_1649
.LBB154_1647:
	s_mov_b64 s[4:5], -1
                                        ; implicit-def: $vgpr11
.LBB154_1648:
	s_mov_b64 s[16:17], 0
.LBB154_1649:
	s_and_b64 vcc, exec, s[16:17]
	s_cbranch_vccz .LBB154_1667
; %bb.1650:
	s_cmp_lt_i32 s22, 27
	s_cbranch_scc1 .LBB154_1653
; %bb.1651:
	s_cmp_gt_i32 s22, 27
	s_cbranch_scc0 .LBB154_1654
; %bb.1652:
	global_load_dword v11, v[8:9], off
	s_mov_b64 s[8:9], 0
	s_waitcnt vmcnt(0)
	v_cvt_f32_u32_e32 v11, v11
	v_cvt_f16_f32_e32 v11, v11
	s_branch .LBB154_1655
.LBB154_1653:
	s_mov_b64 s[8:9], -1
                                        ; implicit-def: $vgpr11
	s_branch .LBB154_1658
.LBB154_1654:
	s_mov_b64 s[8:9], -1
                                        ; implicit-def: $vgpr11
.LBB154_1655:
	s_andn2_b64 vcc, exec, s[8:9]
	s_cbranch_vccnz .LBB154_1657
; %bb.1656:
	global_load_ushort v11, v[8:9], off
	s_waitcnt vmcnt(0)
	v_cvt_f16_u16_e32 v11, v11
.LBB154_1657:
	s_mov_b64 s[8:9], 0
.LBB154_1658:
	s_andn2_b64 vcc, exec, s[8:9]
	s_cbranch_vccnz .LBB154_1666
; %bb.1659:
	global_load_ubyte v14, v[8:9], off
	s_movk_i32 s8, 0x7f
	s_waitcnt vmcnt(0)
	v_cmp_lt_i16_e32 vcc, s8, v14
	s_mov_b64 s[8:9], 0
	s_and_saveexec_b64 s[16:17], vcc
	s_xor_b64 s[16:17], exec, s[16:17]
	s_cbranch_execz .LBB154_1680
; %bb.1660:
	s_movk_i32 s8, 0x80
	v_cmp_eq_u16_e32 vcc, s8, v14
	s_mov_b64 s[8:9], -1
	s_and_saveexec_b64 s[18:19], vcc
; %bb.1661:
	s_xor_b64 s[8:9], exec, -1
; %bb.1662:
	s_or_b64 exec, exec, s[18:19]
	s_and_b64 s[8:9], s[8:9], exec
	s_or_saveexec_b64 s[16:17], s[16:17]
	v_mov_b32_e32 v11, 0x7e00
	s_xor_b64 exec, exec, s[16:17]
	s_cbranch_execnz .LBB154_1681
.LBB154_1663:
	s_or_b64 exec, exec, s[16:17]
	s_and_saveexec_b64 s[16:17], s[8:9]
	s_cbranch_execz .LBB154_1665
.LBB154_1664:
	v_lshlrev_b32_e32 v11, 24, v14
	v_and_b32_e32 v14, 0xffff, v14
	v_and_b32_e32 v15, 7, v14
	v_ffbh_u32_e32 v17, v15
	v_min_u32_e32 v17, 32, v17
	v_subrev_u32_e32 v18, 28, v17
	v_bfe_u32 v16, v14, 3, 4
	v_lshlrev_b32_e32 v14, v18, v14
	v_sub_u32_e32 v17, 29, v17
	v_and_b32_e32 v14, 7, v14
	v_cmp_eq_u32_e32 vcc, 0, v16
	v_cndmask_b32_e32 v16, v16, v17, vcc
	v_cndmask_b32_e32 v14, v15, v14, vcc
	v_mov_b32_e32 v15, 0x3b800000
	v_lshlrev_b32_e32 v14, 20, v14
	v_and_b32_e32 v11, 0x80000000, v11
	v_lshl_add_u32 v15, v16, 23, v15
	v_or3_b32 v11, v11, v15, v14
	v_cvt_f16_f32_e32 v11, v11
.LBB154_1665:
	s_or_b64 exec, exec, s[16:17]
.LBB154_1666:
	s_mov_b64 s[8:9], -1
.LBB154_1667:
	s_mov_b64 s[16:17], 0
.LBB154_1668:
	s_and_b64 vcc, exec, s[16:17]
	s_cbranch_vccz .LBB154_1701
; %bb.1669:
	s_cmp_gt_i32 s22, 22
	s_cbranch_scc0 .LBB154_1679
; %bb.1670:
	s_cmp_lt_i32 s22, 24
	s_cbranch_scc1 .LBB154_1682
; %bb.1671:
	s_cmp_gt_i32 s22, 24
	s_cbranch_scc0 .LBB154_1683
; %bb.1672:
	global_load_ubyte v14, v[8:9], off
	s_movk_i32 s6, 0x7f
	s_waitcnt vmcnt(0)
	v_cmp_lt_i16_e32 vcc, s6, v14
	s_mov_b64 s[6:7], 0
	s_and_saveexec_b64 s[8:9], vcc
	s_xor_b64 s[8:9], exec, s[8:9]
	s_cbranch_execz .LBB154_1695
; %bb.1673:
	s_movk_i32 s6, 0x80
	v_cmp_eq_u16_e32 vcc, s6, v14
	s_mov_b64 s[6:7], -1
	s_and_saveexec_b64 s[16:17], vcc
; %bb.1674:
	s_xor_b64 s[6:7], exec, -1
; %bb.1675:
	s_or_b64 exec, exec, s[16:17]
	s_and_b64 s[6:7], s[6:7], exec
	s_or_saveexec_b64 s[8:9], s[8:9]
	v_mov_b32_e32 v11, 0x7e00
	s_xor_b64 exec, exec, s[8:9]
	s_cbranch_execnz .LBB154_1696
.LBB154_1676:
	s_or_b64 exec, exec, s[8:9]
	s_and_saveexec_b64 s[8:9], s[6:7]
	s_cbranch_execz .LBB154_1678
.LBB154_1677:
	v_lshlrev_b32_e32 v11, 24, v14
	v_and_b32_e32 v14, 0xffff, v14
	v_and_b32_e32 v15, 3, v14
	v_ffbh_u32_e32 v17, v15
	v_min_u32_e32 v17, 32, v17
	v_subrev_u32_e32 v18, 29, v17
	v_bfe_u32 v16, v14, 2, 5
	v_lshlrev_b32_e32 v14, v18, v14
	v_sub_u32_e32 v17, 30, v17
	v_and_b32_e32 v14, 3, v14
	v_cmp_eq_u32_e32 vcc, 0, v16
	v_cndmask_b32_e32 v16, v16, v17, vcc
	v_cndmask_b32_e32 v14, v15, v14, vcc
	v_mov_b32_e32 v15, 0x37800000
	v_lshlrev_b32_e32 v14, 21, v14
	v_and_b32_e32 v11, 0x80000000, v11
	v_lshl_add_u32 v15, v16, 23, v15
	v_or3_b32 v11, v11, v15, v14
	v_cvt_f16_f32_e32 v11, v11
.LBB154_1678:
	s_or_b64 exec, exec, s[8:9]
	s_mov_b64 s[6:7], 0
	s_branch .LBB154_1684
.LBB154_1679:
	s_mov_b64 s[6:7], -1
                                        ; implicit-def: $vgpr11
	s_branch .LBB154_1690
.LBB154_1680:
	s_or_saveexec_b64 s[16:17], s[16:17]
	v_mov_b32_e32 v11, 0x7e00
	s_xor_b64 exec, exec, s[16:17]
	s_cbranch_execz .LBB154_1663
.LBB154_1681:
	v_cmp_ne_u16_e32 vcc, 0, v14
	s_andn2_b64 s[8:9], s[8:9], exec
	s_and_b64 s[18:19], vcc, exec
	s_or_b64 s[8:9], s[8:9], s[18:19]
	v_mov_b32_e32 v11, v14
	s_or_b64 exec, exec, s[16:17]
	s_and_saveexec_b64 s[16:17], s[8:9]
	s_cbranch_execnz .LBB154_1664
	s_branch .LBB154_1665
.LBB154_1682:
	s_mov_b64 s[6:7], -1
                                        ; implicit-def: $vgpr11
	s_branch .LBB154_1687
.LBB154_1683:
	s_mov_b64 s[6:7], -1
                                        ; implicit-def: $vgpr11
.LBB154_1684:
	s_and_b64 vcc, exec, s[6:7]
	s_cbranch_vccz .LBB154_1686
; %bb.1685:
	global_load_ubyte v11, v[8:9], off
	s_mov_b32 s6, 0x7f800000
	s_waitcnt vmcnt(0)
	v_lshlrev_b32_e32 v11, 24, v11
	v_and_b32_e32 v14, 0x7f000000, v11
	v_ffbh_u32_e32 v15, v14
	v_min_u32_e32 v15, 32, v15
	v_sub_u32_e64 v15, v15, 4 clamp
	v_lshlrev_b32_e32 v17, v15, v14
	v_lshlrev_b32_e32 v15, 23, v15
	v_lshrrev_b32_e32 v17, 4, v17
	v_add_u32_e32 v16, 0x1000000, v14
	v_sub_u32_e32 v15, v17, v15
	v_ashrrev_i32_e32 v16, 8, v16
	v_add_u32_e32 v15, 0x3c000000, v15
	v_and_or_b32 v15, v16, s6, v15
	v_cmp_ne_u32_e32 vcc, 0, v14
	v_cndmask_b32_e32 v14, 0, v15, vcc
	s_brev_b32 s6, 1
	v_and_or_b32 v11, v11, s6, v14
	v_cvt_f16_f32_e32 v11, v11
.LBB154_1686:
	s_mov_b64 s[6:7], 0
.LBB154_1687:
	s_andn2_b64 vcc, exec, s[6:7]
	s_cbranch_vccnz .LBB154_1689
; %bb.1688:
	global_load_ubyte v11, v[8:9], off
	s_movk_i32 s6, 0x7f00
	s_brev_b32 s7, 16
	s_waitcnt vmcnt(0)
	v_lshlrev_b16_e32 v14, 8, v11
	v_lshlrev_b32_e32 v11, 25, v11
	v_lshrrev_b32_e32 v15, 4, v11
	v_and_or_b32 v16, v14, s6, 0.5
	v_or_b32_e32 v15, 0x70000000, v15
	v_add_f32_e32 v16, -0.5, v16
	v_mul_f32_e32 v15, 0x7800000, v15
	v_cmp_gt_u32_e32 vcc, s7, v11
	v_bfe_i32 v14, v14, 0, 16
	v_cndmask_b32_e32 v11, v15, v16, vcc
	s_brev_b32 s6, 1
	v_and_or_b32 v11, v14, s6, v11
	v_cvt_f16_f32_e32 v11, v11
.LBB154_1689:
	s_mov_b64 s[6:7], 0
	s_mov_b64 s[8:9], -1
.LBB154_1690:
	s_andn2_b64 vcc, exec, s[6:7]
	s_mov_b64 s[6:7], 0
	s_cbranch_vccnz .LBB154_1701
; %bb.1691:
	s_cmp_gt_i32 s22, 14
	s_cbranch_scc0 .LBB154_1694
; %bb.1692:
	s_cmp_eq_u32 s22, 15
	s_cbranch_scc0 .LBB154_1697
; %bb.1693:
	global_load_ushort v11, v[8:9], off
	s_mov_b64 s[4:5], 0
	s_mov_b64 s[8:9], -1
	s_waitcnt vmcnt(0)
	v_lshlrev_b32_e32 v11, 16, v11
	v_cvt_f16_f32_e32 v11, v11
	s_branch .LBB154_1698
.LBB154_1694:
	s_mov_b64 s[16:17], -1
                                        ; implicit-def: $vgpr11
	s_branch .LBB154_1699
.LBB154_1695:
	s_or_saveexec_b64 s[8:9], s[8:9]
	v_mov_b32_e32 v11, 0x7e00
	s_xor_b64 exec, exec, s[8:9]
	s_cbranch_execz .LBB154_1676
.LBB154_1696:
	v_cmp_ne_u16_e32 vcc, 0, v14
	s_andn2_b64 s[6:7], s[6:7], exec
	s_and_b64 s[16:17], vcc, exec
	s_or_b64 s[6:7], s[6:7], s[16:17]
	v_mov_b32_e32 v11, v14
	s_or_b64 exec, exec, s[8:9]
	s_and_saveexec_b64 s[8:9], s[6:7]
	s_cbranch_execnz .LBB154_1677
	s_branch .LBB154_1678
.LBB154_1697:
	s_mov_b64 s[4:5], -1
                                        ; implicit-def: $vgpr11
.LBB154_1698:
	s_mov_b64 s[16:17], 0
.LBB154_1699:
	s_and_b64 vcc, exec, s[16:17]
	s_cbranch_vccz .LBB154_1701
; %bb.1700:
	s_cmp_lg_u32 s22, 11
	s_mov_b64 s[6:7], -1
	s_cselect_b64 s[4:5], -1, 0
.LBB154_1701:
	s_and_b64 vcc, exec, s[4:5]
	s_cbranch_vccnz .LBB154_1802
; %bb.1702:
	s_andn2_b64 vcc, exec, s[6:7]
	s_cbranch_vccnz .LBB154_1704
.LBB154_1703:
	global_load_ubyte v11, v[8:9], off
	v_mov_b32_e32 v14, 0x3c00
	s_mov_b64 s[8:9], -1
	s_waitcnt vmcnt(0)
	v_cmp_ne_u16_e32 vcc, 0, v11
	v_cndmask_b32_e32 v11, 0, v14, vcc
.LBB154_1704:
	s_branch .LBB154_1632
.LBB154_1705:
	s_and_b32 s6, 0xffff, s21
	s_cmp_lt_i32 s6, 5
	s_cbranch_scc1 .LBB154_1710
; %bb.1706:
	s_cmp_lt_i32 s6, 8
	s_cbranch_scc1 .LBB154_1711
; %bb.1707:
	;; [unrolled: 3-line block ×3, first 2 shown]
	s_cmp_gt_i32 s6, 9
	s_cbranch_scc0 .LBB154_1713
; %bb.1709:
	global_load_dwordx2 v[14:15], v[8:9], off
	s_movk_i32 s4, 0x1ff
	s_movk_i32 s5, 0xffe
	v_mov_b32_e32 v11, 0x7c00
	v_mov_b32_e32 v16, 0x7e00
	s_movk_i32 s7, 0x40f
	s_mov_b32 s8, 0x8000
	s_waitcnt vmcnt(0)
	v_and_or_b32 v14, v15, s4, v14
	v_cmp_ne_u32_e32 vcc, 0, v14
	v_lshrrev_b32_e32 v17, 8, v15
	v_bfe_u32 v18, v15, 20, 11
	v_cndmask_b32_e64 v14, 0, 1, vcc
	v_sub_u32_e32 v19, 0x3f1, v18
	v_and_or_b32 v14, v17, s5, v14
	v_add_u32_e32 v18, 0xfffffc10, v18
	v_med3_i32 v17, v19, 0, 13
	v_or_b32_e32 v19, 0x1000, v14
	v_cmp_ne_u32_e32 vcc, 0, v14
	v_lshl_or_b32 v20, v18, 12, v14
	v_cndmask_b32_e32 v14, v11, v16, vcc
	v_lshrrev_b32_e32 v16, v17, v19
	v_lshlrev_b32_e32 v17, v17, v16
	v_cmp_ne_u32_e32 vcc, v17, v19
	v_cndmask_b32_e64 v17, 0, 1, vcc
	v_or_b32_e32 v16, v16, v17
	v_cmp_gt_i32_e32 vcc, 1, v18
	v_cndmask_b32_e32 v16, v20, v16, vcc
	v_and_b32_e32 v17, 7, v16
	v_cmp_lt_i32_e32 vcc, 5, v17
	v_cndmask_b32_e64 v19, 0, 1, vcc
	v_cmp_eq_u32_e32 vcc, 3, v17
	v_cndmask_b32_e64 v17, 0, 1, vcc
	v_lshrrev_b32_e32 v16, 2, v16
	v_or_b32_e32 v17, v17, v19
	v_add_u32_e32 v16, v16, v17
	v_cmp_gt_i32_e32 vcc, 31, v18
	v_cndmask_b32_e32 v11, v11, v16, vcc
	v_cmp_eq_u32_e32 vcc, s7, v18
	v_lshrrev_b32_e32 v15, 16, v15
	v_cndmask_b32_e32 v11, v11, v14, vcc
	v_and_or_b32 v11, v15, s8, v11
	s_mov_b64 s[4:5], 0
	s_branch .LBB154_1714
.LBB154_1710:
	s_mov_b64 s[4:5], -1
                                        ; implicit-def: $vgpr11
	s_branch .LBB154_1732
.LBB154_1711:
	s_mov_b64 s[4:5], -1
                                        ; implicit-def: $vgpr11
	s_branch .LBB154_1720
.LBB154_1712:
	s_mov_b64 s[4:5], -1
                                        ; implicit-def: $vgpr11
	s_branch .LBB154_1717
.LBB154_1713:
	s_mov_b64 s[4:5], -1
                                        ; implicit-def: $vgpr11
.LBB154_1714:
	s_andn2_b64 vcc, exec, s[4:5]
	s_cbranch_vccnz .LBB154_1716
; %bb.1715:
	global_load_dword v11, v[8:9], off
	s_waitcnt vmcnt(0)
	v_cvt_f16_f32_e32 v11, v11
.LBB154_1716:
	s_mov_b64 s[4:5], 0
.LBB154_1717:
	s_andn2_b64 vcc, exec, s[4:5]
	s_cbranch_vccnz .LBB154_1719
; %bb.1718:
	global_load_dword v11, v[8:9], off
.LBB154_1719:
	s_mov_b64 s[4:5], 0
.LBB154_1720:
	s_andn2_b64 vcc, exec, s[4:5]
	s_cbranch_vccnz .LBB154_1731
; %bb.1721:
	s_cmp_lt_i32 s6, 6
	s_cbranch_scc1 .LBB154_1724
; %bb.1722:
	s_cmp_gt_i32 s6, 6
	s_cbranch_scc0 .LBB154_1725
; %bb.1723:
	global_load_dwordx2 v[14:15], v[8:9], off
	s_movk_i32 s4, 0x1ff
	s_movk_i32 s5, 0xffe
	s_waitcnt vmcnt(1)
	v_mov_b32_e32 v11, 0x7c00
	v_mov_b32_e32 v16, 0x7e00
	s_movk_i32 s7, 0x40f
	s_mov_b32 s8, 0x8000
	s_waitcnt vmcnt(0)
	v_and_or_b32 v14, v15, s4, v14
	v_cmp_ne_u32_e32 vcc, 0, v14
	v_lshrrev_b32_e32 v17, 8, v15
	v_bfe_u32 v18, v15, 20, 11
	v_cndmask_b32_e64 v14, 0, 1, vcc
	v_sub_u32_e32 v19, 0x3f1, v18
	v_and_or_b32 v14, v17, s5, v14
	v_add_u32_e32 v18, 0xfffffc10, v18
	v_med3_i32 v17, v19, 0, 13
	v_or_b32_e32 v19, 0x1000, v14
	v_cmp_ne_u32_e32 vcc, 0, v14
	v_lshl_or_b32 v20, v18, 12, v14
	v_cndmask_b32_e32 v14, v11, v16, vcc
	v_lshrrev_b32_e32 v16, v17, v19
	v_lshlrev_b32_e32 v17, v17, v16
	v_cmp_ne_u32_e32 vcc, v17, v19
	v_cndmask_b32_e64 v17, 0, 1, vcc
	v_or_b32_e32 v16, v16, v17
	v_cmp_gt_i32_e32 vcc, 1, v18
	v_cndmask_b32_e32 v16, v20, v16, vcc
	v_and_b32_e32 v17, 7, v16
	v_cmp_lt_i32_e32 vcc, 5, v17
	v_cndmask_b32_e64 v19, 0, 1, vcc
	v_cmp_eq_u32_e32 vcc, 3, v17
	v_cndmask_b32_e64 v17, 0, 1, vcc
	v_lshrrev_b32_e32 v16, 2, v16
	v_or_b32_e32 v17, v17, v19
	v_add_u32_e32 v16, v16, v17
	v_cmp_gt_i32_e32 vcc, 31, v18
	v_cndmask_b32_e32 v11, v11, v16, vcc
	v_cmp_eq_u32_e32 vcc, s7, v18
	v_lshrrev_b32_e32 v15, 16, v15
	v_cndmask_b32_e32 v11, v11, v14, vcc
	v_and_or_b32 v11, v15, s8, v11
	s_mov_b64 s[4:5], 0
	s_branch .LBB154_1726
.LBB154_1724:
	s_mov_b64 s[4:5], -1
                                        ; implicit-def: $vgpr11
	s_branch .LBB154_1729
.LBB154_1725:
	s_mov_b64 s[4:5], -1
                                        ; implicit-def: $vgpr11
.LBB154_1726:
	s_andn2_b64 vcc, exec, s[4:5]
	s_cbranch_vccnz .LBB154_1728
; %bb.1727:
	global_load_dword v11, v[8:9], off
	s_waitcnt vmcnt(0)
	v_cvt_f16_f32_e32 v11, v11
.LBB154_1728:
	s_mov_b64 s[4:5], 0
.LBB154_1729:
	s_andn2_b64 vcc, exec, s[4:5]
	s_cbranch_vccnz .LBB154_1731
; %bb.1730:
	global_load_ushort v11, v[8:9], off
.LBB154_1731:
	s_mov_b64 s[4:5], 0
.LBB154_1732:
	s_andn2_b64 vcc, exec, s[4:5]
	s_cbranch_vccnz .LBB154_1752
; %bb.1733:
	s_cmp_lt_i32 s6, 2
	s_cbranch_scc1 .LBB154_1737
; %bb.1734:
	s_cmp_lt_i32 s6, 3
	s_cbranch_scc1 .LBB154_1738
; %bb.1735:
	s_cmp_gt_i32 s6, 3
	s_cbranch_scc0 .LBB154_1739
; %bb.1736:
	global_load_dwordx2 v[14:15], v[8:9], off
	s_mov_b64 s[4:5], 0
	s_waitcnt vmcnt(0)
	v_xor_b32_e32 v16, v14, v15
	v_ffbh_i32_e32 v11, v15
	v_ashrrev_i32_e32 v16, 31, v16
	v_add_u32_e32 v11, -1, v11
	v_add_u32_e32 v16, 32, v16
	v_min_u32_e32 v11, v11, v16
	v_lshlrev_b64 v[14:15], v11, v[14:15]
	v_sub_u32_e32 v11, 32, v11
	v_min_u32_e32 v14, 1, v14
	v_or_b32_e32 v14, v15, v14
	v_cvt_f32_i32_e32 v14, v14
	v_ldexp_f32 v11, v14, v11
	v_cvt_f16_f32_e32 v11, v11
	s_branch .LBB154_1740
.LBB154_1737:
	s_mov_b64 s[4:5], -1
                                        ; implicit-def: $vgpr11
	s_branch .LBB154_1746
.LBB154_1738:
	s_mov_b64 s[4:5], -1
                                        ; implicit-def: $vgpr11
	s_branch .LBB154_1743
.LBB154_1739:
	s_mov_b64 s[4:5], -1
                                        ; implicit-def: $vgpr11
.LBB154_1740:
	s_andn2_b64 vcc, exec, s[4:5]
	s_cbranch_vccnz .LBB154_1742
; %bb.1741:
	global_load_dword v11, v[8:9], off
	s_waitcnt vmcnt(0)
	v_cvt_f32_i32_e32 v11, v11
	v_cvt_f16_f32_e32 v11, v11
.LBB154_1742:
	s_mov_b64 s[4:5], 0
.LBB154_1743:
	s_andn2_b64 vcc, exec, s[4:5]
	s_cbranch_vccnz .LBB154_1745
; %bb.1744:
	global_load_ushort v11, v[8:9], off
	s_waitcnt vmcnt(0)
	v_cvt_f16_i16_e32 v11, v11
.LBB154_1745:
	s_mov_b64 s[4:5], 0
.LBB154_1746:
	s_andn2_b64 vcc, exec, s[4:5]
	s_cbranch_vccnz .LBB154_1752
; %bb.1747:
	s_cmp_gt_i32 s6, 0
	s_cbranch_scc0 .LBB154_1749
; %bb.1748:
	global_load_sbyte v11, v[8:9], off
	s_mov_b64 s[4:5], 0
	s_waitcnt vmcnt(0)
	v_cvt_f16_i16_e32 v11, v11
	s_branch .LBB154_1750
.LBB154_1749:
	s_mov_b64 s[4:5], -1
                                        ; implicit-def: $vgpr11
.LBB154_1750:
	s_andn2_b64 vcc, exec, s[4:5]
	s_cbranch_vccnz .LBB154_1752
; %bb.1751:
	global_load_ubyte v8, v[8:9], off
	s_waitcnt vmcnt(0)
	v_cvt_f16_u16_e32 v11, v8
.LBB154_1752:
.LBB154_1753:
	s_waitcnt vmcnt(0)
	v_cvt_f32_f16_e32 v9, v11
	s_mov_b32 s4, 0x3c800000
                                        ; implicit-def: $vgpr15
	v_and_b32_e32 v8, 0x7fffffff, v9
	v_cmp_nlt_f32_e64 s[4:5], |v9|, s4
	s_and_saveexec_b64 s[6:7], s[4:5]
	s_xor_b64 s[6:7], exec, s[6:7]
	s_cbranch_execz .LBB154_1783
; %bb.1754:
	v_cmp_nlt_f32_e64 s[4:5], |v9|, 2.0
                                        ; implicit-def: $vgpr15
	s_and_saveexec_b64 s[8:9], s[4:5]
	s_xor_b64 s[8:9], exec, s[8:9]
	s_cbranch_execz .LBB154_1764
; %bb.1755:
	s_mov_b32 s4, 0x41000000
	v_cmp_nlt_f32_e64 s[4:5], |v9|, s4
                                        ; implicit-def: $vgpr15
	s_and_saveexec_b64 s[16:17], s[4:5]
	s_xor_b64 s[16:17], exec, s[16:17]
	s_cbranch_execz .LBB154_1761
; %bb.1756:
	s_mov_b32 s4, 0x5c800000
	v_cmp_nlt_f32_e64 s[4:5], |v9|, s4
                                        ; implicit-def: $vgpr15
	s_and_saveexec_b64 s[18:19], s[4:5]
	s_xor_b64 s[18:19], exec, s[18:19]
	s_cbranch_execz .LBB154_1758
; %bb.1757:
	s_mov_b32 s4, 0x800000
	v_cmp_lt_f32_e64 vcc, |v9|, s4
	v_cndmask_b32_e64 v14, 0, 32, vcc
	v_ldexp_f32 v14, |v9|, v14
	v_log_f32_e32 v14, v14
	s_mov_b32 s4, 0x3f317217
	s_mov_b32 s5, 0x7f800000
	v_mul_f32_e32 v15, 0x3f317217, v14
	v_fma_f32 v16, v14, s4, -v15
	v_fmac_f32_e32 v16, 0x3377d1cf, v14
	v_add_f32_e32 v15, v15, v16
	v_cmp_lt_f32_e64 s[4:5], |v14|, s5
	v_cndmask_b32_e64 v14, v14, v15, s[4:5]
	v_mov_b32_e32 v15, 0x41b17218
	v_cndmask_b32_e32 v15, 0, v15, vcc
	v_sub_f32_e32 v14, v14, v15
	v_fma_f32 v15, |v9|, v14, -|v9|
.LBB154_1758:
	s_andn2_saveexec_b64 s[18:19], s[18:19]
	s_cbranch_execz .LBB154_1760
; %bb.1759:
	v_rcp_f32_e64 v14, |v9|
	v_mov_b32_e32 v15, 0x3a5b3dd2
	v_mov_b32_e32 v16, 0xba1c065c
	v_mov_b32_e32 v17, 0x3a500cfd
	v_mul_f32_e32 v18, v14, v14
	v_fmac_f32_e32 v15, 0xbad5c4e8, v18
	v_fmac_f32_e32 v16, v18, v15
	s_mov_b32 s4, 0x800000
	v_fmac_f32_e32 v17, v18, v16
	v_mov_b32_e32 v15, 0xbb360b61
	v_cmp_lt_f32_e64 vcc, |v9|, s4
	v_fmac_f32_e32 v15, v18, v17
	v_cndmask_b32_e64 v17, 0, 32, vcc
	v_ldexp_f32 v17, |v9|, v17
	v_log_f32_e32 v17, v17
	v_mov_b32_e32 v16, 0x3daaaaab
	v_fmac_f32_e32 v16, v18, v15
	v_mov_b32_e32 v15, 0x3ed67f1d
	v_fmac_f32_e32 v15, v14, v16
	s_mov_b32 s4, 0x3f317217
	v_mul_f32_e32 v16, 0x3f317217, v17
	v_fma_f32 v18, v17, s4, -v16
	v_fmac_f32_e32 v18, 0x3377d1cf, v17
	s_mov_b32 s4, 0x7f800000
	v_add_f32_e32 v16, v16, v18
	v_cmp_lt_f32_e64 s[4:5], |v17|, s4
	v_cndmask_b32_e64 v16, v17, v16, s[4:5]
	v_mov_b32_e32 v17, 0x41b17218
	v_cndmask_b32_e32 v17, 0, v17, vcc
	v_sub_f32_e32 v16, v16, v17
	v_add_f32_e64 v14, |v9|, -0.5
	v_add_f32_e32 v16, -1.0, v16
	v_fmac_f32_e32 v15, v14, v16
.LBB154_1760:
	s_or_b64 exec, exec, s[18:19]
.LBB154_1761:
	s_andn2_saveexec_b64 s[16:17], s[16:17]
	s_cbranch_execz .LBB154_1763
; %bb.1762:
	v_cvt_i32_f32_e32 v14, v8
	v_mov_b32_e32 v15, 0x3af135b4
	v_mov_b32_e32 v16, 0x3cda40e4
	;; [unrolled: 1-line block ×3, first 2 shown]
	v_cvt_f32_i32_e32 v18, v14
	v_mov_b32_e32 v19, 0x3ea6cc7a
	v_mov_b32_e32 v20, 0x3e5c245a
	v_cmp_lt_i32_e32 vcc, 2, v14
	v_sub_f32_e64 v18, |v9|, v18
	v_fmac_f32_e32 v15, 0x3805ff67, v18
	v_fmac_f32_e32 v16, v18, v15
	;; [unrolled: 1-line block ×3, first 2 shown]
	v_mov_b32_e32 v16, 0x3a4beed6
	v_fmac_f32_e32 v19, v18, v17
	v_fmac_f32_e32 v16, 0x36f5d7bd, v18
	v_mov_b32_e32 v17, 0x3c98bf54
	v_fmac_f32_e32 v17, v18, v16
	v_mov_b32_e32 v16, 0x3e300f6e
	;; [unrolled: 2-line block ×4, first 2 shown]
	v_fmac_f32_e32 v16, v18, v17
	v_add_f32_e32 v17, 2.0, v18
	v_mov_b32_e32 v21, 0xbd9e233f
	v_fmac_f32_e32 v20, v18, v19
	v_add_f32_e32 v19, 0x40400000, v18
	v_cndmask_b32_e32 v17, 1.0, v17, vcc
	v_cmp_lt_i32_e32 vcc, 3, v14
	v_fmac_f32_e32 v21, v18, v20
	v_add_f32_e32 v20, 4.0, v18
	v_cndmask_b32_e32 v19, 1.0, v19, vcc
	v_cmp_lt_i32_e32 vcc, 4, v14
	v_mul_f32_e32 v15, v18, v21
	v_add_f32_e32 v21, 0x40a00000, v18
	v_mul_f32_e32 v17, v17, v19
	v_cndmask_b32_e32 v19, 1.0, v20, vcc
	v_cmp_lt_i32_e32 vcc, 5, v14
	v_add_f32_e32 v22, 0x40c00000, v18
	v_mul_f32_e32 v17, v19, v17
	v_cndmask_b32_e32 v19, 1.0, v21, vcc
	v_cmp_lt_i32_e32 vcc, 6, v14
	v_mul_f32_e32 v17, v19, v17
	v_cndmask_b32_e32 v14, 1.0, v22, vcc
	v_mul_f32_e32 v14, v14, v17
	s_mov_b32 s4, 0x800000
	v_cmp_gt_f32_e32 vcc, s4, v14
	v_cndmask_b32_e64 v17, 0, 32, vcc
	v_fma_f32 v16, v18, v16, 1.0
	v_ldexp_f32 v14, v14, v17
	v_rcp_f32_e32 v16, v16
	v_log_f32_e32 v14, v14
	s_mov_b32 s4, 0x3f317217
	v_mul_f32_e32 v15, v15, v16
	v_mul_f32_e32 v16, 0x3f317217, v14
	v_fma_f32 v17, v14, s4, -v16
	v_fmac_f32_e32 v17, 0x3377d1cf, v14
	s_mov_b32 s4, 0x7f800000
	v_add_f32_e32 v16, v16, v17
	v_cmp_lt_f32_e64 s[4:5], |v14|, s4
	v_cndmask_b32_e64 v14, v14, v16, s[4:5]
	v_mov_b32_e32 v16, 0x41b17218
	v_cndmask_b32_e32 v16, 0, v16, vcc
	v_fmac_f32_e32 v15, 0.5, v18
	v_sub_f32_e32 v14, v14, v16
	v_add_f32_e32 v15, v14, v15
.LBB154_1763:
	s_or_b64 exec, exec, s[16:17]
.LBB154_1764:
	s_andn2_saveexec_b64 s[8:9], s[8:9]
	s_cbranch_execz .LBB154_1782
; %bb.1765:
	s_mov_b32 s4, 0x3f666666
	v_cmp_le_f32_e64 s[4:5], |v9|, s4
                                        ; implicit-def: $vgpr15
                                        ; implicit-def: $vgpr16
                                        ; implicit-def: $vgpr14
	s_and_saveexec_b64 s[16:17], s[4:5]
	s_xor_b64 s[16:17], exec, s[16:17]
	s_cbranch_execz .LBB154_1767
; %bb.1766:
	s_mov_b32 s4, 0x800000
	v_cmp_lt_f32_e64 vcc, |v9|, s4
	v_cndmask_b32_e64 v14, 0, 32, vcc
	v_ldexp_f32 v14, |v9|, v14
	v_log_f32_e32 v14, v14
	s_mov_b32 s4, 0x3f317217
	s_mov_b32 s5, 0x7f800000
	v_mul_f32_e32 v15, 0x3f317217, v14
	v_fma_f32 v16, v14, s4, -v15
	v_fmac_f32_e32 v16, 0x3377d1cf, v14
	v_add_f32_e32 v15, v15, v16
	v_cmp_lt_f32_e64 s[4:5], |v14|, s5
	v_cndmask_b32_e64 v14, v14, v15, s[4:5]
	v_mov_b32_e32 v15, 0x41b17218
	v_cndmask_b32_e32 v15, 0, v15, vcc
	v_sub_f32_e32 v14, v14, v15
	s_mov_b32 s4, 0x3f3b4a23
	s_mov_b32 s5, 0xbeec5b0c
	v_xor_b32_e32 v15, 0x80000000, v14
	v_sub_f32_e64 v14, 1.0, |v9|
	v_add_f32_e64 v16, |v9|, s5
	v_cmp_lt_f32_e64 vcc, |v9|, s4
	s_mov_b32 s4, 0x3e6d3309
	v_cndmask_b32_e32 v14, v14, v16, vcc
	v_cndmask_b32_e64 v16, 0, 1, vcc
	v_cmp_lt_f32_e64 s[4:5], |v9|, s4
	v_cndmask_b32_e64 v14, v14, |v9|, s[4:5]
	v_cndmask_b32_e64 v16, v16, 2, s[4:5]
.LBB154_1767:
	s_andn2_saveexec_b64 s[4:5], s[16:17]
	s_cbranch_execz .LBB154_1769
; %bb.1768:
	s_mov_b32 s16, 0x3fdda512
	s_mov_b32 s17, 0xbfbb16c3
	v_sub_f32_e64 v14, 2.0, |v9|
	v_add_f32_e64 v15, |v9|, s17
	v_cmp_lt_f32_e64 vcc, |v9|, s16
	v_cndmask_b32_e32 v15, v14, v15, vcc
	v_cndmask_b32_e64 v14, v14, 1.0, vcc
	v_cvt_i32_f32_e32 v16, v14
	s_mov_b32 s16, 0x3f9d70a4
	v_add_f32_e64 v14, |v9|, -1.0
	v_cmp_lt_f32_e64 vcc, |v9|, s16
	v_cndmask_b32_e32 v14, v15, v14, vcc
	v_cndmask_b32_e64 v16, v16, 2, vcc
	v_mov_b32_e32 v15, 0
.LBB154_1769:
	s_or_b64 exec, exec, s[4:5]
	v_cmp_lt_i32_e32 vcc, 0, v16
	s_and_saveexec_b64 s[4:5], vcc
	s_xor_b64 s[4:5], exec, s[4:5]
	s_cbranch_execz .LBB154_1777
; %bb.1770:
	v_cmp_lt_i32_e32 vcc, 1, v16
	s_and_saveexec_b64 s[16:17], vcc
	s_xor_b64 s[16:17], exec, s[16:17]
	s_cbranch_execz .LBB154_1774
; %bb.1771:
	v_cmp_eq_u32_e32 vcc, 2, v16
	s_and_saveexec_b64 s[18:19], vcc
	s_cbranch_execz .LBB154_1773
; %bb.1772:
	v_mov_b32_e32 v16, 0x3e6a7578
	v_fmac_f32_e32 v16, 0x3c5b3c5e, v14
	v_mov_b32_e32 v17, 0x3f7a4bb2
	v_fmac_f32_e32 v17, v14, v16
	;; [unrolled: 2-line block ×8, first 2 shown]
	v_fma_f32 v16, v14, v18, 1.0
	v_rcp_f32_e32 v16, v16
	v_mov_b32_e32 v18, 0xbd9e233f
	v_fmac_f32_e32 v18, v14, v17
	v_mul_f32_e32 v17, v14, v18
	v_mul_f32_e32 v16, v17, v16
	v_fmac_f32_e32 v16, -0.5, v14
	v_add_f32_e32 v15, v15, v16
.LBB154_1773:
	s_or_b64 exec, exec, s[18:19]
                                        ; implicit-def: $vgpr14
.LBB154_1774:
	s_andn2_saveexec_b64 s[16:17], s[16:17]
	s_cbranch_execz .LBB154_1776
; %bb.1775:
	v_mul_f32_e32 v16, v14, v14
	v_mul_f32_e32 v17, v14, v16
	v_mov_b32_e32 v18, 0xbab7f476
	v_fmac_f32_e32 v18, 0x39a57b6b, v17
	v_mov_b32_e32 v19, 0x3bc7e707
	v_fmac_f32_e32 v19, v17, v18
	;; [unrolled: 2-line block ×12, first 2 shown]
	v_fmac_f32_e32 v20, v14, v21
	s_mov_b32 s18, 0xa2863e55
	v_fma_f32 v14, v17, -v20, s18
	v_fma_f32 v14, v16, v19, -v14
	v_add_f32_e32 v14, 0xbdf8cdce, v14
	v_add_f32_e32 v15, v15, v14
.LBB154_1776:
	s_or_b64 exec, exec, s[16:17]
                                        ; implicit-def: $vgpr16
                                        ; implicit-def: $vgpr14
.LBB154_1777:
	s_andn2_saveexec_b64 s[4:5], s[4:5]
	s_cbranch_execz .LBB154_1781
; %bb.1778:
	v_cmp_eq_u32_e32 vcc, 0, v16
	s_and_saveexec_b64 s[16:17], vcc
	s_cbranch_execz .LBB154_1780
; %bb.1779:
	v_mul_f32_e32 v16, v14, v14
	v_mov_b32_e32 v17, 0x39679767
	v_fmac_f32_e32 v17, 0x37d383a2, v16
	v_mov_b32_e32 v18, 0x3a9c54a1
	v_fmac_f32_e32 v18, v16, v17
	;; [unrolled: 2-line block ×10, first 2 shown]
	v_mul_f32_e32 v16, v16, v18
	v_fmac_f32_e32 v16, v14, v17
	v_fmac_f32_e32 v16, -0.5, v14
	v_add_f32_e32 v15, v15, v16
.LBB154_1780:
	s_or_b64 exec, exec, s[16:17]
.LBB154_1781:
	s_or_b64 exec, exec, s[4:5]
.LBB154_1782:
	s_or_b64 exec, exec, s[8:9]
.LBB154_1783:
	s_andn2_saveexec_b64 s[6:7], s[6:7]
	s_cbranch_execz .LBB154_1785
; %bb.1784:
	s_mov_b32 s4, 0x3e8a8991
	v_mov_b32_e32 v14, 0xbecd26ab
	v_fma_f32 v14, |v9|, s4, v14
	s_mov_b32 s4, 0x3f528d33
	v_fma_f32 v14, |v9|, v14, s4
	s_mov_b32 s4, 0x800000
	v_cmp_lt_f32_e64 vcc, |v9|, s4
	v_cndmask_b32_e64 v15, 0, 32, vcc
	v_ldexp_f32 v15, |v9|, v15
	v_log_f32_e32 v15, v15
	s_mov_b32 s4, 0xbf13c468
	v_fma_f32 v14, |v9|, v14, s4
	s_mov_b32 s4, 0x3f317217
	v_mul_f32_e32 v16, 0x3f317217, v15
	v_fma_f32 v17, v15, s4, -v16
	v_fmac_f32_e32 v17, 0x3377d1cf, v15
	s_mov_b32 s4, 0x7f800000
	v_add_f32_e32 v16, v16, v17
	v_cmp_lt_f32_e64 s[4:5], |v15|, s4
	v_cndmask_b32_e64 v15, v15, v16, s[4:5]
	v_mov_b32_e32 v16, 0x41b17218
	v_cndmask_b32_e32 v16, 0, v16, vcc
	v_sub_f32_e32 v15, v15, v16
	v_fma_f32 v15, |v9|, v14, -v15
.LBB154_1785:
	s_or_b64 exec, exec, s[6:7]
	v_cmp_le_f16_e64 s[4:5], 0, v11
	v_cmp_nle_f16_e32 vcc, 0, v11
	s_and_saveexec_b64 s[6:7], vcc
	s_xor_b64 s[8:9], exec, s[6:7]
	s_cbranch_execz .LBB154_1789
; %bb.1786:
	s_mov_b32 s6, 0x4b000000
	s_mov_b32 s16, 0x35000000
	v_cmp_lt_f32_e64 s[6:7], |v9|, s6
	v_cmp_gt_f32_e64 s[16:17], |v9|, s16
	s_and_b64 s[6:7], s[6:7], s[16:17]
	s_and_saveexec_b64 s[16:17], s[6:7]
	s_cbranch_execz .LBB154_1788
; %bb.1787:
	v_mul_f32_e64 v14, |v9|, 0.5
	v_floor_f32_e32 v16, v14
	v_sub_f32_e32 v16, v14, v16
	v_min_f32_e32 v16, 0x3f7fffff, v16
	s_mov_b32 s18, 0x7f800000
	v_add_f32_e32 v16, v16, v16
	v_cmp_neq_f32_e32 vcc, s18, v14
	v_cndmask_b32_e32 v14, 0, v16, vcc
	v_cmp_gt_f32_e64 s[6:7], |v9|, 1.0
	v_cndmask_b32_e64 v14, |v9|, v14, s[6:7]
	v_add_f32_e32 v16, v14, v14
	v_rndne_f32_e32 v16, v16
	v_fmac_f32_e32 v14, -0.5, v16
	v_mul_f32_e32 v17, v14, v14
	v_mov_b32_e32 v18, 0xbf1f24be
	v_fmac_f32_e32 v18, 0x3e75aa41, v17
	v_mov_b32_e32 v19, 0x40234736
	v_fmac_f32_e32 v19, v17, v18
	;; [unrolled: 2-line block ×3, first 2 shown]
	v_mul_f32_e32 v19, v14, v17
	v_mul_f32_e32 v18, v19, v18
	v_fmac_f32_e32 v18, 0x40490fdb, v14
	v_mov_b32_e32 v14, 0x3e642e9d
	v_cvt_i32_f32_e32 v16, v16
	v_fmac_f32_e32 v14, 0x3d4be544, v17
	v_mov_b32_e32 v19, 0xbfaad1da
	v_fmac_f32_e32 v19, v17, v14
	v_mov_b32_e32 v14, 0x4081e0d3
	;; [unrolled: 2-line block ×3, first 2 shown]
	v_fmac_f32_e32 v19, v17, v14
	v_fma_f32 v14, v17, v19, 1.0
	v_and_b32_e32 v17, 1, v16
	v_lshlrev_b32_e32 v16, 30, v16
	v_cmp_eq_u32_e32 vcc, 0, v17
	v_and_b32_e32 v16, 0x80000000, v16
	v_xor_b32_e32 v8, v8, v9
	v_cndmask_b32_e32 v14, v14, v18, vcc
	v_xor_b32_e32 v8, v8, v16
	v_xor_b32_e32 v8, v8, v14
	v_mul_f32_e32 v8, v9, v8
	v_frexp_mant_f32_e64 v14, |v8|
	v_rcp_f32_e32 v14, v14
	v_frexp_exp_i32_f32_e32 v8, v8
	v_sub_u32_e32 v8, 2, v8
	s_mov_b32 s6, 0x800000
	v_mul_f32_e32 v14, 0x3f490fdb, v14
	v_ldexp_f32 v8, v14, v8
	v_cmp_gt_f32_e32 vcc, s6, v8
	v_cndmask_b32_e64 v14, 0, 32, vcc
	v_ldexp_f32 v8, v8, v14
	v_log_f32_e32 v8, v8
	s_mov_b32 s6, 0x3f317217
	v_mul_f32_e32 v14, 0x3f317217, v8
	v_fma_f32 v16, v8, s6, -v14
	v_fmac_f32_e32 v16, 0x3377d1cf, v8
	v_add_f32_e32 v14, v14, v16
	v_cmp_lt_f32_e64 s[6:7], |v8|, s18
	v_cndmask_b32_e64 v8, v8, v14, s[6:7]
	v_mov_b32_e32 v14, 0x41b17218
	v_cndmask_b32_e32 v14, 0, v14, vcc
	v_sub_f32_e32 v8, v8, v14
	v_floor_f32_e32 v14, v9
	v_sub_f32_e32 v14, v9, v14
	v_min_f32_e32 v14, 0x3f7fffff, v14
	v_sub_f32_e32 v8, v8, v15
	v_mov_b32_e32 v15, 0x7f800000
	v_cmp_neq_f32_e32 vcc, 0, v14
	v_cndmask_b32_e32 v15, v15, v8, vcc
.LBB154_1788:
	s_or_b64 exec, exec, s[16:17]
.LBB154_1789:
	s_andn2_saveexec_b64 s[8:9], s[8:9]
; %bb.1790:
	v_cmp_eq_f16_e32 vcc, 1.0, v11
	v_cmp_eq_f16_e64 s[6:7], 2.0, v11
	s_or_b64 s[6:7], vcc, s[6:7]
	v_cndmask_b32_e64 v15, v15, 0, s[6:7]
; %bb.1791:
	s_or_b64 exec, exec, s[8:9]
	v_mov_b32_e32 v8, s15
	v_add_co_u32_e32 v7, vcc, s14, v7
	s_cmp_lt_i32 s21, 11
	v_addc_co_u32_e32 v8, vcc, 0, v8, vcc
	s_cbranch_scc1 .LBB154_1798
; %bb.1792:
	s_and_b32 s22, 0xffff, s21
	s_cmp_gt_i32 s22, 25
	s_mov_b64 s[8:9], 0
	s_cbranch_scc0 .LBB154_1799
; %bb.1793:
	s_cmp_gt_i32 s22, 28
	s_cbranch_scc0 .LBB154_1800
; %bb.1794:
	s_cmp_gt_i32 s22, 43
	;; [unrolled: 3-line block ×3, first 2 shown]
	s_cbranch_scc0 .LBB154_1803
; %bb.1796:
	s_cmp_eq_u32 s22, 46
	s_mov_b64 s[16:17], 0
	s_cbranch_scc0 .LBB154_1804
; %bb.1797:
	global_load_dword v14, v[7:8], off
	s_mov_b64 s[6:7], 0
	s_mov_b64 s[14:15], -1
	s_waitcnt vmcnt(0)
	v_lshlrev_b32_e32 v14, 16, v14
	v_cvt_f16_f32_e32 v14, v14
	s_branch .LBB154_1805
.LBB154_1798:
	s_mov_b64 s[6:7], -1
	s_mov_b64 s[14:15], 0
                                        ; implicit-def: $vgpr14
	s_branch .LBB154_1871
.LBB154_1799:
	s_mov_b64 s[16:17], -1
	s_mov_b64 s[14:15], 0
	s_mov_b64 s[6:7], 0
                                        ; implicit-def: $vgpr14
	s_branch .LBB154_1834
.LBB154_1800:
	s_mov_b64 s[16:17], -1
	s_mov_b64 s[14:15], 0
	s_mov_b64 s[6:7], 0
                                        ; implicit-def: $vgpr14
	s_branch .LBB154_1815
.LBB154_1801:
	s_mov_b64 s[16:17], -1
	s_mov_b64 s[14:15], 0
	s_mov_b64 s[6:7], 0
                                        ; implicit-def: $vgpr14
	s_branch .LBB154_1810
.LBB154_1802:
	s_trap 2
	s_or_b64 s[10:11], s[10:11], exec
	s_cbranch_execz .LBB154_1703
	s_branch .LBB154_1704
.LBB154_1803:
	s_mov_b64 s[16:17], -1
	s_mov_b64 s[14:15], 0
	s_mov_b64 s[6:7], 0
                                        ; implicit-def: $vgpr14
	s_branch .LBB154_1805
.LBB154_1804:
	s_mov_b64 s[6:7], -1
                                        ; implicit-def: $vgpr14
	s_mov_b64 s[14:15], 0
.LBB154_1805:
	s_and_b64 vcc, exec, s[16:17]
	s_cbranch_vccz .LBB154_1809
; %bb.1806:
	s_cmp_eq_u32 s22, 44
	s_cbranch_scc0 .LBB154_1808
; %bb.1807:
	global_load_ubyte v14, v[7:8], off
	s_movk_i32 s14, 0xff
	v_mov_b32_e32 v17, 0x7e00
	s_mov_b64 s[6:7], 0
	s_waitcnt vmcnt(0)
	v_lshlrev_b32_e32 v16, 23, v14
	v_cvt_f16_f32_e32 v16, v16
	v_cmp_ne_u32_e32 vcc, s14, v14
	s_mov_b64 s[14:15], -1
	v_cndmask_b32_e32 v16, v17, v16, vcc
	v_cmp_ne_u32_e32 vcc, 0, v14
	v_cndmask_b32_e32 v14, 0, v16, vcc
	s_branch .LBB154_1809
.LBB154_1808:
	s_mov_b64 s[6:7], -1
                                        ; implicit-def: $vgpr14
.LBB154_1809:
	s_mov_b64 s[16:17], 0
.LBB154_1810:
	s_and_b64 vcc, exec, s[16:17]
	s_cbranch_vccz .LBB154_1814
; %bb.1811:
	s_cmp_eq_u32 s22, 29
	s_cbranch_scc0 .LBB154_1813
; %bb.1812:
	global_load_dwordx2 v[16:17], v[7:8], off
	s_mov_b64 s[6:7], 0
	s_mov_b64 s[14:15], -1
	s_mov_b64 s[16:17], 0
	s_waitcnt vmcnt(0)
	v_ffbh_u32_e32 v14, v17
	v_min_u32_e32 v14, 32, v14
	v_lshlrev_b64 v[16:17], v14, v[16:17]
	v_sub_u32_e32 v14, 32, v14
	v_min_u32_e32 v16, 1, v16
	v_or_b32_e32 v16, v17, v16
	v_cvt_f32_u32_e32 v16, v16
	v_ldexp_f32 v14, v16, v14
	v_cvt_f16_f32_e32 v14, v14
	s_branch .LBB154_1815
.LBB154_1813:
	s_mov_b64 s[6:7], -1
                                        ; implicit-def: $vgpr14
.LBB154_1814:
	s_mov_b64 s[16:17], 0
.LBB154_1815:
	s_and_b64 vcc, exec, s[16:17]
	s_cbranch_vccz .LBB154_1833
; %bb.1816:
	s_cmp_lt_i32 s22, 27
	s_cbranch_scc1 .LBB154_1819
; %bb.1817:
	s_cmp_gt_i32 s22, 27
	s_cbranch_scc0 .LBB154_1820
; %bb.1818:
	global_load_dword v14, v[7:8], off
	s_mov_b64 s[14:15], 0
	s_waitcnt vmcnt(0)
	v_cvt_f32_u32_e32 v14, v14
	v_cvt_f16_f32_e32 v14, v14
	s_branch .LBB154_1821
.LBB154_1819:
	s_mov_b64 s[14:15], -1
                                        ; implicit-def: $vgpr14
	s_branch .LBB154_1824
.LBB154_1820:
	s_mov_b64 s[14:15], -1
                                        ; implicit-def: $vgpr14
.LBB154_1821:
	s_andn2_b64 vcc, exec, s[14:15]
	s_cbranch_vccnz .LBB154_1823
; %bb.1822:
	global_load_ushort v14, v[7:8], off
	s_waitcnt vmcnt(0)
	v_cvt_f16_u16_e32 v14, v14
.LBB154_1823:
	s_mov_b64 s[14:15], 0
.LBB154_1824:
	s_andn2_b64 vcc, exec, s[14:15]
	s_cbranch_vccnz .LBB154_1832
; %bb.1825:
	global_load_ubyte v16, v[7:8], off
	s_movk_i32 s14, 0x7f
	s_waitcnt vmcnt(0)
	v_cmp_lt_i16_e32 vcc, s14, v16
	s_mov_b64 s[14:15], 0
	s_and_saveexec_b64 s[16:17], vcc
	s_xor_b64 s[16:17], exec, s[16:17]
	s_cbranch_execz .LBB154_1846
; %bb.1826:
	s_movk_i32 s14, 0x80
	v_cmp_eq_u16_e32 vcc, s14, v16
	s_mov_b64 s[14:15], -1
	s_and_saveexec_b64 s[18:19], vcc
; %bb.1827:
	s_xor_b64 s[14:15], exec, -1
; %bb.1828:
	s_or_b64 exec, exec, s[18:19]
	s_and_b64 s[14:15], s[14:15], exec
	s_or_saveexec_b64 s[16:17], s[16:17]
	v_mov_b32_e32 v14, 0x7e00
	s_xor_b64 exec, exec, s[16:17]
	s_cbranch_execnz .LBB154_1847
.LBB154_1829:
	s_or_b64 exec, exec, s[16:17]
	s_and_saveexec_b64 s[16:17], s[14:15]
	s_cbranch_execz .LBB154_1831
.LBB154_1830:
	v_lshlrev_b32_e32 v14, 24, v16
	v_and_b32_e32 v16, 0xffff, v16
	v_and_b32_e32 v17, 7, v16
	v_ffbh_u32_e32 v19, v17
	v_min_u32_e32 v19, 32, v19
	v_subrev_u32_e32 v20, 28, v19
	v_bfe_u32 v18, v16, 3, 4
	v_lshlrev_b32_e32 v16, v20, v16
	v_sub_u32_e32 v19, 29, v19
	v_and_b32_e32 v16, 7, v16
	v_cmp_eq_u32_e32 vcc, 0, v18
	v_cndmask_b32_e32 v18, v18, v19, vcc
	v_cndmask_b32_e32 v16, v17, v16, vcc
	v_mov_b32_e32 v17, 0x3b800000
	v_lshlrev_b32_e32 v16, 20, v16
	v_and_b32_e32 v14, 0x80000000, v14
	v_lshl_add_u32 v17, v18, 23, v17
	v_or3_b32 v14, v14, v17, v16
	v_cvt_f16_f32_e32 v14, v14
.LBB154_1831:
	s_or_b64 exec, exec, s[16:17]
.LBB154_1832:
	s_mov_b64 s[14:15], -1
.LBB154_1833:
	s_mov_b64 s[16:17], 0
.LBB154_1834:
	s_and_b64 vcc, exec, s[16:17]
	s_cbranch_vccz .LBB154_1867
; %bb.1835:
	s_cmp_gt_i32 s22, 22
	s_cbranch_scc0 .LBB154_1845
; %bb.1836:
	s_cmp_lt_i32 s22, 24
	s_cbranch_scc1 .LBB154_1848
; %bb.1837:
	s_cmp_gt_i32 s22, 24
	s_cbranch_scc0 .LBB154_1849
; %bb.1838:
	global_load_ubyte v16, v[7:8], off
	s_movk_i32 s8, 0x7f
	s_waitcnt vmcnt(0)
	v_cmp_lt_i16_e32 vcc, s8, v16
	s_mov_b64 s[8:9], 0
	s_and_saveexec_b64 s[14:15], vcc
	s_xor_b64 s[14:15], exec, s[14:15]
	s_cbranch_execz .LBB154_1861
; %bb.1839:
	s_movk_i32 s8, 0x80
	v_cmp_eq_u16_e32 vcc, s8, v16
	s_mov_b64 s[8:9], -1
	s_and_saveexec_b64 s[16:17], vcc
; %bb.1840:
	s_xor_b64 s[8:9], exec, -1
; %bb.1841:
	s_or_b64 exec, exec, s[16:17]
	s_and_b64 s[8:9], s[8:9], exec
	s_or_saveexec_b64 s[14:15], s[14:15]
	v_mov_b32_e32 v14, 0x7e00
	s_xor_b64 exec, exec, s[14:15]
	s_cbranch_execnz .LBB154_1862
.LBB154_1842:
	s_or_b64 exec, exec, s[14:15]
	s_and_saveexec_b64 s[14:15], s[8:9]
	s_cbranch_execz .LBB154_1844
.LBB154_1843:
	v_lshlrev_b32_e32 v14, 24, v16
	v_and_b32_e32 v16, 0xffff, v16
	v_and_b32_e32 v17, 3, v16
	v_ffbh_u32_e32 v19, v17
	v_min_u32_e32 v19, 32, v19
	v_subrev_u32_e32 v20, 29, v19
	v_bfe_u32 v18, v16, 2, 5
	v_lshlrev_b32_e32 v16, v20, v16
	v_sub_u32_e32 v19, 30, v19
	v_and_b32_e32 v16, 3, v16
	v_cmp_eq_u32_e32 vcc, 0, v18
	v_cndmask_b32_e32 v18, v18, v19, vcc
	v_cndmask_b32_e32 v16, v17, v16, vcc
	v_mov_b32_e32 v17, 0x37800000
	v_lshlrev_b32_e32 v16, 21, v16
	v_and_b32_e32 v14, 0x80000000, v14
	v_lshl_add_u32 v17, v18, 23, v17
	v_or3_b32 v14, v14, v17, v16
	v_cvt_f16_f32_e32 v14, v14
.LBB154_1844:
	s_or_b64 exec, exec, s[14:15]
	s_mov_b64 s[8:9], 0
	s_branch .LBB154_1850
.LBB154_1845:
	s_mov_b64 s[8:9], -1
                                        ; implicit-def: $vgpr14
	s_branch .LBB154_1856
.LBB154_1846:
	s_or_saveexec_b64 s[16:17], s[16:17]
	v_mov_b32_e32 v14, 0x7e00
	s_xor_b64 exec, exec, s[16:17]
	s_cbranch_execz .LBB154_1829
.LBB154_1847:
	v_cmp_ne_u16_e32 vcc, 0, v16
	s_andn2_b64 s[14:15], s[14:15], exec
	s_and_b64 s[18:19], vcc, exec
	s_or_b64 s[14:15], s[14:15], s[18:19]
	v_mov_b32_e32 v14, v16
	s_or_b64 exec, exec, s[16:17]
	s_and_saveexec_b64 s[16:17], s[14:15]
	s_cbranch_execnz .LBB154_1830
	s_branch .LBB154_1831
.LBB154_1848:
	s_mov_b64 s[8:9], -1
                                        ; implicit-def: $vgpr14
	s_branch .LBB154_1853
.LBB154_1849:
	s_mov_b64 s[8:9], -1
                                        ; implicit-def: $vgpr14
.LBB154_1850:
	s_and_b64 vcc, exec, s[8:9]
	s_cbranch_vccz .LBB154_1852
; %bb.1851:
	global_load_ubyte v14, v[7:8], off
	s_mov_b32 s8, 0x7f800000
	s_waitcnt vmcnt(0)
	v_lshlrev_b32_e32 v14, 24, v14
	v_and_b32_e32 v16, 0x7f000000, v14
	v_ffbh_u32_e32 v17, v16
	v_min_u32_e32 v17, 32, v17
	v_sub_u32_e64 v17, v17, 4 clamp
	v_lshlrev_b32_e32 v19, v17, v16
	v_lshlrev_b32_e32 v17, 23, v17
	v_lshrrev_b32_e32 v19, 4, v19
	v_add_u32_e32 v18, 0x1000000, v16
	v_sub_u32_e32 v17, v19, v17
	v_ashrrev_i32_e32 v18, 8, v18
	v_add_u32_e32 v17, 0x3c000000, v17
	v_and_or_b32 v17, v18, s8, v17
	v_cmp_ne_u32_e32 vcc, 0, v16
	v_cndmask_b32_e32 v16, 0, v17, vcc
	s_brev_b32 s8, 1
	v_and_or_b32 v14, v14, s8, v16
	v_cvt_f16_f32_e32 v14, v14
.LBB154_1852:
	s_mov_b64 s[8:9], 0
.LBB154_1853:
	s_andn2_b64 vcc, exec, s[8:9]
	s_cbranch_vccnz .LBB154_1855
; %bb.1854:
	global_load_ubyte v14, v[7:8], off
	s_movk_i32 s8, 0x7f00
	s_brev_b32 s9, 16
	s_waitcnt vmcnt(0)
	v_lshlrev_b16_e32 v16, 8, v14
	v_lshlrev_b32_e32 v14, 25, v14
	v_lshrrev_b32_e32 v17, 4, v14
	v_and_or_b32 v18, v16, s8, 0.5
	v_or_b32_e32 v17, 0x70000000, v17
	v_add_f32_e32 v18, -0.5, v18
	v_mul_f32_e32 v17, 0x7800000, v17
	v_cmp_gt_u32_e32 vcc, s9, v14
	v_bfe_i32 v16, v16, 0, 16
	v_cndmask_b32_e32 v14, v17, v18, vcc
	s_brev_b32 s8, 1
	v_and_or_b32 v14, v16, s8, v14
	v_cvt_f16_f32_e32 v14, v14
.LBB154_1855:
	s_mov_b64 s[8:9], 0
	s_mov_b64 s[14:15], -1
.LBB154_1856:
	s_andn2_b64 vcc, exec, s[8:9]
	s_mov_b64 s[8:9], 0
	s_cbranch_vccnz .LBB154_1867
; %bb.1857:
	s_cmp_gt_i32 s22, 14
	s_cbranch_scc0 .LBB154_1860
; %bb.1858:
	s_cmp_eq_u32 s22, 15
	s_cbranch_scc0 .LBB154_1863
; %bb.1859:
	global_load_ushort v14, v[7:8], off
	s_mov_b64 s[6:7], 0
	s_mov_b64 s[14:15], -1
	s_waitcnt vmcnt(0)
	v_lshlrev_b32_e32 v14, 16, v14
	v_cvt_f16_f32_e32 v14, v14
	s_branch .LBB154_1864
.LBB154_1860:
	s_mov_b64 s[16:17], -1
                                        ; implicit-def: $vgpr14
	s_branch .LBB154_1865
.LBB154_1861:
	s_or_saveexec_b64 s[14:15], s[14:15]
	v_mov_b32_e32 v14, 0x7e00
	s_xor_b64 exec, exec, s[14:15]
	s_cbranch_execz .LBB154_1842
.LBB154_1862:
	v_cmp_ne_u16_e32 vcc, 0, v16
	s_andn2_b64 s[8:9], s[8:9], exec
	s_and_b64 s[16:17], vcc, exec
	s_or_b64 s[8:9], s[8:9], s[16:17]
	v_mov_b32_e32 v14, v16
	s_or_b64 exec, exec, s[14:15]
	s_and_saveexec_b64 s[14:15], s[8:9]
	s_cbranch_execnz .LBB154_1843
	s_branch .LBB154_1844
.LBB154_1863:
	s_mov_b64 s[6:7], -1
                                        ; implicit-def: $vgpr14
.LBB154_1864:
	s_mov_b64 s[16:17], 0
.LBB154_1865:
	s_and_b64 vcc, exec, s[16:17]
	s_cbranch_vccz .LBB154_1867
; %bb.1866:
	s_cmp_lg_u32 s22, 11
	s_mov_b64 s[8:9], -1
	s_cselect_b64 s[6:7], -1, 0
.LBB154_1867:
	s_and_b64 vcc, exec, s[6:7]
	s_cbranch_vccnz .LBB154_2438
; %bb.1868:
	s_andn2_b64 vcc, exec, s[8:9]
	s_cbranch_vccnz .LBB154_1870
.LBB154_1869:
	global_load_ubyte v14, v[7:8], off
	v_mov_b32_e32 v16, 0x3c00
	s_mov_b64 s[14:15], -1
	s_waitcnt vmcnt(0)
	v_cmp_ne_u16_e32 vcc, 0, v14
	v_cndmask_b32_e32 v14, 0, v16, vcc
.LBB154_1870:
	s_mov_b64 s[6:7], 0
.LBB154_1871:
	s_and_b64 vcc, exec, s[6:7]
	s_cbranch_vccz .LBB154_1920
; %bb.1872:
	s_and_b32 s8, 0xffff, s21
	s_cmp_lt_i32 s8, 5
	s_cbranch_scc1 .LBB154_1877
; %bb.1873:
	s_cmp_lt_i32 s8, 8
	s_cbranch_scc1 .LBB154_1878
; %bb.1874:
	;; [unrolled: 3-line block ×3, first 2 shown]
	s_cmp_gt_i32 s8, 9
	s_cbranch_scc0 .LBB154_1880
; %bb.1876:
	global_load_dwordx2 v[16:17], v[7:8], off
	s_movk_i32 s6, 0x1ff
	s_movk_i32 s7, 0xffe
	v_mov_b32_e32 v14, 0x7c00
	v_mov_b32_e32 v18, 0x7e00
	s_movk_i32 s9, 0x40f
	s_mov_b32 s14, 0x8000
	s_waitcnt vmcnt(0)
	v_and_or_b32 v16, v17, s6, v16
	v_cmp_ne_u32_e32 vcc, 0, v16
	v_lshrrev_b32_e32 v19, 8, v17
	v_bfe_u32 v20, v17, 20, 11
	v_cndmask_b32_e64 v16, 0, 1, vcc
	v_sub_u32_e32 v21, 0x3f1, v20
	v_and_or_b32 v16, v19, s7, v16
	v_add_u32_e32 v20, 0xfffffc10, v20
	v_med3_i32 v19, v21, 0, 13
	v_or_b32_e32 v21, 0x1000, v16
	v_cmp_ne_u32_e32 vcc, 0, v16
	v_lshl_or_b32 v22, v20, 12, v16
	v_cndmask_b32_e32 v16, v14, v18, vcc
	v_lshrrev_b32_e32 v18, v19, v21
	v_lshlrev_b32_e32 v19, v19, v18
	v_cmp_ne_u32_e32 vcc, v19, v21
	v_cndmask_b32_e64 v19, 0, 1, vcc
	v_or_b32_e32 v18, v18, v19
	v_cmp_gt_i32_e32 vcc, 1, v20
	v_cndmask_b32_e32 v18, v22, v18, vcc
	v_and_b32_e32 v19, 7, v18
	v_cmp_lt_i32_e32 vcc, 5, v19
	v_cndmask_b32_e64 v21, 0, 1, vcc
	v_cmp_eq_u32_e32 vcc, 3, v19
	v_cndmask_b32_e64 v19, 0, 1, vcc
	v_lshrrev_b32_e32 v18, 2, v18
	v_or_b32_e32 v19, v19, v21
	v_add_u32_e32 v18, v18, v19
	v_cmp_gt_i32_e32 vcc, 31, v20
	v_cndmask_b32_e32 v14, v14, v18, vcc
	v_cmp_eq_u32_e32 vcc, s9, v20
	v_lshrrev_b32_e32 v17, 16, v17
	v_cndmask_b32_e32 v14, v14, v16, vcc
	v_and_or_b32 v14, v17, s14, v14
	s_mov_b64 s[6:7], 0
	s_branch .LBB154_1881
.LBB154_1877:
	s_mov_b64 s[6:7], -1
                                        ; implicit-def: $vgpr14
	s_branch .LBB154_1899
.LBB154_1878:
	s_mov_b64 s[6:7], -1
                                        ; implicit-def: $vgpr14
	s_branch .LBB154_1887
.LBB154_1879:
	s_mov_b64 s[6:7], -1
                                        ; implicit-def: $vgpr14
	s_branch .LBB154_1884
.LBB154_1880:
	s_mov_b64 s[6:7], -1
                                        ; implicit-def: $vgpr14
.LBB154_1881:
	s_andn2_b64 vcc, exec, s[6:7]
	s_cbranch_vccnz .LBB154_1883
; %bb.1882:
	global_load_dword v14, v[7:8], off
	s_waitcnt vmcnt(0)
	v_cvt_f16_f32_e32 v14, v14
.LBB154_1883:
	s_mov_b64 s[6:7], 0
.LBB154_1884:
	s_andn2_b64 vcc, exec, s[6:7]
	s_cbranch_vccnz .LBB154_1886
; %bb.1885:
	global_load_dword v14, v[7:8], off
.LBB154_1886:
	s_mov_b64 s[6:7], 0
.LBB154_1887:
	s_andn2_b64 vcc, exec, s[6:7]
	s_cbranch_vccnz .LBB154_1898
; %bb.1888:
	s_cmp_lt_i32 s8, 6
	s_cbranch_scc1 .LBB154_1891
; %bb.1889:
	s_cmp_gt_i32 s8, 6
	s_cbranch_scc0 .LBB154_1892
; %bb.1890:
	global_load_dwordx2 v[16:17], v[7:8], off
	s_movk_i32 s6, 0x1ff
	s_movk_i32 s7, 0xffe
	s_waitcnt vmcnt(1)
	v_mov_b32_e32 v14, 0x7c00
	v_mov_b32_e32 v18, 0x7e00
	s_movk_i32 s9, 0x40f
	s_mov_b32 s14, 0x8000
	s_waitcnt vmcnt(0)
	v_and_or_b32 v16, v17, s6, v16
	v_cmp_ne_u32_e32 vcc, 0, v16
	v_lshrrev_b32_e32 v19, 8, v17
	v_bfe_u32 v20, v17, 20, 11
	v_cndmask_b32_e64 v16, 0, 1, vcc
	v_sub_u32_e32 v21, 0x3f1, v20
	v_and_or_b32 v16, v19, s7, v16
	v_add_u32_e32 v20, 0xfffffc10, v20
	v_med3_i32 v19, v21, 0, 13
	v_or_b32_e32 v21, 0x1000, v16
	v_cmp_ne_u32_e32 vcc, 0, v16
	v_lshl_or_b32 v22, v20, 12, v16
	v_cndmask_b32_e32 v16, v14, v18, vcc
	v_lshrrev_b32_e32 v18, v19, v21
	v_lshlrev_b32_e32 v19, v19, v18
	v_cmp_ne_u32_e32 vcc, v19, v21
	v_cndmask_b32_e64 v19, 0, 1, vcc
	v_or_b32_e32 v18, v18, v19
	v_cmp_gt_i32_e32 vcc, 1, v20
	v_cndmask_b32_e32 v18, v22, v18, vcc
	v_and_b32_e32 v19, 7, v18
	v_cmp_lt_i32_e32 vcc, 5, v19
	v_cndmask_b32_e64 v21, 0, 1, vcc
	v_cmp_eq_u32_e32 vcc, 3, v19
	v_cndmask_b32_e64 v19, 0, 1, vcc
	v_lshrrev_b32_e32 v18, 2, v18
	v_or_b32_e32 v19, v19, v21
	v_add_u32_e32 v18, v18, v19
	v_cmp_gt_i32_e32 vcc, 31, v20
	v_cndmask_b32_e32 v14, v14, v18, vcc
	v_cmp_eq_u32_e32 vcc, s9, v20
	v_lshrrev_b32_e32 v17, 16, v17
	v_cndmask_b32_e32 v14, v14, v16, vcc
	v_and_or_b32 v14, v17, s14, v14
	s_mov_b64 s[6:7], 0
	s_branch .LBB154_1893
.LBB154_1891:
	s_mov_b64 s[6:7], -1
                                        ; implicit-def: $vgpr14
	s_branch .LBB154_1896
.LBB154_1892:
	s_mov_b64 s[6:7], -1
                                        ; implicit-def: $vgpr14
.LBB154_1893:
	s_andn2_b64 vcc, exec, s[6:7]
	s_cbranch_vccnz .LBB154_1895
; %bb.1894:
	global_load_dword v14, v[7:8], off
	s_waitcnt vmcnt(0)
	v_cvt_f16_f32_e32 v14, v14
.LBB154_1895:
	s_mov_b64 s[6:7], 0
.LBB154_1896:
	s_andn2_b64 vcc, exec, s[6:7]
	s_cbranch_vccnz .LBB154_1898
; %bb.1897:
	global_load_ushort v14, v[7:8], off
.LBB154_1898:
	s_mov_b64 s[6:7], 0
.LBB154_1899:
	s_andn2_b64 vcc, exec, s[6:7]
	s_cbranch_vccnz .LBB154_1919
; %bb.1900:
	s_cmp_lt_i32 s8, 2
	s_cbranch_scc1 .LBB154_1904
; %bb.1901:
	s_cmp_lt_i32 s8, 3
	s_cbranch_scc1 .LBB154_1905
; %bb.1902:
	s_cmp_gt_i32 s8, 3
	s_cbranch_scc0 .LBB154_1906
; %bb.1903:
	global_load_dwordx2 v[16:17], v[7:8], off
	s_mov_b64 s[6:7], 0
	s_waitcnt vmcnt(0)
	v_xor_b32_e32 v18, v16, v17
	v_ffbh_i32_e32 v14, v17
	v_ashrrev_i32_e32 v18, 31, v18
	v_add_u32_e32 v14, -1, v14
	v_add_u32_e32 v18, 32, v18
	v_min_u32_e32 v14, v14, v18
	v_lshlrev_b64 v[16:17], v14, v[16:17]
	v_sub_u32_e32 v14, 32, v14
	v_min_u32_e32 v16, 1, v16
	v_or_b32_e32 v16, v17, v16
	v_cvt_f32_i32_e32 v16, v16
	v_ldexp_f32 v14, v16, v14
	v_cvt_f16_f32_e32 v14, v14
	s_branch .LBB154_1907
.LBB154_1904:
	s_mov_b64 s[6:7], -1
                                        ; implicit-def: $vgpr14
	s_branch .LBB154_1913
.LBB154_1905:
	s_mov_b64 s[6:7], -1
                                        ; implicit-def: $vgpr14
	s_branch .LBB154_1910
.LBB154_1906:
	s_mov_b64 s[6:7], -1
                                        ; implicit-def: $vgpr14
.LBB154_1907:
	s_andn2_b64 vcc, exec, s[6:7]
	s_cbranch_vccnz .LBB154_1909
; %bb.1908:
	global_load_dword v14, v[7:8], off
	s_waitcnt vmcnt(0)
	v_cvt_f32_i32_e32 v14, v14
	v_cvt_f16_f32_e32 v14, v14
.LBB154_1909:
	s_mov_b64 s[6:7], 0
.LBB154_1910:
	s_andn2_b64 vcc, exec, s[6:7]
	s_cbranch_vccnz .LBB154_1912
; %bb.1911:
	global_load_ushort v14, v[7:8], off
	s_waitcnt vmcnt(0)
	v_cvt_f16_i16_e32 v14, v14
.LBB154_1912:
	s_mov_b64 s[6:7], 0
.LBB154_1913:
	s_andn2_b64 vcc, exec, s[6:7]
	s_cbranch_vccnz .LBB154_1919
; %bb.1914:
	s_cmp_gt_i32 s8, 0
	s_cbranch_scc0 .LBB154_1916
; %bb.1915:
	global_load_sbyte v14, v[7:8], off
	s_mov_b64 s[6:7], 0
	s_waitcnt vmcnt(0)
	v_cvt_f16_i16_e32 v14, v14
	s_branch .LBB154_1917
.LBB154_1916:
	s_mov_b64 s[6:7], -1
                                        ; implicit-def: $vgpr14
.LBB154_1917:
	s_andn2_b64 vcc, exec, s[6:7]
	s_cbranch_vccnz .LBB154_1919
; %bb.1918:
	global_load_ubyte v7, v[7:8], off
	s_waitcnt vmcnt(0)
	v_cvt_f16_u16_e32 v14, v7
.LBB154_1919:
	s_mov_b64 s[14:15], -1
.LBB154_1920:
	s_andn2_b64 vcc, exec, s[14:15]
	s_cbranch_vccnz .LBB154_2392
; %bb.1921:
	s_waitcnt vmcnt(0)
	v_cvt_f32_f16_e32 v7, v14
	s_mov_b32 s6, 0x3c800000
                                        ; implicit-def: $vgpr8
	v_and_b32_e32 v16, 0x7fffffff, v7
	v_cmp_nlt_f32_e64 s[6:7], |v7|, s6
	s_and_saveexec_b64 s[8:9], s[6:7]
	s_xor_b64 s[8:9], exec, s[8:9]
	s_cbranch_execz .LBB154_1951
; %bb.1922:
	v_cmp_nlt_f32_e64 s[6:7], |v7|, 2.0
                                        ; implicit-def: $vgpr8
	s_and_saveexec_b64 s[14:15], s[6:7]
	s_xor_b64 s[14:15], exec, s[14:15]
	s_cbranch_execz .LBB154_1932
; %bb.1923:
	s_mov_b32 s6, 0x41000000
	v_cmp_nlt_f32_e64 s[6:7], |v7|, s6
                                        ; implicit-def: $vgpr8
	s_and_saveexec_b64 s[16:17], s[6:7]
	s_xor_b64 s[16:17], exec, s[16:17]
	s_cbranch_execz .LBB154_1929
; %bb.1924:
	s_mov_b32 s6, 0x5c800000
	v_cmp_nlt_f32_e64 s[6:7], |v7|, s6
                                        ; implicit-def: $vgpr8
	s_and_saveexec_b64 s[18:19], s[6:7]
	s_xor_b64 s[18:19], exec, s[18:19]
	s_cbranch_execz .LBB154_1926
; %bb.1925:
	s_mov_b32 s6, 0x800000
	v_cmp_lt_f32_e64 vcc, |v7|, s6
	v_cndmask_b32_e64 v8, 0, 32, vcc
	v_ldexp_f32 v8, |v7|, v8
	v_log_f32_e32 v8, v8
	s_mov_b32 s6, 0x3f317217
	s_mov_b32 s7, 0x7f800000
	v_mul_f32_e32 v17, 0x3f317217, v8
	v_fma_f32 v18, v8, s6, -v17
	v_fmac_f32_e32 v18, 0x3377d1cf, v8
	v_add_f32_e32 v17, v17, v18
	v_cmp_lt_f32_e64 s[6:7], |v8|, s7
	v_cndmask_b32_e64 v8, v8, v17, s[6:7]
	v_mov_b32_e32 v17, 0x41b17218
	v_cndmask_b32_e32 v17, 0, v17, vcc
	v_sub_f32_e32 v8, v8, v17
	v_fma_f32 v8, |v7|, v8, -|v7|
.LBB154_1926:
	s_andn2_saveexec_b64 s[18:19], s[18:19]
	s_cbranch_execz .LBB154_1928
; %bb.1927:
	v_rcp_f32_e64 v17, |v7|
	v_mov_b32_e32 v8, 0x3a5b3dd2
	v_mov_b32_e32 v18, 0xba1c065c
	;; [unrolled: 1-line block ×3, first 2 shown]
	v_mul_f32_e32 v20, v17, v17
	v_fmac_f32_e32 v8, 0xbad5c4e8, v20
	v_fmac_f32_e32 v18, v20, v8
	s_mov_b32 s6, 0x800000
	v_fmac_f32_e32 v19, v20, v18
	v_mov_b32_e32 v8, 0xbb360b61
	v_cmp_lt_f32_e64 vcc, |v7|, s6
	v_fmac_f32_e32 v8, v20, v19
	v_cndmask_b32_e64 v19, 0, 32, vcc
	v_ldexp_f32 v19, |v7|, v19
	v_log_f32_e32 v19, v19
	v_mov_b32_e32 v18, 0x3daaaaab
	v_fmac_f32_e32 v18, v20, v8
	v_mov_b32_e32 v8, 0x3ed67f1d
	v_fmac_f32_e32 v8, v17, v18
	s_mov_b32 s6, 0x3f317217
	v_mul_f32_e32 v18, 0x3f317217, v19
	v_fma_f32 v20, v19, s6, -v18
	v_fmac_f32_e32 v20, 0x3377d1cf, v19
	s_mov_b32 s6, 0x7f800000
	v_add_f32_e32 v18, v18, v20
	v_cmp_lt_f32_e64 s[6:7], |v19|, s6
	v_cndmask_b32_e64 v18, v19, v18, s[6:7]
	v_mov_b32_e32 v19, 0x41b17218
	v_cndmask_b32_e32 v19, 0, v19, vcc
	v_sub_f32_e32 v18, v18, v19
	v_add_f32_e64 v17, |v7|, -0.5
	v_add_f32_e32 v18, -1.0, v18
	v_fmac_f32_e32 v8, v17, v18
.LBB154_1928:
	s_or_b64 exec, exec, s[18:19]
.LBB154_1929:
	s_andn2_saveexec_b64 s[16:17], s[16:17]
	s_cbranch_execz .LBB154_1931
; %bb.1930:
	v_cvt_i32_f32_e32 v8, v16
	v_mov_b32_e32 v17, 0x3af135b4
	v_mov_b32_e32 v18, 0x3cda40e4
	;; [unrolled: 1-line block ×3, first 2 shown]
	v_cvt_f32_i32_e32 v20, v8
	v_mov_b32_e32 v21, 0x3ea6cc7a
	v_mov_b32_e32 v22, 0x3e5c245a
	v_cmp_lt_i32_e32 vcc, 2, v8
	v_sub_f32_e64 v20, |v7|, v20
	v_fmac_f32_e32 v17, 0x3805ff67, v20
	v_fmac_f32_e32 v18, v20, v17
	;; [unrolled: 1-line block ×3, first 2 shown]
	v_mov_b32_e32 v18, 0x3a4beed6
	v_fmac_f32_e32 v21, v20, v19
	v_fmac_f32_e32 v18, 0x36f5d7bd, v20
	v_mov_b32_e32 v19, 0x3c98bf54
	v_fmac_f32_e32 v19, v20, v18
	v_mov_b32_e32 v18, 0x3e300f6e
	;; [unrolled: 2-line block ×4, first 2 shown]
	v_fmac_f32_e32 v18, v20, v19
	v_add_f32_e32 v19, 2.0, v20
	v_mov_b32_e32 v23, 0xbd9e233f
	v_fmac_f32_e32 v22, v20, v21
	v_add_f32_e32 v21, 0x40400000, v20
	v_cndmask_b32_e32 v19, 1.0, v19, vcc
	v_cmp_lt_i32_e32 vcc, 3, v8
	v_fmac_f32_e32 v23, v20, v22
	v_add_f32_e32 v22, 4.0, v20
	v_cndmask_b32_e32 v21, 1.0, v21, vcc
	v_cmp_lt_i32_e32 vcc, 4, v8
	v_mul_f32_e32 v17, v20, v23
	v_add_f32_e32 v23, 0x40a00000, v20
	v_mul_f32_e32 v19, v19, v21
	v_cndmask_b32_e32 v21, 1.0, v22, vcc
	v_cmp_lt_i32_e32 vcc, 5, v8
	v_add_f32_e32 v24, 0x40c00000, v20
	v_mul_f32_e32 v19, v21, v19
	v_cndmask_b32_e32 v21, 1.0, v23, vcc
	v_cmp_lt_i32_e32 vcc, 6, v8
	v_mul_f32_e32 v19, v21, v19
	v_cndmask_b32_e32 v8, 1.0, v24, vcc
	v_mul_f32_e32 v8, v8, v19
	s_mov_b32 s6, 0x800000
	v_cmp_gt_f32_e32 vcc, s6, v8
	v_cndmask_b32_e64 v19, 0, 32, vcc
	v_fma_f32 v18, v20, v18, 1.0
	v_ldexp_f32 v8, v8, v19
	v_rcp_f32_e32 v18, v18
	v_log_f32_e32 v8, v8
	s_mov_b32 s6, 0x3f317217
	v_mul_f32_e32 v17, v17, v18
	v_mul_f32_e32 v18, 0x3f317217, v8
	v_fma_f32 v19, v8, s6, -v18
	v_fmac_f32_e32 v19, 0x3377d1cf, v8
	s_mov_b32 s6, 0x7f800000
	v_add_f32_e32 v18, v18, v19
	v_cmp_lt_f32_e64 s[6:7], |v8|, s6
	v_cndmask_b32_e64 v8, v8, v18, s[6:7]
	v_mov_b32_e32 v18, 0x41b17218
	v_cndmask_b32_e32 v18, 0, v18, vcc
	v_fmac_f32_e32 v17, 0.5, v20
	v_sub_f32_e32 v8, v8, v18
	v_add_f32_e32 v8, v8, v17
.LBB154_1931:
	s_or_b64 exec, exec, s[16:17]
.LBB154_1932:
	s_andn2_saveexec_b64 s[14:15], s[14:15]
	s_cbranch_execz .LBB154_1950
; %bb.1933:
	s_mov_b32 s6, 0x3f666666
	v_cmp_le_f32_e64 s[6:7], |v7|, s6
                                        ; implicit-def: $vgpr8
                                        ; implicit-def: $vgpr18
                                        ; implicit-def: $vgpr17
	s_and_saveexec_b64 s[16:17], s[6:7]
	s_xor_b64 s[16:17], exec, s[16:17]
	s_cbranch_execz .LBB154_1935
; %bb.1934:
	s_mov_b32 s6, 0x800000
	v_cmp_lt_f32_e64 vcc, |v7|, s6
	v_cndmask_b32_e64 v8, 0, 32, vcc
	v_ldexp_f32 v8, |v7|, v8
	v_log_f32_e32 v8, v8
	s_mov_b32 s6, 0x3f317217
	s_mov_b32 s7, 0x7f800000
	v_mul_f32_e32 v17, 0x3f317217, v8
	v_fma_f32 v18, v8, s6, -v17
	v_fmac_f32_e32 v18, 0x3377d1cf, v8
	v_add_f32_e32 v17, v17, v18
	v_cmp_lt_f32_e64 s[6:7], |v8|, s7
	v_cndmask_b32_e64 v8, v8, v17, s[6:7]
	v_mov_b32_e32 v17, 0x41b17218
	v_cndmask_b32_e32 v17, 0, v17, vcc
	s_mov_b32 s6, 0x3f3b4a23
	s_mov_b32 s7, 0xbeec5b0c
	v_sub_f32_e32 v8, v8, v17
	v_sub_f32_e64 v17, 1.0, |v7|
	v_add_f32_e64 v18, |v7|, s7
	v_cmp_lt_f32_e64 vcc, |v7|, s6
	s_mov_b32 s6, 0x3e6d3309
	v_cndmask_b32_e32 v17, v17, v18, vcc
	v_cndmask_b32_e64 v18, 0, 1, vcc
	v_cmp_lt_f32_e64 s[6:7], |v7|, s6
	v_xor_b32_e32 v8, 0x80000000, v8
	v_cndmask_b32_e64 v17, v17, |v7|, s[6:7]
	v_cndmask_b32_e64 v18, v18, 2, s[6:7]
.LBB154_1935:
	s_andn2_saveexec_b64 s[6:7], s[16:17]
	s_cbranch_execz .LBB154_1937
; %bb.1936:
	s_mov_b32 s16, 0x3fdda512
	s_mov_b32 s17, 0xbfbb16c3
	v_sub_f32_e64 v8, 2.0, |v7|
	v_add_f32_e64 v17, |v7|, s17
	v_cmp_lt_f32_e64 vcc, |v7|, s16
	v_cndmask_b32_e32 v17, v8, v17, vcc
	v_cndmask_b32_e64 v8, v8, 1.0, vcc
	v_cvt_i32_f32_e32 v8, v8
	s_mov_b32 s16, 0x3f9d70a4
	v_add_f32_e64 v18, |v7|, -1.0
	v_cmp_lt_f32_e64 vcc, |v7|, s16
	v_cndmask_b32_e32 v17, v17, v18, vcc
	v_cndmask_b32_e64 v18, v8, 2, vcc
	v_mov_b32_e32 v8, 0
.LBB154_1937:
	s_or_b64 exec, exec, s[6:7]
	v_cmp_lt_i32_e32 vcc, 0, v18
	s_and_saveexec_b64 s[6:7], vcc
	s_xor_b64 s[6:7], exec, s[6:7]
	s_cbranch_execz .LBB154_1945
; %bb.1938:
	v_cmp_lt_i32_e32 vcc, 1, v18
	s_and_saveexec_b64 s[16:17], vcc
	s_xor_b64 s[16:17], exec, s[16:17]
	s_cbranch_execz .LBB154_1942
; %bb.1939:
	v_cmp_eq_u32_e32 vcc, 2, v18
	s_and_saveexec_b64 s[18:19], vcc
	s_cbranch_execz .LBB154_1941
; %bb.1940:
	v_mov_b32_e32 v18, 0x3e6a7578
	v_fmac_f32_e32 v18, 0x3c5b3c5e, v17
	v_mov_b32_e32 v19, 0x3f7a4bb2
	v_fmac_f32_e32 v19, v17, v18
	v_mov_b32_e32 v18, 0x3fba3ae7
	v_fmac_f32_e32 v18, v17, v19
	v_mov_b32_e32 v19, 0x3f2200f4
	v_fmac_f32_e32 v19, v17, v18
	v_mov_b32_e32 v18, 0x3dd572af
	v_fmac_f32_e32 v18, 0x3b52d5db, v17
	v_mov_b32_e32 v20, 0x3f44efdf
	v_fmac_f32_e32 v20, v17, v18
	v_mov_b32_e32 v18, 0x4008392d
	v_fmac_f32_e32 v18, v17, v20
	v_mov_b32_e32 v20, 0x401d2ebe
	v_fmac_f32_e32 v20, v17, v18
	v_fma_f32 v18, v17, v20, 1.0
	v_rcp_f32_e32 v18, v18
	v_mov_b32_e32 v20, 0xbd9e233f
	v_fmac_f32_e32 v20, v17, v19
	v_mul_f32_e32 v19, v17, v20
	v_mul_f32_e32 v18, v19, v18
	v_fmac_f32_e32 v18, -0.5, v17
	v_add_f32_e32 v8, v8, v18
.LBB154_1941:
	s_or_b64 exec, exec, s[18:19]
                                        ; implicit-def: $vgpr17
.LBB154_1942:
	s_andn2_saveexec_b64 s[16:17], s[16:17]
	s_cbranch_execz .LBB154_1944
; %bb.1943:
	v_mul_f32_e32 v18, v17, v17
	v_mul_f32_e32 v19, v17, v18
	v_mov_b32_e32 v20, 0xbab7f476
	v_fmac_f32_e32 v20, 0x39a57b6b, v19
	v_mov_b32_e32 v21, 0x3bc7e707
	v_fmac_f32_e32 v21, v19, v20
	;; [unrolled: 2-line block ×12, first 2 shown]
	v_fmac_f32_e32 v22, v17, v23
	s_mov_b32 s18, 0xa2863e55
	v_fma_f32 v17, v19, -v22, s18
	v_fma_f32 v17, v18, v21, -v17
	v_add_f32_e32 v17, 0xbdf8cdce, v17
	v_add_f32_e32 v8, v8, v17
.LBB154_1944:
	s_or_b64 exec, exec, s[16:17]
                                        ; implicit-def: $vgpr18
                                        ; implicit-def: $vgpr17
.LBB154_1945:
	s_andn2_saveexec_b64 s[6:7], s[6:7]
	s_cbranch_execz .LBB154_1949
; %bb.1946:
	v_cmp_eq_u32_e32 vcc, 0, v18
	s_and_saveexec_b64 s[16:17], vcc
	s_cbranch_execz .LBB154_1948
; %bb.1947:
	v_mul_f32_e32 v18, v17, v17
	v_mov_b32_e32 v19, 0x39679767
	v_fmac_f32_e32 v19, 0x37d383a2, v18
	v_mov_b32_e32 v20, 0x3a9c54a1
	v_fmac_f32_e32 v20, v18, v19
	;; [unrolled: 2-line block ×10, first 2 shown]
	v_mul_f32_e32 v18, v18, v20
	v_fmac_f32_e32 v18, v17, v19
	v_fmac_f32_e32 v18, -0.5, v17
	v_add_f32_e32 v8, v8, v18
.LBB154_1948:
	s_or_b64 exec, exec, s[16:17]
.LBB154_1949:
	s_or_b64 exec, exec, s[6:7]
.LBB154_1950:
	s_or_b64 exec, exec, s[14:15]
.LBB154_1951:
	s_andn2_saveexec_b64 s[8:9], s[8:9]
	s_cbranch_execz .LBB154_1953
; %bb.1952:
	s_mov_b32 s6, 0x3e8a8991
	v_mov_b32_e32 v8, 0xbecd26ab
	v_fma_f32 v8, |v7|, s6, v8
	s_mov_b32 s6, 0x3f528d33
	v_fma_f32 v8, |v7|, v8, s6
	s_mov_b32 s6, 0x800000
	v_cmp_lt_f32_e64 vcc, |v7|, s6
	v_cndmask_b32_e64 v17, 0, 32, vcc
	v_ldexp_f32 v17, |v7|, v17
	v_log_f32_e32 v17, v17
	s_mov_b32 s6, 0xbf13c468
	v_fma_f32 v8, |v7|, v8, s6
	s_mov_b32 s6, 0x3f317217
	v_mul_f32_e32 v18, 0x3f317217, v17
	v_fma_f32 v19, v17, s6, -v18
	v_fmac_f32_e32 v19, 0x3377d1cf, v17
	s_mov_b32 s6, 0x7f800000
	v_add_f32_e32 v18, v18, v19
	v_cmp_lt_f32_e64 s[6:7], |v17|, s6
	v_cndmask_b32_e64 v17, v17, v18, s[6:7]
	v_mov_b32_e32 v18, 0x41b17218
	v_cndmask_b32_e32 v18, 0, v18, vcc
	v_sub_f32_e32 v17, v17, v18
	v_fma_f32 v8, |v7|, v8, -v17
.LBB154_1953:
	s_or_b64 exec, exec, s[8:9]
	v_cmp_le_f16_e64 s[6:7], 0, v14
	v_cmp_nle_f16_e32 vcc, 0, v14
	s_and_saveexec_b64 s[8:9], vcc
	s_xor_b64 s[14:15], exec, s[8:9]
	s_cbranch_execz .LBB154_1957
; %bb.1954:
	s_mov_b32 s8, 0x4b000000
	s_mov_b32 s16, 0x35000000
	v_cmp_lt_f32_e64 s[8:9], |v7|, s8
	v_cmp_gt_f32_e64 s[16:17], |v7|, s16
	s_and_b64 s[8:9], s[8:9], s[16:17]
	s_and_saveexec_b64 s[16:17], s[8:9]
	s_cbranch_execz .LBB154_1956
; %bb.1955:
	v_mul_f32_e64 v17, |v7|, 0.5
	v_floor_f32_e32 v18, v17
	v_sub_f32_e32 v18, v17, v18
	v_min_f32_e32 v18, 0x3f7fffff, v18
	s_mov_b32 s18, 0x7f800000
	v_add_f32_e32 v18, v18, v18
	v_cmp_neq_f32_e32 vcc, s18, v17
	v_cndmask_b32_e32 v17, 0, v18, vcc
	v_cmp_gt_f32_e64 s[8:9], |v7|, 1.0
	v_cndmask_b32_e64 v17, |v7|, v17, s[8:9]
	v_add_f32_e32 v18, v17, v17
	v_rndne_f32_e32 v18, v18
	v_fmac_f32_e32 v17, -0.5, v18
	v_mul_f32_e32 v19, v17, v17
	v_mov_b32_e32 v20, 0xbf1f24be
	v_fmac_f32_e32 v20, 0x3e75aa41, v19
	v_mov_b32_e32 v21, 0x40234736
	v_fmac_f32_e32 v21, v19, v20
	;; [unrolled: 2-line block ×3, first 2 shown]
	v_mul_f32_e32 v21, v17, v19
	v_mul_f32_e32 v20, v21, v20
	v_fmac_f32_e32 v20, 0x40490fdb, v17
	v_mov_b32_e32 v17, 0x3e642e9d
	v_cvt_i32_f32_e32 v18, v18
	v_fmac_f32_e32 v17, 0x3d4be544, v19
	v_mov_b32_e32 v21, 0xbfaad1da
	v_fmac_f32_e32 v21, v19, v17
	v_mov_b32_e32 v17, 0x4081e0d3
	;; [unrolled: 2-line block ×3, first 2 shown]
	v_fmac_f32_e32 v21, v19, v17
	v_fma_f32 v17, v19, v21, 1.0
	v_and_b32_e32 v19, 1, v18
	v_lshlrev_b32_e32 v18, 30, v18
	v_cmp_eq_u32_e32 vcc, 0, v19
	v_and_b32_e32 v18, 0x80000000, v18
	v_xor_b32_e32 v16, v16, v7
	v_cndmask_b32_e32 v17, v17, v20, vcc
	v_xor_b32_e32 v16, v16, v18
	v_xor_b32_e32 v16, v16, v17
	v_mul_f32_e32 v16, v7, v16
	v_frexp_mant_f32_e64 v17, |v16|
	v_rcp_f32_e32 v17, v17
	v_frexp_exp_i32_f32_e32 v16, v16
	v_sub_u32_e32 v16, 2, v16
	s_mov_b32 s8, 0x800000
	v_mul_f32_e32 v17, 0x3f490fdb, v17
	v_ldexp_f32 v16, v17, v16
	v_cmp_gt_f32_e32 vcc, s8, v16
	v_cndmask_b32_e64 v17, 0, 32, vcc
	v_ldexp_f32 v16, v16, v17
	v_log_f32_e32 v16, v16
	s_mov_b32 s8, 0x3f317217
	v_mul_f32_e32 v17, 0x3f317217, v16
	v_fma_f32 v18, v16, s8, -v17
	v_fmac_f32_e32 v18, 0x3377d1cf, v16
	v_add_f32_e32 v17, v17, v18
	v_cmp_lt_f32_e64 s[8:9], |v16|, s18
	v_cndmask_b32_e64 v16, v16, v17, s[8:9]
	v_mov_b32_e32 v17, 0x41b17218
	v_cndmask_b32_e32 v17, 0, v17, vcc
	v_sub_f32_e32 v16, v16, v17
	v_sub_f32_e32 v8, v16, v8
	v_floor_f32_e32 v16, v7
	v_sub_f32_e32 v16, v7, v16
	v_min_f32_e32 v16, 0x3f7fffff, v16
	v_mov_b32_e32 v17, 0x7f800000
	v_cmp_neq_f32_e32 vcc, 0, v16
	v_cndmask_b32_e32 v8, v17, v8, vcc
.LBB154_1956:
	s_or_b64 exec, exec, s[16:17]
.LBB154_1957:
	s_andn2_saveexec_b64 s[14:15], s[14:15]
; %bb.1958:
	v_cmp_eq_f16_e32 vcc, 1.0, v14
	v_cmp_eq_f16_e64 s[8:9], 2.0, v14
	s_or_b64 s[8:9], vcc, s[8:9]
	v_cndmask_b32_e64 v8, v8, 0, s[8:9]
; %bb.1959:
	s_or_b64 exec, exec, s[14:15]
	v_cvt_f16_f32_e32 v5, v5
	s_mov_b32 s8, 0x4b000000
	v_cmp_lt_f32_e64 s[8:9], |v3|, s8
	v_mov_b32_e32 v16, 0x264
	v_mov_b32_e32 v17, 0x7c00
	s_or_b64 vcc, s[0:1], s[8:9]
	v_cndmask_b32_e32 v5, v17, v5, vcc
	v_cmp_class_f32_e32 vcc, v3, v16
	v_cndmask_b32_e32 v3, v5, v17, vcc
	v_cmp_u_f16_e32 vcc, v1, v1
	s_bfe_u32 s21, s20, 0x80008
	v_cndmask_b32_e32 v1, v3, v1, vcc
	v_mov_b32_e32 v3, s13
	v_add_co_u32_e32 v5, vcc, s12, v6
	s_cmp_lt_i32 s21, 11
	v_addc_co_u32_e32 v6, vcc, 0, v3, vcc
	s_cbranch_scc1 .LBB154_2037
; %bb.1960:
	s_and_b32 s22, 0xffff, s21
	s_mov_b64 s[16:17], -1
	s_mov_b64 s[8:9], 0
	s_cmp_gt_i32 s22, 25
	s_mov_b64 s[14:15], 0
	s_mov_b64 s[0:1], 0
	s_cbranch_scc0 .LBB154_1993
; %bb.1961:
	s_cmp_gt_i32 s22, 28
	s_cbranch_scc0 .LBB154_1976
; %bb.1962:
	s_cmp_gt_i32 s22, 43
	;; [unrolled: 3-line block ×3, first 2 shown]
	s_cbranch_scc0 .LBB154_1966
; %bb.1964:
	s_mov_b64 s[0:1], -1
	s_mov_b64 s[16:17], 0
	s_cmp_eq_u32 s22, 46
	s_cbranch_scc0 .LBB154_1966
; %bb.1965:
	v_cvt_f32_f16_e32 v3, v1
	s_movk_i32 s0, 0x7fff
	v_cmp_o_f16_e32 vcc, v1, v1
	v_mov_b32_e32 v16, 0x7fc0
	v_bfe_u32 v17, v3, 16, 1
	v_add3_u32 v3, v3, v17, s0
	v_cndmask_b32_sdwa v3, v16, v3, vcc dst_sel:DWORD dst_unused:UNUSED_PAD src0_sel:DWORD src1_sel:WORD_1
	global_store_dword v[5:6], v3, off
	s_mov_b64 s[0:1], 0
	s_mov_b64 s[14:15], -1
.LBB154_1966:
	s_and_b64 vcc, exec, s[16:17]
	s_cbranch_vccz .LBB154_1971
; %bb.1967:
	s_cmp_eq_u32 s22, 44
	s_mov_b64 s[0:1], -1
	s_cbranch_scc0 .LBB154_1971
; %bb.1968:
	v_cvt_f32_f16_e32 v3, v1
	s_movk_i32 s0, 0xff
	v_mov_b32_e32 v17, 0xff
	v_bfe_u32 v16, v3, 23, 8
	v_cmp_ne_u32_e32 vcc, s0, v16
	s_and_saveexec_b64 s[14:15], vcc
; %bb.1969:
	s_mov_b32 s0, 0x3fffff
	v_lshrrev_b32_e32 v17, 23, v3
	v_and_b32_e32 v18, 0x400000, v3
	v_and_or_b32 v3, v3, s0, v16
	v_cmp_ne_u32_e32 vcc, 0, v18
	v_cmp_ne_u32_e64 s[0:1], 0, v3
	s_and_b64 s[0:1], vcc, s[0:1]
	v_cndmask_b32_e64 v3, 0, 1, s[0:1]
	v_add_u32_e32 v17, v17, v3
; %bb.1970:
	s_or_b64 exec, exec, s[14:15]
	s_mov_b64 s[0:1], 0
	s_mov_b64 s[14:15], -1
	global_store_byte v[5:6], v17, off
.LBB154_1971:
	s_mov_b64 s[16:17], 0
.LBB154_1972:
	s_and_b64 vcc, exec, s[16:17]
	s_cbranch_vccz .LBB154_1975
; %bb.1973:
	s_cmp_eq_u32 s22, 29
	s_mov_b64 s[0:1], -1
	s_cbranch_scc0 .LBB154_1975
; %bb.1974:
	v_cvt_f32_f16_e32 v3, v1
	v_mov_b32_e32 v17, 0
	s_mov_b64 s[0:1], 0
	s_mov_b64 s[14:15], -1
	v_cvt_u32_f32_e32 v16, v3
	global_store_dwordx2 v[5:6], v[16:17], off
.LBB154_1975:
	s_mov_b64 s[16:17], 0
.LBB154_1976:
	s_and_b64 vcc, exec, s[16:17]
	s_cbranch_vccz .LBB154_1992
; %bb.1977:
	s_cmp_lt_i32 s22, 27
	s_mov_b64 s[14:15], -1
	s_cbranch_scc1 .LBB154_1983
; %bb.1978:
	s_cmp_gt_i32 s22, 27
	s_cbranch_scc0 .LBB154_1980
; %bb.1979:
	v_cvt_f32_f16_e32 v3, v1
	s_mov_b64 s[14:15], 0
	v_cvt_u32_f32_e32 v3, v3
	global_store_dword v[5:6], v3, off
.LBB154_1980:
	s_andn2_b64 vcc, exec, s[14:15]
	s_cbranch_vccnz .LBB154_1982
; %bb.1981:
	v_cvt_u16_f16_e32 v3, v1
	global_store_short v[5:6], v3, off
.LBB154_1982:
	s_mov_b64 s[14:15], 0
.LBB154_1983:
	s_andn2_b64 vcc, exec, s[14:15]
	s_cbranch_vccnz .LBB154_1991
; %bb.1984:
	v_cvt_f32_f16_e32 v3, v1
	s_mov_b32 s14, 0x43800000
	v_mov_b32_e32 v17, 0x80
	v_and_b32_e32 v16, 0x7fffffff, v3
	v_cmp_gt_u32_e32 vcc, s14, v16
	s_and_saveexec_b64 s[14:15], vcc
	s_cbranch_execz .LBB154_1990
; %bb.1985:
	s_mov_b32 s16, 0x3bffffff
	v_cmp_lt_u32_e32 vcc, s16, v16
	s_mov_b64 s[16:17], 0
                                        ; implicit-def: $vgpr16
	s_and_saveexec_b64 s[18:19], vcc
	s_xor_b64 s[18:19], exec, s[18:19]
	s_cbranch_execz .LBB154_2439
; %bb.1986:
	v_bfe_u32 v16, v3, 20, 1
	s_mov_b32 s23, 0x487ffff
	v_add3_u32 v16, v3, v16, s23
	s_mov_b64 s[16:17], exec
	v_lshrrev_b32_e32 v16, 20, v16
	s_andn2_saveexec_b64 s[18:19], s[18:19]
	s_cbranch_execnz .LBB154_2440
.LBB154_1987:
	s_or_b64 exec, exec, s[18:19]
	v_mov_b32_e32 v17, 0
	s_and_saveexec_b64 s[18:19], s[16:17]
.LBB154_1988:
	v_lshrrev_b32_e32 v3, 24, v3
	s_movk_i32 s16, 0x80
	v_and_or_b32 v17, v3, s16, v16
.LBB154_1989:
	s_or_b64 exec, exec, s[18:19]
.LBB154_1990:
	s_or_b64 exec, exec, s[14:15]
	global_store_byte v[5:6], v17, off
.LBB154_1991:
	s_mov_b64 s[14:15], -1
.LBB154_1992:
	s_mov_b64 s[16:17], 0
.LBB154_1993:
	s_and_b64 vcc, exec, s[16:17]
	s_cbranch_vccz .LBB154_2033
; %bb.1994:
	s_cmp_gt_i32 s22, 22
	s_mov_b64 s[8:9], -1
	s_cbranch_scc0 .LBB154_2026
; %bb.1995:
	s_cmp_lt_i32 s22, 24
	s_cbranch_scc1 .LBB154_2015
; %bb.1996:
	s_cmp_gt_i32 s22, 24
	s_cbranch_scc0 .LBB154_2004
; %bb.1997:
	v_cvt_f32_f16_e32 v3, v1
	s_mov_b32 s8, 0x47800000
	v_mov_b32_e32 v17, 0x80
	v_and_b32_e32 v16, 0x7fffffff, v3
	v_cmp_gt_u32_e32 vcc, s8, v16
	s_and_saveexec_b64 s[8:9], vcc
	s_cbranch_execz .LBB154_2003
; %bb.1998:
	s_mov_b32 s14, 0x37ffffff
	v_cmp_lt_u32_e32 vcc, s14, v16
	s_mov_b64 s[14:15], 0
                                        ; implicit-def: $vgpr16
	s_and_saveexec_b64 s[16:17], vcc
	s_xor_b64 s[16:17], exec, s[16:17]
	s_cbranch_execz .LBB154_2442
; %bb.1999:
	v_bfe_u32 v16, v3, 21, 1
	s_mov_b32 s18, 0x88fffff
	v_add3_u32 v16, v3, v16, s18
	s_mov_b64 s[14:15], exec
	v_lshrrev_b32_e32 v16, 21, v16
	s_andn2_saveexec_b64 s[16:17], s[16:17]
	s_cbranch_execnz .LBB154_2443
.LBB154_2000:
	s_or_b64 exec, exec, s[16:17]
	v_mov_b32_e32 v17, 0
	s_and_saveexec_b64 s[16:17], s[14:15]
.LBB154_2001:
	v_lshrrev_b32_e32 v3, 24, v3
	s_movk_i32 s14, 0x80
	v_and_or_b32 v17, v3, s14, v16
.LBB154_2002:
	s_or_b64 exec, exec, s[16:17]
.LBB154_2003:
	s_or_b64 exec, exec, s[8:9]
	s_mov_b64 s[8:9], 0
	global_store_byte v[5:6], v17, off
.LBB154_2004:
	s_and_b64 vcc, exec, s[8:9]
	s_cbranch_vccz .LBB154_2014
; %bb.2005:
	v_cvt_f32_f16_e32 v3, v1
	s_mov_b32 s8, 0x43f00000
                                        ; implicit-def: $vgpr16
	v_and_b32_e32 v17, 0x7fffffff, v3
	v_cmp_gt_u32_e32 vcc, s8, v17
	s_and_saveexec_b64 s[8:9], vcc
	s_xor_b64 s[8:9], exec, s[8:9]
	s_cbranch_execz .LBB154_2011
; %bb.2006:
	s_mov_b32 s14, 0x3c7fffff
	v_cmp_lt_u32_e32 vcc, s14, v17
                                        ; implicit-def: $vgpr16
	s_and_saveexec_b64 s[14:15], vcc
	s_xor_b64 s[14:15], exec, s[14:15]
; %bb.2007:
	v_bfe_u32 v16, v3, 20, 1
	s_mov_b32 s16, 0x407ffff
	v_add3_u32 v16, v3, v16, s16
	v_lshrrev_b32_e32 v17, 20, v16
	v_and_b32_e32 v16, 0xff00000, v16
	s_mov_b32 s16, 0x7f00000
	v_mov_b32_e32 v18, 0x7e
	v_cmp_ne_u32_e32 vcc, s16, v16
	v_cndmask_b32_e32 v16, v18, v17, vcc
; %bb.2008:
	s_andn2_saveexec_b64 s[14:15], s[14:15]
; %bb.2009:
	s_mov_b32 s16, 0x46800000
	v_add_f32_e64 v16, |v3|, s16
; %bb.2010:
	s_or_b64 exec, exec, s[14:15]
                                        ; implicit-def: $vgpr17
.LBB154_2011:
	s_andn2_saveexec_b64 s[8:9], s[8:9]
; %bb.2012:
	s_mov_b32 s14, 0x7f800000
	v_mov_b32_e32 v16, 0x7e
	v_mov_b32_e32 v18, 0x7f
	v_cmp_lt_u32_e32 vcc, s14, v17
	v_cndmask_b32_e32 v16, v16, v18, vcc
; %bb.2013:
	s_or_b64 exec, exec, s[8:9]
	v_lshrrev_b32_e32 v3, 24, v3
	s_movk_i32 s8, 0x80
	v_and_or_b32 v3, v3, s8, v16
	global_store_byte v[5:6], v3, off
.LBB154_2014:
	s_mov_b64 s[8:9], 0
.LBB154_2015:
	s_andn2_b64 vcc, exec, s[8:9]
	s_cbranch_vccnz .LBB154_2025
; %bb.2016:
	v_cvt_f32_f16_e32 v3, v1
	s_mov_b32 s8, 0x47800000
                                        ; implicit-def: $vgpr16
	v_and_b32_e32 v17, 0x7fffffff, v3
	v_cmp_gt_u32_e32 vcc, s8, v17
	s_and_saveexec_b64 s[8:9], vcc
	s_xor_b64 s[8:9], exec, s[8:9]
	s_cbranch_execz .LBB154_2022
; %bb.2017:
	s_mov_b32 s14, 0x387fffff
	v_cmp_lt_u32_e32 vcc, s14, v17
                                        ; implicit-def: $vgpr16
	s_and_saveexec_b64 s[14:15], vcc
	s_xor_b64 s[14:15], exec, s[14:15]
; %bb.2018:
	v_bfe_u32 v16, v3, 21, 1
	s_mov_b32 s16, 0x80fffff
	v_add3_u32 v16, v3, v16, s16
	v_lshrrev_b32_e32 v16, 21, v16
; %bb.2019:
	s_andn2_saveexec_b64 s[14:15], s[14:15]
; %bb.2020:
	s_mov_b32 s16, 0x43000000
	v_add_f32_e64 v16, |v3|, s16
; %bb.2021:
	s_or_b64 exec, exec, s[14:15]
                                        ; implicit-def: $vgpr17
.LBB154_2022:
	s_andn2_saveexec_b64 s[8:9], s[8:9]
; %bb.2023:
	s_mov_b32 s14, 0x7f800000
	v_mov_b32_e32 v16, 0x7c
	v_mov_b32_e32 v18, 0x7f
	v_cmp_lt_u32_e32 vcc, s14, v17
	v_cndmask_b32_e32 v16, v16, v18, vcc
; %bb.2024:
	s_or_b64 exec, exec, s[8:9]
	v_lshrrev_b32_e32 v3, 24, v3
	s_movk_i32 s8, 0x80
	v_and_or_b32 v3, v3, s8, v16
	global_store_byte v[5:6], v3, off
.LBB154_2025:
	s_mov_b64 s[8:9], 0
	s_mov_b64 s[14:15], -1
.LBB154_2026:
	s_andn2_b64 vcc, exec, s[8:9]
	s_mov_b64 s[8:9], 0
	s_cbranch_vccnz .LBB154_2033
; %bb.2027:
	s_cmp_gt_i32 s22, 14
	s_mov_b64 s[16:17], -1
	s_cbranch_scc0 .LBB154_2031
; %bb.2028:
	s_cmp_eq_u32 s22, 15
	s_mov_b64 s[0:1], -1
	s_cbranch_scc0 .LBB154_2030
; %bb.2029:
	v_cvt_f32_f16_e32 v3, v1
	s_movk_i32 s0, 0x7fff
	v_cmp_o_f16_e32 vcc, v1, v1
	v_mov_b32_e32 v16, 0x7fc0
	v_bfe_u32 v17, v3, 16, 1
	v_add3_u32 v3, v3, v17, s0
	v_cndmask_b32_sdwa v3, v16, v3, vcc dst_sel:DWORD dst_unused:UNUSED_PAD src0_sel:DWORD src1_sel:WORD_1
	global_store_short v[5:6], v3, off
	s_mov_b64 s[0:1], 0
	s_mov_b64 s[14:15], -1
.LBB154_2030:
	s_mov_b64 s[16:17], 0
.LBB154_2031:
	s_and_b64 vcc, exec, s[16:17]
	s_cbranch_vccz .LBB154_2033
; %bb.2032:
	s_cmp_lg_u32 s22, 11
	s_mov_b64 s[8:9], -1
	s_cselect_b64 s[0:1], -1, 0
.LBB154_2033:
	s_and_b64 vcc, exec, s[0:1]
	s_cbranch_vccnz .LBB154_2441
; %bb.2034:
	s_andn2_b64 vcc, exec, s[8:9]
	s_cbranch_vccnz .LBB154_2036
.LBB154_2035:
	v_cmp_neq_f16_e32 vcc, 0, v1
	v_cndmask_b32_e64 v3, 0, 1, vcc
	s_mov_b64 s[14:15], -1
	global_store_byte v[5:6], v3, off
.LBB154_2036:
	s_mov_b64 s[0:1], 0
	s_branch .LBB154_2038
.LBB154_2037:
	s_mov_b64 s[0:1], -1
	s_mov_b64 s[14:15], 0
.LBB154_2038:
	s_and_b64 vcc, exec, s[0:1]
	s_cbranch_vccz .LBB154_2077
; %bb.2039:
	s_and_b32 s8, 0xffff, s21
	s_cmp_lt_i32 s8, 5
	s_mov_b64 s[0:1], -1
	s_cbranch_scc1 .LBB154_2060
; %bb.2040:
	s_cmp_lt_i32 s8, 8
	s_cbranch_scc1 .LBB154_2050
; %bb.2041:
	s_cmp_lt_i32 s8, 9
	s_cbranch_scc1 .LBB154_2047
; %bb.2042:
	s_cmp_gt_i32 s8, 9
	s_cbranch_scc0 .LBB154_2044
; %bb.2043:
	v_cvt_f32_f16_e32 v3, v1
	v_mov_b32_e32 v18, 0
	v_mov_b32_e32 v19, v18
	s_mov_b64 s[0:1], 0
	v_cvt_f64_f32_e32 v[16:17], v3
	global_store_dwordx4 v[5:6], v[16:19], off
.LBB154_2044:
	s_andn2_b64 vcc, exec, s[0:1]
	s_cbranch_vccnz .LBB154_2046
; %bb.2045:
	v_cvt_f32_f16_e32 v16, v1
	v_mov_b32_e32 v17, 0
	global_store_dwordx2 v[5:6], v[16:17], off
.LBB154_2046:
	s_mov_b64 s[0:1], 0
.LBB154_2047:
	s_andn2_b64 vcc, exec, s[0:1]
	s_cbranch_vccnz .LBB154_2049
; %bb.2048:
	v_and_b32_e32 v3, 0xffff, v1
	global_store_dword v[5:6], v3, off
.LBB154_2049:
	s_mov_b64 s[0:1], 0
.LBB154_2050:
	s_andn2_b64 vcc, exec, s[0:1]
	s_cbranch_vccnz .LBB154_2059
; %bb.2051:
	s_cmp_lt_i32 s8, 6
	s_mov_b64 s[0:1], -1
	s_cbranch_scc1 .LBB154_2057
; %bb.2052:
	s_cmp_gt_i32 s8, 6
	s_cbranch_scc0 .LBB154_2054
; %bb.2053:
	v_cvt_f32_f16_e32 v3, v1
	s_mov_b64 s[0:1], 0
	v_cvt_f64_f32_e32 v[16:17], v3
	global_store_dwordx2 v[5:6], v[16:17], off
.LBB154_2054:
	s_andn2_b64 vcc, exec, s[0:1]
	s_cbranch_vccnz .LBB154_2056
; %bb.2055:
	v_cvt_f32_f16_e32 v3, v1
	global_store_dword v[5:6], v3, off
.LBB154_2056:
	s_mov_b64 s[0:1], 0
.LBB154_2057:
	s_andn2_b64 vcc, exec, s[0:1]
	s_cbranch_vccnz .LBB154_2059
; %bb.2058:
	global_store_short v[5:6], v1, off
.LBB154_2059:
	s_mov_b64 s[0:1], 0
.LBB154_2060:
	s_andn2_b64 vcc, exec, s[0:1]
	s_cbranch_vccnz .LBB154_2076
; %bb.2061:
	s_cmp_lt_i32 s8, 2
	s_mov_b64 s[0:1], -1
	s_cbranch_scc1 .LBB154_2071
; %bb.2062:
	s_cmp_lt_i32 s8, 3
	s_cbranch_scc1 .LBB154_2068
; %bb.2063:
	s_cmp_gt_i32 s8, 3
	s_cbranch_scc0 .LBB154_2065
; %bb.2064:
	v_cvt_f32_f16_e32 v3, v1
	s_mov_b64 s[0:1], 0
	v_cvt_i32_f32_e32 v16, v3
	v_ashrrev_i32_e32 v17, 31, v16
	global_store_dwordx2 v[5:6], v[16:17], off
.LBB154_2065:
	s_andn2_b64 vcc, exec, s[0:1]
	s_cbranch_vccnz .LBB154_2067
; %bb.2066:
	v_cvt_f32_f16_e32 v3, v1
	v_cvt_i32_f32_e32 v3, v3
	global_store_dword v[5:6], v3, off
.LBB154_2067:
	s_mov_b64 s[0:1], 0
.LBB154_2068:
	s_andn2_b64 vcc, exec, s[0:1]
	s_cbranch_vccnz .LBB154_2070
; %bb.2069:
	v_cvt_i16_f16_e32 v3, v1
	global_store_short v[5:6], v3, off
.LBB154_2070:
	s_mov_b64 s[0:1], 0
.LBB154_2071:
	s_andn2_b64 vcc, exec, s[0:1]
	s_cbranch_vccnz .LBB154_2076
; %bb.2072:
	s_cmp_gt_i32 s8, 0
	s_mov_b64 s[0:1], -1
	s_cbranch_scc0 .LBB154_2074
; %bb.2073:
	v_cvt_i16_f16_e32 v3, v1
	global_store_byte v[5:6], v3, off
	s_mov_b64 s[0:1], 0
.LBB154_2074:
	s_andn2_b64 vcc, exec, s[0:1]
	s_cbranch_vccnz .LBB154_2076
; %bb.2075:
	v_cvt_f32_f16_e32 v1, v1
	v_cvt_i32_f32_e32 v1, v1
	global_store_byte v[5:6], v1, off
.LBB154_2076:
	s_mov_b64 s[14:15], -1
.LBB154_2077:
	s_andn2_b64 vcc, exec, s[14:15]
	s_cbranch_vccnz .LBB154_2392
; %bb.2078:
	s_lshr_b32 s0, s20, 8
	v_cvt_f16_f32_e32 v3, v13
	s_and_b32 s18, s0, 0xff
	s_mov_b32 s0, 0x4b000000
	v_cmp_lt_f32_e64 s[0:1], |v10|, s0
	v_mov_b32_e32 v1, 0x264
	v_mov_b32_e32 v5, 0x7c00
	s_or_b64 vcc, s[2:3], s[0:1]
	v_cndmask_b32_e32 v3, v5, v3, vcc
	v_cmp_class_f32_e32 vcc, v10, v1
	v_cndmask_b32_e32 v1, v3, v5, vcc
	v_cmp_u_f16_e32 vcc, v12, v12
	v_cndmask_b32_e32 v1, v1, v12, vcc
	v_mov_b32_e32 v5, s13
	v_add_co_u32_e32 v3, vcc, s12, v4
	s_cmp_lt_i32 s18, 11
	v_addc_co_u32_e32 v4, vcc, 0, v5, vcc
	s_cbranch_scc1 .LBB154_2156
; %bb.2079:
	s_and_b32 s19, 0xffff, s18
	s_mov_b64 s[14:15], -1
	s_mov_b64 s[2:3], 0
	s_cmp_gt_i32 s19, 25
	s_mov_b64 s[8:9], 0
	s_mov_b64 s[0:1], 0
	s_cbranch_scc0 .LBB154_2112
; %bb.2080:
	s_cmp_gt_i32 s19, 28
	s_cbranch_scc0 .LBB154_2095
; %bb.2081:
	s_cmp_gt_i32 s19, 43
	;; [unrolled: 3-line block ×3, first 2 shown]
	s_cbranch_scc0 .LBB154_2085
; %bb.2083:
	s_mov_b64 s[0:1], -1
	s_mov_b64 s[14:15], 0
	s_cmp_eq_u32 s19, 46
	s_cbranch_scc0 .LBB154_2085
; %bb.2084:
	v_cvt_f32_f16_e32 v5, v1
	s_movk_i32 s0, 0x7fff
	v_cmp_o_f16_e32 vcc, v1, v1
	v_mov_b32_e32 v6, 0x7fc0
	v_bfe_u32 v10, v5, 16, 1
	v_add3_u32 v5, v5, v10, s0
	v_cndmask_b32_sdwa v5, v6, v5, vcc dst_sel:DWORD dst_unused:UNUSED_PAD src0_sel:DWORD src1_sel:WORD_1
	global_store_dword v[3:4], v5, off
	s_mov_b64 s[0:1], 0
	s_mov_b64 s[8:9], -1
.LBB154_2085:
	s_and_b64 vcc, exec, s[14:15]
	s_cbranch_vccz .LBB154_2090
; %bb.2086:
	s_cmp_eq_u32 s19, 44
	s_mov_b64 s[0:1], -1
	s_cbranch_scc0 .LBB154_2090
; %bb.2087:
	v_cvt_f32_f16_e32 v5, v1
	s_movk_i32 s0, 0xff
	v_mov_b32_e32 v10, 0xff
	v_bfe_u32 v6, v5, 23, 8
	v_cmp_ne_u32_e32 vcc, s0, v6
	s_and_saveexec_b64 s[8:9], vcc
; %bb.2088:
	s_mov_b32 s0, 0x3fffff
	v_lshrrev_b32_e32 v10, 23, v5
	v_and_b32_e32 v12, 0x400000, v5
	v_and_or_b32 v5, v5, s0, v6
	v_cmp_ne_u32_e32 vcc, 0, v12
	v_cmp_ne_u32_e64 s[0:1], 0, v5
	s_and_b64 s[0:1], vcc, s[0:1]
	v_cndmask_b32_e64 v5, 0, 1, s[0:1]
	v_add_u32_e32 v10, v10, v5
; %bb.2089:
	s_or_b64 exec, exec, s[8:9]
	s_mov_b64 s[0:1], 0
	s_mov_b64 s[8:9], -1
	global_store_byte v[3:4], v10, off
.LBB154_2090:
	s_mov_b64 s[14:15], 0
.LBB154_2091:
	s_and_b64 vcc, exec, s[14:15]
	s_cbranch_vccz .LBB154_2094
; %bb.2092:
	s_cmp_eq_u32 s19, 29
	s_mov_b64 s[0:1], -1
	s_cbranch_scc0 .LBB154_2094
; %bb.2093:
	v_cvt_f32_f16_e32 v5, v1
	v_mov_b32_e32 v6, 0
	s_mov_b64 s[0:1], 0
	s_mov_b64 s[8:9], -1
	v_cvt_u32_f32_e32 v5, v5
	global_store_dwordx2 v[3:4], v[5:6], off
.LBB154_2094:
	s_mov_b64 s[14:15], 0
.LBB154_2095:
	s_and_b64 vcc, exec, s[14:15]
	s_cbranch_vccz .LBB154_2111
; %bb.2096:
	s_cmp_lt_i32 s19, 27
	s_mov_b64 s[8:9], -1
	s_cbranch_scc1 .LBB154_2102
; %bb.2097:
	s_cmp_gt_i32 s19, 27
	s_cbranch_scc0 .LBB154_2099
; %bb.2098:
	v_cvt_f32_f16_e32 v5, v1
	s_mov_b64 s[8:9], 0
	v_cvt_u32_f32_e32 v5, v5
	global_store_dword v[3:4], v5, off
.LBB154_2099:
	s_andn2_b64 vcc, exec, s[8:9]
	s_cbranch_vccnz .LBB154_2101
; %bb.2100:
	v_cvt_u16_f16_e32 v5, v1
	global_store_short v[3:4], v5, off
.LBB154_2101:
	s_mov_b64 s[8:9], 0
.LBB154_2102:
	s_andn2_b64 vcc, exec, s[8:9]
	s_cbranch_vccnz .LBB154_2110
; %bb.2103:
	v_cvt_f32_f16_e32 v5, v1
	s_mov_b32 s8, 0x43800000
	v_mov_b32_e32 v10, 0x80
	v_and_b32_e32 v6, 0x7fffffff, v5
	v_cmp_gt_u32_e32 vcc, s8, v6
	s_and_saveexec_b64 s[8:9], vcc
	s_cbranch_execz .LBB154_2109
; %bb.2104:
	s_mov_b32 s14, 0x3bffffff
	v_cmp_lt_u32_e32 vcc, s14, v6
	s_mov_b64 s[14:15], 0
                                        ; implicit-def: $vgpr6
	s_and_saveexec_b64 s[16:17], vcc
	s_xor_b64 s[16:17], exec, s[16:17]
	s_cbranch_execz .LBB154_2444
; %bb.2105:
	v_bfe_u32 v6, v5, 20, 1
	s_mov_b32 s20, 0x487ffff
	v_add3_u32 v6, v5, v6, s20
	s_mov_b64 s[14:15], exec
	v_lshrrev_b32_e32 v6, 20, v6
	s_andn2_saveexec_b64 s[16:17], s[16:17]
	s_cbranch_execnz .LBB154_2445
.LBB154_2106:
	s_or_b64 exec, exec, s[16:17]
	v_mov_b32_e32 v10, 0
	s_and_saveexec_b64 s[16:17], s[14:15]
.LBB154_2107:
	v_lshrrev_b32_e32 v5, 24, v5
	s_movk_i32 s14, 0x80
	v_and_or_b32 v10, v5, s14, v6
.LBB154_2108:
	s_or_b64 exec, exec, s[16:17]
.LBB154_2109:
	s_or_b64 exec, exec, s[8:9]
	global_store_byte v[3:4], v10, off
.LBB154_2110:
	s_mov_b64 s[8:9], -1
.LBB154_2111:
	s_mov_b64 s[14:15], 0
.LBB154_2112:
	s_and_b64 vcc, exec, s[14:15]
	s_cbranch_vccz .LBB154_2152
; %bb.2113:
	s_cmp_gt_i32 s19, 22
	s_mov_b64 s[2:3], -1
	s_cbranch_scc0 .LBB154_2145
; %bb.2114:
	s_cmp_lt_i32 s19, 24
	s_cbranch_scc1 .LBB154_2134
; %bb.2115:
	s_cmp_gt_i32 s19, 24
	s_cbranch_scc0 .LBB154_2123
; %bb.2116:
	v_cvt_f32_f16_e32 v5, v1
	s_mov_b32 s2, 0x47800000
	v_mov_b32_e32 v10, 0x80
	v_and_b32_e32 v6, 0x7fffffff, v5
	v_cmp_gt_u32_e32 vcc, s2, v6
	s_and_saveexec_b64 s[2:3], vcc
	s_cbranch_execz .LBB154_2122
; %bb.2117:
	s_mov_b32 s8, 0x37ffffff
	v_cmp_lt_u32_e32 vcc, s8, v6
	s_mov_b64 s[8:9], 0
                                        ; implicit-def: $vgpr6
	s_and_saveexec_b64 s[14:15], vcc
	s_xor_b64 s[14:15], exec, s[14:15]
	s_cbranch_execz .LBB154_2447
; %bb.2118:
	v_bfe_u32 v6, v5, 21, 1
	s_mov_b32 s16, 0x88fffff
	v_add3_u32 v6, v5, v6, s16
	s_mov_b64 s[8:9], exec
	v_lshrrev_b32_e32 v6, 21, v6
	s_andn2_saveexec_b64 s[14:15], s[14:15]
	s_cbranch_execnz .LBB154_2448
.LBB154_2119:
	s_or_b64 exec, exec, s[14:15]
	v_mov_b32_e32 v10, 0
	s_and_saveexec_b64 s[14:15], s[8:9]
.LBB154_2120:
	v_lshrrev_b32_e32 v5, 24, v5
	s_movk_i32 s8, 0x80
	v_and_or_b32 v10, v5, s8, v6
.LBB154_2121:
	s_or_b64 exec, exec, s[14:15]
.LBB154_2122:
	s_or_b64 exec, exec, s[2:3]
	s_mov_b64 s[2:3], 0
	global_store_byte v[3:4], v10, off
.LBB154_2123:
	s_and_b64 vcc, exec, s[2:3]
	s_cbranch_vccz .LBB154_2133
; %bb.2124:
	v_cvt_f32_f16_e32 v5, v1
	s_mov_b32 s2, 0x43f00000
                                        ; implicit-def: $vgpr6
	v_and_b32_e32 v10, 0x7fffffff, v5
	v_cmp_gt_u32_e32 vcc, s2, v10
	s_and_saveexec_b64 s[2:3], vcc
	s_xor_b64 s[2:3], exec, s[2:3]
	s_cbranch_execz .LBB154_2130
; %bb.2125:
	s_mov_b32 s8, 0x3c7fffff
	v_cmp_lt_u32_e32 vcc, s8, v10
                                        ; implicit-def: $vgpr6
	s_and_saveexec_b64 s[8:9], vcc
	s_xor_b64 s[8:9], exec, s[8:9]
; %bb.2126:
	v_bfe_u32 v6, v5, 20, 1
	s_mov_b32 s14, 0x407ffff
	v_add3_u32 v6, v5, v6, s14
	v_lshrrev_b32_e32 v10, 20, v6
	v_and_b32_e32 v6, 0xff00000, v6
	s_mov_b32 s14, 0x7f00000
	v_mov_b32_e32 v12, 0x7e
	v_cmp_ne_u32_e32 vcc, s14, v6
	v_cndmask_b32_e32 v6, v12, v10, vcc
; %bb.2127:
	s_andn2_saveexec_b64 s[8:9], s[8:9]
; %bb.2128:
	s_mov_b32 s14, 0x46800000
	v_add_f32_e64 v6, |v5|, s14
; %bb.2129:
	s_or_b64 exec, exec, s[8:9]
                                        ; implicit-def: $vgpr10
.LBB154_2130:
	s_andn2_saveexec_b64 s[2:3], s[2:3]
; %bb.2131:
	s_mov_b32 s8, 0x7f800000
	v_mov_b32_e32 v6, 0x7e
	v_mov_b32_e32 v12, 0x7f
	v_cmp_lt_u32_e32 vcc, s8, v10
	v_cndmask_b32_e32 v6, v6, v12, vcc
; %bb.2132:
	s_or_b64 exec, exec, s[2:3]
	v_lshrrev_b32_e32 v5, 24, v5
	s_movk_i32 s2, 0x80
	v_and_or_b32 v5, v5, s2, v6
	global_store_byte v[3:4], v5, off
.LBB154_2133:
	s_mov_b64 s[2:3], 0
.LBB154_2134:
	s_andn2_b64 vcc, exec, s[2:3]
	s_cbranch_vccnz .LBB154_2144
; %bb.2135:
	v_cvt_f32_f16_e32 v5, v1
	s_mov_b32 s2, 0x47800000
                                        ; implicit-def: $vgpr6
	v_and_b32_e32 v10, 0x7fffffff, v5
	v_cmp_gt_u32_e32 vcc, s2, v10
	s_and_saveexec_b64 s[2:3], vcc
	s_xor_b64 s[2:3], exec, s[2:3]
	s_cbranch_execz .LBB154_2141
; %bb.2136:
	s_mov_b32 s8, 0x387fffff
	v_cmp_lt_u32_e32 vcc, s8, v10
                                        ; implicit-def: $vgpr6
	s_and_saveexec_b64 s[8:9], vcc
	s_xor_b64 s[8:9], exec, s[8:9]
; %bb.2137:
	v_bfe_u32 v6, v5, 21, 1
	s_mov_b32 s14, 0x80fffff
	v_add3_u32 v6, v5, v6, s14
	v_lshrrev_b32_e32 v6, 21, v6
; %bb.2138:
	s_andn2_saveexec_b64 s[8:9], s[8:9]
; %bb.2139:
	s_mov_b32 s14, 0x43000000
	v_add_f32_e64 v6, |v5|, s14
; %bb.2140:
	s_or_b64 exec, exec, s[8:9]
                                        ; implicit-def: $vgpr10
.LBB154_2141:
	s_andn2_saveexec_b64 s[2:3], s[2:3]
; %bb.2142:
	s_mov_b32 s8, 0x7f800000
	v_mov_b32_e32 v6, 0x7c
	v_mov_b32_e32 v12, 0x7f
	v_cmp_lt_u32_e32 vcc, s8, v10
	v_cndmask_b32_e32 v6, v6, v12, vcc
; %bb.2143:
	s_or_b64 exec, exec, s[2:3]
	v_lshrrev_b32_e32 v5, 24, v5
	s_movk_i32 s2, 0x80
	v_and_or_b32 v5, v5, s2, v6
	global_store_byte v[3:4], v5, off
.LBB154_2144:
	s_mov_b64 s[2:3], 0
	s_mov_b64 s[8:9], -1
.LBB154_2145:
	s_andn2_b64 vcc, exec, s[2:3]
	s_mov_b64 s[2:3], 0
	s_cbranch_vccnz .LBB154_2152
; %bb.2146:
	s_cmp_gt_i32 s19, 14
	s_mov_b64 s[14:15], -1
	s_cbranch_scc0 .LBB154_2150
; %bb.2147:
	s_cmp_eq_u32 s19, 15
	s_mov_b64 s[0:1], -1
	s_cbranch_scc0 .LBB154_2149
; %bb.2148:
	v_cvt_f32_f16_e32 v5, v1
	s_movk_i32 s0, 0x7fff
	v_cmp_o_f16_e32 vcc, v1, v1
	v_mov_b32_e32 v6, 0x7fc0
	v_bfe_u32 v10, v5, 16, 1
	v_add3_u32 v5, v5, v10, s0
	v_cndmask_b32_sdwa v5, v6, v5, vcc dst_sel:DWORD dst_unused:UNUSED_PAD src0_sel:DWORD src1_sel:WORD_1
	global_store_short v[3:4], v5, off
	s_mov_b64 s[0:1], 0
	s_mov_b64 s[8:9], -1
.LBB154_2149:
	s_mov_b64 s[14:15], 0
.LBB154_2150:
	s_and_b64 vcc, exec, s[14:15]
	s_cbranch_vccz .LBB154_2152
; %bb.2151:
	s_cmp_lg_u32 s19, 11
	s_mov_b64 s[2:3], -1
	s_cselect_b64 s[0:1], -1, 0
.LBB154_2152:
	s_and_b64 vcc, exec, s[0:1]
	s_cbranch_vccnz .LBB154_2446
; %bb.2153:
	s_andn2_b64 vcc, exec, s[2:3]
	s_cbranch_vccnz .LBB154_2155
.LBB154_2154:
	v_cmp_neq_f16_e32 vcc, 0, v1
	v_cndmask_b32_e64 v5, 0, 1, vcc
	s_mov_b64 s[8:9], -1
	global_store_byte v[3:4], v5, off
.LBB154_2155:
	s_mov_b64 s[0:1], 0
	s_branch .LBB154_2157
.LBB154_2156:
	s_mov_b64 s[0:1], -1
	s_mov_b64 s[8:9], 0
.LBB154_2157:
	s_and_b64 vcc, exec, s[0:1]
	s_cbranch_vccz .LBB154_2196
; %bb.2158:
	s_and_b32 s2, 0xffff, s18
	s_cmp_lt_i32 s2, 5
	s_mov_b64 s[0:1], -1
	s_cbranch_scc1 .LBB154_2179
; %bb.2159:
	s_cmp_lt_i32 s2, 8
	s_cbranch_scc1 .LBB154_2169
; %bb.2160:
	s_cmp_lt_i32 s2, 9
	s_cbranch_scc1 .LBB154_2166
; %bb.2161:
	s_cmp_gt_i32 s2, 9
	s_cbranch_scc0 .LBB154_2163
; %bb.2162:
	v_cvt_f32_f16_e32 v5, v1
	v_mov_b32_e32 v18, 0
	v_mov_b32_e32 v19, v18
	s_mov_b64 s[0:1], 0
	v_cvt_f64_f32_e32 v[16:17], v5
	global_store_dwordx4 v[3:4], v[16:19], off
.LBB154_2163:
	s_andn2_b64 vcc, exec, s[0:1]
	s_cbranch_vccnz .LBB154_2165
; %bb.2164:
	v_cvt_f32_f16_e32 v5, v1
	v_mov_b32_e32 v6, 0
	global_store_dwordx2 v[3:4], v[5:6], off
.LBB154_2165:
	s_mov_b64 s[0:1], 0
.LBB154_2166:
	s_andn2_b64 vcc, exec, s[0:1]
	s_cbranch_vccnz .LBB154_2168
; %bb.2167:
	v_and_b32_e32 v5, 0xffff, v1
	global_store_dword v[3:4], v5, off
.LBB154_2168:
	s_mov_b64 s[0:1], 0
.LBB154_2169:
	s_andn2_b64 vcc, exec, s[0:1]
	s_cbranch_vccnz .LBB154_2178
; %bb.2170:
	s_cmp_lt_i32 s2, 6
	s_mov_b64 s[0:1], -1
	s_cbranch_scc1 .LBB154_2176
; %bb.2171:
	s_cmp_gt_i32 s2, 6
	s_cbranch_scc0 .LBB154_2173
; %bb.2172:
	v_cvt_f32_f16_e32 v5, v1
	s_mov_b64 s[0:1], 0
	v_cvt_f64_f32_e32 v[5:6], v5
	global_store_dwordx2 v[3:4], v[5:6], off
.LBB154_2173:
	s_andn2_b64 vcc, exec, s[0:1]
	s_cbranch_vccnz .LBB154_2175
; %bb.2174:
	v_cvt_f32_f16_e32 v5, v1
	global_store_dword v[3:4], v5, off
.LBB154_2175:
	s_mov_b64 s[0:1], 0
.LBB154_2176:
	s_andn2_b64 vcc, exec, s[0:1]
	s_cbranch_vccnz .LBB154_2178
; %bb.2177:
	global_store_short v[3:4], v1, off
.LBB154_2178:
	s_mov_b64 s[0:1], 0
.LBB154_2179:
	s_andn2_b64 vcc, exec, s[0:1]
	s_cbranch_vccnz .LBB154_2195
; %bb.2180:
	s_cmp_lt_i32 s2, 2
	s_mov_b64 s[0:1], -1
	s_cbranch_scc1 .LBB154_2190
; %bb.2181:
	s_cmp_lt_i32 s2, 3
	s_cbranch_scc1 .LBB154_2187
; %bb.2182:
	s_cmp_gt_i32 s2, 3
	s_cbranch_scc0 .LBB154_2184
; %bb.2183:
	v_cvt_f32_f16_e32 v5, v1
	s_mov_b64 s[0:1], 0
	v_cvt_i32_f32_e32 v5, v5
	v_ashrrev_i32_e32 v6, 31, v5
	global_store_dwordx2 v[3:4], v[5:6], off
.LBB154_2184:
	s_andn2_b64 vcc, exec, s[0:1]
	s_cbranch_vccnz .LBB154_2186
; %bb.2185:
	v_cvt_f32_f16_e32 v5, v1
	v_cvt_i32_f32_e32 v5, v5
	global_store_dword v[3:4], v5, off
.LBB154_2186:
	s_mov_b64 s[0:1], 0
.LBB154_2187:
	s_andn2_b64 vcc, exec, s[0:1]
	s_cbranch_vccnz .LBB154_2189
; %bb.2188:
	v_cvt_i16_f16_e32 v5, v1
	global_store_short v[3:4], v5, off
.LBB154_2189:
	s_mov_b64 s[0:1], 0
.LBB154_2190:
	s_andn2_b64 vcc, exec, s[0:1]
	s_cbranch_vccnz .LBB154_2195
; %bb.2191:
	s_cmp_gt_i32 s2, 0
	s_mov_b64 s[0:1], -1
	s_cbranch_scc0 .LBB154_2193
; %bb.2192:
	v_cvt_i16_f16_e32 v5, v1
	global_store_byte v[3:4], v5, off
	s_mov_b64 s[0:1], 0
.LBB154_2193:
	s_andn2_b64 vcc, exec, s[0:1]
	s_cbranch_vccnz .LBB154_2195
; %bb.2194:
	v_cvt_f32_f16_e32 v1, v1
	v_cvt_i32_f32_e32 v1, v1
	global_store_byte v[3:4], v1, off
.LBB154_2195:
	s_mov_b64 s[8:9], -1
.LBB154_2196:
	s_andn2_b64 vcc, exec, s[8:9]
	s_cbranch_vccnz .LBB154_2392
; %bb.2197:
	v_cvt_f16_f32_e32 v3, v15
	s_mov_b32 s0, 0x4b000000
	v_cmp_lt_f32_e64 s[0:1], |v9|, s0
	v_mov_b32_e32 v1, 0x264
	v_mov_b32_e32 v4, 0x7c00
	s_or_b64 vcc, s[4:5], s[0:1]
	v_cndmask_b32_e32 v3, v4, v3, vcc
	v_cmp_class_f32_e32 vcc, v9, v1
	v_cndmask_b32_e32 v1, v3, v4, vcc
	v_cmp_u_f16_e32 vcc, v11, v11
	v_cndmask_b32_e32 v3, v1, v11, vcc
	v_mov_b32_e32 v4, s13
	v_add_co_u32_e32 v1, vcc, s12, v2
	s_cmp_lt_i32 s18, 11
	v_addc_co_u32_e32 v2, vcc, 0, v4, vcc
	s_cbranch_scc1 .LBB154_2275
; %bb.2198:
	s_and_b32 s16, 0xffff, s18
	s_mov_b64 s[8:9], -1
	s_mov_b64 s[2:3], 0
	s_cmp_gt_i32 s16, 25
	s_mov_b64 s[4:5], 0
	s_mov_b64 s[0:1], 0
	s_cbranch_scc0 .LBB154_2231
; %bb.2199:
	s_cmp_gt_i32 s16, 28
	s_cbranch_scc0 .LBB154_2214
; %bb.2200:
	s_cmp_gt_i32 s16, 43
	;; [unrolled: 3-line block ×3, first 2 shown]
	s_cbranch_scc0 .LBB154_2204
; %bb.2202:
	s_mov_b64 s[0:1], -1
	s_mov_b64 s[8:9], 0
	s_cmp_eq_u32 s16, 46
	s_cbranch_scc0 .LBB154_2204
; %bb.2203:
	v_cvt_f32_f16_e32 v4, v3
	s_movk_i32 s0, 0x7fff
	v_cmp_o_f16_e32 vcc, v3, v3
	v_mov_b32_e32 v5, 0x7fc0
	v_bfe_u32 v6, v4, 16, 1
	v_add3_u32 v4, v4, v6, s0
	v_cndmask_b32_sdwa v4, v5, v4, vcc dst_sel:DWORD dst_unused:UNUSED_PAD src0_sel:DWORD src1_sel:WORD_1
	global_store_dword v[1:2], v4, off
	s_mov_b64 s[0:1], 0
	s_mov_b64 s[4:5], -1
.LBB154_2204:
	s_and_b64 vcc, exec, s[8:9]
	s_cbranch_vccz .LBB154_2209
; %bb.2205:
	s_cmp_eq_u32 s16, 44
	s_mov_b64 s[0:1], -1
	s_cbranch_scc0 .LBB154_2209
; %bb.2206:
	v_cvt_f32_f16_e32 v4, v3
	s_movk_i32 s0, 0xff
	v_mov_b32_e32 v6, 0xff
	v_bfe_u32 v5, v4, 23, 8
	v_cmp_ne_u32_e32 vcc, s0, v5
	s_and_saveexec_b64 s[4:5], vcc
; %bb.2207:
	s_mov_b32 s0, 0x3fffff
	v_lshrrev_b32_e32 v6, 23, v4
	v_and_b32_e32 v9, 0x400000, v4
	v_and_or_b32 v4, v4, s0, v5
	v_cmp_ne_u32_e32 vcc, 0, v9
	v_cmp_ne_u32_e64 s[0:1], 0, v4
	s_and_b64 s[0:1], vcc, s[0:1]
	v_cndmask_b32_e64 v4, 0, 1, s[0:1]
	v_add_u32_e32 v6, v6, v4
; %bb.2208:
	s_or_b64 exec, exec, s[4:5]
	s_mov_b64 s[0:1], 0
	s_mov_b64 s[4:5], -1
	global_store_byte v[1:2], v6, off
.LBB154_2209:
	s_mov_b64 s[8:9], 0
.LBB154_2210:
	s_and_b64 vcc, exec, s[8:9]
	s_cbranch_vccz .LBB154_2213
; %bb.2211:
	s_cmp_eq_u32 s16, 29
	s_mov_b64 s[0:1], -1
	s_cbranch_scc0 .LBB154_2213
; %bb.2212:
	v_cvt_f32_f16_e32 v4, v3
	v_mov_b32_e32 v5, 0
	s_mov_b64 s[0:1], 0
	s_mov_b64 s[4:5], -1
	v_cvt_u32_f32_e32 v4, v4
	global_store_dwordx2 v[1:2], v[4:5], off
.LBB154_2213:
	s_mov_b64 s[8:9], 0
.LBB154_2214:
	s_and_b64 vcc, exec, s[8:9]
	s_cbranch_vccz .LBB154_2230
; %bb.2215:
	s_cmp_lt_i32 s16, 27
	s_mov_b64 s[4:5], -1
	s_cbranch_scc1 .LBB154_2221
; %bb.2216:
	s_cmp_gt_i32 s16, 27
	s_cbranch_scc0 .LBB154_2218
; %bb.2217:
	v_cvt_f32_f16_e32 v4, v3
	s_mov_b64 s[4:5], 0
	v_cvt_u32_f32_e32 v4, v4
	global_store_dword v[1:2], v4, off
.LBB154_2218:
	s_andn2_b64 vcc, exec, s[4:5]
	s_cbranch_vccnz .LBB154_2220
; %bb.2219:
	v_cvt_u16_f16_e32 v4, v3
	global_store_short v[1:2], v4, off
.LBB154_2220:
	s_mov_b64 s[4:5], 0
.LBB154_2221:
	s_andn2_b64 vcc, exec, s[4:5]
	s_cbranch_vccnz .LBB154_2229
; %bb.2222:
	v_cvt_f32_f16_e32 v4, v3
	s_mov_b32 s4, 0x43800000
	v_mov_b32_e32 v6, 0x80
	v_and_b32_e32 v5, 0x7fffffff, v4
	v_cmp_gt_u32_e32 vcc, s4, v5
	s_and_saveexec_b64 s[4:5], vcc
	s_cbranch_execz .LBB154_2228
; %bb.2223:
	s_mov_b32 s8, 0x3bffffff
	v_cmp_lt_u32_e32 vcc, s8, v5
	s_mov_b64 s[8:9], 0
                                        ; implicit-def: $vgpr5
	s_and_saveexec_b64 s[14:15], vcc
	s_xor_b64 s[14:15], exec, s[14:15]
	s_cbranch_execz .LBB154_2449
; %bb.2224:
	v_bfe_u32 v5, v4, 20, 1
	s_mov_b32 s17, 0x487ffff
	v_add3_u32 v5, v4, v5, s17
	s_mov_b64 s[8:9], exec
	v_lshrrev_b32_e32 v5, 20, v5
	s_andn2_saveexec_b64 s[14:15], s[14:15]
	s_cbranch_execnz .LBB154_2450
.LBB154_2225:
	s_or_b64 exec, exec, s[14:15]
	v_mov_b32_e32 v6, 0
	s_and_saveexec_b64 s[14:15], s[8:9]
.LBB154_2226:
	v_lshrrev_b32_e32 v4, 24, v4
	s_movk_i32 s8, 0x80
	v_and_or_b32 v6, v4, s8, v5
.LBB154_2227:
	s_or_b64 exec, exec, s[14:15]
.LBB154_2228:
	s_or_b64 exec, exec, s[4:5]
	global_store_byte v[1:2], v6, off
.LBB154_2229:
	s_mov_b64 s[4:5], -1
.LBB154_2230:
	s_mov_b64 s[8:9], 0
.LBB154_2231:
	s_and_b64 vcc, exec, s[8:9]
	s_cbranch_vccz .LBB154_2271
; %bb.2232:
	s_cmp_gt_i32 s16, 22
	s_mov_b64 s[2:3], -1
	s_cbranch_scc0 .LBB154_2264
; %bb.2233:
	s_cmp_lt_i32 s16, 24
	s_cbranch_scc1 .LBB154_2253
; %bb.2234:
	s_cmp_gt_i32 s16, 24
	s_cbranch_scc0 .LBB154_2242
; %bb.2235:
	v_cvt_f32_f16_e32 v4, v3
	s_mov_b32 s2, 0x47800000
	v_mov_b32_e32 v6, 0x80
	v_and_b32_e32 v5, 0x7fffffff, v4
	v_cmp_gt_u32_e32 vcc, s2, v5
	s_and_saveexec_b64 s[2:3], vcc
	s_cbranch_execz .LBB154_2241
; %bb.2236:
	s_mov_b32 s4, 0x37ffffff
	v_cmp_lt_u32_e32 vcc, s4, v5
	s_mov_b64 s[4:5], 0
                                        ; implicit-def: $vgpr5
	s_and_saveexec_b64 s[8:9], vcc
	s_xor_b64 s[8:9], exec, s[8:9]
	s_cbranch_execz .LBB154_2452
; %bb.2237:
	v_bfe_u32 v5, v4, 21, 1
	s_mov_b32 s14, 0x88fffff
	v_add3_u32 v5, v4, v5, s14
	s_mov_b64 s[4:5], exec
	v_lshrrev_b32_e32 v5, 21, v5
	s_andn2_saveexec_b64 s[8:9], s[8:9]
	s_cbranch_execnz .LBB154_2453
.LBB154_2238:
	s_or_b64 exec, exec, s[8:9]
	v_mov_b32_e32 v6, 0
	s_and_saveexec_b64 s[8:9], s[4:5]
.LBB154_2239:
	v_lshrrev_b32_e32 v4, 24, v4
	s_movk_i32 s4, 0x80
	v_and_or_b32 v6, v4, s4, v5
.LBB154_2240:
	s_or_b64 exec, exec, s[8:9]
.LBB154_2241:
	s_or_b64 exec, exec, s[2:3]
	s_mov_b64 s[2:3], 0
	global_store_byte v[1:2], v6, off
.LBB154_2242:
	s_and_b64 vcc, exec, s[2:3]
	s_cbranch_vccz .LBB154_2252
; %bb.2243:
	v_cvt_f32_f16_e32 v4, v3
	s_mov_b32 s2, 0x43f00000
                                        ; implicit-def: $vgpr5
	v_and_b32_e32 v6, 0x7fffffff, v4
	v_cmp_gt_u32_e32 vcc, s2, v6
	s_and_saveexec_b64 s[2:3], vcc
	s_xor_b64 s[2:3], exec, s[2:3]
	s_cbranch_execz .LBB154_2249
; %bb.2244:
	s_mov_b32 s4, 0x3c7fffff
	v_cmp_lt_u32_e32 vcc, s4, v6
                                        ; implicit-def: $vgpr5
	s_and_saveexec_b64 s[4:5], vcc
	s_xor_b64 s[4:5], exec, s[4:5]
; %bb.2245:
	v_bfe_u32 v5, v4, 20, 1
	s_mov_b32 s8, 0x407ffff
	v_add3_u32 v5, v4, v5, s8
	v_lshrrev_b32_e32 v6, 20, v5
	v_and_b32_e32 v5, 0xff00000, v5
	s_mov_b32 s8, 0x7f00000
	v_mov_b32_e32 v9, 0x7e
	v_cmp_ne_u32_e32 vcc, s8, v5
	v_cndmask_b32_e32 v5, v9, v6, vcc
; %bb.2246:
	s_andn2_saveexec_b64 s[4:5], s[4:5]
; %bb.2247:
	s_mov_b32 s8, 0x46800000
	v_add_f32_e64 v5, |v4|, s8
; %bb.2248:
	s_or_b64 exec, exec, s[4:5]
                                        ; implicit-def: $vgpr6
.LBB154_2249:
	s_andn2_saveexec_b64 s[2:3], s[2:3]
; %bb.2250:
	s_mov_b32 s4, 0x7f800000
	v_mov_b32_e32 v5, 0x7e
	v_mov_b32_e32 v9, 0x7f
	v_cmp_lt_u32_e32 vcc, s4, v6
	v_cndmask_b32_e32 v5, v5, v9, vcc
; %bb.2251:
	s_or_b64 exec, exec, s[2:3]
	v_lshrrev_b32_e32 v4, 24, v4
	s_movk_i32 s2, 0x80
	v_and_or_b32 v4, v4, s2, v5
	global_store_byte v[1:2], v4, off
.LBB154_2252:
	s_mov_b64 s[2:3], 0
.LBB154_2253:
	s_andn2_b64 vcc, exec, s[2:3]
	s_cbranch_vccnz .LBB154_2263
; %bb.2254:
	v_cvt_f32_f16_e32 v4, v3
	s_mov_b32 s2, 0x47800000
                                        ; implicit-def: $vgpr5
	v_and_b32_e32 v6, 0x7fffffff, v4
	v_cmp_gt_u32_e32 vcc, s2, v6
	s_and_saveexec_b64 s[2:3], vcc
	s_xor_b64 s[2:3], exec, s[2:3]
	s_cbranch_execz .LBB154_2260
; %bb.2255:
	s_mov_b32 s4, 0x387fffff
	v_cmp_lt_u32_e32 vcc, s4, v6
                                        ; implicit-def: $vgpr5
	s_and_saveexec_b64 s[4:5], vcc
	s_xor_b64 s[4:5], exec, s[4:5]
; %bb.2256:
	v_bfe_u32 v5, v4, 21, 1
	s_mov_b32 s8, 0x80fffff
	v_add3_u32 v5, v4, v5, s8
	v_lshrrev_b32_e32 v5, 21, v5
; %bb.2257:
	s_andn2_saveexec_b64 s[4:5], s[4:5]
; %bb.2258:
	s_mov_b32 s8, 0x43000000
	v_add_f32_e64 v5, |v4|, s8
; %bb.2259:
	s_or_b64 exec, exec, s[4:5]
                                        ; implicit-def: $vgpr6
.LBB154_2260:
	s_andn2_saveexec_b64 s[2:3], s[2:3]
; %bb.2261:
	s_mov_b32 s4, 0x7f800000
	v_mov_b32_e32 v5, 0x7c
	v_mov_b32_e32 v9, 0x7f
	v_cmp_lt_u32_e32 vcc, s4, v6
	v_cndmask_b32_e32 v5, v5, v9, vcc
; %bb.2262:
	s_or_b64 exec, exec, s[2:3]
	v_lshrrev_b32_e32 v4, 24, v4
	s_movk_i32 s2, 0x80
	v_and_or_b32 v4, v4, s2, v5
	global_store_byte v[1:2], v4, off
.LBB154_2263:
	s_mov_b64 s[2:3], 0
	s_mov_b64 s[4:5], -1
.LBB154_2264:
	s_andn2_b64 vcc, exec, s[2:3]
	s_mov_b64 s[2:3], 0
	s_cbranch_vccnz .LBB154_2271
; %bb.2265:
	s_cmp_gt_i32 s16, 14
	s_mov_b64 s[8:9], -1
	s_cbranch_scc0 .LBB154_2269
; %bb.2266:
	s_cmp_eq_u32 s16, 15
	s_mov_b64 s[0:1], -1
	s_cbranch_scc0 .LBB154_2268
; %bb.2267:
	v_cvt_f32_f16_e32 v4, v3
	s_movk_i32 s0, 0x7fff
	v_cmp_o_f16_e32 vcc, v3, v3
	v_mov_b32_e32 v5, 0x7fc0
	v_bfe_u32 v6, v4, 16, 1
	v_add3_u32 v4, v4, v6, s0
	v_cndmask_b32_sdwa v4, v5, v4, vcc dst_sel:DWORD dst_unused:UNUSED_PAD src0_sel:DWORD src1_sel:WORD_1
	global_store_short v[1:2], v4, off
	s_mov_b64 s[0:1], 0
	s_mov_b64 s[4:5], -1
.LBB154_2268:
	s_mov_b64 s[8:9], 0
.LBB154_2269:
	s_and_b64 vcc, exec, s[8:9]
	s_cbranch_vccz .LBB154_2271
; %bb.2270:
	s_cmp_lg_u32 s16, 11
	s_mov_b64 s[2:3], -1
	s_cselect_b64 s[0:1], -1, 0
.LBB154_2271:
	s_and_b64 vcc, exec, s[0:1]
	s_cbranch_vccnz .LBB154_2451
; %bb.2272:
	s_andn2_b64 vcc, exec, s[2:3]
	s_cbranch_vccnz .LBB154_2274
.LBB154_2273:
	v_cmp_neq_f16_e32 vcc, 0, v3
	v_cndmask_b32_e64 v4, 0, 1, vcc
	s_mov_b64 s[4:5], -1
	global_store_byte v[1:2], v4, off
.LBB154_2274:
	s_mov_b64 s[0:1], 0
	s_branch .LBB154_2276
.LBB154_2275:
	s_mov_b64 s[0:1], -1
	s_mov_b64 s[4:5], 0
.LBB154_2276:
	s_and_b64 vcc, exec, s[0:1]
	s_cbranch_vccz .LBB154_2315
; %bb.2277:
	s_and_b32 s2, 0xffff, s18
	s_cmp_lt_i32 s2, 5
	s_mov_b64 s[0:1], -1
	s_cbranch_scc1 .LBB154_2298
; %bb.2278:
	s_cmp_lt_i32 s2, 8
	s_cbranch_scc1 .LBB154_2288
; %bb.2279:
	s_cmp_lt_i32 s2, 9
	s_cbranch_scc1 .LBB154_2285
; %bb.2280:
	s_cmp_gt_i32 s2, 9
	s_cbranch_scc0 .LBB154_2282
; %bb.2281:
	v_cvt_f32_f16_e32 v4, v3
	v_mov_b32_e32 v11, 0
	v_mov_b32_e32 v12, v11
	s_mov_b64 s[0:1], 0
	v_cvt_f64_f32_e32 v[9:10], v4
	global_store_dwordx4 v[1:2], v[9:12], off
.LBB154_2282:
	s_andn2_b64 vcc, exec, s[0:1]
	s_cbranch_vccnz .LBB154_2284
; %bb.2283:
	v_cvt_f32_f16_e32 v4, v3
	v_mov_b32_e32 v5, 0
	global_store_dwordx2 v[1:2], v[4:5], off
.LBB154_2284:
	s_mov_b64 s[0:1], 0
.LBB154_2285:
	s_andn2_b64 vcc, exec, s[0:1]
	s_cbranch_vccnz .LBB154_2287
; %bb.2286:
	v_and_b32_e32 v4, 0xffff, v3
	global_store_dword v[1:2], v4, off
.LBB154_2287:
	s_mov_b64 s[0:1], 0
.LBB154_2288:
	s_andn2_b64 vcc, exec, s[0:1]
	s_cbranch_vccnz .LBB154_2297
; %bb.2289:
	s_cmp_lt_i32 s2, 6
	s_mov_b64 s[0:1], -1
	s_cbranch_scc1 .LBB154_2295
; %bb.2290:
	s_cmp_gt_i32 s2, 6
	s_cbranch_scc0 .LBB154_2292
; %bb.2291:
	v_cvt_f32_f16_e32 v4, v3
	s_mov_b64 s[0:1], 0
	v_cvt_f64_f32_e32 v[4:5], v4
	global_store_dwordx2 v[1:2], v[4:5], off
.LBB154_2292:
	s_andn2_b64 vcc, exec, s[0:1]
	s_cbranch_vccnz .LBB154_2294
; %bb.2293:
	v_cvt_f32_f16_e32 v4, v3
	global_store_dword v[1:2], v4, off
.LBB154_2294:
	s_mov_b64 s[0:1], 0
.LBB154_2295:
	s_andn2_b64 vcc, exec, s[0:1]
	s_cbranch_vccnz .LBB154_2297
; %bb.2296:
	global_store_short v[1:2], v3, off
.LBB154_2297:
	s_mov_b64 s[0:1], 0
.LBB154_2298:
	s_andn2_b64 vcc, exec, s[0:1]
	s_cbranch_vccnz .LBB154_2314
; %bb.2299:
	s_cmp_lt_i32 s2, 2
	s_mov_b64 s[0:1], -1
	s_cbranch_scc1 .LBB154_2309
; %bb.2300:
	s_cmp_lt_i32 s2, 3
	s_cbranch_scc1 .LBB154_2306
; %bb.2301:
	s_cmp_gt_i32 s2, 3
	s_cbranch_scc0 .LBB154_2303
; %bb.2302:
	v_cvt_f32_f16_e32 v4, v3
	s_mov_b64 s[0:1], 0
	v_cvt_i32_f32_e32 v4, v4
	v_ashrrev_i32_e32 v5, 31, v4
	global_store_dwordx2 v[1:2], v[4:5], off
.LBB154_2303:
	s_andn2_b64 vcc, exec, s[0:1]
	s_cbranch_vccnz .LBB154_2305
; %bb.2304:
	v_cvt_f32_f16_e32 v4, v3
	v_cvt_i32_f32_e32 v4, v4
	global_store_dword v[1:2], v4, off
.LBB154_2305:
	s_mov_b64 s[0:1], 0
.LBB154_2306:
	s_andn2_b64 vcc, exec, s[0:1]
	s_cbranch_vccnz .LBB154_2308
; %bb.2307:
	v_cvt_i16_f16_e32 v4, v3
	global_store_short v[1:2], v4, off
.LBB154_2308:
	s_mov_b64 s[0:1], 0
.LBB154_2309:
	s_andn2_b64 vcc, exec, s[0:1]
	s_cbranch_vccnz .LBB154_2314
; %bb.2310:
	s_cmp_gt_i32 s2, 0
	s_mov_b64 s[0:1], -1
	s_cbranch_scc0 .LBB154_2312
; %bb.2311:
	v_cvt_i16_f16_e32 v4, v3
	global_store_byte v[1:2], v4, off
	s_mov_b64 s[0:1], 0
.LBB154_2312:
	s_andn2_b64 vcc, exec, s[0:1]
	s_cbranch_vccnz .LBB154_2314
; %bb.2313:
	v_cvt_f32_f16_e32 v3, v3
	v_cvt_i32_f32_e32 v3, v3
	global_store_byte v[1:2], v3, off
.LBB154_2314:
	s_mov_b64 s[4:5], -1
.LBB154_2315:
	s_andn2_b64 vcc, exec, s[4:5]
	s_cbranch_vccnz .LBB154_2392
; %bb.2316:
	v_cvt_f16_f32_e32 v2, v8
	s_mov_b32 s0, 0x4b000000
	v_cmp_lt_f32_e64 s[0:1], |v7|, s0
	v_mov_b32_e32 v1, 0x264
	v_mov_b32_e32 v3, 0x7c00
	s_or_b64 vcc, s[6:7], s[0:1]
	v_cndmask_b32_e32 v2, v3, v2, vcc
	v_cmp_class_f32_e32 vcc, v7, v1
	v_cndmask_b32_e32 v1, v2, v3, vcc
	v_cmp_u_f16_e32 vcc, v14, v14
	v_cndmask_b32_e32 v2, v1, v14, vcc
	v_mov_b32_e32 v1, s13
	v_add_co_u32_e32 v0, vcc, s12, v0
	s_cmp_lt_i32 s18, 11
	v_addc_co_u32_e32 v1, vcc, 0, v1, vcc
	s_cbranch_scc1 .LBB154_2437
; %bb.2317:
	s_and_b32 s12, 0xffff, s18
	s_mov_b64 s[4:5], -1
	s_mov_b64 s[2:3], 0
	s_cmp_gt_i32 s12, 25
	s_mov_b64 s[0:1], 0
	s_cbranch_scc0 .LBB154_2350
; %bb.2318:
	s_cmp_gt_i32 s12, 28
	s_cbranch_scc0 .LBB154_2334
; %bb.2319:
	s_cmp_gt_i32 s12, 43
	;; [unrolled: 3-line block ×3, first 2 shown]
	s_cbranch_scc0 .LBB154_2324
; %bb.2321:
	s_cmp_eq_u32 s12, 46
	s_mov_b64 s[0:1], -1
	s_cbranch_scc0 .LBB154_2323
; %bb.2322:
	v_cvt_f32_f16_e32 v3, v2
	s_movk_i32 s0, 0x7fff
	v_cmp_o_f16_e32 vcc, v2, v2
	v_mov_b32_e32 v4, 0x7fc0
	v_bfe_u32 v5, v3, 16, 1
	v_add3_u32 v3, v3, v5, s0
	v_cndmask_b32_sdwa v3, v4, v3, vcc dst_sel:DWORD dst_unused:UNUSED_PAD src0_sel:DWORD src1_sel:WORD_1
	global_store_dword v[0:1], v3, off
	s_mov_b64 s[0:1], 0
.LBB154_2323:
	s_mov_b64 s[4:5], 0
.LBB154_2324:
	s_and_b64 vcc, exec, s[4:5]
	s_cbranch_vccz .LBB154_2329
; %bb.2325:
	s_cmp_eq_u32 s12, 44
	s_mov_b64 s[0:1], -1
	s_cbranch_scc0 .LBB154_2329
; %bb.2326:
	v_cvt_f32_f16_e32 v3, v2
	s_movk_i32 s0, 0xff
	v_mov_b32_e32 v5, 0xff
	v_bfe_u32 v4, v3, 23, 8
	v_cmp_ne_u32_e32 vcc, s0, v4
	s_and_saveexec_b64 s[4:5], vcc
; %bb.2327:
	s_mov_b32 s0, 0x3fffff
	v_lshrrev_b32_e32 v5, 23, v3
	v_and_b32_e32 v6, 0x400000, v3
	v_and_or_b32 v3, v3, s0, v4
	v_cmp_ne_u32_e32 vcc, 0, v6
	v_cmp_ne_u32_e64 s[0:1], 0, v3
	s_and_b64 s[0:1], vcc, s[0:1]
	v_cndmask_b32_e64 v3, 0, 1, s[0:1]
	v_add_u32_e32 v5, v5, v3
; %bb.2328:
	s_or_b64 exec, exec, s[4:5]
	s_mov_b64 s[0:1], 0
	global_store_byte v[0:1], v5, off
.LBB154_2329:
	s_mov_b64 s[4:5], 0
.LBB154_2330:
	s_and_b64 vcc, exec, s[4:5]
	s_cbranch_vccz .LBB154_2333
; %bb.2331:
	s_cmp_eq_u32 s12, 29
	s_mov_b64 s[0:1], -1
	s_cbranch_scc0 .LBB154_2333
; %bb.2332:
	v_cvt_f32_f16_e32 v3, v2
	v_mov_b32_e32 v4, 0
	s_mov_b64 s[0:1], 0
	v_cvt_u32_f32_e32 v3, v3
	global_store_dwordx2 v[0:1], v[3:4], off
.LBB154_2333:
	s_mov_b64 s[4:5], 0
.LBB154_2334:
	s_and_b64 vcc, exec, s[4:5]
	s_cbranch_vccz .LBB154_2349
; %bb.2335:
	s_cmp_lt_i32 s12, 27
	s_mov_b64 s[4:5], -1
	s_cbranch_scc1 .LBB154_2341
; %bb.2336:
	s_cmp_gt_i32 s12, 27
	s_cbranch_scc0 .LBB154_2338
; %bb.2337:
	v_cvt_f32_f16_e32 v3, v2
	s_mov_b64 s[4:5], 0
	v_cvt_u32_f32_e32 v3, v3
	global_store_dword v[0:1], v3, off
.LBB154_2338:
	s_andn2_b64 vcc, exec, s[4:5]
	s_cbranch_vccnz .LBB154_2340
; %bb.2339:
	v_cvt_u16_f16_e32 v3, v2
	global_store_short v[0:1], v3, off
.LBB154_2340:
	s_mov_b64 s[4:5], 0
.LBB154_2341:
	s_andn2_b64 vcc, exec, s[4:5]
	s_cbranch_vccnz .LBB154_2349
; %bb.2342:
	v_cvt_f32_f16_e32 v3, v2
	s_mov_b32 s4, 0x43800000
	v_mov_b32_e32 v5, 0x80
	v_and_b32_e32 v4, 0x7fffffff, v3
	v_cmp_gt_u32_e32 vcc, s4, v4
	s_and_saveexec_b64 s[4:5], vcc
	s_cbranch_execz .LBB154_2348
; %bb.2343:
	s_mov_b32 s6, 0x3bffffff
	v_cmp_lt_u32_e32 vcc, s6, v4
	s_mov_b64 s[6:7], 0
                                        ; implicit-def: $vgpr4
	s_and_saveexec_b64 s[8:9], vcc
	s_xor_b64 s[8:9], exec, s[8:9]
	s_cbranch_execz .LBB154_2454
; %bb.2344:
	v_bfe_u32 v4, v3, 20, 1
	s_mov_b32 s13, 0x487ffff
	v_add3_u32 v4, v3, v4, s13
	s_mov_b64 s[6:7], exec
	v_lshrrev_b32_e32 v4, 20, v4
	s_andn2_saveexec_b64 s[8:9], s[8:9]
	s_cbranch_execnz .LBB154_2455
.LBB154_2345:
	s_or_b64 exec, exec, s[8:9]
	v_mov_b32_e32 v5, 0
	s_and_saveexec_b64 s[8:9], s[6:7]
.LBB154_2346:
	v_lshrrev_b32_e32 v3, 24, v3
	s_movk_i32 s6, 0x80
	v_and_or_b32 v5, v3, s6, v4
.LBB154_2347:
	s_or_b64 exec, exec, s[8:9]
.LBB154_2348:
	s_or_b64 exec, exec, s[4:5]
	global_store_byte v[0:1], v5, off
.LBB154_2349:
	s_mov_b64 s[4:5], 0
.LBB154_2350:
	s_and_b64 vcc, exec, s[4:5]
	s_cbranch_vccz .LBB154_2390
; %bb.2351:
	s_cmp_gt_i32 s12, 22
	s_mov_b64 s[2:3], -1
	s_cbranch_scc0 .LBB154_2383
; %bb.2352:
	s_cmp_lt_i32 s12, 24
	s_cbranch_scc1 .LBB154_2372
; %bb.2353:
	s_cmp_gt_i32 s12, 24
	s_cbranch_scc0 .LBB154_2361
; %bb.2354:
	v_cvt_f32_f16_e32 v3, v2
	s_mov_b32 s2, 0x47800000
	v_mov_b32_e32 v5, 0x80
	v_and_b32_e32 v4, 0x7fffffff, v3
	v_cmp_gt_u32_e32 vcc, s2, v4
	s_and_saveexec_b64 s[2:3], vcc
	s_cbranch_execz .LBB154_2360
; %bb.2355:
	s_mov_b32 s4, 0x37ffffff
	v_cmp_lt_u32_e32 vcc, s4, v4
	s_mov_b64 s[4:5], 0
                                        ; implicit-def: $vgpr4
	s_and_saveexec_b64 s[6:7], vcc
	s_xor_b64 s[6:7], exec, s[6:7]
	s_cbranch_execz .LBB154_2457
; %bb.2356:
	v_bfe_u32 v4, v3, 21, 1
	s_mov_b32 s8, 0x88fffff
	v_add3_u32 v4, v3, v4, s8
	s_mov_b64 s[4:5], exec
	v_lshrrev_b32_e32 v4, 21, v4
	s_andn2_saveexec_b64 s[6:7], s[6:7]
	s_cbranch_execnz .LBB154_2458
.LBB154_2357:
	s_or_b64 exec, exec, s[6:7]
	v_mov_b32_e32 v5, 0
	s_and_saveexec_b64 s[6:7], s[4:5]
.LBB154_2358:
	v_lshrrev_b32_e32 v3, 24, v3
	s_movk_i32 s4, 0x80
	v_and_or_b32 v5, v3, s4, v4
.LBB154_2359:
	s_or_b64 exec, exec, s[6:7]
.LBB154_2360:
	s_or_b64 exec, exec, s[2:3]
	s_mov_b64 s[2:3], 0
	global_store_byte v[0:1], v5, off
.LBB154_2361:
	s_and_b64 vcc, exec, s[2:3]
	s_cbranch_vccz .LBB154_2371
; %bb.2362:
	v_cvt_f32_f16_e32 v3, v2
	s_mov_b32 s2, 0x43f00000
                                        ; implicit-def: $vgpr4
	v_and_b32_e32 v5, 0x7fffffff, v3
	v_cmp_gt_u32_e32 vcc, s2, v5
	s_and_saveexec_b64 s[2:3], vcc
	s_xor_b64 s[2:3], exec, s[2:3]
	s_cbranch_execz .LBB154_2368
; %bb.2363:
	s_mov_b32 s4, 0x3c7fffff
	v_cmp_lt_u32_e32 vcc, s4, v5
                                        ; implicit-def: $vgpr4
	s_and_saveexec_b64 s[4:5], vcc
	s_xor_b64 s[4:5], exec, s[4:5]
; %bb.2364:
	v_bfe_u32 v4, v3, 20, 1
	s_mov_b32 s6, 0x407ffff
	v_add3_u32 v4, v3, v4, s6
	v_lshrrev_b32_e32 v5, 20, v4
	v_and_b32_e32 v4, 0xff00000, v4
	s_mov_b32 s6, 0x7f00000
	v_mov_b32_e32 v6, 0x7e
	v_cmp_ne_u32_e32 vcc, s6, v4
	v_cndmask_b32_e32 v4, v6, v5, vcc
; %bb.2365:
	s_andn2_saveexec_b64 s[4:5], s[4:5]
; %bb.2366:
	s_mov_b32 s6, 0x46800000
	v_add_f32_e64 v4, |v3|, s6
; %bb.2367:
	s_or_b64 exec, exec, s[4:5]
                                        ; implicit-def: $vgpr5
.LBB154_2368:
	s_andn2_saveexec_b64 s[2:3], s[2:3]
; %bb.2369:
	s_mov_b32 s4, 0x7f800000
	v_mov_b32_e32 v4, 0x7e
	v_mov_b32_e32 v6, 0x7f
	v_cmp_lt_u32_e32 vcc, s4, v5
	v_cndmask_b32_e32 v4, v4, v6, vcc
; %bb.2370:
	s_or_b64 exec, exec, s[2:3]
	v_lshrrev_b32_e32 v3, 24, v3
	s_movk_i32 s2, 0x80
	v_and_or_b32 v3, v3, s2, v4
	global_store_byte v[0:1], v3, off
.LBB154_2371:
	s_mov_b64 s[2:3], 0
.LBB154_2372:
	s_andn2_b64 vcc, exec, s[2:3]
	s_cbranch_vccnz .LBB154_2382
; %bb.2373:
	v_cvt_f32_f16_e32 v3, v2
	s_mov_b32 s2, 0x47800000
                                        ; implicit-def: $vgpr4
	v_and_b32_e32 v5, 0x7fffffff, v3
	v_cmp_gt_u32_e32 vcc, s2, v5
	s_and_saveexec_b64 s[2:3], vcc
	s_xor_b64 s[2:3], exec, s[2:3]
	s_cbranch_execz .LBB154_2379
; %bb.2374:
	s_mov_b32 s4, 0x387fffff
	v_cmp_lt_u32_e32 vcc, s4, v5
                                        ; implicit-def: $vgpr4
	s_and_saveexec_b64 s[4:5], vcc
	s_xor_b64 s[4:5], exec, s[4:5]
; %bb.2375:
	v_bfe_u32 v4, v3, 21, 1
	s_mov_b32 s6, 0x80fffff
	v_add3_u32 v4, v3, v4, s6
	v_lshrrev_b32_e32 v4, 21, v4
; %bb.2376:
	s_andn2_saveexec_b64 s[4:5], s[4:5]
; %bb.2377:
	s_mov_b32 s6, 0x43000000
	v_add_f32_e64 v4, |v3|, s6
; %bb.2378:
	s_or_b64 exec, exec, s[4:5]
                                        ; implicit-def: $vgpr5
.LBB154_2379:
	s_andn2_saveexec_b64 s[2:3], s[2:3]
; %bb.2380:
	s_mov_b32 s4, 0x7f800000
	v_mov_b32_e32 v4, 0x7c
	v_mov_b32_e32 v6, 0x7f
	v_cmp_lt_u32_e32 vcc, s4, v5
	v_cndmask_b32_e32 v4, v4, v6, vcc
; %bb.2381:
	s_or_b64 exec, exec, s[2:3]
	v_lshrrev_b32_e32 v3, 24, v3
	s_movk_i32 s2, 0x80
	v_and_or_b32 v3, v3, s2, v4
	global_store_byte v[0:1], v3, off
.LBB154_2382:
	s_mov_b64 s[2:3], 0
.LBB154_2383:
	s_andn2_b64 vcc, exec, s[2:3]
	s_mov_b64 s[2:3], 0
	s_cbranch_vccnz .LBB154_2390
; %bb.2384:
	s_cmp_gt_i32 s12, 14
	s_mov_b64 s[4:5], -1
	s_cbranch_scc0 .LBB154_2388
; %bb.2385:
	s_cmp_eq_u32 s12, 15
	s_mov_b64 s[0:1], -1
	s_cbranch_scc0 .LBB154_2387
; %bb.2386:
	v_cvt_f32_f16_e32 v3, v2
	s_movk_i32 s0, 0x7fff
	v_cmp_o_f16_e32 vcc, v2, v2
	v_mov_b32_e32 v4, 0x7fc0
	v_bfe_u32 v5, v3, 16, 1
	v_add3_u32 v3, v3, v5, s0
	v_cndmask_b32_sdwa v3, v4, v3, vcc dst_sel:DWORD dst_unused:UNUSED_PAD src0_sel:DWORD src1_sel:WORD_1
	global_store_short v[0:1], v3, off
	s_mov_b64 s[0:1], 0
.LBB154_2387:
	s_mov_b64 s[4:5], 0
.LBB154_2388:
	s_and_b64 vcc, exec, s[4:5]
	s_cbranch_vccz .LBB154_2390
; %bb.2389:
	s_cmp_lg_u32 s12, 11
	s_mov_b64 s[2:3], -1
	s_cselect_b64 s[0:1], -1, 0
.LBB154_2390:
	s_and_b64 vcc, exec, s[0:1]
	s_cbranch_vccnz .LBB154_2456
.LBB154_2391:
	s_mov_b64 s[0:1], 0
	s_branch .LBB154_2393
.LBB154_2392:
	s_mov_b64 s[0:1], 0
	s_mov_b64 s[2:3], 0
                                        ; implicit-def: $vgpr0_vgpr1
                                        ; implicit-def: $sgpr18
                                        ; implicit-def: $vgpr2
.LBB154_2393:
	s_and_b64 s[6:7], s[2:3], exec
	s_andn2_b64 s[2:3], s[28:29], exec
	s_and_b64 s[4:5], s[10:11], exec
	s_and_b64 s[0:1], s[0:1], exec
	s_or_b64 s[28:29], s[2:3], s[4:5]
.LBB154_2394:
	s_or_b64 exec, exec, s[30:31]
	s_and_saveexec_b64 s[2:3], s[28:29]
	s_cbranch_execz .LBB154_2397
; %bb.2395:
	; divergent unreachable
	s_or_b64 exec, exec, s[2:3]
	s_and_saveexec_b64 s[2:3], s[6:7]
	s_xor_b64 s[2:3], exec, s[2:3]
	s_cbranch_execnz .LBB154_2398
.LBB154_2396:
	s_or_b64 exec, exec, s[2:3]
	s_and_saveexec_b64 s[2:3], s[0:1]
	s_cbranch_execnz .LBB154_2399
	s_branch .LBB154_2436
.LBB154_2397:
	s_or_b64 exec, exec, s[2:3]
	s_and_saveexec_b64 s[2:3], s[6:7]
	s_xor_b64 s[2:3], exec, s[2:3]
	s_cbranch_execz .LBB154_2396
.LBB154_2398:
	v_cmp_neq_f16_e32 vcc, 0, v2
	s_waitcnt vmcnt(0)
	v_cndmask_b32_e64 v3, 0, 1, vcc
	global_store_byte v[0:1], v3, off
	s_or_b64 exec, exec, s[2:3]
	s_and_saveexec_b64 s[2:3], s[0:1]
	s_cbranch_execz .LBB154_2436
.LBB154_2399:
	s_sext_i32_i16 s2, s18
	s_cmp_lt_i32 s2, 5
	s_mov_b64 s[0:1], -1
	s_cbranch_scc1 .LBB154_2420
; %bb.2400:
	s_cmp_lt_i32 s2, 8
	s_cbranch_scc1 .LBB154_2410
; %bb.2401:
	s_cmp_lt_i32 s2, 9
	s_cbranch_scc1 .LBB154_2407
; %bb.2402:
	s_cmp_gt_i32 s2, 9
	s_cbranch_scc0 .LBB154_2404
; %bb.2403:
	s_waitcnt vmcnt(0)
	v_cvt_f32_f16_e32 v3, v2
	v_mov_b32_e32 v5, 0
	v_mov_b32_e32 v6, v5
	s_mov_b64 s[0:1], 0
	v_cvt_f64_f32_e32 v[3:4], v3
	global_store_dwordx4 v[0:1], v[3:6], off
.LBB154_2404:
	s_andn2_b64 vcc, exec, s[0:1]
	s_cbranch_vccnz .LBB154_2406
; %bb.2405:
	s_waitcnt vmcnt(0)
	v_cvt_f32_f16_e32 v3, v2
	v_mov_b32_e32 v4, 0
	global_store_dwordx2 v[0:1], v[3:4], off
.LBB154_2406:
	s_mov_b64 s[0:1], 0
.LBB154_2407:
	s_andn2_b64 vcc, exec, s[0:1]
	s_cbranch_vccnz .LBB154_2409
; %bb.2408:
	s_waitcnt vmcnt(0)
	v_and_b32_e32 v3, 0xffff, v2
	global_store_dword v[0:1], v3, off
.LBB154_2409:
	s_mov_b64 s[0:1], 0
.LBB154_2410:
	s_andn2_b64 vcc, exec, s[0:1]
	s_cbranch_vccnz .LBB154_2419
; %bb.2411:
	s_sext_i32_i16 s2, s18
	s_cmp_lt_i32 s2, 6
	s_mov_b64 s[0:1], -1
	s_cbranch_scc1 .LBB154_2417
; %bb.2412:
	s_cmp_gt_i32 s2, 6
	s_cbranch_scc0 .LBB154_2414
; %bb.2413:
	s_waitcnt vmcnt(0)
	v_cvt_f32_f16_e32 v3, v2
	s_mov_b64 s[0:1], 0
	v_cvt_f64_f32_e32 v[3:4], v3
	global_store_dwordx2 v[0:1], v[3:4], off
.LBB154_2414:
	s_andn2_b64 vcc, exec, s[0:1]
	s_cbranch_vccnz .LBB154_2416
; %bb.2415:
	s_waitcnt vmcnt(0)
	v_cvt_f32_f16_e32 v3, v2
	global_store_dword v[0:1], v3, off
.LBB154_2416:
	s_mov_b64 s[0:1], 0
.LBB154_2417:
	s_andn2_b64 vcc, exec, s[0:1]
	s_cbranch_vccnz .LBB154_2419
; %bb.2418:
	s_waitcnt vmcnt(0)
	global_store_short v[0:1], v2, off
.LBB154_2419:
	s_mov_b64 s[0:1], 0
.LBB154_2420:
	s_andn2_b64 vcc, exec, s[0:1]
	s_cbranch_vccnz .LBB154_2436
; %bb.2421:
	s_sext_i32_i16 s2, s18
	s_cmp_lt_i32 s2, 2
	s_mov_b64 s[0:1], -1
	s_cbranch_scc1 .LBB154_2431
; %bb.2422:
	s_cmp_lt_i32 s2, 3
	s_cbranch_scc1 .LBB154_2428
; %bb.2423:
	s_cmp_gt_i32 s2, 3
	s_cbranch_scc0 .LBB154_2425
; %bb.2424:
	s_waitcnt vmcnt(0)
	v_cvt_f32_f16_e32 v3, v2
	s_mov_b64 s[0:1], 0
	v_cvt_i32_f32_e32 v3, v3
	v_ashrrev_i32_e32 v4, 31, v3
	global_store_dwordx2 v[0:1], v[3:4], off
.LBB154_2425:
	s_andn2_b64 vcc, exec, s[0:1]
	s_cbranch_vccnz .LBB154_2427
; %bb.2426:
	s_waitcnt vmcnt(0)
	v_cvt_f32_f16_e32 v3, v2
	v_cvt_i32_f32_e32 v3, v3
	global_store_dword v[0:1], v3, off
.LBB154_2427:
	s_mov_b64 s[0:1], 0
.LBB154_2428:
	s_andn2_b64 vcc, exec, s[0:1]
	s_cbranch_vccnz .LBB154_2430
; %bb.2429:
	s_waitcnt vmcnt(0)
	v_cvt_i16_f16_e32 v3, v2
	global_store_short v[0:1], v3, off
.LBB154_2430:
	s_mov_b64 s[0:1], 0
.LBB154_2431:
	s_andn2_b64 vcc, exec, s[0:1]
	s_cbranch_vccnz .LBB154_2436
; %bb.2432:
	s_sext_i32_i16 s0, s18
	s_cmp_gt_i32 s0, 0
	s_mov_b64 s[0:1], -1
	s_cbranch_scc0 .LBB154_2434
; %bb.2433:
	s_waitcnt vmcnt(0)
	v_cvt_i16_f16_e32 v3, v2
	global_store_byte v[0:1], v3, off
	s_mov_b64 s[0:1], 0
.LBB154_2434:
	s_andn2_b64 vcc, exec, s[0:1]
	s_cbranch_vccnz .LBB154_2436
; %bb.2435:
	v_cvt_f32_f16_e32 v2, v2
	v_cvt_i32_f32_e32 v2, v2
	s_waitcnt vmcnt(0)
	global_store_byte v[0:1], v2, off
	s_endpgm
.LBB154_2436:
	s_endpgm
.LBB154_2437:
	s_mov_b64 s[2:3], 0
	s_mov_b64 s[0:1], -1
	s_branch .LBB154_2393
.LBB154_2438:
	s_trap 2
	s_or_b64 s[10:11], s[10:11], exec
	s_cbranch_execz .LBB154_1869
	s_branch .LBB154_1870
.LBB154_2439:
	s_andn2_saveexec_b64 s[18:19], s[18:19]
	s_cbranch_execz .LBB154_1987
.LBB154_2440:
	s_mov_b32 s23, 0x46000000
	v_add_f32_e64 v16, |v3|, s23
	v_and_b32_e32 v16, 0xff, v16
	v_cmp_ne_u32_e32 vcc, 0, v16
	s_andn2_b64 s[16:17], s[16:17], exec
	s_and_b64 s[24:25], vcc, exec
	s_or_b64 s[16:17], s[16:17], s[24:25]
	s_or_b64 exec, exec, s[18:19]
	v_mov_b32_e32 v17, 0
	s_and_saveexec_b64 s[18:19], s[16:17]
	s_cbranch_execnz .LBB154_1988
	s_branch .LBB154_1989
.LBB154_2441:
	s_trap 2
	s_or_b64 s[10:11], s[10:11], exec
	s_cbranch_execz .LBB154_2035
	s_branch .LBB154_2036
.LBB154_2442:
	s_andn2_saveexec_b64 s[16:17], s[16:17]
	s_cbranch_execz .LBB154_2000
.LBB154_2443:
	s_mov_b32 s18, 0x42800000
	v_add_f32_e64 v16, |v3|, s18
	v_and_b32_e32 v16, 0xff, v16
	v_cmp_ne_u32_e32 vcc, 0, v16
	s_andn2_b64 s[14:15], s[14:15], exec
	s_and_b64 s[18:19], vcc, exec
	s_or_b64 s[14:15], s[14:15], s[18:19]
	s_or_b64 exec, exec, s[16:17]
	v_mov_b32_e32 v17, 0
	s_and_saveexec_b64 s[16:17], s[14:15]
	s_cbranch_execnz .LBB154_2001
	s_branch .LBB154_2002
.LBB154_2444:
	s_andn2_saveexec_b64 s[16:17], s[16:17]
	s_cbranch_execz .LBB154_2106
.LBB154_2445:
	s_mov_b32 s20, 0x46000000
	v_add_f32_e64 v6, |v5|, s20
	v_and_b32_e32 v6, 0xff, v6
	v_cmp_ne_u32_e32 vcc, 0, v6
	s_andn2_b64 s[14:15], s[14:15], exec
	s_and_b64 s[20:21], vcc, exec
	s_or_b64 s[14:15], s[14:15], s[20:21]
	s_or_b64 exec, exec, s[16:17]
	v_mov_b32_e32 v10, 0
	s_and_saveexec_b64 s[16:17], s[14:15]
	s_cbranch_execnz .LBB154_2107
	s_branch .LBB154_2108
.LBB154_2446:
	s_trap 2
	s_or_b64 s[10:11], s[10:11], exec
	s_cbranch_execz .LBB154_2154
	s_branch .LBB154_2155
.LBB154_2447:
	s_andn2_saveexec_b64 s[14:15], s[14:15]
	s_cbranch_execz .LBB154_2119
.LBB154_2448:
	s_mov_b32 s16, 0x42800000
	v_add_f32_e64 v6, |v5|, s16
	v_and_b32_e32 v6, 0xff, v6
	v_cmp_ne_u32_e32 vcc, 0, v6
	s_andn2_b64 s[8:9], s[8:9], exec
	s_and_b64 s[16:17], vcc, exec
	s_or_b64 s[8:9], s[8:9], s[16:17]
	s_or_b64 exec, exec, s[14:15]
	v_mov_b32_e32 v10, 0
	s_and_saveexec_b64 s[14:15], s[8:9]
	s_cbranch_execnz .LBB154_2120
	s_branch .LBB154_2121
.LBB154_2449:
	s_andn2_saveexec_b64 s[14:15], s[14:15]
	s_cbranch_execz .LBB154_2225
.LBB154_2450:
	s_mov_b32 s17, 0x46000000
	v_add_f32_e64 v5, |v4|, s17
	v_and_b32_e32 v5, 0xff, v5
	v_cmp_ne_u32_e32 vcc, 0, v5
	s_andn2_b64 s[8:9], s[8:9], exec
	s_and_b64 s[20:21], vcc, exec
	s_or_b64 s[8:9], s[8:9], s[20:21]
	s_or_b64 exec, exec, s[14:15]
	v_mov_b32_e32 v6, 0
	s_and_saveexec_b64 s[14:15], s[8:9]
	s_cbranch_execnz .LBB154_2226
	s_branch .LBB154_2227
.LBB154_2451:
	s_trap 2
	s_or_b64 s[10:11], s[10:11], exec
	s_cbranch_execz .LBB154_2273
	s_branch .LBB154_2274
.LBB154_2452:
	s_andn2_saveexec_b64 s[8:9], s[8:9]
	s_cbranch_execz .LBB154_2238
.LBB154_2453:
	s_mov_b32 s14, 0x42800000
	v_add_f32_e64 v5, |v4|, s14
	v_and_b32_e32 v5, 0xff, v5
	v_cmp_ne_u32_e32 vcc, 0, v5
	s_andn2_b64 s[4:5], s[4:5], exec
	s_and_b64 s[14:15], vcc, exec
	s_or_b64 s[4:5], s[4:5], s[14:15]
	s_or_b64 exec, exec, s[8:9]
	v_mov_b32_e32 v6, 0
	s_and_saveexec_b64 s[8:9], s[4:5]
	s_cbranch_execnz .LBB154_2239
	s_branch .LBB154_2240
.LBB154_2454:
	s_andn2_saveexec_b64 s[8:9], s[8:9]
	s_cbranch_execz .LBB154_2345
.LBB154_2455:
	s_mov_b32 s13, 0x46000000
	v_add_f32_e64 v4, |v3|, s13
	v_and_b32_e32 v4, 0xff, v4
	v_cmp_ne_u32_e32 vcc, 0, v4
	s_andn2_b64 s[6:7], s[6:7], exec
	s_and_b64 s[14:15], vcc, exec
	s_or_b64 s[6:7], s[6:7], s[14:15]
	s_or_b64 exec, exec, s[8:9]
	v_mov_b32_e32 v5, 0
	s_and_saveexec_b64 s[8:9], s[6:7]
	s_cbranch_execnz .LBB154_2346
	s_branch .LBB154_2347
.LBB154_2456:
	s_mov_b64 s[2:3], 0
	s_or_b64 s[10:11], s[10:11], exec
	s_trap 2
	s_branch .LBB154_2391
.LBB154_2457:
	s_andn2_saveexec_b64 s[6:7], s[6:7]
	s_cbranch_execz .LBB154_2357
.LBB154_2458:
	s_mov_b32 s8, 0x42800000
	v_add_f32_e64 v4, |v3|, s8
	v_and_b32_e32 v4, 0xff, v4
	v_cmp_ne_u32_e32 vcc, 0, v4
	s_andn2_b64 s[4:5], s[4:5], exec
	s_and_b64 s[8:9], vcc, exec
	s_or_b64 s[4:5], s[4:5], s[8:9]
	s_or_b64 exec, exec, s[6:7]
	v_mov_b32_e32 v5, 0
	s_and_saveexec_b64 s[6:7], s[4:5]
	s_cbranch_execnz .LBB154_2358
	s_branch .LBB154_2359
	.section	.rodata,"a",@progbits
	.p2align	6, 0x0
	.amdhsa_kernel _ZN2at6native32elementwise_kernel_manual_unrollILi128ELi4EZNS0_15gpu_kernel_implIZZZNS0_18lgamma_kernel_cudaERNS_18TensorIteratorBaseEENKUlvE_clEvENKUlvE1_clEvEUlN3c104HalfEE_EEvS4_RKT_EUlibE0_EEviT1_
		.amdhsa_group_segment_fixed_size 0
		.amdhsa_private_segment_fixed_size 0
		.amdhsa_kernarg_size 360
		.amdhsa_user_sgpr_count 6
		.amdhsa_user_sgpr_private_segment_buffer 1
		.amdhsa_user_sgpr_dispatch_ptr 0
		.amdhsa_user_sgpr_queue_ptr 0
		.amdhsa_user_sgpr_kernarg_segment_ptr 1
		.amdhsa_user_sgpr_dispatch_id 0
		.amdhsa_user_sgpr_flat_scratch_init 0
		.amdhsa_user_sgpr_private_segment_size 0
		.amdhsa_uses_dynamic_stack 0
		.amdhsa_system_sgpr_private_segment_wavefront_offset 0
		.amdhsa_system_sgpr_workgroup_id_x 1
		.amdhsa_system_sgpr_workgroup_id_y 0
		.amdhsa_system_sgpr_workgroup_id_z 0
		.amdhsa_system_sgpr_workgroup_info 0
		.amdhsa_system_vgpr_workitem_id 0
		.amdhsa_next_free_vgpr 25
		.amdhsa_next_free_sgpr 78
		.amdhsa_reserve_vcc 1
		.amdhsa_reserve_flat_scratch 0
		.amdhsa_float_round_mode_32 0
		.amdhsa_float_round_mode_16_64 0
		.amdhsa_float_denorm_mode_32 3
		.amdhsa_float_denorm_mode_16_64 3
		.amdhsa_dx10_clamp 1
		.amdhsa_ieee_mode 1
		.amdhsa_fp16_overflow 0
		.amdhsa_exception_fp_ieee_invalid_op 0
		.amdhsa_exception_fp_denorm_src 0
		.amdhsa_exception_fp_ieee_div_zero 0
		.amdhsa_exception_fp_ieee_overflow 0
		.amdhsa_exception_fp_ieee_underflow 0
		.amdhsa_exception_fp_ieee_inexact 0
		.amdhsa_exception_int_div_zero 0
	.end_amdhsa_kernel
	.section	.text._ZN2at6native32elementwise_kernel_manual_unrollILi128ELi4EZNS0_15gpu_kernel_implIZZZNS0_18lgamma_kernel_cudaERNS_18TensorIteratorBaseEENKUlvE_clEvENKUlvE1_clEvEUlN3c104HalfEE_EEvS4_RKT_EUlibE0_EEviT1_,"axG",@progbits,_ZN2at6native32elementwise_kernel_manual_unrollILi128ELi4EZNS0_15gpu_kernel_implIZZZNS0_18lgamma_kernel_cudaERNS_18TensorIteratorBaseEENKUlvE_clEvENKUlvE1_clEvEUlN3c104HalfEE_EEvS4_RKT_EUlibE0_EEviT1_,comdat
.Lfunc_end154:
	.size	_ZN2at6native32elementwise_kernel_manual_unrollILi128ELi4EZNS0_15gpu_kernel_implIZZZNS0_18lgamma_kernel_cudaERNS_18TensorIteratorBaseEENKUlvE_clEvENKUlvE1_clEvEUlN3c104HalfEE_EEvS4_RKT_EUlibE0_EEviT1_, .Lfunc_end154-_ZN2at6native32elementwise_kernel_manual_unrollILi128ELi4EZNS0_15gpu_kernel_implIZZZNS0_18lgamma_kernel_cudaERNS_18TensorIteratorBaseEENKUlvE_clEvENKUlvE1_clEvEUlN3c104HalfEE_EEvS4_RKT_EUlibE0_EEviT1_
                                        ; -- End function
	.set _ZN2at6native32elementwise_kernel_manual_unrollILi128ELi4EZNS0_15gpu_kernel_implIZZZNS0_18lgamma_kernel_cudaERNS_18TensorIteratorBaseEENKUlvE_clEvENKUlvE1_clEvEUlN3c104HalfEE_EEvS4_RKT_EUlibE0_EEviT1_.num_vgpr, 25
	.set _ZN2at6native32elementwise_kernel_manual_unrollILi128ELi4EZNS0_15gpu_kernel_implIZZZNS0_18lgamma_kernel_cudaERNS_18TensorIteratorBaseEENKUlvE_clEvENKUlvE1_clEvEUlN3c104HalfEE_EEvS4_RKT_EUlibE0_EEviT1_.num_agpr, 0
	.set _ZN2at6native32elementwise_kernel_manual_unrollILi128ELi4EZNS0_15gpu_kernel_implIZZZNS0_18lgamma_kernel_cudaERNS_18TensorIteratorBaseEENKUlvE_clEvENKUlvE1_clEvEUlN3c104HalfEE_EEvS4_RKT_EUlibE0_EEviT1_.numbered_sgpr, 78
	.set _ZN2at6native32elementwise_kernel_manual_unrollILi128ELi4EZNS0_15gpu_kernel_implIZZZNS0_18lgamma_kernel_cudaERNS_18TensorIteratorBaseEENKUlvE_clEvENKUlvE1_clEvEUlN3c104HalfEE_EEvS4_RKT_EUlibE0_EEviT1_.num_named_barrier, 0
	.set _ZN2at6native32elementwise_kernel_manual_unrollILi128ELi4EZNS0_15gpu_kernel_implIZZZNS0_18lgamma_kernel_cudaERNS_18TensorIteratorBaseEENKUlvE_clEvENKUlvE1_clEvEUlN3c104HalfEE_EEvS4_RKT_EUlibE0_EEviT1_.private_seg_size, 0
	.set _ZN2at6native32elementwise_kernel_manual_unrollILi128ELi4EZNS0_15gpu_kernel_implIZZZNS0_18lgamma_kernel_cudaERNS_18TensorIteratorBaseEENKUlvE_clEvENKUlvE1_clEvEUlN3c104HalfEE_EEvS4_RKT_EUlibE0_EEviT1_.uses_vcc, 1
	.set _ZN2at6native32elementwise_kernel_manual_unrollILi128ELi4EZNS0_15gpu_kernel_implIZZZNS0_18lgamma_kernel_cudaERNS_18TensorIteratorBaseEENKUlvE_clEvENKUlvE1_clEvEUlN3c104HalfEE_EEvS4_RKT_EUlibE0_EEviT1_.uses_flat_scratch, 0
	.set _ZN2at6native32elementwise_kernel_manual_unrollILi128ELi4EZNS0_15gpu_kernel_implIZZZNS0_18lgamma_kernel_cudaERNS_18TensorIteratorBaseEENKUlvE_clEvENKUlvE1_clEvEUlN3c104HalfEE_EEvS4_RKT_EUlibE0_EEviT1_.has_dyn_sized_stack, 0
	.set _ZN2at6native32elementwise_kernel_manual_unrollILi128ELi4EZNS0_15gpu_kernel_implIZZZNS0_18lgamma_kernel_cudaERNS_18TensorIteratorBaseEENKUlvE_clEvENKUlvE1_clEvEUlN3c104HalfEE_EEvS4_RKT_EUlibE0_EEviT1_.has_recursion, 0
	.set _ZN2at6native32elementwise_kernel_manual_unrollILi128ELi4EZNS0_15gpu_kernel_implIZZZNS0_18lgamma_kernel_cudaERNS_18TensorIteratorBaseEENKUlvE_clEvENKUlvE1_clEvEUlN3c104HalfEE_EEvS4_RKT_EUlibE0_EEviT1_.has_indirect_call, 0
	.section	.AMDGPU.csdata,"",@progbits
; Kernel info:
; codeLenInByte = 61364
; TotalNumSgprs: 82
; NumVgprs: 25
; ScratchSize: 0
; MemoryBound: 0
; FloatMode: 240
; IeeeMode: 1
; LDSByteSize: 0 bytes/workgroup (compile time only)
; SGPRBlocks: 10
; VGPRBlocks: 6
; NumSGPRsForWavesPerEU: 82
; NumVGPRsForWavesPerEU: 25
; Occupancy: 9
; WaveLimiterHint : 1
; COMPUTE_PGM_RSRC2:SCRATCH_EN: 0
; COMPUTE_PGM_RSRC2:USER_SGPR: 6
; COMPUTE_PGM_RSRC2:TRAP_HANDLER: 0
; COMPUTE_PGM_RSRC2:TGID_X_EN: 1
; COMPUTE_PGM_RSRC2:TGID_Y_EN: 0
; COMPUTE_PGM_RSRC2:TGID_Z_EN: 0
; COMPUTE_PGM_RSRC2:TIDIG_COMP_CNT: 0
	.text
	.p2align	2                               ; -- Begin function _ZN2at6native25elementwise_kernel_helperILb0EZZZNS0_18lgamma_kernel_cudaERNS_18TensorIteratorBaseEENKUlvE_clEvENKUlvE2_clEvEUlN3c108BFloat16EE_NS0_6memory8policies11unroll_baseILi256ESt5arrayIPcLm2EE23TrivialOffsetCalculatorILi1EjESG_NS9_15LoadWithoutCastENS9_16StoreWithoutCastELi8ELi1EEEEEvT0_T1_
	.type	_ZN2at6native25elementwise_kernel_helperILb0EZZZNS0_18lgamma_kernel_cudaERNS_18TensorIteratorBaseEENKUlvE_clEvENKUlvE2_clEvEUlN3c108BFloat16EE_NS0_6memory8policies11unroll_baseILi256ESt5arrayIPcLm2EE23TrivialOffsetCalculatorILi1EjESG_NS9_15LoadWithoutCastENS9_16StoreWithoutCastELi8ELi1EEEEEvT0_T1_,@function
_ZN2at6native25elementwise_kernel_helperILb0EZZZNS0_18lgamma_kernel_cudaERNS_18TensorIteratorBaseEENKUlvE_clEvENKUlvE2_clEvEUlN3c108BFloat16EE_NS0_6memory8policies11unroll_baseILi256ESt5arrayIPcLm2EE23TrivialOffsetCalculatorILi1EjESG_NS9_15LoadWithoutCastENS9_16StoreWithoutCastELi8ELi1EEEEEvT0_T1_: ; @_ZN2at6native25elementwise_kernel_helperILb0EZZZNS0_18lgamma_kernel_cudaERNS_18TensorIteratorBaseEENKUlvE_clEvENKUlvE2_clEvEUlN3c108BFloat16EE_NS0_6memory8policies11unroll_baseILi256ESt5arrayIPcLm2EE23TrivialOffsetCalculatorILi1EjESG_NS9_15LoadWithoutCastENS9_16StoreWithoutCastELi8ELi1EEEEEvT0_T1_
; %bb.0:
	s_waitcnt vmcnt(0) expcnt(0) lgkmcnt(0)
	v_and_b32_e32 v7, 0x3ff, v31
	s_lshl_b32 s18, s12, 11
	v_cmp_lt_i32_e64 s[4:5], v7, v4
	v_mov_b32_e32 v11, 0
	v_or_b32_e32 v5, s18, v7
	v_mov_b32_e32 v10, 0
	v_mov_b32_e32 v15, v7
	s_and_saveexec_b64 s[6:7], s[4:5]
	s_cbranch_execz .LBB155_2
; %bb.1:
	v_mov_b32_e32 v6, 0
	v_lshlrev_b64 v[8:9], 1, v[5:6]
	v_add_u32_e32 v15, 0x100, v7
	v_add_co_u32_e32 v8, vcc, v2, v8
	v_addc_co_u32_e32 v9, vcc, v3, v9, vcc
	flat_load_ushort v6, v[8:9]
	s_waitcnt vmcnt(0) lgkmcnt(0)
	v_lshlrev_b32_e32 v10, 16, v6
.LBB155_2:
	s_or_b64 exec, exec, s[6:7]
	v_cmp_lt_i32_e32 vcc, v15, v4
	s_and_saveexec_b64 s[6:7], vcc
	s_cbranch_execz .LBB155_4
; %bb.3:
	v_add_u32_e32 v8, s18, v15
	v_mov_b32_e32 v9, 0
	v_lshlrev_b64 v[8:9], 1, v[8:9]
	v_add_u32_e32 v15, 0x100, v15
	v_add_co_u32_e32 v8, vcc, v2, v8
	v_addc_co_u32_e32 v9, vcc, v3, v9, vcc
	flat_load_ushort v6, v[8:9]
	s_waitcnt vmcnt(0) lgkmcnt(0)
	v_lshlrev_b32_e32 v11, 16, v6
.LBB155_4:
	s_or_b64 exec, exec, s[6:7]
	v_cmp_lt_i32_e32 vcc, v15, v4
	v_mov_b32_e32 v13, 0
	v_mov_b32_e32 v14, 0
	s_and_saveexec_b64 s[6:7], vcc
	s_cbranch_execz .LBB155_6
; %bb.5:
	v_add_u32_e32 v8, s18, v15
	v_mov_b32_e32 v9, 0
	v_lshlrev_b64 v[8:9], 1, v[8:9]
	v_add_u32_e32 v15, 0x100, v15
	v_add_co_u32_e32 v8, vcc, v2, v8
	v_addc_co_u32_e32 v9, vcc, v3, v9, vcc
	flat_load_ushort v6, v[8:9]
	s_waitcnt vmcnt(0) lgkmcnt(0)
	v_lshlrev_b32_e32 v14, 16, v6
.LBB155_6:
	s_or_b64 exec, exec, s[6:7]
	v_cmp_lt_i32_e32 vcc, v15, v4
	s_and_saveexec_b64 s[6:7], vcc
	s_cbranch_execz .LBB155_8
; %bb.7:
	v_add_u32_e32 v8, s18, v15
	v_mov_b32_e32 v9, 0
	v_lshlrev_b64 v[8:9], 1, v[8:9]
	v_add_u32_e32 v15, 0x100, v15
	v_add_co_u32_e32 v8, vcc, v2, v8
	v_addc_co_u32_e32 v9, vcc, v3, v9, vcc
	flat_load_ushort v6, v[8:9]
	s_waitcnt vmcnt(0) lgkmcnt(0)
	v_lshlrev_b32_e32 v13, 16, v6
.LBB155_8:
	s_or_b64 exec, exec, s[6:7]
	v_cmp_lt_i32_e32 vcc, v15, v4
	v_mov_b32_e32 v9, 0
	v_mov_b32_e32 v12, 0
	s_and_saveexec_b64 s[6:7], vcc
	s_cbranch_execz .LBB155_10
; %bb.9:
	v_add_u32_e32 v16, s18, v15
	v_mov_b32_e32 v17, 0
	v_lshlrev_b64 v[16:17], 1, v[16:17]
	v_add_u32_e32 v15, 0x100, v15
	v_add_co_u32_e32 v16, vcc, v2, v16
	v_addc_co_u32_e32 v17, vcc, v3, v17, vcc
	flat_load_ushort v6, v[16:17]
	s_waitcnt vmcnt(0) lgkmcnt(0)
	v_lshlrev_b32_e32 v12, 16, v6
.LBB155_10:
	s_or_b64 exec, exec, s[6:7]
	v_cmp_lt_i32_e32 vcc, v15, v4
	s_and_saveexec_b64 s[6:7], vcc
	s_cbranch_execz .LBB155_12
; %bb.11:
	v_add_u32_e32 v8, s18, v15
	v_mov_b32_e32 v9, 0
	v_lshlrev_b64 v[8:9], 1, v[8:9]
	v_add_u32_e32 v15, 0x100, v15
	v_add_co_u32_e32 v8, vcc, v2, v8
	v_addc_co_u32_e32 v9, vcc, v3, v9, vcc
	flat_load_ushort v6, v[8:9]
	s_waitcnt vmcnt(0) lgkmcnt(0)
	v_lshlrev_b32_e32 v9, 16, v6
.LBB155_12:
	s_or_b64 exec, exec, s[6:7]
	v_cmp_lt_i32_e32 vcc, v15, v4
	v_mov_b32_e32 v6, 0
	v_mov_b32_e32 v8, 0
	s_and_saveexec_b64 s[6:7], vcc
	s_cbranch_execnz .LBB155_15
; %bb.13:
	s_or_b64 exec, exec, s[6:7]
	v_cmp_lt_i32_e32 vcc, v15, v4
	s_and_saveexec_b64 s[6:7], vcc
	s_cbranch_execnz .LBB155_16
.LBB155_14:
	s_or_b64 exec, exec, s[6:7]
                                        ; implicit-def: $vgpr2
	s_and_saveexec_b64 s[10:11], s[4:5]
	s_cbranch_execnz .LBB155_17
	s_branch .LBB155_56
.LBB155_15:
	v_add_u32_e32 v16, s18, v15
	v_mov_b32_e32 v17, 0
	v_lshlrev_b64 v[16:17], 1, v[16:17]
	v_add_u32_e32 v15, 0x100, v15
	v_add_co_u32_e32 v16, vcc, v2, v16
	v_addc_co_u32_e32 v17, vcc, v3, v17, vcc
	flat_load_ushort v8, v[16:17]
	s_waitcnt vmcnt(0) lgkmcnt(0)
	v_lshlrev_b32_e32 v8, 16, v8
	s_or_b64 exec, exec, s[6:7]
	v_cmp_lt_i32_e32 vcc, v15, v4
	s_and_saveexec_b64 s[6:7], vcc
	s_cbranch_execz .LBB155_14
.LBB155_16:
	v_add_u32_e32 v15, s18, v15
	v_mov_b32_e32 v16, 0
	v_lshlrev_b64 v[15:16], 1, v[15:16]
	v_add_co_u32_e32 v2, vcc, v2, v15
	v_addc_co_u32_e32 v3, vcc, v3, v16, vcc
	flat_load_ushort v2, v[2:3]
	s_waitcnt vmcnt(0) lgkmcnt(0)
	v_lshlrev_b32_e32 v6, 16, v2
	s_or_b64 exec, exec, s[6:7]
                                        ; implicit-def: $vgpr2
	s_and_saveexec_b64 s[10:11], s[4:5]
	s_cbranch_execz .LBB155_56
.LBB155_17:
	s_mov_b32 s6, 0x3c800000
	v_and_b32_e32 v2, 0x7fffffff, v10
	v_cmp_nlt_f32_e64 s[6:7], |v10|, s6
                                        ; implicit-def: $vgpr3
	s_and_saveexec_b64 s[8:9], s[6:7]
	s_xor_b64 s[8:9], exec, s[8:9]
	s_cbranch_execz .LBB155_47
; %bb.18:
	v_cmp_nlt_f32_e64 s[6:7], |v10|, 2.0
                                        ; implicit-def: $vgpr3
	s_and_saveexec_b64 s[12:13], s[6:7]
	s_xor_b64 s[12:13], exec, s[12:13]
	s_cbranch_execz .LBB155_28
; %bb.19:
	s_mov_b32 s6, 0x41000000
	v_cmp_nlt_f32_e64 s[6:7], |v10|, s6
                                        ; implicit-def: $vgpr3
	s_and_saveexec_b64 s[14:15], s[6:7]
	s_xor_b64 s[14:15], exec, s[14:15]
	s_cbranch_execz .LBB155_25
; %bb.20:
	s_mov_b32 s6, 0x5c800000
	v_cmp_nlt_f32_e64 s[6:7], |v10|, s6
                                        ; implicit-def: $vgpr3
	s_and_saveexec_b64 s[16:17], s[6:7]
	s_xor_b64 s[16:17], exec, s[16:17]
	s_cbranch_execz .LBB155_22
; %bb.21:
	s_mov_b32 s6, 0x800000
	v_cmp_lt_f32_e64 vcc, |v10|, s6
	v_cndmask_b32_e64 v3, 0, 32, vcc
	v_ldexp_f32 v3, |v10|, v3
	v_log_f32_e32 v3, v3
	s_mov_b32 s6, 0x3f317217
	s_mov_b32 s7, 0x7f800000
	v_mul_f32_e32 v15, 0x3f317217, v3
	v_fma_f32 v16, v3, s6, -v15
	v_fmac_f32_e32 v16, 0x3377d1cf, v3
	v_add_f32_e32 v15, v15, v16
	v_cmp_lt_f32_e64 s[6:7], |v3|, s7
	v_cndmask_b32_e64 v3, v3, v15, s[6:7]
	v_mov_b32_e32 v15, 0x41b17218
	v_cndmask_b32_e32 v15, 0, v15, vcc
	v_sub_f32_e32 v3, v3, v15
	v_fma_f32 v3, |v10|, v3, -|v10|
.LBB155_22:
	s_andn2_saveexec_b64 s[16:17], s[16:17]
	s_cbranch_execz .LBB155_24
; %bb.23:
	v_rcp_f32_e64 v15, |v10|
	v_mov_b32_e32 v3, 0x3a5b3dd2
	v_mov_b32_e32 v16, 0xba1c065c
	;; [unrolled: 1-line block ×3, first 2 shown]
	v_mul_f32_e32 v18, v15, v15
	v_fmac_f32_e32 v3, 0xbad5c4e8, v18
	v_fmac_f32_e32 v16, v18, v3
	s_mov_b32 s6, 0x800000
	v_fmac_f32_e32 v17, v18, v16
	v_mov_b32_e32 v3, 0xbb360b61
	v_cmp_lt_f32_e64 vcc, |v10|, s6
	v_fmac_f32_e32 v3, v18, v17
	v_cndmask_b32_e64 v17, 0, 32, vcc
	v_ldexp_f32 v17, |v10|, v17
	v_log_f32_e32 v17, v17
	v_mov_b32_e32 v16, 0x3daaaaab
	v_fmac_f32_e32 v16, v18, v3
	v_mov_b32_e32 v3, 0x3ed67f1d
	v_fmac_f32_e32 v3, v15, v16
	s_mov_b32 s6, 0x3f317217
	v_mul_f32_e32 v16, 0x3f317217, v17
	v_fma_f32 v18, v17, s6, -v16
	v_fmac_f32_e32 v18, 0x3377d1cf, v17
	s_mov_b32 s6, 0x7f800000
	v_add_f32_e32 v16, v16, v18
	v_cmp_lt_f32_e64 s[6:7], |v17|, s6
	v_cndmask_b32_e64 v16, v17, v16, s[6:7]
	v_mov_b32_e32 v17, 0x41b17218
	v_cndmask_b32_e32 v17, 0, v17, vcc
	v_sub_f32_e32 v16, v16, v17
	v_add_f32_e64 v15, |v10|, -0.5
	v_add_f32_e32 v16, -1.0, v16
	v_fmac_f32_e32 v3, v15, v16
.LBB155_24:
	s_or_b64 exec, exec, s[16:17]
.LBB155_25:
	s_andn2_saveexec_b64 s[14:15], s[14:15]
	s_cbranch_execz .LBB155_27
; %bb.26:
	v_cvt_i32_f32_e32 v3, v2
	v_mov_b32_e32 v15, 0x3af135b4
	v_mov_b32_e32 v16, 0x3cda40e4
	;; [unrolled: 1-line block ×3, first 2 shown]
	v_cvt_f32_i32_e32 v18, v3
	v_mov_b32_e32 v19, 0x3ea6cc7a
	v_mov_b32_e32 v20, 0x3e5c245a
	v_cmp_lt_i32_e32 vcc, 2, v3
	v_sub_f32_e64 v18, |v10|, v18
	v_fmac_f32_e32 v15, 0x3805ff67, v18
	v_fmac_f32_e32 v16, v18, v15
	;; [unrolled: 1-line block ×3, first 2 shown]
	v_mov_b32_e32 v16, 0x3a4beed6
	v_fmac_f32_e32 v19, v18, v17
	v_fmac_f32_e32 v16, 0x36f5d7bd, v18
	v_mov_b32_e32 v17, 0x3c98bf54
	v_fmac_f32_e32 v17, v18, v16
	v_mov_b32_e32 v16, 0x3e300f6e
	;; [unrolled: 2-line block ×4, first 2 shown]
	v_fmac_f32_e32 v16, v18, v17
	v_add_f32_e32 v17, 2.0, v18
	v_mov_b32_e32 v21, 0xbd9e233f
	v_fmac_f32_e32 v20, v18, v19
	v_add_f32_e32 v19, 0x40400000, v18
	v_cndmask_b32_e32 v17, 1.0, v17, vcc
	v_cmp_lt_i32_e32 vcc, 3, v3
	v_fmac_f32_e32 v21, v18, v20
	v_add_f32_e32 v20, 4.0, v18
	v_cndmask_b32_e32 v19, 1.0, v19, vcc
	v_cmp_lt_i32_e32 vcc, 4, v3
	v_mul_f32_e32 v15, v18, v21
	v_add_f32_e32 v21, 0x40a00000, v18
	v_mul_f32_e32 v17, v17, v19
	v_cndmask_b32_e32 v19, 1.0, v20, vcc
	v_cmp_lt_i32_e32 vcc, 5, v3
	v_add_f32_e32 v22, 0x40c00000, v18
	v_mul_f32_e32 v17, v19, v17
	v_cndmask_b32_e32 v19, 1.0, v21, vcc
	v_cmp_lt_i32_e32 vcc, 6, v3
	v_mul_f32_e32 v17, v19, v17
	v_cndmask_b32_e32 v3, 1.0, v22, vcc
	v_mul_f32_e32 v3, v3, v17
	s_mov_b32 s6, 0x800000
	v_cmp_gt_f32_e32 vcc, s6, v3
	v_cndmask_b32_e64 v17, 0, 32, vcc
	v_fma_f32 v16, v18, v16, 1.0
	v_ldexp_f32 v3, v3, v17
	v_rcp_f32_e32 v16, v16
	v_log_f32_e32 v3, v3
	s_mov_b32 s6, 0x3f317217
	v_mul_f32_e32 v15, v15, v16
	v_mul_f32_e32 v16, 0x3f317217, v3
	v_fma_f32 v17, v3, s6, -v16
	v_fmac_f32_e32 v17, 0x3377d1cf, v3
	s_mov_b32 s6, 0x7f800000
	v_add_f32_e32 v16, v16, v17
	v_cmp_lt_f32_e64 s[6:7], |v3|, s6
	v_cndmask_b32_e64 v3, v3, v16, s[6:7]
	v_mov_b32_e32 v16, 0x41b17218
	v_cndmask_b32_e32 v16, 0, v16, vcc
	v_fmac_f32_e32 v15, 0.5, v18
	v_sub_f32_e32 v3, v3, v16
	v_add_f32_e32 v3, v3, v15
.LBB155_27:
	s_or_b64 exec, exec, s[14:15]
.LBB155_28:
	s_andn2_saveexec_b64 s[12:13], s[12:13]
	s_cbranch_execz .LBB155_46
; %bb.29:
	s_mov_b32 s6, 0x3f666666
	v_cmp_le_f32_e64 s[6:7], |v10|, s6
                                        ; implicit-def: $vgpr3
                                        ; implicit-def: $vgpr16
                                        ; implicit-def: $vgpr15
	s_and_saveexec_b64 s[14:15], s[6:7]
	s_xor_b64 s[14:15], exec, s[14:15]
	s_cbranch_execz .LBB155_31
; %bb.30:
	s_mov_b32 s6, 0x800000
	v_cmp_lt_f32_e64 vcc, |v10|, s6
	v_cndmask_b32_e64 v3, 0, 32, vcc
	v_ldexp_f32 v3, |v10|, v3
	v_log_f32_e32 v3, v3
	s_mov_b32 s6, 0x3f317217
	s_mov_b32 s7, 0x7f800000
	v_mul_f32_e32 v15, 0x3f317217, v3
	v_fma_f32 v16, v3, s6, -v15
	v_fmac_f32_e32 v16, 0x3377d1cf, v3
	v_add_f32_e32 v15, v15, v16
	v_cmp_lt_f32_e64 s[6:7], |v3|, s7
	v_cndmask_b32_e64 v3, v3, v15, s[6:7]
	v_mov_b32_e32 v15, 0x41b17218
	v_cndmask_b32_e32 v15, 0, v15, vcc
	s_mov_b32 s6, 0x3f3b4a23
	s_mov_b32 s7, 0xbeec5b0c
	v_sub_f32_e32 v3, v3, v15
	v_sub_f32_e64 v15, 1.0, |v10|
	v_add_f32_e64 v16, |v10|, s7
	v_cmp_lt_f32_e64 vcc, |v10|, s6
	s_mov_b32 s6, 0x3e6d3309
	v_cndmask_b32_e32 v15, v15, v16, vcc
	v_cndmask_b32_e64 v16, 0, 1, vcc
	v_cmp_lt_f32_e64 s[6:7], |v10|, s6
	v_xor_b32_e32 v3, 0x80000000, v3
	v_cndmask_b32_e64 v15, v15, |v10|, s[6:7]
	v_cndmask_b32_e64 v16, v16, 2, s[6:7]
.LBB155_31:
	s_andn2_saveexec_b64 s[6:7], s[14:15]
	s_cbranch_execz .LBB155_33
; %bb.32:
	s_mov_b32 s14, 0x3fdda512
	s_mov_b32 s15, 0xbfbb16c3
	v_sub_f32_e64 v3, 2.0, |v10|
	v_add_f32_e64 v15, |v10|, s15
	v_cmp_lt_f32_e64 vcc, |v10|, s14
	v_cndmask_b32_e32 v15, v3, v15, vcc
	v_cndmask_b32_e64 v3, v3, 1.0, vcc
	v_cvt_i32_f32_e32 v3, v3
	s_mov_b32 s14, 0x3f9d70a4
	v_add_f32_e64 v16, |v10|, -1.0
	v_cmp_lt_f32_e64 vcc, |v10|, s14
	v_cndmask_b32_e32 v15, v15, v16, vcc
	v_cndmask_b32_e64 v16, v3, 2, vcc
	v_mov_b32_e32 v3, 0
.LBB155_33:
	s_or_b64 exec, exec, s[6:7]
	v_cmp_lt_i32_e32 vcc, 0, v16
	s_and_saveexec_b64 s[6:7], vcc
	s_xor_b64 s[6:7], exec, s[6:7]
	s_cbranch_execz .LBB155_41
; %bb.34:
	v_cmp_lt_i32_e32 vcc, 1, v16
	s_and_saveexec_b64 s[14:15], vcc
	s_xor_b64 s[14:15], exec, s[14:15]
	s_cbranch_execz .LBB155_38
; %bb.35:
	v_cmp_eq_u32_e32 vcc, 2, v16
	s_and_saveexec_b64 s[16:17], vcc
	s_cbranch_execz .LBB155_37
; %bb.36:
	v_mov_b32_e32 v16, 0x3e6a7578
	v_fmac_f32_e32 v16, 0x3c5b3c5e, v15
	v_mov_b32_e32 v17, 0x3f7a4bb2
	v_fmac_f32_e32 v17, v15, v16
	;; [unrolled: 2-line block ×8, first 2 shown]
	v_fma_f32 v16, v15, v18, 1.0
	v_rcp_f32_e32 v16, v16
	v_mov_b32_e32 v18, 0xbd9e233f
	v_fmac_f32_e32 v18, v15, v17
	v_mul_f32_e32 v17, v15, v18
	v_mul_f32_e32 v16, v17, v16
	v_fmac_f32_e32 v16, -0.5, v15
	v_add_f32_e32 v3, v3, v16
.LBB155_37:
	s_or_b64 exec, exec, s[16:17]
                                        ; implicit-def: $vgpr15
.LBB155_38:
	s_andn2_saveexec_b64 s[14:15], s[14:15]
	s_cbranch_execz .LBB155_40
; %bb.39:
	v_mul_f32_e32 v16, v15, v15
	v_mul_f32_e32 v17, v15, v16
	v_mov_b32_e32 v18, 0xbab7f476
	v_fmac_f32_e32 v18, 0x39a57b6b, v17
	v_mov_b32_e32 v19, 0x3bc7e707
	v_fmac_f32_e32 v19, v17, v18
	;; [unrolled: 2-line block ×12, first 2 shown]
	v_fmac_f32_e32 v20, v15, v21
	s_mov_b32 s16, 0xa2863e55
	v_fma_f32 v15, v17, -v20, s16
	v_fma_f32 v15, v16, v19, -v15
	v_add_f32_e32 v15, 0xbdf8cdce, v15
	v_add_f32_e32 v3, v3, v15
.LBB155_40:
	s_or_b64 exec, exec, s[14:15]
                                        ; implicit-def: $vgpr16
                                        ; implicit-def: $vgpr15
.LBB155_41:
	s_andn2_saveexec_b64 s[6:7], s[6:7]
	s_cbranch_execz .LBB155_45
; %bb.42:
	v_cmp_eq_u32_e32 vcc, 0, v16
	s_and_saveexec_b64 s[14:15], vcc
	s_cbranch_execz .LBB155_44
; %bb.43:
	v_mul_f32_e32 v16, v15, v15
	v_mov_b32_e32 v17, 0x39679767
	v_fmac_f32_e32 v17, 0x37d383a2, v16
	v_mov_b32_e32 v18, 0x3a9c54a1
	v_fmac_f32_e32 v18, v16, v17
	;; [unrolled: 2-line block ×10, first 2 shown]
	v_mul_f32_e32 v16, v16, v18
	v_fmac_f32_e32 v16, v15, v17
	v_fmac_f32_e32 v16, -0.5, v15
	v_add_f32_e32 v3, v3, v16
.LBB155_44:
	s_or_b64 exec, exec, s[14:15]
.LBB155_45:
	s_or_b64 exec, exec, s[6:7]
.LBB155_46:
	s_or_b64 exec, exec, s[12:13]
.LBB155_47:
	s_andn2_saveexec_b64 s[8:9], s[8:9]
	s_cbranch_execz .LBB155_49
; %bb.48:
	s_mov_b32 s6, 0x3e8a8991
	v_mov_b32_e32 v3, 0xbecd26ab
	v_fma_f32 v3, |v10|, s6, v3
	s_mov_b32 s6, 0x3f528d33
	v_fma_f32 v3, |v10|, v3, s6
	s_mov_b32 s6, 0x800000
	v_cmp_lt_f32_e64 vcc, |v10|, s6
	v_cndmask_b32_e64 v15, 0, 32, vcc
	v_ldexp_f32 v15, |v10|, v15
	v_log_f32_e32 v15, v15
	s_mov_b32 s6, 0xbf13c468
	v_fma_f32 v3, |v10|, v3, s6
	s_mov_b32 s6, 0x3f317217
	v_mul_f32_e32 v16, 0x3f317217, v15
	v_fma_f32 v17, v15, s6, -v16
	v_fmac_f32_e32 v17, 0x3377d1cf, v15
	s_mov_b32 s6, 0x7f800000
	v_add_f32_e32 v16, v16, v17
	v_cmp_lt_f32_e64 s[6:7], |v15|, s6
	v_cndmask_b32_e64 v15, v15, v16, s[6:7]
	v_mov_b32_e32 v16, 0x41b17218
	v_cndmask_b32_e32 v16, 0, v16, vcc
	v_sub_f32_e32 v15, v15, v16
	v_fma_f32 v3, |v10|, v3, -v15
.LBB155_49:
	s_or_b64 exec, exec, s[8:9]
	v_cmp_le_f32_e32 vcc, 0, v10
	v_cmp_nle_f32_e64 s[6:7], 0, v10
	s_and_saveexec_b64 s[8:9], s[6:7]
	s_xor_b64 s[12:13], exec, s[8:9]
	s_cbranch_execz .LBB155_53
; %bb.50:
	s_mov_b32 s6, 0x4b000000
	s_mov_b32 s8, 0x35000000
	v_cmp_lt_f32_e64 s[6:7], |v10|, s6
	v_cmp_gt_f32_e64 s[8:9], |v10|, s8
	s_and_b64 s[6:7], s[6:7], s[8:9]
	s_and_saveexec_b64 s[14:15], s[6:7]
	s_cbranch_execz .LBB155_52
; %bb.51:
	v_mul_f32_e64 v15, |v10|, 0.5
	v_floor_f32_e32 v16, v15
	v_sub_f32_e32 v16, v15, v16
	v_min_f32_e32 v16, 0x3f7fffff, v16
	s_mov_b32 s8, 0x7f800000
	v_add_f32_e32 v16, v16, v16
	v_cmp_neq_f32_e64 s[6:7], s8, v15
	v_cndmask_b32_e64 v15, 0, v16, s[6:7]
	v_cmp_gt_f32_e64 s[6:7], |v10|, 1.0
	v_cndmask_b32_e64 v15, |v10|, v15, s[6:7]
	v_add_f32_e32 v16, v15, v15
	v_rndne_f32_e32 v16, v16
	v_fmac_f32_e32 v15, -0.5, v16
	v_mul_f32_e32 v17, v15, v15
	v_mov_b32_e32 v18, 0xbf1f24be
	v_fmac_f32_e32 v18, 0x3e75aa41, v17
	v_mov_b32_e32 v19, 0x40234736
	v_fmac_f32_e32 v19, v17, v18
	;; [unrolled: 2-line block ×3, first 2 shown]
	v_mul_f32_e32 v19, v15, v17
	v_mul_f32_e32 v18, v19, v18
	v_fmac_f32_e32 v18, 0x40490fdb, v15
	v_mov_b32_e32 v15, 0x3e642e9d
	v_cvt_i32_f32_e32 v16, v16
	v_fmac_f32_e32 v15, 0x3d4be544, v17
	v_mov_b32_e32 v19, 0xbfaad1da
	v_fmac_f32_e32 v19, v17, v15
	v_mov_b32_e32 v15, 0x4081e0d3
	;; [unrolled: 2-line block ×3, first 2 shown]
	v_fmac_f32_e32 v19, v17, v15
	v_fma_f32 v15, v17, v19, 1.0
	v_and_b32_e32 v17, 1, v16
	v_cmp_eq_u32_e64 s[6:7], 0, v17
	v_cndmask_b32_e64 v15, v15, v18, s[6:7]
	v_lshlrev_b32_e32 v16, 30, v16
	s_brev_b32 s6, 1
	v_and_or_b32 v2, v16, s6, v2
	v_xor_b32_e32 v2, v2, v15
	v_xor_b32_e32 v2, v2, v10
	v_mul_f32_e32 v2, v10, v2
	v_frexp_mant_f32_e64 v15, |v2|
	v_rcp_f32_e32 v15, v15
	v_frexp_exp_i32_f32_e32 v2, v2
	v_sub_u32_e32 v2, 2, v2
	s_mov_b32 s6, 0x800000
	v_mul_f32_e32 v15, 0x3f490fdb, v15
	v_ldexp_f32 v2, v15, v2
	v_cmp_gt_f32_e64 s[6:7], s6, v2
	v_cndmask_b32_e64 v15, 0, 32, s[6:7]
	v_ldexp_f32 v2, v2, v15
	v_log_f32_e32 v2, v2
	s_mov_b32 s9, 0x3f317217
	v_mul_f32_e32 v15, 0x3f317217, v2
	v_fma_f32 v16, v2, s9, -v15
	v_fmac_f32_e32 v16, 0x3377d1cf, v2
	v_add_f32_e32 v15, v15, v16
	v_cmp_lt_f32_e64 s[8:9], |v2|, s8
	v_cndmask_b32_e64 v2, v2, v15, s[8:9]
	v_mov_b32_e32 v15, 0x41b17218
	v_cndmask_b32_e64 v15, 0, v15, s[6:7]
	v_sub_f32_e32 v2, v2, v15
	v_sub_f32_e32 v2, v2, v3
	v_floor_f32_e32 v3, v10
	v_sub_f32_e32 v3, v10, v3
	v_min_f32_e32 v3, 0x3f7fffff, v3
	v_mov_b32_e32 v15, 0x7f800000
	v_cmp_neq_f32_e64 s[6:7], 0, v3
	v_cndmask_b32_e64 v3, v15, v2, s[6:7]
.LBB155_52:
	s_or_b64 exec, exec, s[14:15]
.LBB155_53:
	s_andn2_saveexec_b64 s[12:13], s[12:13]
; %bb.54:
	v_cmp_eq_f32_e64 s[6:7], 1.0, v10
	v_cmp_eq_f32_e64 s[8:9], 2.0, v10
	s_or_b64 s[6:7], s[6:7], s[8:9]
	v_cndmask_b32_e64 v3, v3, 0, s[6:7]
; %bb.55:
	s_or_b64 exec, exec, s[12:13]
	s_mov_b32 s6, 0x4b000000
	v_cmp_lt_f32_e64 s[6:7], |v10|, s6
	v_mov_b32_e32 v2, 0x264
	v_mov_b32_e32 v15, 0x7f800000
	s_or_b64 vcc, vcc, s[6:7]
	v_cndmask_b32_e32 v3, v15, v3, vcc
	v_cmp_class_f32_e32 vcc, v10, v2
	v_cndmask_b32_e32 v2, v3, v15, vcc
	v_cmp_u_f32_e32 vcc, v10, v10
	v_cndmask_b32_e32 v2, v2, v10, vcc
	v_bfe_u32 v3, v2, 16, 1
	s_movk_i32 s6, 0x7fff
	v_add3_u32 v3, v2, v3, s6
	v_cmp_o_f32_e32 vcc, v2, v2
	v_mov_b32_e32 v2, 0x7fc0
	v_cndmask_b32_sdwa v2, v2, v3, vcc dst_sel:DWORD dst_unused:UNUSED_PAD src0_sel:DWORD src1_sel:WORD_1
.LBB155_56:
	s_or_b64 exec, exec, s[10:11]
	v_add_u32_e32 v3, 0x100, v7
	v_cmp_lt_i32_e32 vcc, v3, v4
                                        ; implicit-def: $vgpr10
	s_and_saveexec_b64 s[10:11], vcc
	s_cbranch_execz .LBB155_96
; %bb.57:
	s_mov_b32 s6, 0x3c800000
	v_and_b32_e32 v10, 0x7fffffff, v11
	v_cmp_nlt_f32_e64 s[6:7], |v11|, s6
                                        ; implicit-def: $vgpr15
	s_and_saveexec_b64 s[8:9], s[6:7]
	s_xor_b64 s[8:9], exec, s[8:9]
	s_cbranch_execz .LBB155_87
; %bb.58:
	v_cmp_nlt_f32_e64 s[6:7], |v11|, 2.0
                                        ; implicit-def: $vgpr15
	s_and_saveexec_b64 s[12:13], s[6:7]
	s_xor_b64 s[12:13], exec, s[12:13]
	s_cbranch_execz .LBB155_68
; %bb.59:
	s_mov_b32 s6, 0x41000000
	v_cmp_nlt_f32_e64 s[6:7], |v11|, s6
                                        ; implicit-def: $vgpr15
	s_and_saveexec_b64 s[14:15], s[6:7]
	s_xor_b64 s[14:15], exec, s[14:15]
	s_cbranch_execz .LBB155_65
; %bb.60:
	s_mov_b32 s6, 0x5c800000
	v_cmp_nlt_f32_e64 s[6:7], |v11|, s6
                                        ; implicit-def: $vgpr15
	s_and_saveexec_b64 s[16:17], s[6:7]
	s_xor_b64 s[16:17], exec, s[16:17]
	s_cbranch_execz .LBB155_62
; %bb.61:
	s_mov_b32 s6, 0x800000
	v_cmp_lt_f32_e64 vcc, |v11|, s6
	v_cndmask_b32_e64 v15, 0, 32, vcc
	v_ldexp_f32 v15, |v11|, v15
	v_log_f32_e32 v15, v15
	s_mov_b32 s6, 0x3f317217
	s_mov_b32 s7, 0x7f800000
	v_mul_f32_e32 v16, 0x3f317217, v15
	v_fma_f32 v17, v15, s6, -v16
	v_fmac_f32_e32 v17, 0x3377d1cf, v15
	v_add_f32_e32 v16, v16, v17
	v_cmp_lt_f32_e64 s[6:7], |v15|, s7
	v_cndmask_b32_e64 v15, v15, v16, s[6:7]
	v_mov_b32_e32 v16, 0x41b17218
	v_cndmask_b32_e32 v16, 0, v16, vcc
	v_sub_f32_e32 v15, v15, v16
	v_fma_f32 v15, |v11|, v15, -|v11|
.LBB155_62:
	s_andn2_saveexec_b64 s[16:17], s[16:17]
	s_cbranch_execz .LBB155_64
; %bb.63:
	v_rcp_f32_e64 v16, |v11|
	v_mov_b32_e32 v15, 0x3a5b3dd2
	v_mov_b32_e32 v17, 0xba1c065c
	;; [unrolled: 1-line block ×3, first 2 shown]
	v_mul_f32_e32 v19, v16, v16
	v_fmac_f32_e32 v15, 0xbad5c4e8, v19
	v_fmac_f32_e32 v17, v19, v15
	s_mov_b32 s6, 0x800000
	v_fmac_f32_e32 v18, v19, v17
	v_mov_b32_e32 v15, 0xbb360b61
	v_cmp_lt_f32_e64 vcc, |v11|, s6
	v_fmac_f32_e32 v15, v19, v18
	v_cndmask_b32_e64 v18, 0, 32, vcc
	v_ldexp_f32 v18, |v11|, v18
	v_log_f32_e32 v18, v18
	v_mov_b32_e32 v17, 0x3daaaaab
	v_fmac_f32_e32 v17, v19, v15
	v_mov_b32_e32 v15, 0x3ed67f1d
	v_fmac_f32_e32 v15, v16, v17
	s_mov_b32 s6, 0x3f317217
	v_mul_f32_e32 v17, 0x3f317217, v18
	v_fma_f32 v19, v18, s6, -v17
	v_fmac_f32_e32 v19, 0x3377d1cf, v18
	s_mov_b32 s6, 0x7f800000
	v_add_f32_e32 v17, v17, v19
	v_cmp_lt_f32_e64 s[6:7], |v18|, s6
	v_cndmask_b32_e64 v17, v18, v17, s[6:7]
	v_mov_b32_e32 v18, 0x41b17218
	v_cndmask_b32_e32 v18, 0, v18, vcc
	v_sub_f32_e32 v17, v17, v18
	v_add_f32_e64 v16, |v11|, -0.5
	v_add_f32_e32 v17, -1.0, v17
	v_fmac_f32_e32 v15, v16, v17
.LBB155_64:
	s_or_b64 exec, exec, s[16:17]
.LBB155_65:
	s_andn2_saveexec_b64 s[14:15], s[14:15]
	s_cbranch_execz .LBB155_67
; %bb.66:
	v_cvt_i32_f32_e32 v15, v10
	v_mov_b32_e32 v17, 0x3af135b4
	v_mov_b32_e32 v18, 0x3cda40e4
	;; [unrolled: 1-line block ×3, first 2 shown]
	v_cvt_f32_i32_e32 v16, v15
	v_cmp_lt_i32_e32 vcc, 2, v15
	s_mov_b32 s6, 0x800000
	v_sub_f32_e64 v16, |v11|, v16
	v_fmac_f32_e32 v17, 0x3805ff67, v16
	v_fmac_f32_e32 v18, v16, v17
	v_mov_b32_e32 v17, 0x3e15dce6
	v_fmac_f32_e32 v17, v16, v18
	v_mov_b32_e32 v18, 0x3ea6cc7a
	;; [unrolled: 2-line block ×4, first 2 shown]
	v_fmac_f32_e32 v18, v16, v17
	v_mul_f32_e32 v17, v16, v18
	v_mov_b32_e32 v18, 0x3a4beed6
	v_fmac_f32_e32 v18, 0x36f5d7bd, v16
	v_fmac_f32_e32 v19, v16, v18
	v_mov_b32_e32 v18, 0x3e300f6e
	v_fmac_f32_e32 v18, v16, v19
	v_mov_b32_e32 v19, 0x3f38d0c5
	;; [unrolled: 2-line block ×3, first 2 shown]
	v_fmac_f32_e32 v18, v16, v19
	v_fma_f32 v18, v16, v18, 1.0
	v_rcp_f32_e32 v18, v18
	v_add_f32_e32 v19, 0x40400000, v16
	v_add_f32_e32 v20, 4.0, v16
	v_add_f32_e32 v21, 0x40a00000, v16
	v_mul_f32_e32 v17, v17, v18
	v_add_f32_e32 v18, 2.0, v16
	v_cndmask_b32_e32 v18, 1.0, v18, vcc
	v_cmp_lt_i32_e32 vcc, 3, v15
	v_cndmask_b32_e32 v19, 1.0, v19, vcc
	v_cmp_lt_i32_e32 vcc, 4, v15
	v_mul_f32_e32 v18, v18, v19
	v_cndmask_b32_e32 v19, 1.0, v20, vcc
	v_cmp_lt_i32_e32 vcc, 5, v15
	v_fmac_f32_e32 v17, 0.5, v16
	v_add_f32_e32 v16, 0x40c00000, v16
	v_mul_f32_e32 v18, v19, v18
	v_cndmask_b32_e32 v19, 1.0, v21, vcc
	v_cmp_lt_i32_e32 vcc, 6, v15
	v_mul_f32_e32 v18, v19, v18
	v_cndmask_b32_e32 v15, 1.0, v16, vcc
	v_mul_f32_e32 v15, v15, v18
	v_cmp_gt_f32_e32 vcc, s6, v15
	v_cndmask_b32_e64 v16, 0, 32, vcc
	v_ldexp_f32 v15, v15, v16
	v_log_f32_e32 v15, v15
	s_mov_b32 s6, 0x3f317217
	v_mul_f32_e32 v16, 0x3f317217, v15
	v_fma_f32 v18, v15, s6, -v16
	v_fmac_f32_e32 v18, 0x3377d1cf, v15
	s_mov_b32 s6, 0x7f800000
	v_add_f32_e32 v16, v16, v18
	v_cmp_lt_f32_e64 s[6:7], |v15|, s6
	v_cndmask_b32_e64 v15, v15, v16, s[6:7]
	v_mov_b32_e32 v16, 0x41b17218
	v_cndmask_b32_e32 v16, 0, v16, vcc
	v_sub_f32_e32 v15, v15, v16
	v_add_f32_e32 v15, v15, v17
.LBB155_67:
	s_or_b64 exec, exec, s[14:15]
.LBB155_68:
	s_andn2_saveexec_b64 s[12:13], s[12:13]
	s_cbranch_execz .LBB155_86
; %bb.69:
	s_mov_b32 s6, 0x3f666666
	v_cmp_le_f32_e64 s[6:7], |v11|, s6
                                        ; implicit-def: $vgpr15
                                        ; implicit-def: $vgpr17
                                        ; implicit-def: $vgpr16
	s_and_saveexec_b64 s[14:15], s[6:7]
	s_xor_b64 s[14:15], exec, s[14:15]
	s_cbranch_execz .LBB155_71
; %bb.70:
	s_mov_b32 s6, 0x800000
	v_cmp_lt_f32_e64 vcc, |v11|, s6
	v_cndmask_b32_e64 v15, 0, 32, vcc
	v_ldexp_f32 v15, |v11|, v15
	v_log_f32_e32 v15, v15
	s_mov_b32 s6, 0x3f317217
	s_mov_b32 s7, 0x7f800000
	v_mul_f32_e32 v16, 0x3f317217, v15
	v_fma_f32 v17, v15, s6, -v16
	v_fmac_f32_e32 v17, 0x3377d1cf, v15
	v_add_f32_e32 v16, v16, v17
	v_cmp_lt_f32_e64 s[6:7], |v15|, s7
	v_cndmask_b32_e64 v15, v15, v16, s[6:7]
	v_mov_b32_e32 v16, 0x41b17218
	v_cndmask_b32_e32 v16, 0, v16, vcc
	s_mov_b32 s6, 0x3f3b4a23
	s_mov_b32 s7, 0xbeec5b0c
	v_sub_f32_e32 v15, v15, v16
	v_sub_f32_e64 v16, 1.0, |v11|
	v_add_f32_e64 v17, |v11|, s7
	v_cmp_lt_f32_e64 vcc, |v11|, s6
	s_mov_b32 s6, 0x3e6d3309
	v_cndmask_b32_e32 v16, v16, v17, vcc
	v_cndmask_b32_e64 v17, 0, 1, vcc
	v_cmp_lt_f32_e64 s[6:7], |v11|, s6
	v_xor_b32_e32 v15, 0x80000000, v15
	v_cndmask_b32_e64 v16, v16, |v11|, s[6:7]
	v_cndmask_b32_e64 v17, v17, 2, s[6:7]
.LBB155_71:
	s_andn2_saveexec_b64 s[6:7], s[14:15]
	s_cbranch_execz .LBB155_73
; %bb.72:
	s_mov_b32 s14, 0x3fdda512
	s_mov_b32 s15, 0xbfbb16c3
	v_sub_f32_e64 v15, 2.0, |v11|
	v_add_f32_e64 v16, |v11|, s15
	v_cmp_lt_f32_e64 vcc, |v11|, s14
	v_cndmask_b32_e32 v16, v15, v16, vcc
	v_cndmask_b32_e64 v15, v15, 1.0, vcc
	v_cvt_i32_f32_e32 v15, v15
	s_mov_b32 s14, 0x3f9d70a4
	v_add_f32_e64 v17, |v11|, -1.0
	v_cmp_lt_f32_e64 vcc, |v11|, s14
	v_cndmask_b32_e32 v16, v16, v17, vcc
	v_cndmask_b32_e64 v17, v15, 2, vcc
	v_mov_b32_e32 v15, 0
.LBB155_73:
	s_or_b64 exec, exec, s[6:7]
	v_cmp_lt_i32_e32 vcc, 0, v17
	s_and_saveexec_b64 s[6:7], vcc
	s_xor_b64 s[6:7], exec, s[6:7]
	s_cbranch_execz .LBB155_81
; %bb.74:
	v_cmp_lt_i32_e32 vcc, 1, v17
	s_and_saveexec_b64 s[14:15], vcc
	s_xor_b64 s[14:15], exec, s[14:15]
	s_cbranch_execz .LBB155_78
; %bb.75:
	v_cmp_eq_u32_e32 vcc, 2, v17
	s_and_saveexec_b64 s[16:17], vcc
	s_cbranch_execz .LBB155_77
; %bb.76:
	v_mov_b32_e32 v17, 0x3e6a7578
	v_fmac_f32_e32 v17, 0x3c5b3c5e, v16
	v_mov_b32_e32 v18, 0x3f7a4bb2
	v_fmac_f32_e32 v18, v16, v17
	;; [unrolled: 2-line block ×8, first 2 shown]
	v_fma_f32 v17, v16, v19, 1.0
	v_rcp_f32_e32 v17, v17
	v_mov_b32_e32 v19, 0xbd9e233f
	v_fmac_f32_e32 v19, v16, v18
	v_mul_f32_e32 v18, v16, v19
	v_mul_f32_e32 v17, v18, v17
	v_fmac_f32_e32 v17, -0.5, v16
	v_add_f32_e32 v15, v15, v17
.LBB155_77:
	s_or_b64 exec, exec, s[16:17]
                                        ; implicit-def: $vgpr16
.LBB155_78:
	s_andn2_saveexec_b64 s[14:15], s[14:15]
	s_cbranch_execz .LBB155_80
; %bb.79:
	v_mul_f32_e32 v17, v16, v16
	v_mul_f32_e32 v18, v16, v17
	v_mov_b32_e32 v19, 0xbab7f476
	v_fmac_f32_e32 v19, 0x39a57b6b, v18
	v_mov_b32_e32 v20, 0x3bc7e707
	v_fmac_f32_e32 v20, v18, v19
	;; [unrolled: 2-line block ×12, first 2 shown]
	v_fmac_f32_e32 v21, v16, v22
	s_mov_b32 s16, 0xa2863e55
	v_fma_f32 v16, v18, -v21, s16
	v_fma_f32 v16, v17, v20, -v16
	v_add_f32_e32 v16, 0xbdf8cdce, v16
	v_add_f32_e32 v15, v15, v16
.LBB155_80:
	s_or_b64 exec, exec, s[14:15]
                                        ; implicit-def: $vgpr17
                                        ; implicit-def: $vgpr16
.LBB155_81:
	s_andn2_saveexec_b64 s[6:7], s[6:7]
	s_cbranch_execz .LBB155_85
; %bb.82:
	v_cmp_eq_u32_e32 vcc, 0, v17
	s_and_saveexec_b64 s[14:15], vcc
	s_cbranch_execz .LBB155_84
; %bb.83:
	v_mul_f32_e32 v17, v16, v16
	v_mov_b32_e32 v18, 0x39679767
	v_fmac_f32_e32 v18, 0x37d383a2, v17
	v_mov_b32_e32 v19, 0x3a9c54a1
	v_fmac_f32_e32 v19, v17, v18
	;; [unrolled: 2-line block ×10, first 2 shown]
	v_mul_f32_e32 v17, v17, v19
	v_fmac_f32_e32 v17, v16, v18
	v_fmac_f32_e32 v17, -0.5, v16
	v_add_f32_e32 v15, v15, v17
.LBB155_84:
	s_or_b64 exec, exec, s[14:15]
.LBB155_85:
	s_or_b64 exec, exec, s[6:7]
.LBB155_86:
	s_or_b64 exec, exec, s[12:13]
.LBB155_87:
	s_andn2_saveexec_b64 s[8:9], s[8:9]
	s_cbranch_execz .LBB155_89
; %bb.88:
	s_mov_b32 s6, 0x3e8a8991
	v_mov_b32_e32 v15, 0xbecd26ab
	v_fma_f32 v15, |v11|, s6, v15
	s_mov_b32 s6, 0x3f528d33
	v_fma_f32 v15, |v11|, v15, s6
	s_mov_b32 s6, 0x800000
	v_cmp_lt_f32_e64 vcc, |v11|, s6
	v_cndmask_b32_e64 v16, 0, 32, vcc
	v_ldexp_f32 v16, |v11|, v16
	v_log_f32_e32 v16, v16
	s_mov_b32 s6, 0xbf13c468
	v_fma_f32 v15, |v11|, v15, s6
	s_mov_b32 s6, 0x3f317217
	v_mul_f32_e32 v17, 0x3f317217, v16
	v_fma_f32 v18, v16, s6, -v17
	v_fmac_f32_e32 v18, 0x3377d1cf, v16
	s_mov_b32 s6, 0x7f800000
	v_add_f32_e32 v17, v17, v18
	v_cmp_lt_f32_e64 s[6:7], |v16|, s6
	v_cndmask_b32_e64 v16, v16, v17, s[6:7]
	v_mov_b32_e32 v17, 0x41b17218
	v_cndmask_b32_e32 v17, 0, v17, vcc
	v_sub_f32_e32 v16, v16, v17
	v_fma_f32 v15, |v11|, v15, -v16
.LBB155_89:
	s_or_b64 exec, exec, s[8:9]
	v_cmp_le_f32_e32 vcc, 0, v11
	v_cmp_nle_f32_e64 s[6:7], 0, v11
	s_and_saveexec_b64 s[8:9], s[6:7]
	s_xor_b64 s[12:13], exec, s[8:9]
	s_cbranch_execz .LBB155_93
; %bb.90:
	s_mov_b32 s6, 0x4b000000
	s_mov_b32 s8, 0x35000000
	v_cmp_lt_f32_e64 s[6:7], |v11|, s6
	v_cmp_gt_f32_e64 s[8:9], |v11|, s8
	s_and_b64 s[6:7], s[6:7], s[8:9]
	s_and_saveexec_b64 s[14:15], s[6:7]
	s_cbranch_execz .LBB155_92
; %bb.91:
	v_mul_f32_e64 v16, |v11|, 0.5
	v_floor_f32_e32 v17, v16
	v_sub_f32_e32 v17, v16, v17
	v_min_f32_e32 v17, 0x3f7fffff, v17
	s_mov_b32 s8, 0x7f800000
	v_add_f32_e32 v17, v17, v17
	v_cmp_neq_f32_e64 s[6:7], s8, v16
	v_cndmask_b32_e64 v16, 0, v17, s[6:7]
	v_cmp_gt_f32_e64 s[6:7], |v11|, 1.0
	v_cndmask_b32_e64 v16, |v11|, v16, s[6:7]
	v_add_f32_e32 v17, v16, v16
	v_rndne_f32_e32 v17, v17
	v_fmac_f32_e32 v16, -0.5, v17
	v_mul_f32_e32 v18, v16, v16
	v_mov_b32_e32 v19, 0xbf1f24be
	v_fmac_f32_e32 v19, 0x3e75aa41, v18
	v_mov_b32_e32 v20, 0x40234736
	v_fmac_f32_e32 v20, v18, v19
	;; [unrolled: 2-line block ×3, first 2 shown]
	v_mul_f32_e32 v20, v16, v18
	v_mul_f32_e32 v19, v20, v19
	v_fmac_f32_e32 v19, 0x40490fdb, v16
	v_mov_b32_e32 v16, 0x3e642e9d
	v_cvt_i32_f32_e32 v17, v17
	v_fmac_f32_e32 v16, 0x3d4be544, v18
	v_mov_b32_e32 v20, 0xbfaad1da
	v_fmac_f32_e32 v20, v18, v16
	v_mov_b32_e32 v16, 0x4081e0d3
	;; [unrolled: 2-line block ×3, first 2 shown]
	v_fmac_f32_e32 v20, v18, v16
	v_fma_f32 v16, v18, v20, 1.0
	v_and_b32_e32 v18, 1, v17
	v_cmp_eq_u32_e64 s[6:7], 0, v18
	v_cndmask_b32_e64 v16, v16, v19, s[6:7]
	v_lshlrev_b32_e32 v17, 30, v17
	s_brev_b32 s6, 1
	v_and_or_b32 v10, v17, s6, v10
	v_xor_b32_e32 v10, v10, v16
	v_xor_b32_e32 v10, v10, v11
	v_mul_f32_e32 v10, v11, v10
	v_frexp_mant_f32_e64 v16, |v10|
	v_rcp_f32_e32 v16, v16
	v_frexp_exp_i32_f32_e32 v10, v10
	v_sub_u32_e32 v10, 2, v10
	s_mov_b32 s6, 0x800000
	v_mul_f32_e32 v16, 0x3f490fdb, v16
	v_ldexp_f32 v10, v16, v10
	v_cmp_gt_f32_e64 s[6:7], s6, v10
	v_cndmask_b32_e64 v16, 0, 32, s[6:7]
	v_ldexp_f32 v10, v10, v16
	v_log_f32_e32 v10, v10
	s_mov_b32 s9, 0x3f317217
	v_mul_f32_e32 v16, 0x3f317217, v10
	v_fma_f32 v17, v10, s9, -v16
	v_fmac_f32_e32 v17, 0x3377d1cf, v10
	v_add_f32_e32 v16, v16, v17
	v_cmp_lt_f32_e64 s[8:9], |v10|, s8
	v_cndmask_b32_e64 v10, v10, v16, s[8:9]
	v_mov_b32_e32 v16, 0x41b17218
	v_cndmask_b32_e64 v16, 0, v16, s[6:7]
	v_sub_f32_e32 v10, v10, v16
	v_sub_f32_e32 v10, v10, v15
	v_floor_f32_e32 v15, v11
	v_sub_f32_e32 v15, v11, v15
	v_min_f32_e32 v15, 0x3f7fffff, v15
	v_mov_b32_e32 v16, 0x7f800000
	v_cmp_neq_f32_e64 s[6:7], 0, v15
	v_cndmask_b32_e64 v15, v16, v10, s[6:7]
.LBB155_92:
	s_or_b64 exec, exec, s[14:15]
.LBB155_93:
	s_andn2_saveexec_b64 s[12:13], s[12:13]
; %bb.94:
	v_cmp_eq_f32_e64 s[6:7], 1.0, v11
	v_cmp_eq_f32_e64 s[8:9], 2.0, v11
	s_or_b64 s[6:7], s[6:7], s[8:9]
	v_cndmask_b32_e64 v15, v15, 0, s[6:7]
; %bb.95:
	s_or_b64 exec, exec, s[12:13]
	s_mov_b32 s6, 0x4b000000
	v_cmp_lt_f32_e64 s[6:7], |v11|, s6
	v_mov_b32_e32 v10, 0x264
	v_mov_b32_e32 v16, 0x7f800000
	s_or_b64 vcc, vcc, s[6:7]
	v_cndmask_b32_e32 v15, v16, v15, vcc
	v_cmp_class_f32_e32 vcc, v11, v10
	v_cndmask_b32_e32 v10, v15, v16, vcc
	v_cmp_u_f32_e32 vcc, v11, v11
	v_cndmask_b32_e32 v10, v10, v11, vcc
	v_bfe_u32 v11, v10, 16, 1
	s_movk_i32 s6, 0x7fff
	v_add3_u32 v11, v10, v11, s6
	v_cmp_o_f32_e32 vcc, v10, v10
	v_mov_b32_e32 v10, 0x7fc0
	v_cndmask_b32_sdwa v10, v10, v11, vcc dst_sel:DWORD dst_unused:UNUSED_PAD src0_sel:DWORD src1_sel:WORD_1
.LBB155_96:
	s_or_b64 exec, exec, s[10:11]
	v_add_u32_e32 v11, 0x200, v7
	v_cmp_lt_i32_e32 vcc, v11, v4
                                        ; implicit-def: $vgpr11
	s_and_saveexec_b64 s[10:11], vcc
	s_cbranch_execz .LBB155_136
; %bb.97:
	s_mov_b32 s6, 0x3c800000
	v_and_b32_e32 v11, 0x7fffffff, v14
	v_cmp_nlt_f32_e64 s[6:7], |v14|, s6
                                        ; implicit-def: $vgpr15
	s_and_saveexec_b64 s[8:9], s[6:7]
	s_xor_b64 s[8:9], exec, s[8:9]
	s_cbranch_execz .LBB155_127
; %bb.98:
	v_cmp_nlt_f32_e64 s[6:7], |v14|, 2.0
                                        ; implicit-def: $vgpr15
	s_and_saveexec_b64 s[12:13], s[6:7]
	s_xor_b64 s[12:13], exec, s[12:13]
	s_cbranch_execz .LBB155_108
; %bb.99:
	s_mov_b32 s6, 0x41000000
	v_cmp_nlt_f32_e64 s[6:7], |v14|, s6
                                        ; implicit-def: $vgpr15
	s_and_saveexec_b64 s[14:15], s[6:7]
	s_xor_b64 s[14:15], exec, s[14:15]
	s_cbranch_execz .LBB155_105
; %bb.100:
	s_mov_b32 s6, 0x5c800000
	v_cmp_nlt_f32_e64 s[6:7], |v14|, s6
                                        ; implicit-def: $vgpr15
	s_and_saveexec_b64 s[16:17], s[6:7]
	s_xor_b64 s[16:17], exec, s[16:17]
	s_cbranch_execz .LBB155_102
; %bb.101:
	s_mov_b32 s6, 0x800000
	v_cmp_lt_f32_e64 vcc, |v14|, s6
	v_cndmask_b32_e64 v15, 0, 32, vcc
	v_ldexp_f32 v15, |v14|, v15
	v_log_f32_e32 v15, v15
	s_mov_b32 s6, 0x3f317217
	s_mov_b32 s7, 0x7f800000
	v_mul_f32_e32 v16, 0x3f317217, v15
	v_fma_f32 v17, v15, s6, -v16
	v_fmac_f32_e32 v17, 0x3377d1cf, v15
	v_add_f32_e32 v16, v16, v17
	v_cmp_lt_f32_e64 s[6:7], |v15|, s7
	v_cndmask_b32_e64 v15, v15, v16, s[6:7]
	v_mov_b32_e32 v16, 0x41b17218
	v_cndmask_b32_e32 v16, 0, v16, vcc
	v_sub_f32_e32 v15, v15, v16
	v_fma_f32 v15, |v14|, v15, -|v14|
.LBB155_102:
	s_andn2_saveexec_b64 s[16:17], s[16:17]
	s_cbranch_execz .LBB155_104
; %bb.103:
	v_rcp_f32_e64 v16, |v14|
	v_mov_b32_e32 v15, 0x3a5b3dd2
	v_mov_b32_e32 v17, 0xba1c065c
	;; [unrolled: 1-line block ×3, first 2 shown]
	v_mul_f32_e32 v19, v16, v16
	v_fmac_f32_e32 v15, 0xbad5c4e8, v19
	v_fmac_f32_e32 v17, v19, v15
	s_mov_b32 s6, 0x800000
	v_fmac_f32_e32 v18, v19, v17
	v_mov_b32_e32 v15, 0xbb360b61
	v_cmp_lt_f32_e64 vcc, |v14|, s6
	v_fmac_f32_e32 v15, v19, v18
	v_cndmask_b32_e64 v18, 0, 32, vcc
	v_ldexp_f32 v18, |v14|, v18
	v_log_f32_e32 v18, v18
	v_mov_b32_e32 v17, 0x3daaaaab
	v_fmac_f32_e32 v17, v19, v15
	v_mov_b32_e32 v15, 0x3ed67f1d
	v_fmac_f32_e32 v15, v16, v17
	s_mov_b32 s6, 0x3f317217
	v_mul_f32_e32 v17, 0x3f317217, v18
	v_fma_f32 v19, v18, s6, -v17
	v_fmac_f32_e32 v19, 0x3377d1cf, v18
	s_mov_b32 s6, 0x7f800000
	v_add_f32_e32 v17, v17, v19
	v_cmp_lt_f32_e64 s[6:7], |v18|, s6
	v_cndmask_b32_e64 v17, v18, v17, s[6:7]
	v_mov_b32_e32 v18, 0x41b17218
	v_cndmask_b32_e32 v18, 0, v18, vcc
	v_sub_f32_e32 v17, v17, v18
	v_add_f32_e64 v16, |v14|, -0.5
	v_add_f32_e32 v17, -1.0, v17
	v_fmac_f32_e32 v15, v16, v17
.LBB155_104:
	s_or_b64 exec, exec, s[16:17]
.LBB155_105:
	s_andn2_saveexec_b64 s[14:15], s[14:15]
	s_cbranch_execz .LBB155_107
; %bb.106:
	v_cvt_i32_f32_e32 v15, v11
	v_mov_b32_e32 v17, 0x3af135b4
	v_mov_b32_e32 v18, 0x3cda40e4
	;; [unrolled: 1-line block ×3, first 2 shown]
	v_cvt_f32_i32_e32 v16, v15
	v_cmp_lt_i32_e32 vcc, 2, v15
	s_mov_b32 s6, 0x800000
	v_sub_f32_e64 v16, |v14|, v16
	v_fmac_f32_e32 v17, 0x3805ff67, v16
	v_fmac_f32_e32 v18, v16, v17
	v_mov_b32_e32 v17, 0x3e15dce6
	v_fmac_f32_e32 v17, v16, v18
	v_mov_b32_e32 v18, 0x3ea6cc7a
	;; [unrolled: 2-line block ×4, first 2 shown]
	v_fmac_f32_e32 v18, v16, v17
	v_mul_f32_e32 v17, v16, v18
	v_mov_b32_e32 v18, 0x3a4beed6
	v_fmac_f32_e32 v18, 0x36f5d7bd, v16
	v_fmac_f32_e32 v19, v16, v18
	v_mov_b32_e32 v18, 0x3e300f6e
	v_fmac_f32_e32 v18, v16, v19
	v_mov_b32_e32 v19, 0x3f38d0c5
	v_fmac_f32_e32 v19, v16, v18
	v_mov_b32_e32 v18, 0x3fb22d3b
	v_fmac_f32_e32 v18, v16, v19
	v_fma_f32 v18, v16, v18, 1.0
	v_rcp_f32_e32 v18, v18
	v_add_f32_e32 v19, 0x40400000, v16
	v_add_f32_e32 v20, 4.0, v16
	v_add_f32_e32 v21, 0x40a00000, v16
	v_mul_f32_e32 v17, v17, v18
	v_add_f32_e32 v18, 2.0, v16
	v_cndmask_b32_e32 v18, 1.0, v18, vcc
	v_cmp_lt_i32_e32 vcc, 3, v15
	v_cndmask_b32_e32 v19, 1.0, v19, vcc
	v_cmp_lt_i32_e32 vcc, 4, v15
	v_mul_f32_e32 v18, v18, v19
	v_cndmask_b32_e32 v19, 1.0, v20, vcc
	v_cmp_lt_i32_e32 vcc, 5, v15
	v_fmac_f32_e32 v17, 0.5, v16
	v_add_f32_e32 v16, 0x40c00000, v16
	v_mul_f32_e32 v18, v19, v18
	v_cndmask_b32_e32 v19, 1.0, v21, vcc
	v_cmp_lt_i32_e32 vcc, 6, v15
	v_mul_f32_e32 v18, v19, v18
	v_cndmask_b32_e32 v15, 1.0, v16, vcc
	v_mul_f32_e32 v15, v15, v18
	v_cmp_gt_f32_e32 vcc, s6, v15
	v_cndmask_b32_e64 v16, 0, 32, vcc
	v_ldexp_f32 v15, v15, v16
	v_log_f32_e32 v15, v15
	s_mov_b32 s6, 0x3f317217
	v_mul_f32_e32 v16, 0x3f317217, v15
	v_fma_f32 v18, v15, s6, -v16
	v_fmac_f32_e32 v18, 0x3377d1cf, v15
	s_mov_b32 s6, 0x7f800000
	v_add_f32_e32 v16, v16, v18
	v_cmp_lt_f32_e64 s[6:7], |v15|, s6
	v_cndmask_b32_e64 v15, v15, v16, s[6:7]
	v_mov_b32_e32 v16, 0x41b17218
	v_cndmask_b32_e32 v16, 0, v16, vcc
	v_sub_f32_e32 v15, v15, v16
	v_add_f32_e32 v15, v15, v17
.LBB155_107:
	s_or_b64 exec, exec, s[14:15]
.LBB155_108:
	s_andn2_saveexec_b64 s[12:13], s[12:13]
	s_cbranch_execz .LBB155_126
; %bb.109:
	s_mov_b32 s6, 0x3f666666
	v_cmp_le_f32_e64 s[6:7], |v14|, s6
                                        ; implicit-def: $vgpr15
                                        ; implicit-def: $vgpr17
                                        ; implicit-def: $vgpr16
	s_and_saveexec_b64 s[14:15], s[6:7]
	s_xor_b64 s[14:15], exec, s[14:15]
	s_cbranch_execz .LBB155_111
; %bb.110:
	s_mov_b32 s6, 0x800000
	v_cmp_lt_f32_e64 vcc, |v14|, s6
	v_cndmask_b32_e64 v15, 0, 32, vcc
	v_ldexp_f32 v15, |v14|, v15
	v_log_f32_e32 v15, v15
	s_mov_b32 s6, 0x3f317217
	s_mov_b32 s7, 0x7f800000
	v_mul_f32_e32 v16, 0x3f317217, v15
	v_fma_f32 v17, v15, s6, -v16
	v_fmac_f32_e32 v17, 0x3377d1cf, v15
	v_add_f32_e32 v16, v16, v17
	v_cmp_lt_f32_e64 s[6:7], |v15|, s7
	v_cndmask_b32_e64 v15, v15, v16, s[6:7]
	v_mov_b32_e32 v16, 0x41b17218
	v_cndmask_b32_e32 v16, 0, v16, vcc
	s_mov_b32 s6, 0x3f3b4a23
	s_mov_b32 s7, 0xbeec5b0c
	v_sub_f32_e32 v15, v15, v16
	v_sub_f32_e64 v16, 1.0, |v14|
	v_add_f32_e64 v17, |v14|, s7
	v_cmp_lt_f32_e64 vcc, |v14|, s6
	s_mov_b32 s6, 0x3e6d3309
	v_cndmask_b32_e32 v16, v16, v17, vcc
	v_cndmask_b32_e64 v17, 0, 1, vcc
	v_cmp_lt_f32_e64 s[6:7], |v14|, s6
	v_xor_b32_e32 v15, 0x80000000, v15
	v_cndmask_b32_e64 v16, v16, |v14|, s[6:7]
	v_cndmask_b32_e64 v17, v17, 2, s[6:7]
.LBB155_111:
	s_andn2_saveexec_b64 s[6:7], s[14:15]
	s_cbranch_execz .LBB155_113
; %bb.112:
	s_mov_b32 s14, 0x3fdda512
	s_mov_b32 s15, 0xbfbb16c3
	v_sub_f32_e64 v15, 2.0, |v14|
	v_add_f32_e64 v16, |v14|, s15
	v_cmp_lt_f32_e64 vcc, |v14|, s14
	v_cndmask_b32_e32 v16, v15, v16, vcc
	v_cndmask_b32_e64 v15, v15, 1.0, vcc
	v_cvt_i32_f32_e32 v15, v15
	s_mov_b32 s14, 0x3f9d70a4
	v_add_f32_e64 v17, |v14|, -1.0
	v_cmp_lt_f32_e64 vcc, |v14|, s14
	v_cndmask_b32_e32 v16, v16, v17, vcc
	v_cndmask_b32_e64 v17, v15, 2, vcc
	v_mov_b32_e32 v15, 0
.LBB155_113:
	s_or_b64 exec, exec, s[6:7]
	v_cmp_lt_i32_e32 vcc, 0, v17
	s_and_saveexec_b64 s[6:7], vcc
	s_xor_b64 s[6:7], exec, s[6:7]
	s_cbranch_execz .LBB155_121
; %bb.114:
	v_cmp_lt_i32_e32 vcc, 1, v17
	s_and_saveexec_b64 s[14:15], vcc
	s_xor_b64 s[14:15], exec, s[14:15]
	s_cbranch_execz .LBB155_118
; %bb.115:
	v_cmp_eq_u32_e32 vcc, 2, v17
	s_and_saveexec_b64 s[16:17], vcc
	s_cbranch_execz .LBB155_117
; %bb.116:
	v_mov_b32_e32 v17, 0x3e6a7578
	v_fmac_f32_e32 v17, 0x3c5b3c5e, v16
	v_mov_b32_e32 v18, 0x3f7a4bb2
	v_fmac_f32_e32 v18, v16, v17
	;; [unrolled: 2-line block ×8, first 2 shown]
	v_fma_f32 v17, v16, v19, 1.0
	v_rcp_f32_e32 v17, v17
	v_mov_b32_e32 v19, 0xbd9e233f
	v_fmac_f32_e32 v19, v16, v18
	v_mul_f32_e32 v18, v16, v19
	v_mul_f32_e32 v17, v18, v17
	v_fmac_f32_e32 v17, -0.5, v16
	v_add_f32_e32 v15, v15, v17
.LBB155_117:
	s_or_b64 exec, exec, s[16:17]
                                        ; implicit-def: $vgpr16
.LBB155_118:
	s_andn2_saveexec_b64 s[14:15], s[14:15]
	s_cbranch_execz .LBB155_120
; %bb.119:
	v_mul_f32_e32 v17, v16, v16
	v_mul_f32_e32 v18, v16, v17
	v_mov_b32_e32 v19, 0xbab7f476
	v_fmac_f32_e32 v19, 0x39a57b6b, v18
	v_mov_b32_e32 v20, 0x3bc7e707
	v_fmac_f32_e32 v20, v18, v19
	;; [unrolled: 2-line block ×12, first 2 shown]
	v_fmac_f32_e32 v21, v16, v22
	s_mov_b32 s16, 0xa2863e55
	v_fma_f32 v16, v18, -v21, s16
	v_fma_f32 v16, v17, v20, -v16
	v_add_f32_e32 v16, 0xbdf8cdce, v16
	v_add_f32_e32 v15, v15, v16
.LBB155_120:
	s_or_b64 exec, exec, s[14:15]
                                        ; implicit-def: $vgpr17
                                        ; implicit-def: $vgpr16
.LBB155_121:
	s_andn2_saveexec_b64 s[6:7], s[6:7]
	s_cbranch_execz .LBB155_125
; %bb.122:
	v_cmp_eq_u32_e32 vcc, 0, v17
	s_and_saveexec_b64 s[14:15], vcc
	s_cbranch_execz .LBB155_124
; %bb.123:
	v_mul_f32_e32 v17, v16, v16
	v_mov_b32_e32 v18, 0x39679767
	v_fmac_f32_e32 v18, 0x37d383a2, v17
	v_mov_b32_e32 v19, 0x3a9c54a1
	v_fmac_f32_e32 v19, v17, v18
	;; [unrolled: 2-line block ×10, first 2 shown]
	v_mul_f32_e32 v17, v17, v19
	v_fmac_f32_e32 v17, v16, v18
	v_fmac_f32_e32 v17, -0.5, v16
	v_add_f32_e32 v15, v15, v17
.LBB155_124:
	s_or_b64 exec, exec, s[14:15]
.LBB155_125:
	s_or_b64 exec, exec, s[6:7]
.LBB155_126:
	s_or_b64 exec, exec, s[12:13]
.LBB155_127:
	s_andn2_saveexec_b64 s[8:9], s[8:9]
	s_cbranch_execz .LBB155_129
; %bb.128:
	s_mov_b32 s6, 0x3e8a8991
	v_mov_b32_e32 v15, 0xbecd26ab
	v_fma_f32 v15, |v14|, s6, v15
	s_mov_b32 s6, 0x3f528d33
	v_fma_f32 v15, |v14|, v15, s6
	s_mov_b32 s6, 0x800000
	v_cmp_lt_f32_e64 vcc, |v14|, s6
	v_cndmask_b32_e64 v16, 0, 32, vcc
	v_ldexp_f32 v16, |v14|, v16
	v_log_f32_e32 v16, v16
	s_mov_b32 s6, 0xbf13c468
	v_fma_f32 v15, |v14|, v15, s6
	s_mov_b32 s6, 0x3f317217
	v_mul_f32_e32 v17, 0x3f317217, v16
	v_fma_f32 v18, v16, s6, -v17
	v_fmac_f32_e32 v18, 0x3377d1cf, v16
	s_mov_b32 s6, 0x7f800000
	v_add_f32_e32 v17, v17, v18
	v_cmp_lt_f32_e64 s[6:7], |v16|, s6
	v_cndmask_b32_e64 v16, v16, v17, s[6:7]
	v_mov_b32_e32 v17, 0x41b17218
	v_cndmask_b32_e32 v17, 0, v17, vcc
	v_sub_f32_e32 v16, v16, v17
	v_fma_f32 v15, |v14|, v15, -v16
.LBB155_129:
	s_or_b64 exec, exec, s[8:9]
	v_cmp_le_f32_e32 vcc, 0, v14
	v_cmp_nle_f32_e64 s[6:7], 0, v14
	s_and_saveexec_b64 s[8:9], s[6:7]
	s_xor_b64 s[12:13], exec, s[8:9]
	s_cbranch_execz .LBB155_133
; %bb.130:
	s_mov_b32 s6, 0x4b000000
	s_mov_b32 s8, 0x35000000
	v_cmp_lt_f32_e64 s[6:7], |v14|, s6
	v_cmp_gt_f32_e64 s[8:9], |v14|, s8
	s_and_b64 s[6:7], s[6:7], s[8:9]
	s_and_saveexec_b64 s[14:15], s[6:7]
	s_cbranch_execz .LBB155_132
; %bb.131:
	v_mul_f32_e64 v16, |v14|, 0.5
	v_floor_f32_e32 v17, v16
	v_sub_f32_e32 v17, v16, v17
	v_min_f32_e32 v17, 0x3f7fffff, v17
	s_mov_b32 s8, 0x7f800000
	v_add_f32_e32 v17, v17, v17
	v_cmp_neq_f32_e64 s[6:7], s8, v16
	v_cndmask_b32_e64 v16, 0, v17, s[6:7]
	v_cmp_gt_f32_e64 s[6:7], |v14|, 1.0
	v_cndmask_b32_e64 v16, |v14|, v16, s[6:7]
	v_add_f32_e32 v17, v16, v16
	v_rndne_f32_e32 v17, v17
	v_fmac_f32_e32 v16, -0.5, v17
	v_mul_f32_e32 v18, v16, v16
	v_mov_b32_e32 v19, 0xbf1f24be
	v_fmac_f32_e32 v19, 0x3e75aa41, v18
	v_mov_b32_e32 v20, 0x40234736
	v_fmac_f32_e32 v20, v18, v19
	;; [unrolled: 2-line block ×3, first 2 shown]
	v_mul_f32_e32 v20, v16, v18
	v_mul_f32_e32 v19, v20, v19
	v_fmac_f32_e32 v19, 0x40490fdb, v16
	v_mov_b32_e32 v16, 0x3e642e9d
	v_cvt_i32_f32_e32 v17, v17
	v_fmac_f32_e32 v16, 0x3d4be544, v18
	v_mov_b32_e32 v20, 0xbfaad1da
	v_fmac_f32_e32 v20, v18, v16
	v_mov_b32_e32 v16, 0x4081e0d3
	;; [unrolled: 2-line block ×3, first 2 shown]
	v_fmac_f32_e32 v20, v18, v16
	v_fma_f32 v16, v18, v20, 1.0
	v_and_b32_e32 v18, 1, v17
	v_cmp_eq_u32_e64 s[6:7], 0, v18
	v_cndmask_b32_e64 v16, v16, v19, s[6:7]
	v_lshlrev_b32_e32 v17, 30, v17
	s_brev_b32 s6, 1
	v_and_or_b32 v11, v17, s6, v11
	v_xor_b32_e32 v11, v11, v16
	v_xor_b32_e32 v11, v11, v14
	v_mul_f32_e32 v11, v14, v11
	v_frexp_mant_f32_e64 v16, |v11|
	v_rcp_f32_e32 v16, v16
	v_frexp_exp_i32_f32_e32 v11, v11
	v_sub_u32_e32 v11, 2, v11
	s_mov_b32 s6, 0x800000
	v_mul_f32_e32 v16, 0x3f490fdb, v16
	v_ldexp_f32 v11, v16, v11
	v_cmp_gt_f32_e64 s[6:7], s6, v11
	v_cndmask_b32_e64 v16, 0, 32, s[6:7]
	v_ldexp_f32 v11, v11, v16
	v_log_f32_e32 v11, v11
	s_mov_b32 s9, 0x3f317217
	v_mul_f32_e32 v16, 0x3f317217, v11
	v_fma_f32 v17, v11, s9, -v16
	v_fmac_f32_e32 v17, 0x3377d1cf, v11
	v_add_f32_e32 v16, v16, v17
	v_cmp_lt_f32_e64 s[8:9], |v11|, s8
	v_cndmask_b32_e64 v11, v11, v16, s[8:9]
	v_mov_b32_e32 v16, 0x41b17218
	v_cndmask_b32_e64 v16, 0, v16, s[6:7]
	v_sub_f32_e32 v11, v11, v16
	v_sub_f32_e32 v11, v11, v15
	v_floor_f32_e32 v15, v14
	v_sub_f32_e32 v15, v14, v15
	v_min_f32_e32 v15, 0x3f7fffff, v15
	v_mov_b32_e32 v16, 0x7f800000
	v_cmp_neq_f32_e64 s[6:7], 0, v15
	v_cndmask_b32_e64 v15, v16, v11, s[6:7]
.LBB155_132:
	s_or_b64 exec, exec, s[14:15]
.LBB155_133:
	s_andn2_saveexec_b64 s[12:13], s[12:13]
; %bb.134:
	v_cmp_eq_f32_e64 s[6:7], 1.0, v14
	v_cmp_eq_f32_e64 s[8:9], 2.0, v14
	s_or_b64 s[6:7], s[6:7], s[8:9]
	v_cndmask_b32_e64 v15, v15, 0, s[6:7]
; %bb.135:
	s_or_b64 exec, exec, s[12:13]
	s_mov_b32 s6, 0x4b000000
	v_cmp_lt_f32_e64 s[6:7], |v14|, s6
	v_mov_b32_e32 v11, 0x264
	v_mov_b32_e32 v16, 0x7f800000
	s_or_b64 vcc, vcc, s[6:7]
	v_cndmask_b32_e32 v15, v16, v15, vcc
	v_cmp_class_f32_e32 vcc, v14, v11
	v_cndmask_b32_e32 v11, v15, v16, vcc
	v_cmp_u_f32_e32 vcc, v14, v14
	v_cndmask_b32_e32 v11, v11, v14, vcc
	v_bfe_u32 v14, v11, 16, 1
	s_movk_i32 s6, 0x7fff
	v_add3_u32 v14, v11, v14, s6
	v_cmp_o_f32_e32 vcc, v11, v11
	v_mov_b32_e32 v11, 0x7fc0
	v_cndmask_b32_sdwa v11, v11, v14, vcc dst_sel:DWORD dst_unused:UNUSED_PAD src0_sel:DWORD src1_sel:WORD_1
.LBB155_136:
	s_or_b64 exec, exec, s[10:11]
	v_add_u32_e32 v14, 0x300, v7
	v_cmp_lt_i32_e32 vcc, v14, v4
                                        ; implicit-def: $vgpr14
	s_and_saveexec_b64 s[10:11], vcc
	s_cbranch_execz .LBB155_176
; %bb.137:
	s_mov_b32 s6, 0x3c800000
	v_and_b32_e32 v14, 0x7fffffff, v13
	v_cmp_nlt_f32_e64 s[6:7], |v13|, s6
                                        ; implicit-def: $vgpr15
	s_and_saveexec_b64 s[8:9], s[6:7]
	s_xor_b64 s[8:9], exec, s[8:9]
	s_cbranch_execz .LBB155_167
; %bb.138:
	v_cmp_nlt_f32_e64 s[6:7], |v13|, 2.0
                                        ; implicit-def: $vgpr15
	s_and_saveexec_b64 s[12:13], s[6:7]
	s_xor_b64 s[12:13], exec, s[12:13]
	s_cbranch_execz .LBB155_148
; %bb.139:
	s_mov_b32 s6, 0x41000000
	v_cmp_nlt_f32_e64 s[6:7], |v13|, s6
                                        ; implicit-def: $vgpr15
	s_and_saveexec_b64 s[14:15], s[6:7]
	s_xor_b64 s[14:15], exec, s[14:15]
	s_cbranch_execz .LBB155_145
; %bb.140:
	s_mov_b32 s6, 0x5c800000
	v_cmp_nlt_f32_e64 s[6:7], |v13|, s6
                                        ; implicit-def: $vgpr15
	s_and_saveexec_b64 s[16:17], s[6:7]
	s_xor_b64 s[16:17], exec, s[16:17]
	s_cbranch_execz .LBB155_142
; %bb.141:
	s_mov_b32 s6, 0x800000
	v_cmp_lt_f32_e64 vcc, |v13|, s6
	v_cndmask_b32_e64 v15, 0, 32, vcc
	v_ldexp_f32 v15, |v13|, v15
	v_log_f32_e32 v15, v15
	s_mov_b32 s6, 0x3f317217
	s_mov_b32 s7, 0x7f800000
	v_mul_f32_e32 v16, 0x3f317217, v15
	v_fma_f32 v17, v15, s6, -v16
	v_fmac_f32_e32 v17, 0x3377d1cf, v15
	v_add_f32_e32 v16, v16, v17
	v_cmp_lt_f32_e64 s[6:7], |v15|, s7
	v_cndmask_b32_e64 v15, v15, v16, s[6:7]
	v_mov_b32_e32 v16, 0x41b17218
	v_cndmask_b32_e32 v16, 0, v16, vcc
	v_sub_f32_e32 v15, v15, v16
	v_fma_f32 v15, |v13|, v15, -|v13|
.LBB155_142:
	s_andn2_saveexec_b64 s[16:17], s[16:17]
	s_cbranch_execz .LBB155_144
; %bb.143:
	v_rcp_f32_e64 v16, |v13|
	v_mov_b32_e32 v15, 0x3a5b3dd2
	v_mov_b32_e32 v17, 0xba1c065c
	;; [unrolled: 1-line block ×3, first 2 shown]
	v_mul_f32_e32 v19, v16, v16
	v_fmac_f32_e32 v15, 0xbad5c4e8, v19
	v_fmac_f32_e32 v17, v19, v15
	s_mov_b32 s6, 0x800000
	v_fmac_f32_e32 v18, v19, v17
	v_mov_b32_e32 v15, 0xbb360b61
	v_cmp_lt_f32_e64 vcc, |v13|, s6
	v_fmac_f32_e32 v15, v19, v18
	v_cndmask_b32_e64 v18, 0, 32, vcc
	v_ldexp_f32 v18, |v13|, v18
	v_log_f32_e32 v18, v18
	v_mov_b32_e32 v17, 0x3daaaaab
	v_fmac_f32_e32 v17, v19, v15
	v_mov_b32_e32 v15, 0x3ed67f1d
	v_fmac_f32_e32 v15, v16, v17
	s_mov_b32 s6, 0x3f317217
	v_mul_f32_e32 v17, 0x3f317217, v18
	v_fma_f32 v19, v18, s6, -v17
	v_fmac_f32_e32 v19, 0x3377d1cf, v18
	s_mov_b32 s6, 0x7f800000
	v_add_f32_e32 v17, v17, v19
	v_cmp_lt_f32_e64 s[6:7], |v18|, s6
	v_cndmask_b32_e64 v17, v18, v17, s[6:7]
	v_mov_b32_e32 v18, 0x41b17218
	v_cndmask_b32_e32 v18, 0, v18, vcc
	v_sub_f32_e32 v17, v17, v18
	v_add_f32_e64 v16, |v13|, -0.5
	v_add_f32_e32 v17, -1.0, v17
	v_fmac_f32_e32 v15, v16, v17
.LBB155_144:
	s_or_b64 exec, exec, s[16:17]
.LBB155_145:
	s_andn2_saveexec_b64 s[14:15], s[14:15]
	s_cbranch_execz .LBB155_147
; %bb.146:
	v_cvt_i32_f32_e32 v15, v14
	v_mov_b32_e32 v17, 0x3af135b4
	v_mov_b32_e32 v18, 0x3cda40e4
	;; [unrolled: 1-line block ×3, first 2 shown]
	v_cvt_f32_i32_e32 v16, v15
	v_cmp_lt_i32_e32 vcc, 2, v15
	s_mov_b32 s6, 0x800000
	v_sub_f32_e64 v16, |v13|, v16
	v_fmac_f32_e32 v17, 0x3805ff67, v16
	v_fmac_f32_e32 v18, v16, v17
	v_mov_b32_e32 v17, 0x3e15dce6
	v_fmac_f32_e32 v17, v16, v18
	v_mov_b32_e32 v18, 0x3ea6cc7a
	;; [unrolled: 2-line block ×4, first 2 shown]
	v_fmac_f32_e32 v18, v16, v17
	v_mul_f32_e32 v17, v16, v18
	v_mov_b32_e32 v18, 0x3a4beed6
	v_fmac_f32_e32 v18, 0x36f5d7bd, v16
	v_fmac_f32_e32 v19, v16, v18
	v_mov_b32_e32 v18, 0x3e300f6e
	v_fmac_f32_e32 v18, v16, v19
	v_mov_b32_e32 v19, 0x3f38d0c5
	;; [unrolled: 2-line block ×3, first 2 shown]
	v_fmac_f32_e32 v18, v16, v19
	v_fma_f32 v18, v16, v18, 1.0
	v_rcp_f32_e32 v18, v18
	v_add_f32_e32 v19, 0x40400000, v16
	v_add_f32_e32 v20, 4.0, v16
	v_add_f32_e32 v21, 0x40a00000, v16
	v_mul_f32_e32 v17, v17, v18
	v_add_f32_e32 v18, 2.0, v16
	v_cndmask_b32_e32 v18, 1.0, v18, vcc
	v_cmp_lt_i32_e32 vcc, 3, v15
	v_cndmask_b32_e32 v19, 1.0, v19, vcc
	v_cmp_lt_i32_e32 vcc, 4, v15
	v_mul_f32_e32 v18, v18, v19
	v_cndmask_b32_e32 v19, 1.0, v20, vcc
	v_cmp_lt_i32_e32 vcc, 5, v15
	v_fmac_f32_e32 v17, 0.5, v16
	v_add_f32_e32 v16, 0x40c00000, v16
	v_mul_f32_e32 v18, v19, v18
	v_cndmask_b32_e32 v19, 1.0, v21, vcc
	v_cmp_lt_i32_e32 vcc, 6, v15
	v_mul_f32_e32 v18, v19, v18
	v_cndmask_b32_e32 v15, 1.0, v16, vcc
	v_mul_f32_e32 v15, v15, v18
	v_cmp_gt_f32_e32 vcc, s6, v15
	v_cndmask_b32_e64 v16, 0, 32, vcc
	v_ldexp_f32 v15, v15, v16
	v_log_f32_e32 v15, v15
	s_mov_b32 s6, 0x3f317217
	v_mul_f32_e32 v16, 0x3f317217, v15
	v_fma_f32 v18, v15, s6, -v16
	v_fmac_f32_e32 v18, 0x3377d1cf, v15
	s_mov_b32 s6, 0x7f800000
	v_add_f32_e32 v16, v16, v18
	v_cmp_lt_f32_e64 s[6:7], |v15|, s6
	v_cndmask_b32_e64 v15, v15, v16, s[6:7]
	v_mov_b32_e32 v16, 0x41b17218
	v_cndmask_b32_e32 v16, 0, v16, vcc
	v_sub_f32_e32 v15, v15, v16
	v_add_f32_e32 v15, v15, v17
.LBB155_147:
	s_or_b64 exec, exec, s[14:15]
.LBB155_148:
	s_andn2_saveexec_b64 s[12:13], s[12:13]
	s_cbranch_execz .LBB155_166
; %bb.149:
	s_mov_b32 s6, 0x3f666666
	v_cmp_le_f32_e64 s[6:7], |v13|, s6
                                        ; implicit-def: $vgpr15
                                        ; implicit-def: $vgpr17
                                        ; implicit-def: $vgpr16
	s_and_saveexec_b64 s[14:15], s[6:7]
	s_xor_b64 s[14:15], exec, s[14:15]
	s_cbranch_execz .LBB155_151
; %bb.150:
	s_mov_b32 s6, 0x800000
	v_cmp_lt_f32_e64 vcc, |v13|, s6
	v_cndmask_b32_e64 v15, 0, 32, vcc
	v_ldexp_f32 v15, |v13|, v15
	v_log_f32_e32 v15, v15
	s_mov_b32 s6, 0x3f317217
	s_mov_b32 s7, 0x7f800000
	v_mul_f32_e32 v16, 0x3f317217, v15
	v_fma_f32 v17, v15, s6, -v16
	v_fmac_f32_e32 v17, 0x3377d1cf, v15
	v_add_f32_e32 v16, v16, v17
	v_cmp_lt_f32_e64 s[6:7], |v15|, s7
	v_cndmask_b32_e64 v15, v15, v16, s[6:7]
	v_mov_b32_e32 v16, 0x41b17218
	v_cndmask_b32_e32 v16, 0, v16, vcc
	s_mov_b32 s6, 0x3f3b4a23
	s_mov_b32 s7, 0xbeec5b0c
	v_sub_f32_e32 v15, v15, v16
	v_sub_f32_e64 v16, 1.0, |v13|
	v_add_f32_e64 v17, |v13|, s7
	v_cmp_lt_f32_e64 vcc, |v13|, s6
	s_mov_b32 s6, 0x3e6d3309
	v_cndmask_b32_e32 v16, v16, v17, vcc
	v_cndmask_b32_e64 v17, 0, 1, vcc
	v_cmp_lt_f32_e64 s[6:7], |v13|, s6
	v_xor_b32_e32 v15, 0x80000000, v15
	v_cndmask_b32_e64 v16, v16, |v13|, s[6:7]
	v_cndmask_b32_e64 v17, v17, 2, s[6:7]
.LBB155_151:
	s_andn2_saveexec_b64 s[6:7], s[14:15]
	s_cbranch_execz .LBB155_153
; %bb.152:
	s_mov_b32 s14, 0x3fdda512
	s_mov_b32 s15, 0xbfbb16c3
	v_sub_f32_e64 v15, 2.0, |v13|
	v_add_f32_e64 v16, |v13|, s15
	v_cmp_lt_f32_e64 vcc, |v13|, s14
	v_cndmask_b32_e32 v16, v15, v16, vcc
	v_cndmask_b32_e64 v15, v15, 1.0, vcc
	v_cvt_i32_f32_e32 v15, v15
	s_mov_b32 s14, 0x3f9d70a4
	v_add_f32_e64 v17, |v13|, -1.0
	v_cmp_lt_f32_e64 vcc, |v13|, s14
	v_cndmask_b32_e32 v16, v16, v17, vcc
	v_cndmask_b32_e64 v17, v15, 2, vcc
	v_mov_b32_e32 v15, 0
.LBB155_153:
	s_or_b64 exec, exec, s[6:7]
	v_cmp_lt_i32_e32 vcc, 0, v17
	s_and_saveexec_b64 s[6:7], vcc
	s_xor_b64 s[6:7], exec, s[6:7]
	s_cbranch_execz .LBB155_161
; %bb.154:
	v_cmp_lt_i32_e32 vcc, 1, v17
	s_and_saveexec_b64 s[14:15], vcc
	s_xor_b64 s[14:15], exec, s[14:15]
	s_cbranch_execz .LBB155_158
; %bb.155:
	v_cmp_eq_u32_e32 vcc, 2, v17
	s_and_saveexec_b64 s[16:17], vcc
	s_cbranch_execz .LBB155_157
; %bb.156:
	v_mov_b32_e32 v17, 0x3e6a7578
	v_fmac_f32_e32 v17, 0x3c5b3c5e, v16
	v_mov_b32_e32 v18, 0x3f7a4bb2
	v_fmac_f32_e32 v18, v16, v17
	;; [unrolled: 2-line block ×8, first 2 shown]
	v_fma_f32 v17, v16, v19, 1.0
	v_rcp_f32_e32 v17, v17
	v_mov_b32_e32 v19, 0xbd9e233f
	v_fmac_f32_e32 v19, v16, v18
	v_mul_f32_e32 v18, v16, v19
	v_mul_f32_e32 v17, v18, v17
	v_fmac_f32_e32 v17, -0.5, v16
	v_add_f32_e32 v15, v15, v17
.LBB155_157:
	s_or_b64 exec, exec, s[16:17]
                                        ; implicit-def: $vgpr16
.LBB155_158:
	s_andn2_saveexec_b64 s[14:15], s[14:15]
	s_cbranch_execz .LBB155_160
; %bb.159:
	v_mul_f32_e32 v17, v16, v16
	v_mul_f32_e32 v18, v16, v17
	v_mov_b32_e32 v19, 0xbab7f476
	v_fmac_f32_e32 v19, 0x39a57b6b, v18
	v_mov_b32_e32 v20, 0x3bc7e707
	v_fmac_f32_e32 v20, v18, v19
	;; [unrolled: 2-line block ×12, first 2 shown]
	v_fmac_f32_e32 v21, v16, v22
	s_mov_b32 s16, 0xa2863e55
	v_fma_f32 v16, v18, -v21, s16
	v_fma_f32 v16, v17, v20, -v16
	v_add_f32_e32 v16, 0xbdf8cdce, v16
	v_add_f32_e32 v15, v15, v16
.LBB155_160:
	s_or_b64 exec, exec, s[14:15]
                                        ; implicit-def: $vgpr17
                                        ; implicit-def: $vgpr16
.LBB155_161:
	s_andn2_saveexec_b64 s[6:7], s[6:7]
	s_cbranch_execz .LBB155_165
; %bb.162:
	v_cmp_eq_u32_e32 vcc, 0, v17
	s_and_saveexec_b64 s[14:15], vcc
	s_cbranch_execz .LBB155_164
; %bb.163:
	v_mul_f32_e32 v17, v16, v16
	v_mov_b32_e32 v18, 0x39679767
	v_fmac_f32_e32 v18, 0x37d383a2, v17
	v_mov_b32_e32 v19, 0x3a9c54a1
	v_fmac_f32_e32 v19, v17, v18
	;; [unrolled: 2-line block ×10, first 2 shown]
	v_mul_f32_e32 v17, v17, v19
	v_fmac_f32_e32 v17, v16, v18
	v_fmac_f32_e32 v17, -0.5, v16
	v_add_f32_e32 v15, v15, v17
.LBB155_164:
	s_or_b64 exec, exec, s[14:15]
.LBB155_165:
	s_or_b64 exec, exec, s[6:7]
.LBB155_166:
	s_or_b64 exec, exec, s[12:13]
.LBB155_167:
	s_andn2_saveexec_b64 s[8:9], s[8:9]
	s_cbranch_execz .LBB155_169
; %bb.168:
	s_mov_b32 s6, 0x3e8a8991
	v_mov_b32_e32 v15, 0xbecd26ab
	v_fma_f32 v15, |v13|, s6, v15
	s_mov_b32 s6, 0x3f528d33
	v_fma_f32 v15, |v13|, v15, s6
	s_mov_b32 s6, 0x800000
	v_cmp_lt_f32_e64 vcc, |v13|, s6
	v_cndmask_b32_e64 v16, 0, 32, vcc
	v_ldexp_f32 v16, |v13|, v16
	v_log_f32_e32 v16, v16
	s_mov_b32 s6, 0xbf13c468
	v_fma_f32 v15, |v13|, v15, s6
	s_mov_b32 s6, 0x3f317217
	v_mul_f32_e32 v17, 0x3f317217, v16
	v_fma_f32 v18, v16, s6, -v17
	v_fmac_f32_e32 v18, 0x3377d1cf, v16
	s_mov_b32 s6, 0x7f800000
	v_add_f32_e32 v17, v17, v18
	v_cmp_lt_f32_e64 s[6:7], |v16|, s6
	v_cndmask_b32_e64 v16, v16, v17, s[6:7]
	v_mov_b32_e32 v17, 0x41b17218
	v_cndmask_b32_e32 v17, 0, v17, vcc
	v_sub_f32_e32 v16, v16, v17
	v_fma_f32 v15, |v13|, v15, -v16
.LBB155_169:
	s_or_b64 exec, exec, s[8:9]
	v_cmp_le_f32_e32 vcc, 0, v13
	v_cmp_nle_f32_e64 s[6:7], 0, v13
	s_and_saveexec_b64 s[8:9], s[6:7]
	s_xor_b64 s[12:13], exec, s[8:9]
	s_cbranch_execz .LBB155_173
; %bb.170:
	s_mov_b32 s6, 0x4b000000
	s_mov_b32 s8, 0x35000000
	v_cmp_lt_f32_e64 s[6:7], |v13|, s6
	v_cmp_gt_f32_e64 s[8:9], |v13|, s8
	s_and_b64 s[6:7], s[6:7], s[8:9]
	s_and_saveexec_b64 s[14:15], s[6:7]
	s_cbranch_execz .LBB155_172
; %bb.171:
	v_mul_f32_e64 v16, |v13|, 0.5
	v_floor_f32_e32 v17, v16
	v_sub_f32_e32 v17, v16, v17
	v_min_f32_e32 v17, 0x3f7fffff, v17
	s_mov_b32 s8, 0x7f800000
	v_add_f32_e32 v17, v17, v17
	v_cmp_neq_f32_e64 s[6:7], s8, v16
	v_cndmask_b32_e64 v16, 0, v17, s[6:7]
	v_cmp_gt_f32_e64 s[6:7], |v13|, 1.0
	v_cndmask_b32_e64 v16, |v13|, v16, s[6:7]
	v_add_f32_e32 v17, v16, v16
	v_rndne_f32_e32 v17, v17
	v_fmac_f32_e32 v16, -0.5, v17
	v_mul_f32_e32 v18, v16, v16
	v_mov_b32_e32 v19, 0xbf1f24be
	v_fmac_f32_e32 v19, 0x3e75aa41, v18
	v_mov_b32_e32 v20, 0x40234736
	v_fmac_f32_e32 v20, v18, v19
	;; [unrolled: 2-line block ×3, first 2 shown]
	v_mul_f32_e32 v20, v16, v18
	v_mul_f32_e32 v19, v20, v19
	v_fmac_f32_e32 v19, 0x40490fdb, v16
	v_mov_b32_e32 v16, 0x3e642e9d
	v_cvt_i32_f32_e32 v17, v17
	v_fmac_f32_e32 v16, 0x3d4be544, v18
	v_mov_b32_e32 v20, 0xbfaad1da
	v_fmac_f32_e32 v20, v18, v16
	v_mov_b32_e32 v16, 0x4081e0d3
	v_fmac_f32_e32 v16, v18, v20
	v_mov_b32_e32 v20, 0xc09de9e6
	v_fmac_f32_e32 v20, v18, v16
	v_fma_f32 v16, v18, v20, 1.0
	v_and_b32_e32 v18, 1, v17
	v_cmp_eq_u32_e64 s[6:7], 0, v18
	v_cndmask_b32_e64 v16, v16, v19, s[6:7]
	v_lshlrev_b32_e32 v17, 30, v17
	s_brev_b32 s6, 1
	v_and_or_b32 v14, v17, s6, v14
	v_xor_b32_e32 v14, v14, v16
	v_xor_b32_e32 v14, v14, v13
	v_mul_f32_e32 v14, v13, v14
	v_frexp_mant_f32_e64 v16, |v14|
	v_rcp_f32_e32 v16, v16
	v_frexp_exp_i32_f32_e32 v14, v14
	v_sub_u32_e32 v14, 2, v14
	s_mov_b32 s6, 0x800000
	v_mul_f32_e32 v16, 0x3f490fdb, v16
	v_ldexp_f32 v14, v16, v14
	v_cmp_gt_f32_e64 s[6:7], s6, v14
	v_cndmask_b32_e64 v16, 0, 32, s[6:7]
	v_ldexp_f32 v14, v14, v16
	v_log_f32_e32 v14, v14
	s_mov_b32 s9, 0x3f317217
	v_mul_f32_e32 v16, 0x3f317217, v14
	v_fma_f32 v17, v14, s9, -v16
	v_fmac_f32_e32 v17, 0x3377d1cf, v14
	v_add_f32_e32 v16, v16, v17
	v_cmp_lt_f32_e64 s[8:9], |v14|, s8
	v_cndmask_b32_e64 v14, v14, v16, s[8:9]
	v_mov_b32_e32 v16, 0x41b17218
	v_cndmask_b32_e64 v16, 0, v16, s[6:7]
	v_sub_f32_e32 v14, v14, v16
	v_sub_f32_e32 v14, v14, v15
	v_floor_f32_e32 v15, v13
	v_sub_f32_e32 v15, v13, v15
	v_min_f32_e32 v15, 0x3f7fffff, v15
	v_mov_b32_e32 v16, 0x7f800000
	v_cmp_neq_f32_e64 s[6:7], 0, v15
	v_cndmask_b32_e64 v15, v16, v14, s[6:7]
.LBB155_172:
	s_or_b64 exec, exec, s[14:15]
.LBB155_173:
	s_andn2_saveexec_b64 s[12:13], s[12:13]
; %bb.174:
	v_cmp_eq_f32_e64 s[6:7], 1.0, v13
	v_cmp_eq_f32_e64 s[8:9], 2.0, v13
	s_or_b64 s[6:7], s[6:7], s[8:9]
	v_cndmask_b32_e64 v15, v15, 0, s[6:7]
; %bb.175:
	s_or_b64 exec, exec, s[12:13]
	s_mov_b32 s6, 0x4b000000
	v_cmp_lt_f32_e64 s[6:7], |v13|, s6
	v_mov_b32_e32 v14, 0x264
	v_mov_b32_e32 v16, 0x7f800000
	s_or_b64 vcc, vcc, s[6:7]
	v_cndmask_b32_e32 v15, v16, v15, vcc
	v_cmp_class_f32_e32 vcc, v13, v14
	v_cndmask_b32_e32 v14, v15, v16, vcc
	v_cmp_u_f32_e32 vcc, v13, v13
	v_cndmask_b32_e32 v13, v14, v13, vcc
	v_bfe_u32 v14, v13, 16, 1
	s_movk_i32 s6, 0x7fff
	v_add3_u32 v14, v13, v14, s6
	v_cmp_o_f32_e32 vcc, v13, v13
	v_mov_b32_e32 v13, 0x7fc0
	v_cndmask_b32_sdwa v14, v13, v14, vcc dst_sel:DWORD dst_unused:UNUSED_PAD src0_sel:DWORD src1_sel:WORD_1
.LBB155_176:
	s_or_b64 exec, exec, s[10:11]
	v_or_b32_e32 v13, 0x400, v7
	v_cmp_lt_i32_e32 vcc, v13, v4
                                        ; implicit-def: $vgpr13
	s_and_saveexec_b64 s[10:11], vcc
	s_cbranch_execz .LBB155_216
; %bb.177:
	s_mov_b32 s6, 0x3c800000
	v_and_b32_e32 v13, 0x7fffffff, v12
	v_cmp_nlt_f32_e64 s[6:7], |v12|, s6
                                        ; implicit-def: $vgpr15
	s_and_saveexec_b64 s[8:9], s[6:7]
	s_xor_b64 s[8:9], exec, s[8:9]
	s_cbranch_execz .LBB155_207
; %bb.178:
	v_cmp_nlt_f32_e64 s[6:7], |v12|, 2.0
                                        ; implicit-def: $vgpr15
	s_and_saveexec_b64 s[12:13], s[6:7]
	s_xor_b64 s[12:13], exec, s[12:13]
	s_cbranch_execz .LBB155_188
; %bb.179:
	s_mov_b32 s6, 0x41000000
	v_cmp_nlt_f32_e64 s[6:7], |v12|, s6
                                        ; implicit-def: $vgpr15
	s_and_saveexec_b64 s[14:15], s[6:7]
	s_xor_b64 s[14:15], exec, s[14:15]
	s_cbranch_execz .LBB155_185
; %bb.180:
	s_mov_b32 s6, 0x5c800000
	v_cmp_nlt_f32_e64 s[6:7], |v12|, s6
                                        ; implicit-def: $vgpr15
	s_and_saveexec_b64 s[16:17], s[6:7]
	s_xor_b64 s[16:17], exec, s[16:17]
	s_cbranch_execz .LBB155_182
; %bb.181:
	s_mov_b32 s6, 0x800000
	v_cmp_lt_f32_e64 vcc, |v12|, s6
	v_cndmask_b32_e64 v15, 0, 32, vcc
	v_ldexp_f32 v15, |v12|, v15
	v_log_f32_e32 v15, v15
	s_mov_b32 s6, 0x3f317217
	s_mov_b32 s7, 0x7f800000
	v_mul_f32_e32 v16, 0x3f317217, v15
	v_fma_f32 v17, v15, s6, -v16
	v_fmac_f32_e32 v17, 0x3377d1cf, v15
	v_add_f32_e32 v16, v16, v17
	v_cmp_lt_f32_e64 s[6:7], |v15|, s7
	v_cndmask_b32_e64 v15, v15, v16, s[6:7]
	v_mov_b32_e32 v16, 0x41b17218
	v_cndmask_b32_e32 v16, 0, v16, vcc
	v_sub_f32_e32 v15, v15, v16
	v_fma_f32 v15, |v12|, v15, -|v12|
.LBB155_182:
	s_andn2_saveexec_b64 s[16:17], s[16:17]
	s_cbranch_execz .LBB155_184
; %bb.183:
	v_rcp_f32_e64 v16, |v12|
	v_mov_b32_e32 v15, 0x3a5b3dd2
	v_mov_b32_e32 v17, 0xba1c065c
	;; [unrolled: 1-line block ×3, first 2 shown]
	v_mul_f32_e32 v19, v16, v16
	v_fmac_f32_e32 v15, 0xbad5c4e8, v19
	v_fmac_f32_e32 v17, v19, v15
	s_mov_b32 s6, 0x800000
	v_fmac_f32_e32 v18, v19, v17
	v_mov_b32_e32 v15, 0xbb360b61
	v_cmp_lt_f32_e64 vcc, |v12|, s6
	v_fmac_f32_e32 v15, v19, v18
	v_cndmask_b32_e64 v18, 0, 32, vcc
	v_ldexp_f32 v18, |v12|, v18
	v_log_f32_e32 v18, v18
	v_mov_b32_e32 v17, 0x3daaaaab
	v_fmac_f32_e32 v17, v19, v15
	v_mov_b32_e32 v15, 0x3ed67f1d
	v_fmac_f32_e32 v15, v16, v17
	s_mov_b32 s6, 0x3f317217
	v_mul_f32_e32 v17, 0x3f317217, v18
	v_fma_f32 v19, v18, s6, -v17
	v_fmac_f32_e32 v19, 0x3377d1cf, v18
	s_mov_b32 s6, 0x7f800000
	v_add_f32_e32 v17, v17, v19
	v_cmp_lt_f32_e64 s[6:7], |v18|, s6
	v_cndmask_b32_e64 v17, v18, v17, s[6:7]
	v_mov_b32_e32 v18, 0x41b17218
	v_cndmask_b32_e32 v18, 0, v18, vcc
	v_sub_f32_e32 v17, v17, v18
	v_add_f32_e64 v16, |v12|, -0.5
	v_add_f32_e32 v17, -1.0, v17
	v_fmac_f32_e32 v15, v16, v17
.LBB155_184:
	s_or_b64 exec, exec, s[16:17]
.LBB155_185:
	s_andn2_saveexec_b64 s[14:15], s[14:15]
	s_cbranch_execz .LBB155_187
; %bb.186:
	v_cvt_i32_f32_e32 v15, v13
	v_mov_b32_e32 v17, 0x3af135b4
	v_mov_b32_e32 v18, 0x3cda40e4
	;; [unrolled: 1-line block ×3, first 2 shown]
	v_cvt_f32_i32_e32 v16, v15
	v_cmp_lt_i32_e32 vcc, 2, v15
	s_mov_b32 s6, 0x800000
	v_sub_f32_e64 v16, |v12|, v16
	v_fmac_f32_e32 v17, 0x3805ff67, v16
	v_fmac_f32_e32 v18, v16, v17
	v_mov_b32_e32 v17, 0x3e15dce6
	v_fmac_f32_e32 v17, v16, v18
	v_mov_b32_e32 v18, 0x3ea6cc7a
	;; [unrolled: 2-line block ×4, first 2 shown]
	v_fmac_f32_e32 v18, v16, v17
	v_mul_f32_e32 v17, v16, v18
	v_mov_b32_e32 v18, 0x3a4beed6
	v_fmac_f32_e32 v18, 0x36f5d7bd, v16
	v_fmac_f32_e32 v19, v16, v18
	v_mov_b32_e32 v18, 0x3e300f6e
	v_fmac_f32_e32 v18, v16, v19
	v_mov_b32_e32 v19, 0x3f38d0c5
	;; [unrolled: 2-line block ×3, first 2 shown]
	v_fmac_f32_e32 v18, v16, v19
	v_fma_f32 v18, v16, v18, 1.0
	v_rcp_f32_e32 v18, v18
	v_add_f32_e32 v19, 0x40400000, v16
	v_add_f32_e32 v20, 4.0, v16
	v_add_f32_e32 v21, 0x40a00000, v16
	v_mul_f32_e32 v17, v17, v18
	v_add_f32_e32 v18, 2.0, v16
	v_cndmask_b32_e32 v18, 1.0, v18, vcc
	v_cmp_lt_i32_e32 vcc, 3, v15
	v_cndmask_b32_e32 v19, 1.0, v19, vcc
	v_cmp_lt_i32_e32 vcc, 4, v15
	v_mul_f32_e32 v18, v18, v19
	v_cndmask_b32_e32 v19, 1.0, v20, vcc
	v_cmp_lt_i32_e32 vcc, 5, v15
	v_fmac_f32_e32 v17, 0.5, v16
	v_add_f32_e32 v16, 0x40c00000, v16
	v_mul_f32_e32 v18, v19, v18
	v_cndmask_b32_e32 v19, 1.0, v21, vcc
	v_cmp_lt_i32_e32 vcc, 6, v15
	v_mul_f32_e32 v18, v19, v18
	v_cndmask_b32_e32 v15, 1.0, v16, vcc
	v_mul_f32_e32 v15, v15, v18
	v_cmp_gt_f32_e32 vcc, s6, v15
	v_cndmask_b32_e64 v16, 0, 32, vcc
	v_ldexp_f32 v15, v15, v16
	v_log_f32_e32 v15, v15
	s_mov_b32 s6, 0x3f317217
	v_mul_f32_e32 v16, 0x3f317217, v15
	v_fma_f32 v18, v15, s6, -v16
	v_fmac_f32_e32 v18, 0x3377d1cf, v15
	s_mov_b32 s6, 0x7f800000
	v_add_f32_e32 v16, v16, v18
	v_cmp_lt_f32_e64 s[6:7], |v15|, s6
	v_cndmask_b32_e64 v15, v15, v16, s[6:7]
	v_mov_b32_e32 v16, 0x41b17218
	v_cndmask_b32_e32 v16, 0, v16, vcc
	v_sub_f32_e32 v15, v15, v16
	v_add_f32_e32 v15, v15, v17
.LBB155_187:
	s_or_b64 exec, exec, s[14:15]
.LBB155_188:
	s_andn2_saveexec_b64 s[12:13], s[12:13]
	s_cbranch_execz .LBB155_206
; %bb.189:
	s_mov_b32 s6, 0x3f666666
	v_cmp_le_f32_e64 s[6:7], |v12|, s6
                                        ; implicit-def: $vgpr15
                                        ; implicit-def: $vgpr17
                                        ; implicit-def: $vgpr16
	s_and_saveexec_b64 s[14:15], s[6:7]
	s_xor_b64 s[14:15], exec, s[14:15]
	s_cbranch_execz .LBB155_191
; %bb.190:
	s_mov_b32 s6, 0x800000
	v_cmp_lt_f32_e64 vcc, |v12|, s6
	v_cndmask_b32_e64 v15, 0, 32, vcc
	v_ldexp_f32 v15, |v12|, v15
	v_log_f32_e32 v15, v15
	s_mov_b32 s6, 0x3f317217
	s_mov_b32 s7, 0x7f800000
	v_mul_f32_e32 v16, 0x3f317217, v15
	v_fma_f32 v17, v15, s6, -v16
	v_fmac_f32_e32 v17, 0x3377d1cf, v15
	v_add_f32_e32 v16, v16, v17
	v_cmp_lt_f32_e64 s[6:7], |v15|, s7
	v_cndmask_b32_e64 v15, v15, v16, s[6:7]
	v_mov_b32_e32 v16, 0x41b17218
	v_cndmask_b32_e32 v16, 0, v16, vcc
	s_mov_b32 s6, 0x3f3b4a23
	s_mov_b32 s7, 0xbeec5b0c
	v_sub_f32_e32 v15, v15, v16
	v_sub_f32_e64 v16, 1.0, |v12|
	v_add_f32_e64 v17, |v12|, s7
	v_cmp_lt_f32_e64 vcc, |v12|, s6
	s_mov_b32 s6, 0x3e6d3309
	v_cndmask_b32_e32 v16, v16, v17, vcc
	v_cndmask_b32_e64 v17, 0, 1, vcc
	v_cmp_lt_f32_e64 s[6:7], |v12|, s6
	v_xor_b32_e32 v15, 0x80000000, v15
	v_cndmask_b32_e64 v16, v16, |v12|, s[6:7]
	v_cndmask_b32_e64 v17, v17, 2, s[6:7]
.LBB155_191:
	s_andn2_saveexec_b64 s[6:7], s[14:15]
	s_cbranch_execz .LBB155_193
; %bb.192:
	s_mov_b32 s14, 0x3fdda512
	s_mov_b32 s15, 0xbfbb16c3
	v_sub_f32_e64 v15, 2.0, |v12|
	v_add_f32_e64 v16, |v12|, s15
	v_cmp_lt_f32_e64 vcc, |v12|, s14
	v_cndmask_b32_e32 v16, v15, v16, vcc
	v_cndmask_b32_e64 v15, v15, 1.0, vcc
	v_cvt_i32_f32_e32 v15, v15
	s_mov_b32 s14, 0x3f9d70a4
	v_add_f32_e64 v17, |v12|, -1.0
	v_cmp_lt_f32_e64 vcc, |v12|, s14
	v_cndmask_b32_e32 v16, v16, v17, vcc
	v_cndmask_b32_e64 v17, v15, 2, vcc
	v_mov_b32_e32 v15, 0
.LBB155_193:
	s_or_b64 exec, exec, s[6:7]
	v_cmp_lt_i32_e32 vcc, 0, v17
	s_and_saveexec_b64 s[6:7], vcc
	s_xor_b64 s[6:7], exec, s[6:7]
	s_cbranch_execz .LBB155_201
; %bb.194:
	v_cmp_lt_i32_e32 vcc, 1, v17
	s_and_saveexec_b64 s[14:15], vcc
	s_xor_b64 s[14:15], exec, s[14:15]
	s_cbranch_execz .LBB155_198
; %bb.195:
	v_cmp_eq_u32_e32 vcc, 2, v17
	s_and_saveexec_b64 s[16:17], vcc
	s_cbranch_execz .LBB155_197
; %bb.196:
	v_mov_b32_e32 v17, 0x3e6a7578
	v_fmac_f32_e32 v17, 0x3c5b3c5e, v16
	v_mov_b32_e32 v18, 0x3f7a4bb2
	v_fmac_f32_e32 v18, v16, v17
	;; [unrolled: 2-line block ×8, first 2 shown]
	v_fma_f32 v17, v16, v19, 1.0
	v_rcp_f32_e32 v17, v17
	v_mov_b32_e32 v19, 0xbd9e233f
	v_fmac_f32_e32 v19, v16, v18
	v_mul_f32_e32 v18, v16, v19
	v_mul_f32_e32 v17, v18, v17
	v_fmac_f32_e32 v17, -0.5, v16
	v_add_f32_e32 v15, v15, v17
.LBB155_197:
	s_or_b64 exec, exec, s[16:17]
                                        ; implicit-def: $vgpr16
.LBB155_198:
	s_andn2_saveexec_b64 s[14:15], s[14:15]
	s_cbranch_execz .LBB155_200
; %bb.199:
	v_mul_f32_e32 v17, v16, v16
	v_mul_f32_e32 v18, v16, v17
	v_mov_b32_e32 v19, 0xbab7f476
	v_fmac_f32_e32 v19, 0x39a57b6b, v18
	v_mov_b32_e32 v20, 0x3bc7e707
	v_fmac_f32_e32 v20, v18, v19
	;; [unrolled: 2-line block ×12, first 2 shown]
	v_fmac_f32_e32 v21, v16, v22
	s_mov_b32 s16, 0xa2863e55
	v_fma_f32 v16, v18, -v21, s16
	v_fma_f32 v16, v17, v20, -v16
	v_add_f32_e32 v16, 0xbdf8cdce, v16
	v_add_f32_e32 v15, v15, v16
.LBB155_200:
	s_or_b64 exec, exec, s[14:15]
                                        ; implicit-def: $vgpr17
                                        ; implicit-def: $vgpr16
.LBB155_201:
	s_andn2_saveexec_b64 s[6:7], s[6:7]
	s_cbranch_execz .LBB155_205
; %bb.202:
	v_cmp_eq_u32_e32 vcc, 0, v17
	s_and_saveexec_b64 s[14:15], vcc
	s_cbranch_execz .LBB155_204
; %bb.203:
	v_mul_f32_e32 v17, v16, v16
	v_mov_b32_e32 v18, 0x39679767
	v_fmac_f32_e32 v18, 0x37d383a2, v17
	v_mov_b32_e32 v19, 0x3a9c54a1
	v_fmac_f32_e32 v19, v17, v18
	;; [unrolled: 2-line block ×10, first 2 shown]
	v_mul_f32_e32 v17, v17, v19
	v_fmac_f32_e32 v17, v16, v18
	v_fmac_f32_e32 v17, -0.5, v16
	v_add_f32_e32 v15, v15, v17
.LBB155_204:
	s_or_b64 exec, exec, s[14:15]
.LBB155_205:
	s_or_b64 exec, exec, s[6:7]
.LBB155_206:
	s_or_b64 exec, exec, s[12:13]
.LBB155_207:
	s_andn2_saveexec_b64 s[8:9], s[8:9]
	s_cbranch_execz .LBB155_209
; %bb.208:
	s_mov_b32 s6, 0x3e8a8991
	v_mov_b32_e32 v15, 0xbecd26ab
	v_fma_f32 v15, |v12|, s6, v15
	s_mov_b32 s6, 0x3f528d33
	v_fma_f32 v15, |v12|, v15, s6
	s_mov_b32 s6, 0x800000
	v_cmp_lt_f32_e64 vcc, |v12|, s6
	v_cndmask_b32_e64 v16, 0, 32, vcc
	v_ldexp_f32 v16, |v12|, v16
	v_log_f32_e32 v16, v16
	s_mov_b32 s6, 0xbf13c468
	v_fma_f32 v15, |v12|, v15, s6
	s_mov_b32 s6, 0x3f317217
	v_mul_f32_e32 v17, 0x3f317217, v16
	v_fma_f32 v18, v16, s6, -v17
	v_fmac_f32_e32 v18, 0x3377d1cf, v16
	s_mov_b32 s6, 0x7f800000
	v_add_f32_e32 v17, v17, v18
	v_cmp_lt_f32_e64 s[6:7], |v16|, s6
	v_cndmask_b32_e64 v16, v16, v17, s[6:7]
	v_mov_b32_e32 v17, 0x41b17218
	v_cndmask_b32_e32 v17, 0, v17, vcc
	v_sub_f32_e32 v16, v16, v17
	v_fma_f32 v15, |v12|, v15, -v16
.LBB155_209:
	s_or_b64 exec, exec, s[8:9]
	v_cmp_le_f32_e32 vcc, 0, v12
	v_cmp_nle_f32_e64 s[6:7], 0, v12
	s_and_saveexec_b64 s[8:9], s[6:7]
	s_xor_b64 s[12:13], exec, s[8:9]
	s_cbranch_execz .LBB155_213
; %bb.210:
	s_mov_b32 s6, 0x4b000000
	s_mov_b32 s8, 0x35000000
	v_cmp_lt_f32_e64 s[6:7], |v12|, s6
	v_cmp_gt_f32_e64 s[8:9], |v12|, s8
	s_and_b64 s[6:7], s[6:7], s[8:9]
	s_and_saveexec_b64 s[14:15], s[6:7]
	s_cbranch_execz .LBB155_212
; %bb.211:
	v_mul_f32_e64 v16, |v12|, 0.5
	v_floor_f32_e32 v17, v16
	v_sub_f32_e32 v17, v16, v17
	v_min_f32_e32 v17, 0x3f7fffff, v17
	s_mov_b32 s8, 0x7f800000
	v_add_f32_e32 v17, v17, v17
	v_cmp_neq_f32_e64 s[6:7], s8, v16
	v_cndmask_b32_e64 v16, 0, v17, s[6:7]
	v_cmp_gt_f32_e64 s[6:7], |v12|, 1.0
	v_cndmask_b32_e64 v16, |v12|, v16, s[6:7]
	v_add_f32_e32 v17, v16, v16
	v_rndne_f32_e32 v17, v17
	v_fmac_f32_e32 v16, -0.5, v17
	v_mul_f32_e32 v18, v16, v16
	v_mov_b32_e32 v19, 0xbf1f24be
	v_fmac_f32_e32 v19, 0x3e75aa41, v18
	v_mov_b32_e32 v20, 0x40234736
	v_fmac_f32_e32 v20, v18, v19
	;; [unrolled: 2-line block ×3, first 2 shown]
	v_mul_f32_e32 v20, v16, v18
	v_mul_f32_e32 v19, v20, v19
	v_fmac_f32_e32 v19, 0x40490fdb, v16
	v_mov_b32_e32 v16, 0x3e642e9d
	v_cvt_i32_f32_e32 v17, v17
	v_fmac_f32_e32 v16, 0x3d4be544, v18
	v_mov_b32_e32 v20, 0xbfaad1da
	v_fmac_f32_e32 v20, v18, v16
	v_mov_b32_e32 v16, 0x4081e0d3
	;; [unrolled: 2-line block ×3, first 2 shown]
	v_fmac_f32_e32 v20, v18, v16
	v_fma_f32 v16, v18, v20, 1.0
	v_and_b32_e32 v18, 1, v17
	v_cmp_eq_u32_e64 s[6:7], 0, v18
	v_cndmask_b32_e64 v16, v16, v19, s[6:7]
	v_lshlrev_b32_e32 v17, 30, v17
	s_brev_b32 s6, 1
	v_and_or_b32 v13, v17, s6, v13
	v_xor_b32_e32 v13, v13, v16
	v_xor_b32_e32 v13, v13, v12
	v_mul_f32_e32 v13, v12, v13
	v_frexp_mant_f32_e64 v16, |v13|
	v_rcp_f32_e32 v16, v16
	v_frexp_exp_i32_f32_e32 v13, v13
	v_sub_u32_e32 v13, 2, v13
	s_mov_b32 s6, 0x800000
	v_mul_f32_e32 v16, 0x3f490fdb, v16
	v_ldexp_f32 v13, v16, v13
	v_cmp_gt_f32_e64 s[6:7], s6, v13
	v_cndmask_b32_e64 v16, 0, 32, s[6:7]
	v_ldexp_f32 v13, v13, v16
	v_log_f32_e32 v13, v13
	s_mov_b32 s9, 0x3f317217
	v_mul_f32_e32 v16, 0x3f317217, v13
	v_fma_f32 v17, v13, s9, -v16
	v_fmac_f32_e32 v17, 0x3377d1cf, v13
	v_add_f32_e32 v16, v16, v17
	v_cmp_lt_f32_e64 s[8:9], |v13|, s8
	v_cndmask_b32_e64 v13, v13, v16, s[8:9]
	v_mov_b32_e32 v16, 0x41b17218
	v_cndmask_b32_e64 v16, 0, v16, s[6:7]
	v_sub_f32_e32 v13, v13, v16
	v_sub_f32_e32 v13, v13, v15
	v_floor_f32_e32 v15, v12
	v_sub_f32_e32 v15, v12, v15
	v_min_f32_e32 v15, 0x3f7fffff, v15
	v_mov_b32_e32 v16, 0x7f800000
	v_cmp_neq_f32_e64 s[6:7], 0, v15
	v_cndmask_b32_e64 v15, v16, v13, s[6:7]
.LBB155_212:
	s_or_b64 exec, exec, s[14:15]
.LBB155_213:
	s_andn2_saveexec_b64 s[12:13], s[12:13]
; %bb.214:
	v_cmp_eq_f32_e64 s[6:7], 1.0, v12
	v_cmp_eq_f32_e64 s[8:9], 2.0, v12
	s_or_b64 s[6:7], s[6:7], s[8:9]
	v_cndmask_b32_e64 v15, v15, 0, s[6:7]
; %bb.215:
	s_or_b64 exec, exec, s[12:13]
	s_mov_b32 s6, 0x4b000000
	v_cmp_lt_f32_e64 s[6:7], |v12|, s6
	v_mov_b32_e32 v13, 0x264
	v_mov_b32_e32 v16, 0x7f800000
	s_or_b64 vcc, vcc, s[6:7]
	v_cndmask_b32_e32 v15, v16, v15, vcc
	v_cmp_class_f32_e32 vcc, v12, v13
	v_cndmask_b32_e32 v13, v15, v16, vcc
	v_cmp_u_f32_e32 vcc, v12, v12
	v_cndmask_b32_e32 v12, v13, v12, vcc
	v_bfe_u32 v13, v12, 16, 1
	s_movk_i32 s6, 0x7fff
	v_add3_u32 v13, v12, v13, s6
	v_cmp_o_f32_e32 vcc, v12, v12
	v_mov_b32_e32 v12, 0x7fc0
	v_cndmask_b32_sdwa v13, v12, v13, vcc dst_sel:DWORD dst_unused:UNUSED_PAD src0_sel:DWORD src1_sel:WORD_1
.LBB155_216:
	s_or_b64 exec, exec, s[10:11]
	v_add_u32_e32 v12, 0x500, v7
	v_cmp_lt_i32_e32 vcc, v12, v4
                                        ; implicit-def: $vgpr12
	s_and_saveexec_b64 s[10:11], vcc
	s_cbranch_execz .LBB155_256
; %bb.217:
	s_mov_b32 s6, 0x3c800000
	v_and_b32_e32 v12, 0x7fffffff, v9
	v_cmp_nlt_f32_e64 s[6:7], |v9|, s6
                                        ; implicit-def: $vgpr15
	s_and_saveexec_b64 s[8:9], s[6:7]
	s_xor_b64 s[8:9], exec, s[8:9]
	s_cbranch_execz .LBB155_247
; %bb.218:
	v_cmp_nlt_f32_e64 s[6:7], |v9|, 2.0
                                        ; implicit-def: $vgpr15
	s_and_saveexec_b64 s[12:13], s[6:7]
	s_xor_b64 s[12:13], exec, s[12:13]
	s_cbranch_execz .LBB155_228
; %bb.219:
	s_mov_b32 s6, 0x41000000
	v_cmp_nlt_f32_e64 s[6:7], |v9|, s6
                                        ; implicit-def: $vgpr15
	s_and_saveexec_b64 s[14:15], s[6:7]
	s_xor_b64 s[14:15], exec, s[14:15]
	s_cbranch_execz .LBB155_225
; %bb.220:
	s_mov_b32 s6, 0x5c800000
	v_cmp_nlt_f32_e64 s[6:7], |v9|, s6
                                        ; implicit-def: $vgpr15
	s_and_saveexec_b64 s[16:17], s[6:7]
	s_xor_b64 s[16:17], exec, s[16:17]
	s_cbranch_execz .LBB155_222
; %bb.221:
	s_mov_b32 s6, 0x800000
	v_cmp_lt_f32_e64 vcc, |v9|, s6
	v_cndmask_b32_e64 v15, 0, 32, vcc
	v_ldexp_f32 v15, |v9|, v15
	v_log_f32_e32 v15, v15
	s_mov_b32 s6, 0x3f317217
	s_mov_b32 s7, 0x7f800000
	v_mul_f32_e32 v16, 0x3f317217, v15
	v_fma_f32 v17, v15, s6, -v16
	v_fmac_f32_e32 v17, 0x3377d1cf, v15
	v_add_f32_e32 v16, v16, v17
	v_cmp_lt_f32_e64 s[6:7], |v15|, s7
	v_cndmask_b32_e64 v15, v15, v16, s[6:7]
	v_mov_b32_e32 v16, 0x41b17218
	v_cndmask_b32_e32 v16, 0, v16, vcc
	v_sub_f32_e32 v15, v15, v16
	v_fma_f32 v15, |v9|, v15, -|v9|
.LBB155_222:
	s_andn2_saveexec_b64 s[16:17], s[16:17]
	s_cbranch_execz .LBB155_224
; %bb.223:
	v_rcp_f32_e64 v16, |v9|
	v_mov_b32_e32 v15, 0x3a5b3dd2
	v_mov_b32_e32 v17, 0xba1c065c
	;; [unrolled: 1-line block ×3, first 2 shown]
	v_mul_f32_e32 v19, v16, v16
	v_fmac_f32_e32 v15, 0xbad5c4e8, v19
	v_fmac_f32_e32 v17, v19, v15
	s_mov_b32 s6, 0x800000
	v_fmac_f32_e32 v18, v19, v17
	v_mov_b32_e32 v15, 0xbb360b61
	v_cmp_lt_f32_e64 vcc, |v9|, s6
	v_fmac_f32_e32 v15, v19, v18
	v_cndmask_b32_e64 v18, 0, 32, vcc
	v_ldexp_f32 v18, |v9|, v18
	v_log_f32_e32 v18, v18
	v_mov_b32_e32 v17, 0x3daaaaab
	v_fmac_f32_e32 v17, v19, v15
	v_mov_b32_e32 v15, 0x3ed67f1d
	v_fmac_f32_e32 v15, v16, v17
	s_mov_b32 s6, 0x3f317217
	v_mul_f32_e32 v17, 0x3f317217, v18
	v_fma_f32 v19, v18, s6, -v17
	v_fmac_f32_e32 v19, 0x3377d1cf, v18
	s_mov_b32 s6, 0x7f800000
	v_add_f32_e32 v17, v17, v19
	v_cmp_lt_f32_e64 s[6:7], |v18|, s6
	v_cndmask_b32_e64 v17, v18, v17, s[6:7]
	v_mov_b32_e32 v18, 0x41b17218
	v_cndmask_b32_e32 v18, 0, v18, vcc
	v_sub_f32_e32 v17, v17, v18
	v_add_f32_e64 v16, |v9|, -0.5
	v_add_f32_e32 v17, -1.0, v17
	v_fmac_f32_e32 v15, v16, v17
.LBB155_224:
	s_or_b64 exec, exec, s[16:17]
.LBB155_225:
	s_andn2_saveexec_b64 s[14:15], s[14:15]
	s_cbranch_execz .LBB155_227
; %bb.226:
	v_cvt_i32_f32_e32 v15, v12
	v_mov_b32_e32 v17, 0x3af135b4
	v_mov_b32_e32 v18, 0x3cda40e4
	;; [unrolled: 1-line block ×3, first 2 shown]
	v_cvt_f32_i32_e32 v16, v15
	v_cmp_lt_i32_e32 vcc, 2, v15
	s_mov_b32 s6, 0x800000
	v_sub_f32_e64 v16, |v9|, v16
	v_fmac_f32_e32 v17, 0x3805ff67, v16
	v_fmac_f32_e32 v18, v16, v17
	v_mov_b32_e32 v17, 0x3e15dce6
	v_fmac_f32_e32 v17, v16, v18
	v_mov_b32_e32 v18, 0x3ea6cc7a
	;; [unrolled: 2-line block ×4, first 2 shown]
	v_fmac_f32_e32 v18, v16, v17
	v_mul_f32_e32 v17, v16, v18
	v_mov_b32_e32 v18, 0x3a4beed6
	v_fmac_f32_e32 v18, 0x36f5d7bd, v16
	v_fmac_f32_e32 v19, v16, v18
	v_mov_b32_e32 v18, 0x3e300f6e
	v_fmac_f32_e32 v18, v16, v19
	v_mov_b32_e32 v19, 0x3f38d0c5
	;; [unrolled: 2-line block ×3, first 2 shown]
	v_fmac_f32_e32 v18, v16, v19
	v_fma_f32 v18, v16, v18, 1.0
	v_rcp_f32_e32 v18, v18
	v_add_f32_e32 v19, 0x40400000, v16
	v_add_f32_e32 v20, 4.0, v16
	v_add_f32_e32 v21, 0x40a00000, v16
	v_mul_f32_e32 v17, v17, v18
	v_add_f32_e32 v18, 2.0, v16
	v_cndmask_b32_e32 v18, 1.0, v18, vcc
	v_cmp_lt_i32_e32 vcc, 3, v15
	v_cndmask_b32_e32 v19, 1.0, v19, vcc
	v_cmp_lt_i32_e32 vcc, 4, v15
	v_mul_f32_e32 v18, v18, v19
	v_cndmask_b32_e32 v19, 1.0, v20, vcc
	v_cmp_lt_i32_e32 vcc, 5, v15
	v_fmac_f32_e32 v17, 0.5, v16
	v_add_f32_e32 v16, 0x40c00000, v16
	v_mul_f32_e32 v18, v19, v18
	v_cndmask_b32_e32 v19, 1.0, v21, vcc
	v_cmp_lt_i32_e32 vcc, 6, v15
	v_mul_f32_e32 v18, v19, v18
	v_cndmask_b32_e32 v15, 1.0, v16, vcc
	v_mul_f32_e32 v15, v15, v18
	v_cmp_gt_f32_e32 vcc, s6, v15
	v_cndmask_b32_e64 v16, 0, 32, vcc
	v_ldexp_f32 v15, v15, v16
	v_log_f32_e32 v15, v15
	s_mov_b32 s6, 0x3f317217
	v_mul_f32_e32 v16, 0x3f317217, v15
	v_fma_f32 v18, v15, s6, -v16
	v_fmac_f32_e32 v18, 0x3377d1cf, v15
	s_mov_b32 s6, 0x7f800000
	v_add_f32_e32 v16, v16, v18
	v_cmp_lt_f32_e64 s[6:7], |v15|, s6
	v_cndmask_b32_e64 v15, v15, v16, s[6:7]
	v_mov_b32_e32 v16, 0x41b17218
	v_cndmask_b32_e32 v16, 0, v16, vcc
	v_sub_f32_e32 v15, v15, v16
	v_add_f32_e32 v15, v15, v17
.LBB155_227:
	s_or_b64 exec, exec, s[14:15]
.LBB155_228:
	s_andn2_saveexec_b64 s[12:13], s[12:13]
	s_cbranch_execz .LBB155_246
; %bb.229:
	s_mov_b32 s6, 0x3f666666
	v_cmp_le_f32_e64 s[6:7], |v9|, s6
                                        ; implicit-def: $vgpr15
                                        ; implicit-def: $vgpr17
                                        ; implicit-def: $vgpr16
	s_and_saveexec_b64 s[14:15], s[6:7]
	s_xor_b64 s[14:15], exec, s[14:15]
	s_cbranch_execz .LBB155_231
; %bb.230:
	s_mov_b32 s6, 0x800000
	v_cmp_lt_f32_e64 vcc, |v9|, s6
	v_cndmask_b32_e64 v15, 0, 32, vcc
	v_ldexp_f32 v15, |v9|, v15
	v_log_f32_e32 v15, v15
	s_mov_b32 s6, 0x3f317217
	s_mov_b32 s7, 0x7f800000
	v_mul_f32_e32 v16, 0x3f317217, v15
	v_fma_f32 v17, v15, s6, -v16
	v_fmac_f32_e32 v17, 0x3377d1cf, v15
	v_add_f32_e32 v16, v16, v17
	v_cmp_lt_f32_e64 s[6:7], |v15|, s7
	v_cndmask_b32_e64 v15, v15, v16, s[6:7]
	v_mov_b32_e32 v16, 0x41b17218
	v_cndmask_b32_e32 v16, 0, v16, vcc
	s_mov_b32 s6, 0x3f3b4a23
	s_mov_b32 s7, 0xbeec5b0c
	v_sub_f32_e32 v15, v15, v16
	v_sub_f32_e64 v16, 1.0, |v9|
	v_add_f32_e64 v17, |v9|, s7
	v_cmp_lt_f32_e64 vcc, |v9|, s6
	s_mov_b32 s6, 0x3e6d3309
	v_cndmask_b32_e32 v16, v16, v17, vcc
	v_cndmask_b32_e64 v17, 0, 1, vcc
	v_cmp_lt_f32_e64 s[6:7], |v9|, s6
	v_xor_b32_e32 v15, 0x80000000, v15
	v_cndmask_b32_e64 v16, v16, |v9|, s[6:7]
	v_cndmask_b32_e64 v17, v17, 2, s[6:7]
.LBB155_231:
	s_andn2_saveexec_b64 s[6:7], s[14:15]
	s_cbranch_execz .LBB155_233
; %bb.232:
	s_mov_b32 s14, 0x3fdda512
	s_mov_b32 s15, 0xbfbb16c3
	v_sub_f32_e64 v15, 2.0, |v9|
	v_add_f32_e64 v16, |v9|, s15
	v_cmp_lt_f32_e64 vcc, |v9|, s14
	v_cndmask_b32_e32 v16, v15, v16, vcc
	v_cndmask_b32_e64 v15, v15, 1.0, vcc
	v_cvt_i32_f32_e32 v15, v15
	s_mov_b32 s14, 0x3f9d70a4
	v_add_f32_e64 v17, |v9|, -1.0
	v_cmp_lt_f32_e64 vcc, |v9|, s14
	v_cndmask_b32_e32 v16, v16, v17, vcc
	v_cndmask_b32_e64 v17, v15, 2, vcc
	v_mov_b32_e32 v15, 0
.LBB155_233:
	s_or_b64 exec, exec, s[6:7]
	v_cmp_lt_i32_e32 vcc, 0, v17
	s_and_saveexec_b64 s[6:7], vcc
	s_xor_b64 s[6:7], exec, s[6:7]
	s_cbranch_execz .LBB155_241
; %bb.234:
	v_cmp_lt_i32_e32 vcc, 1, v17
	s_and_saveexec_b64 s[14:15], vcc
	s_xor_b64 s[14:15], exec, s[14:15]
	s_cbranch_execz .LBB155_238
; %bb.235:
	v_cmp_eq_u32_e32 vcc, 2, v17
	s_and_saveexec_b64 s[16:17], vcc
	s_cbranch_execz .LBB155_237
; %bb.236:
	v_mov_b32_e32 v17, 0x3e6a7578
	v_fmac_f32_e32 v17, 0x3c5b3c5e, v16
	v_mov_b32_e32 v18, 0x3f7a4bb2
	v_fmac_f32_e32 v18, v16, v17
	;; [unrolled: 2-line block ×8, first 2 shown]
	v_fma_f32 v17, v16, v19, 1.0
	v_rcp_f32_e32 v17, v17
	v_mov_b32_e32 v19, 0xbd9e233f
	v_fmac_f32_e32 v19, v16, v18
	v_mul_f32_e32 v18, v16, v19
	v_mul_f32_e32 v17, v18, v17
	v_fmac_f32_e32 v17, -0.5, v16
	v_add_f32_e32 v15, v15, v17
.LBB155_237:
	s_or_b64 exec, exec, s[16:17]
                                        ; implicit-def: $vgpr16
.LBB155_238:
	s_andn2_saveexec_b64 s[14:15], s[14:15]
	s_cbranch_execz .LBB155_240
; %bb.239:
	v_mul_f32_e32 v17, v16, v16
	v_mul_f32_e32 v18, v16, v17
	v_mov_b32_e32 v19, 0xbab7f476
	v_fmac_f32_e32 v19, 0x39a57b6b, v18
	v_mov_b32_e32 v20, 0x3bc7e707
	v_fmac_f32_e32 v20, v18, v19
	;; [unrolled: 2-line block ×12, first 2 shown]
	v_fmac_f32_e32 v21, v16, v22
	s_mov_b32 s16, 0xa2863e55
	v_fma_f32 v16, v18, -v21, s16
	v_fma_f32 v16, v17, v20, -v16
	v_add_f32_e32 v16, 0xbdf8cdce, v16
	v_add_f32_e32 v15, v15, v16
.LBB155_240:
	s_or_b64 exec, exec, s[14:15]
                                        ; implicit-def: $vgpr17
                                        ; implicit-def: $vgpr16
.LBB155_241:
	s_andn2_saveexec_b64 s[6:7], s[6:7]
	s_cbranch_execz .LBB155_245
; %bb.242:
	v_cmp_eq_u32_e32 vcc, 0, v17
	s_and_saveexec_b64 s[14:15], vcc
	s_cbranch_execz .LBB155_244
; %bb.243:
	v_mul_f32_e32 v17, v16, v16
	v_mov_b32_e32 v18, 0x39679767
	v_fmac_f32_e32 v18, 0x37d383a2, v17
	v_mov_b32_e32 v19, 0x3a9c54a1
	v_fmac_f32_e32 v19, v17, v18
	;; [unrolled: 2-line block ×10, first 2 shown]
	v_mul_f32_e32 v17, v17, v19
	v_fmac_f32_e32 v17, v16, v18
	v_fmac_f32_e32 v17, -0.5, v16
	v_add_f32_e32 v15, v15, v17
.LBB155_244:
	s_or_b64 exec, exec, s[14:15]
.LBB155_245:
	s_or_b64 exec, exec, s[6:7]
.LBB155_246:
	s_or_b64 exec, exec, s[12:13]
.LBB155_247:
	s_andn2_saveexec_b64 s[8:9], s[8:9]
	s_cbranch_execz .LBB155_249
; %bb.248:
	s_mov_b32 s6, 0x3e8a8991
	v_mov_b32_e32 v15, 0xbecd26ab
	v_fma_f32 v15, |v9|, s6, v15
	s_mov_b32 s6, 0x3f528d33
	v_fma_f32 v15, |v9|, v15, s6
	s_mov_b32 s6, 0x800000
	v_cmp_lt_f32_e64 vcc, |v9|, s6
	v_cndmask_b32_e64 v16, 0, 32, vcc
	v_ldexp_f32 v16, |v9|, v16
	v_log_f32_e32 v16, v16
	s_mov_b32 s6, 0xbf13c468
	v_fma_f32 v15, |v9|, v15, s6
	s_mov_b32 s6, 0x3f317217
	v_mul_f32_e32 v17, 0x3f317217, v16
	v_fma_f32 v18, v16, s6, -v17
	v_fmac_f32_e32 v18, 0x3377d1cf, v16
	s_mov_b32 s6, 0x7f800000
	v_add_f32_e32 v17, v17, v18
	v_cmp_lt_f32_e64 s[6:7], |v16|, s6
	v_cndmask_b32_e64 v16, v16, v17, s[6:7]
	v_mov_b32_e32 v17, 0x41b17218
	v_cndmask_b32_e32 v17, 0, v17, vcc
	v_sub_f32_e32 v16, v16, v17
	v_fma_f32 v15, |v9|, v15, -v16
.LBB155_249:
	s_or_b64 exec, exec, s[8:9]
	v_cmp_le_f32_e32 vcc, 0, v9
	v_cmp_nle_f32_e64 s[6:7], 0, v9
	s_and_saveexec_b64 s[8:9], s[6:7]
	s_xor_b64 s[12:13], exec, s[8:9]
	s_cbranch_execz .LBB155_253
; %bb.250:
	s_mov_b32 s6, 0x4b000000
	s_mov_b32 s8, 0x35000000
	v_cmp_lt_f32_e64 s[6:7], |v9|, s6
	v_cmp_gt_f32_e64 s[8:9], |v9|, s8
	s_and_b64 s[6:7], s[6:7], s[8:9]
	s_and_saveexec_b64 s[14:15], s[6:7]
	s_cbranch_execz .LBB155_252
; %bb.251:
	v_mul_f32_e64 v16, |v9|, 0.5
	v_floor_f32_e32 v17, v16
	v_sub_f32_e32 v17, v16, v17
	v_min_f32_e32 v17, 0x3f7fffff, v17
	s_mov_b32 s8, 0x7f800000
	v_add_f32_e32 v17, v17, v17
	v_cmp_neq_f32_e64 s[6:7], s8, v16
	v_cndmask_b32_e64 v16, 0, v17, s[6:7]
	v_cmp_gt_f32_e64 s[6:7], |v9|, 1.0
	v_cndmask_b32_e64 v16, |v9|, v16, s[6:7]
	v_add_f32_e32 v17, v16, v16
	v_rndne_f32_e32 v17, v17
	v_fmac_f32_e32 v16, -0.5, v17
	v_mul_f32_e32 v18, v16, v16
	v_mov_b32_e32 v19, 0xbf1f24be
	v_fmac_f32_e32 v19, 0x3e75aa41, v18
	v_mov_b32_e32 v20, 0x40234736
	v_fmac_f32_e32 v20, v18, v19
	;; [unrolled: 2-line block ×3, first 2 shown]
	v_mul_f32_e32 v20, v16, v18
	v_mul_f32_e32 v19, v20, v19
	v_fmac_f32_e32 v19, 0x40490fdb, v16
	v_mov_b32_e32 v16, 0x3e642e9d
	v_cvt_i32_f32_e32 v17, v17
	v_fmac_f32_e32 v16, 0x3d4be544, v18
	v_mov_b32_e32 v20, 0xbfaad1da
	v_fmac_f32_e32 v20, v18, v16
	v_mov_b32_e32 v16, 0x4081e0d3
	;; [unrolled: 2-line block ×3, first 2 shown]
	v_fmac_f32_e32 v20, v18, v16
	v_fma_f32 v16, v18, v20, 1.0
	v_and_b32_e32 v18, 1, v17
	v_cmp_eq_u32_e64 s[6:7], 0, v18
	v_cndmask_b32_e64 v16, v16, v19, s[6:7]
	v_lshlrev_b32_e32 v17, 30, v17
	s_brev_b32 s6, 1
	v_and_or_b32 v12, v17, s6, v12
	v_xor_b32_e32 v12, v12, v16
	v_xor_b32_e32 v12, v12, v9
	v_mul_f32_e32 v12, v9, v12
	v_frexp_mant_f32_e64 v16, |v12|
	v_rcp_f32_e32 v16, v16
	v_frexp_exp_i32_f32_e32 v12, v12
	v_sub_u32_e32 v12, 2, v12
	s_mov_b32 s6, 0x800000
	v_mul_f32_e32 v16, 0x3f490fdb, v16
	v_ldexp_f32 v12, v16, v12
	v_cmp_gt_f32_e64 s[6:7], s6, v12
	v_cndmask_b32_e64 v16, 0, 32, s[6:7]
	v_ldexp_f32 v12, v12, v16
	v_log_f32_e32 v12, v12
	s_mov_b32 s9, 0x3f317217
	v_mul_f32_e32 v16, 0x3f317217, v12
	v_fma_f32 v17, v12, s9, -v16
	v_fmac_f32_e32 v17, 0x3377d1cf, v12
	v_add_f32_e32 v16, v16, v17
	v_cmp_lt_f32_e64 s[8:9], |v12|, s8
	v_cndmask_b32_e64 v12, v12, v16, s[8:9]
	v_mov_b32_e32 v16, 0x41b17218
	v_cndmask_b32_e64 v16, 0, v16, s[6:7]
	v_sub_f32_e32 v12, v12, v16
	v_sub_f32_e32 v12, v12, v15
	v_floor_f32_e32 v15, v9
	v_sub_f32_e32 v15, v9, v15
	v_min_f32_e32 v15, 0x3f7fffff, v15
	v_mov_b32_e32 v16, 0x7f800000
	v_cmp_neq_f32_e64 s[6:7], 0, v15
	v_cndmask_b32_e64 v15, v16, v12, s[6:7]
.LBB155_252:
	s_or_b64 exec, exec, s[14:15]
.LBB155_253:
	s_andn2_saveexec_b64 s[12:13], s[12:13]
; %bb.254:
	v_cmp_eq_f32_e64 s[6:7], 1.0, v9
	v_cmp_eq_f32_e64 s[8:9], 2.0, v9
	s_or_b64 s[6:7], s[6:7], s[8:9]
	v_cndmask_b32_e64 v15, v15, 0, s[6:7]
; %bb.255:
	s_or_b64 exec, exec, s[12:13]
	s_mov_b32 s6, 0x4b000000
	v_cmp_lt_f32_e64 s[6:7], |v9|, s6
	v_mov_b32_e32 v12, 0x264
	v_mov_b32_e32 v16, 0x7f800000
	s_or_b64 vcc, vcc, s[6:7]
	v_cndmask_b32_e32 v15, v16, v15, vcc
	v_cmp_class_f32_e32 vcc, v9, v12
	v_cndmask_b32_e32 v12, v15, v16, vcc
	v_cmp_u_f32_e32 vcc, v9, v9
	v_cndmask_b32_e32 v9, v12, v9, vcc
	v_bfe_u32 v12, v9, 16, 1
	s_movk_i32 s6, 0x7fff
	v_add3_u32 v12, v9, v12, s6
	v_cmp_o_f32_e32 vcc, v9, v9
	v_mov_b32_e32 v9, 0x7fc0
	v_cndmask_b32_sdwa v12, v9, v12, vcc dst_sel:DWORD dst_unused:UNUSED_PAD src0_sel:DWORD src1_sel:WORD_1
.LBB155_256:
	s_or_b64 exec, exec, s[10:11]
	v_add_u32_e32 v9, 0x600, v7
	v_cmp_lt_i32_e32 vcc, v9, v4
                                        ; implicit-def: $vgpr9
	s_and_saveexec_b64 s[10:11], vcc
	s_cbranch_execz .LBB155_296
; %bb.257:
	s_mov_b32 s6, 0x3c800000
	v_and_b32_e32 v9, 0x7fffffff, v8
	v_cmp_nlt_f32_e64 s[6:7], |v8|, s6
                                        ; implicit-def: $vgpr15
	s_and_saveexec_b64 s[8:9], s[6:7]
	s_xor_b64 s[8:9], exec, s[8:9]
	s_cbranch_execz .LBB155_287
; %bb.258:
	v_cmp_nlt_f32_e64 s[6:7], |v8|, 2.0
                                        ; implicit-def: $vgpr15
	s_and_saveexec_b64 s[12:13], s[6:7]
	s_xor_b64 s[12:13], exec, s[12:13]
	s_cbranch_execz .LBB155_268
; %bb.259:
	s_mov_b32 s6, 0x41000000
	v_cmp_nlt_f32_e64 s[6:7], |v8|, s6
                                        ; implicit-def: $vgpr15
	s_and_saveexec_b64 s[14:15], s[6:7]
	s_xor_b64 s[14:15], exec, s[14:15]
	s_cbranch_execz .LBB155_265
; %bb.260:
	s_mov_b32 s6, 0x5c800000
	v_cmp_nlt_f32_e64 s[6:7], |v8|, s6
                                        ; implicit-def: $vgpr15
	s_and_saveexec_b64 s[16:17], s[6:7]
	s_xor_b64 s[16:17], exec, s[16:17]
	s_cbranch_execz .LBB155_262
; %bb.261:
	s_mov_b32 s6, 0x800000
	v_cmp_lt_f32_e64 vcc, |v8|, s6
	v_cndmask_b32_e64 v15, 0, 32, vcc
	v_ldexp_f32 v15, |v8|, v15
	v_log_f32_e32 v15, v15
	s_mov_b32 s6, 0x3f317217
	s_mov_b32 s7, 0x7f800000
	v_mul_f32_e32 v16, 0x3f317217, v15
	v_fma_f32 v17, v15, s6, -v16
	v_fmac_f32_e32 v17, 0x3377d1cf, v15
	v_add_f32_e32 v16, v16, v17
	v_cmp_lt_f32_e64 s[6:7], |v15|, s7
	v_cndmask_b32_e64 v15, v15, v16, s[6:7]
	v_mov_b32_e32 v16, 0x41b17218
	v_cndmask_b32_e32 v16, 0, v16, vcc
	v_sub_f32_e32 v15, v15, v16
	v_fma_f32 v15, |v8|, v15, -|v8|
.LBB155_262:
	s_andn2_saveexec_b64 s[16:17], s[16:17]
	s_cbranch_execz .LBB155_264
; %bb.263:
	v_rcp_f32_e64 v16, |v8|
	v_mov_b32_e32 v15, 0x3a5b3dd2
	v_mov_b32_e32 v17, 0xba1c065c
	;; [unrolled: 1-line block ×3, first 2 shown]
	v_mul_f32_e32 v19, v16, v16
	v_fmac_f32_e32 v15, 0xbad5c4e8, v19
	v_fmac_f32_e32 v17, v19, v15
	s_mov_b32 s6, 0x800000
	v_fmac_f32_e32 v18, v19, v17
	v_mov_b32_e32 v15, 0xbb360b61
	v_cmp_lt_f32_e64 vcc, |v8|, s6
	v_fmac_f32_e32 v15, v19, v18
	v_cndmask_b32_e64 v18, 0, 32, vcc
	v_ldexp_f32 v18, |v8|, v18
	v_log_f32_e32 v18, v18
	v_mov_b32_e32 v17, 0x3daaaaab
	v_fmac_f32_e32 v17, v19, v15
	v_mov_b32_e32 v15, 0x3ed67f1d
	v_fmac_f32_e32 v15, v16, v17
	s_mov_b32 s6, 0x3f317217
	v_mul_f32_e32 v17, 0x3f317217, v18
	v_fma_f32 v19, v18, s6, -v17
	v_fmac_f32_e32 v19, 0x3377d1cf, v18
	s_mov_b32 s6, 0x7f800000
	v_add_f32_e32 v17, v17, v19
	v_cmp_lt_f32_e64 s[6:7], |v18|, s6
	v_cndmask_b32_e64 v17, v18, v17, s[6:7]
	v_mov_b32_e32 v18, 0x41b17218
	v_cndmask_b32_e32 v18, 0, v18, vcc
	v_sub_f32_e32 v17, v17, v18
	v_add_f32_e64 v16, |v8|, -0.5
	v_add_f32_e32 v17, -1.0, v17
	v_fmac_f32_e32 v15, v16, v17
.LBB155_264:
	s_or_b64 exec, exec, s[16:17]
.LBB155_265:
	s_andn2_saveexec_b64 s[14:15], s[14:15]
	s_cbranch_execz .LBB155_267
; %bb.266:
	v_cvt_i32_f32_e32 v15, v9
	v_mov_b32_e32 v17, 0x3af135b4
	v_mov_b32_e32 v18, 0x3cda40e4
	v_mov_b32_e32 v19, 0x3c98bf54
	v_cvt_f32_i32_e32 v16, v15
	v_cmp_lt_i32_e32 vcc, 2, v15
	s_mov_b32 s6, 0x800000
	v_sub_f32_e64 v16, |v8|, v16
	v_fmac_f32_e32 v17, 0x3805ff67, v16
	v_fmac_f32_e32 v18, v16, v17
	v_mov_b32_e32 v17, 0x3e15dce6
	v_fmac_f32_e32 v17, v16, v18
	v_mov_b32_e32 v18, 0x3ea6cc7a
	;; [unrolled: 2-line block ×4, first 2 shown]
	v_fmac_f32_e32 v18, v16, v17
	v_mul_f32_e32 v17, v16, v18
	v_mov_b32_e32 v18, 0x3a4beed6
	v_fmac_f32_e32 v18, 0x36f5d7bd, v16
	v_fmac_f32_e32 v19, v16, v18
	v_mov_b32_e32 v18, 0x3e300f6e
	v_fmac_f32_e32 v18, v16, v19
	v_mov_b32_e32 v19, 0x3f38d0c5
	;; [unrolled: 2-line block ×3, first 2 shown]
	v_fmac_f32_e32 v18, v16, v19
	v_fma_f32 v18, v16, v18, 1.0
	v_rcp_f32_e32 v18, v18
	v_add_f32_e32 v19, 0x40400000, v16
	v_add_f32_e32 v20, 4.0, v16
	v_add_f32_e32 v21, 0x40a00000, v16
	v_mul_f32_e32 v17, v17, v18
	v_add_f32_e32 v18, 2.0, v16
	v_cndmask_b32_e32 v18, 1.0, v18, vcc
	v_cmp_lt_i32_e32 vcc, 3, v15
	v_cndmask_b32_e32 v19, 1.0, v19, vcc
	v_cmp_lt_i32_e32 vcc, 4, v15
	v_mul_f32_e32 v18, v18, v19
	v_cndmask_b32_e32 v19, 1.0, v20, vcc
	v_cmp_lt_i32_e32 vcc, 5, v15
	v_fmac_f32_e32 v17, 0.5, v16
	v_add_f32_e32 v16, 0x40c00000, v16
	v_mul_f32_e32 v18, v19, v18
	v_cndmask_b32_e32 v19, 1.0, v21, vcc
	v_cmp_lt_i32_e32 vcc, 6, v15
	v_mul_f32_e32 v18, v19, v18
	v_cndmask_b32_e32 v15, 1.0, v16, vcc
	v_mul_f32_e32 v15, v15, v18
	v_cmp_gt_f32_e32 vcc, s6, v15
	v_cndmask_b32_e64 v16, 0, 32, vcc
	v_ldexp_f32 v15, v15, v16
	v_log_f32_e32 v15, v15
	s_mov_b32 s6, 0x3f317217
	v_mul_f32_e32 v16, 0x3f317217, v15
	v_fma_f32 v18, v15, s6, -v16
	v_fmac_f32_e32 v18, 0x3377d1cf, v15
	s_mov_b32 s6, 0x7f800000
	v_add_f32_e32 v16, v16, v18
	v_cmp_lt_f32_e64 s[6:7], |v15|, s6
	v_cndmask_b32_e64 v15, v15, v16, s[6:7]
	v_mov_b32_e32 v16, 0x41b17218
	v_cndmask_b32_e32 v16, 0, v16, vcc
	v_sub_f32_e32 v15, v15, v16
	v_add_f32_e32 v15, v15, v17
.LBB155_267:
	s_or_b64 exec, exec, s[14:15]
.LBB155_268:
	s_andn2_saveexec_b64 s[12:13], s[12:13]
	s_cbranch_execz .LBB155_286
; %bb.269:
	s_mov_b32 s6, 0x3f666666
	v_cmp_le_f32_e64 s[6:7], |v8|, s6
                                        ; implicit-def: $vgpr15
                                        ; implicit-def: $vgpr17
                                        ; implicit-def: $vgpr16
	s_and_saveexec_b64 s[14:15], s[6:7]
	s_xor_b64 s[14:15], exec, s[14:15]
	s_cbranch_execz .LBB155_271
; %bb.270:
	s_mov_b32 s6, 0x800000
	v_cmp_lt_f32_e64 vcc, |v8|, s6
	v_cndmask_b32_e64 v15, 0, 32, vcc
	v_ldexp_f32 v15, |v8|, v15
	v_log_f32_e32 v15, v15
	s_mov_b32 s6, 0x3f317217
	s_mov_b32 s7, 0x7f800000
	v_mul_f32_e32 v16, 0x3f317217, v15
	v_fma_f32 v17, v15, s6, -v16
	v_fmac_f32_e32 v17, 0x3377d1cf, v15
	v_add_f32_e32 v16, v16, v17
	v_cmp_lt_f32_e64 s[6:7], |v15|, s7
	v_cndmask_b32_e64 v15, v15, v16, s[6:7]
	v_mov_b32_e32 v16, 0x41b17218
	v_cndmask_b32_e32 v16, 0, v16, vcc
	s_mov_b32 s6, 0x3f3b4a23
	s_mov_b32 s7, 0xbeec5b0c
	v_sub_f32_e32 v15, v15, v16
	v_sub_f32_e64 v16, 1.0, |v8|
	v_add_f32_e64 v17, |v8|, s7
	v_cmp_lt_f32_e64 vcc, |v8|, s6
	s_mov_b32 s6, 0x3e6d3309
	v_cndmask_b32_e32 v16, v16, v17, vcc
	v_cndmask_b32_e64 v17, 0, 1, vcc
	v_cmp_lt_f32_e64 s[6:7], |v8|, s6
	v_xor_b32_e32 v15, 0x80000000, v15
	v_cndmask_b32_e64 v16, v16, |v8|, s[6:7]
	v_cndmask_b32_e64 v17, v17, 2, s[6:7]
.LBB155_271:
	s_andn2_saveexec_b64 s[6:7], s[14:15]
	s_cbranch_execz .LBB155_273
; %bb.272:
	s_mov_b32 s14, 0x3fdda512
	s_mov_b32 s15, 0xbfbb16c3
	v_sub_f32_e64 v15, 2.0, |v8|
	v_add_f32_e64 v16, |v8|, s15
	v_cmp_lt_f32_e64 vcc, |v8|, s14
	v_cndmask_b32_e32 v16, v15, v16, vcc
	v_cndmask_b32_e64 v15, v15, 1.0, vcc
	v_cvt_i32_f32_e32 v15, v15
	s_mov_b32 s14, 0x3f9d70a4
	v_add_f32_e64 v17, |v8|, -1.0
	v_cmp_lt_f32_e64 vcc, |v8|, s14
	v_cndmask_b32_e32 v16, v16, v17, vcc
	v_cndmask_b32_e64 v17, v15, 2, vcc
	v_mov_b32_e32 v15, 0
.LBB155_273:
	s_or_b64 exec, exec, s[6:7]
	v_cmp_lt_i32_e32 vcc, 0, v17
	s_and_saveexec_b64 s[6:7], vcc
	s_xor_b64 s[6:7], exec, s[6:7]
	s_cbranch_execz .LBB155_281
; %bb.274:
	v_cmp_lt_i32_e32 vcc, 1, v17
	s_and_saveexec_b64 s[14:15], vcc
	s_xor_b64 s[14:15], exec, s[14:15]
	s_cbranch_execz .LBB155_278
; %bb.275:
	v_cmp_eq_u32_e32 vcc, 2, v17
	s_and_saveexec_b64 s[16:17], vcc
	s_cbranch_execz .LBB155_277
; %bb.276:
	v_mov_b32_e32 v17, 0x3e6a7578
	v_fmac_f32_e32 v17, 0x3c5b3c5e, v16
	v_mov_b32_e32 v18, 0x3f7a4bb2
	v_fmac_f32_e32 v18, v16, v17
	;; [unrolled: 2-line block ×8, first 2 shown]
	v_fma_f32 v17, v16, v19, 1.0
	v_rcp_f32_e32 v17, v17
	v_mov_b32_e32 v19, 0xbd9e233f
	v_fmac_f32_e32 v19, v16, v18
	v_mul_f32_e32 v18, v16, v19
	v_mul_f32_e32 v17, v18, v17
	v_fmac_f32_e32 v17, -0.5, v16
	v_add_f32_e32 v15, v15, v17
.LBB155_277:
	s_or_b64 exec, exec, s[16:17]
                                        ; implicit-def: $vgpr16
.LBB155_278:
	s_andn2_saveexec_b64 s[14:15], s[14:15]
	s_cbranch_execz .LBB155_280
; %bb.279:
	v_mul_f32_e32 v17, v16, v16
	v_mul_f32_e32 v18, v16, v17
	v_mov_b32_e32 v19, 0xbab7f476
	v_fmac_f32_e32 v19, 0x39a57b6b, v18
	v_mov_b32_e32 v20, 0x3bc7e707
	v_fmac_f32_e32 v20, v18, v19
	;; [unrolled: 2-line block ×12, first 2 shown]
	v_fmac_f32_e32 v21, v16, v22
	s_mov_b32 s16, 0xa2863e55
	v_fma_f32 v16, v18, -v21, s16
	v_fma_f32 v16, v17, v20, -v16
	v_add_f32_e32 v16, 0xbdf8cdce, v16
	v_add_f32_e32 v15, v15, v16
.LBB155_280:
	s_or_b64 exec, exec, s[14:15]
                                        ; implicit-def: $vgpr17
                                        ; implicit-def: $vgpr16
.LBB155_281:
	s_andn2_saveexec_b64 s[6:7], s[6:7]
	s_cbranch_execz .LBB155_285
; %bb.282:
	v_cmp_eq_u32_e32 vcc, 0, v17
	s_and_saveexec_b64 s[14:15], vcc
	s_cbranch_execz .LBB155_284
; %bb.283:
	v_mul_f32_e32 v17, v16, v16
	v_mov_b32_e32 v18, 0x39679767
	v_fmac_f32_e32 v18, 0x37d383a2, v17
	v_mov_b32_e32 v19, 0x3a9c54a1
	v_fmac_f32_e32 v19, v17, v18
	;; [unrolled: 2-line block ×10, first 2 shown]
	v_mul_f32_e32 v17, v17, v19
	v_fmac_f32_e32 v17, v16, v18
	v_fmac_f32_e32 v17, -0.5, v16
	v_add_f32_e32 v15, v15, v17
.LBB155_284:
	s_or_b64 exec, exec, s[14:15]
.LBB155_285:
	s_or_b64 exec, exec, s[6:7]
.LBB155_286:
	s_or_b64 exec, exec, s[12:13]
.LBB155_287:
	s_andn2_saveexec_b64 s[8:9], s[8:9]
	s_cbranch_execz .LBB155_289
; %bb.288:
	s_mov_b32 s6, 0x3e8a8991
	v_mov_b32_e32 v15, 0xbecd26ab
	v_fma_f32 v15, |v8|, s6, v15
	s_mov_b32 s6, 0x3f528d33
	v_fma_f32 v15, |v8|, v15, s6
	s_mov_b32 s6, 0x800000
	v_cmp_lt_f32_e64 vcc, |v8|, s6
	v_cndmask_b32_e64 v16, 0, 32, vcc
	v_ldexp_f32 v16, |v8|, v16
	v_log_f32_e32 v16, v16
	s_mov_b32 s6, 0xbf13c468
	v_fma_f32 v15, |v8|, v15, s6
	s_mov_b32 s6, 0x3f317217
	v_mul_f32_e32 v17, 0x3f317217, v16
	v_fma_f32 v18, v16, s6, -v17
	v_fmac_f32_e32 v18, 0x3377d1cf, v16
	s_mov_b32 s6, 0x7f800000
	v_add_f32_e32 v17, v17, v18
	v_cmp_lt_f32_e64 s[6:7], |v16|, s6
	v_cndmask_b32_e64 v16, v16, v17, s[6:7]
	v_mov_b32_e32 v17, 0x41b17218
	v_cndmask_b32_e32 v17, 0, v17, vcc
	v_sub_f32_e32 v16, v16, v17
	v_fma_f32 v15, |v8|, v15, -v16
.LBB155_289:
	s_or_b64 exec, exec, s[8:9]
	v_cmp_le_f32_e32 vcc, 0, v8
	v_cmp_nle_f32_e64 s[6:7], 0, v8
	s_and_saveexec_b64 s[8:9], s[6:7]
	s_xor_b64 s[12:13], exec, s[8:9]
	s_cbranch_execz .LBB155_293
; %bb.290:
	s_mov_b32 s6, 0x4b000000
	s_mov_b32 s8, 0x35000000
	v_cmp_lt_f32_e64 s[6:7], |v8|, s6
	v_cmp_gt_f32_e64 s[8:9], |v8|, s8
	s_and_b64 s[6:7], s[6:7], s[8:9]
	s_and_saveexec_b64 s[14:15], s[6:7]
	s_cbranch_execz .LBB155_292
; %bb.291:
	v_mul_f32_e64 v16, |v8|, 0.5
	v_floor_f32_e32 v17, v16
	v_sub_f32_e32 v17, v16, v17
	v_min_f32_e32 v17, 0x3f7fffff, v17
	s_mov_b32 s8, 0x7f800000
	v_add_f32_e32 v17, v17, v17
	v_cmp_neq_f32_e64 s[6:7], s8, v16
	v_cndmask_b32_e64 v16, 0, v17, s[6:7]
	v_cmp_gt_f32_e64 s[6:7], |v8|, 1.0
	v_cndmask_b32_e64 v16, |v8|, v16, s[6:7]
	v_add_f32_e32 v17, v16, v16
	v_rndne_f32_e32 v17, v17
	v_fmac_f32_e32 v16, -0.5, v17
	v_mul_f32_e32 v18, v16, v16
	v_mov_b32_e32 v19, 0xbf1f24be
	v_fmac_f32_e32 v19, 0x3e75aa41, v18
	v_mov_b32_e32 v20, 0x40234736
	v_fmac_f32_e32 v20, v18, v19
	;; [unrolled: 2-line block ×3, first 2 shown]
	v_mul_f32_e32 v20, v16, v18
	v_mul_f32_e32 v19, v20, v19
	v_fmac_f32_e32 v19, 0x40490fdb, v16
	v_mov_b32_e32 v16, 0x3e642e9d
	v_cvt_i32_f32_e32 v17, v17
	v_fmac_f32_e32 v16, 0x3d4be544, v18
	v_mov_b32_e32 v20, 0xbfaad1da
	v_fmac_f32_e32 v20, v18, v16
	v_mov_b32_e32 v16, 0x4081e0d3
	v_fmac_f32_e32 v16, v18, v20
	v_mov_b32_e32 v20, 0xc09de9e6
	v_fmac_f32_e32 v20, v18, v16
	v_fma_f32 v16, v18, v20, 1.0
	v_and_b32_e32 v18, 1, v17
	v_cmp_eq_u32_e64 s[6:7], 0, v18
	v_cndmask_b32_e64 v16, v16, v19, s[6:7]
	v_lshlrev_b32_e32 v17, 30, v17
	s_brev_b32 s6, 1
	v_and_or_b32 v9, v17, s6, v9
	v_xor_b32_e32 v9, v9, v16
	v_xor_b32_e32 v9, v9, v8
	v_mul_f32_e32 v9, v8, v9
	v_frexp_mant_f32_e64 v16, |v9|
	v_rcp_f32_e32 v16, v16
	v_frexp_exp_i32_f32_e32 v9, v9
	v_sub_u32_e32 v9, 2, v9
	s_mov_b32 s6, 0x800000
	v_mul_f32_e32 v16, 0x3f490fdb, v16
	v_ldexp_f32 v9, v16, v9
	v_cmp_gt_f32_e64 s[6:7], s6, v9
	v_cndmask_b32_e64 v16, 0, 32, s[6:7]
	v_ldexp_f32 v9, v9, v16
	v_log_f32_e32 v9, v9
	s_mov_b32 s9, 0x3f317217
	v_mul_f32_e32 v16, 0x3f317217, v9
	v_fma_f32 v17, v9, s9, -v16
	v_fmac_f32_e32 v17, 0x3377d1cf, v9
	v_add_f32_e32 v16, v16, v17
	v_cmp_lt_f32_e64 s[8:9], |v9|, s8
	v_cndmask_b32_e64 v9, v9, v16, s[8:9]
	v_mov_b32_e32 v16, 0x41b17218
	v_cndmask_b32_e64 v16, 0, v16, s[6:7]
	v_sub_f32_e32 v9, v9, v16
	v_sub_f32_e32 v9, v9, v15
	v_floor_f32_e32 v15, v8
	v_sub_f32_e32 v15, v8, v15
	v_min_f32_e32 v15, 0x3f7fffff, v15
	v_mov_b32_e32 v16, 0x7f800000
	v_cmp_neq_f32_e64 s[6:7], 0, v15
	v_cndmask_b32_e64 v15, v16, v9, s[6:7]
.LBB155_292:
	s_or_b64 exec, exec, s[14:15]
.LBB155_293:
	s_andn2_saveexec_b64 s[12:13], s[12:13]
; %bb.294:
	v_cmp_eq_f32_e64 s[6:7], 1.0, v8
	v_cmp_eq_f32_e64 s[8:9], 2.0, v8
	s_or_b64 s[6:7], s[6:7], s[8:9]
	v_cndmask_b32_e64 v15, v15, 0, s[6:7]
; %bb.295:
	s_or_b64 exec, exec, s[12:13]
	s_mov_b32 s6, 0x4b000000
	v_cmp_lt_f32_e64 s[6:7], |v8|, s6
	v_mov_b32_e32 v9, 0x264
	v_mov_b32_e32 v16, 0x7f800000
	s_or_b64 vcc, vcc, s[6:7]
	v_cndmask_b32_e32 v15, v16, v15, vcc
	v_cmp_class_f32_e32 vcc, v8, v9
	v_cndmask_b32_e32 v9, v15, v16, vcc
	v_cmp_u_f32_e32 vcc, v8, v8
	v_cndmask_b32_e32 v8, v9, v8, vcc
	v_bfe_u32 v9, v8, 16, 1
	s_movk_i32 s6, 0x7fff
	v_add3_u32 v9, v8, v9, s6
	v_cmp_o_f32_e32 vcc, v8, v8
	v_mov_b32_e32 v8, 0x7fc0
	v_cndmask_b32_sdwa v9, v8, v9, vcc dst_sel:DWORD dst_unused:UNUSED_PAD src0_sel:DWORD src1_sel:WORD_1
.LBB155_296:
	s_or_b64 exec, exec, s[10:11]
	v_add_u32_e32 v8, 0x700, v7
	v_cmp_lt_i32_e32 vcc, v8, v4
                                        ; implicit-def: $vgpr8
	s_and_saveexec_b64 s[10:11], vcc
	s_cbranch_execnz .LBB155_306
; %bb.297:
	s_or_b64 exec, exec, s[10:11]
	s_and_saveexec_b64 s[6:7], s[4:5]
	s_xor_b64 s[4:5], exec, s[6:7]
	s_cbranch_execnz .LBB155_345
.LBB155_298:
	s_or_b64 exec, exec, s[4:5]
	v_cmp_lt_i32_e32 vcc, v7, v4
	s_and_saveexec_b64 s[4:5], vcc
	s_cbranch_execnz .LBB155_346
.LBB155_299:
	s_or_b64 exec, exec, s[4:5]
	v_cmp_lt_i32_e32 vcc, v7, v4
	s_and_saveexec_b64 s[4:5], vcc
	s_cbranch_execnz .LBB155_347
.LBB155_300:
	s_or_b64 exec, exec, s[4:5]
	v_cmp_lt_i32_e32 vcc, v7, v4
	s_and_saveexec_b64 s[4:5], vcc
	s_cbranch_execnz .LBB155_348
.LBB155_301:
	s_or_b64 exec, exec, s[4:5]
	v_cmp_lt_i32_e32 vcc, v7, v4
	s_and_saveexec_b64 s[4:5], vcc
	s_cbranch_execnz .LBB155_349
.LBB155_302:
	s_or_b64 exec, exec, s[4:5]
	v_cmp_lt_i32_e32 vcc, v7, v4
	s_and_saveexec_b64 s[4:5], vcc
	s_cbranch_execnz .LBB155_350
.LBB155_303:
	s_or_b64 exec, exec, s[4:5]
	v_cmp_lt_i32_e32 vcc, v7, v4
	s_and_saveexec_b64 s[4:5], vcc
	s_cbranch_execnz .LBB155_351
.LBB155_304:
	s_or_b64 exec, exec, s[4:5]
	v_cmp_lt_i32_e32 vcc, v7, v4
	s_and_saveexec_b64 s[4:5], vcc
	s_cbranch_execnz .LBB155_352
.LBB155_305:
	s_or_b64 exec, exec, s[4:5]
	s_waitcnt vmcnt(0) lgkmcnt(0)
	s_setpc_b64 s[30:31]
.LBB155_306:
	s_mov_b32 s6, 0x3c800000
	v_and_b32_e32 v8, 0x7fffffff, v6
	v_cmp_nlt_f32_e64 s[6:7], |v6|, s6
                                        ; implicit-def: $vgpr15
	s_and_saveexec_b64 s[8:9], s[6:7]
	s_xor_b64 s[8:9], exec, s[8:9]
	s_cbranch_execz .LBB155_336
; %bb.307:
	v_cmp_nlt_f32_e64 s[6:7], |v6|, 2.0
                                        ; implicit-def: $vgpr15
	s_and_saveexec_b64 s[12:13], s[6:7]
	s_xor_b64 s[12:13], exec, s[12:13]
	s_cbranch_execz .LBB155_317
; %bb.308:
	s_mov_b32 s6, 0x41000000
	v_cmp_nlt_f32_e64 s[6:7], |v6|, s6
                                        ; implicit-def: $vgpr15
	s_and_saveexec_b64 s[14:15], s[6:7]
	s_xor_b64 s[14:15], exec, s[14:15]
	s_cbranch_execz .LBB155_314
; %bb.309:
	s_mov_b32 s6, 0x5c800000
	v_cmp_nlt_f32_e64 s[6:7], |v6|, s6
                                        ; implicit-def: $vgpr15
	s_and_saveexec_b64 s[16:17], s[6:7]
	s_xor_b64 s[16:17], exec, s[16:17]
	s_cbranch_execz .LBB155_311
; %bb.310:
	s_mov_b32 s6, 0x800000
	v_cmp_lt_f32_e64 vcc, |v6|, s6
	v_cndmask_b32_e64 v15, 0, 32, vcc
	v_ldexp_f32 v15, |v6|, v15
	v_log_f32_e32 v15, v15
	s_mov_b32 s6, 0x3f317217
	s_mov_b32 s7, 0x7f800000
	v_mul_f32_e32 v16, 0x3f317217, v15
	v_fma_f32 v17, v15, s6, -v16
	v_fmac_f32_e32 v17, 0x3377d1cf, v15
	v_add_f32_e32 v16, v16, v17
	v_cmp_lt_f32_e64 s[6:7], |v15|, s7
	v_cndmask_b32_e64 v15, v15, v16, s[6:7]
	v_mov_b32_e32 v16, 0x41b17218
	v_cndmask_b32_e32 v16, 0, v16, vcc
	v_sub_f32_e32 v15, v15, v16
	v_fma_f32 v15, |v6|, v15, -|v6|
.LBB155_311:
	s_andn2_saveexec_b64 s[16:17], s[16:17]
	s_cbranch_execz .LBB155_313
; %bb.312:
	v_rcp_f32_e64 v16, |v6|
	v_mov_b32_e32 v15, 0x3a5b3dd2
	v_mov_b32_e32 v17, 0xba1c065c
	;; [unrolled: 1-line block ×3, first 2 shown]
	v_mul_f32_e32 v19, v16, v16
	v_fmac_f32_e32 v15, 0xbad5c4e8, v19
	v_fmac_f32_e32 v17, v19, v15
	s_mov_b32 s6, 0x800000
	v_fmac_f32_e32 v18, v19, v17
	v_mov_b32_e32 v15, 0xbb360b61
	v_cmp_lt_f32_e64 vcc, |v6|, s6
	v_fmac_f32_e32 v15, v19, v18
	v_cndmask_b32_e64 v18, 0, 32, vcc
	v_ldexp_f32 v18, |v6|, v18
	v_log_f32_e32 v18, v18
	v_mov_b32_e32 v17, 0x3daaaaab
	v_fmac_f32_e32 v17, v19, v15
	v_mov_b32_e32 v15, 0x3ed67f1d
	v_fmac_f32_e32 v15, v16, v17
	s_mov_b32 s6, 0x3f317217
	v_mul_f32_e32 v17, 0x3f317217, v18
	v_fma_f32 v19, v18, s6, -v17
	v_fmac_f32_e32 v19, 0x3377d1cf, v18
	s_mov_b32 s6, 0x7f800000
	v_add_f32_e32 v17, v17, v19
	v_cmp_lt_f32_e64 s[6:7], |v18|, s6
	v_cndmask_b32_e64 v17, v18, v17, s[6:7]
	v_mov_b32_e32 v18, 0x41b17218
	v_cndmask_b32_e32 v18, 0, v18, vcc
	v_sub_f32_e32 v17, v17, v18
	v_add_f32_e64 v16, |v6|, -0.5
	v_add_f32_e32 v17, -1.0, v17
	v_fmac_f32_e32 v15, v16, v17
.LBB155_313:
	s_or_b64 exec, exec, s[16:17]
.LBB155_314:
	s_andn2_saveexec_b64 s[14:15], s[14:15]
	s_cbranch_execz .LBB155_316
; %bb.315:
	v_cvt_i32_f32_e32 v15, v8
	v_mov_b32_e32 v17, 0x3af135b4
	v_mov_b32_e32 v18, 0x3cda40e4
	;; [unrolled: 1-line block ×3, first 2 shown]
	v_cvt_f32_i32_e32 v16, v15
	v_cmp_lt_i32_e32 vcc, 2, v15
	s_mov_b32 s6, 0x800000
	v_sub_f32_e64 v16, |v6|, v16
	v_fmac_f32_e32 v17, 0x3805ff67, v16
	v_fmac_f32_e32 v18, v16, v17
	v_mov_b32_e32 v17, 0x3e15dce6
	v_fmac_f32_e32 v17, v16, v18
	v_mov_b32_e32 v18, 0x3ea6cc7a
	;; [unrolled: 2-line block ×4, first 2 shown]
	v_fmac_f32_e32 v18, v16, v17
	v_mul_f32_e32 v17, v16, v18
	v_mov_b32_e32 v18, 0x3a4beed6
	v_fmac_f32_e32 v18, 0x36f5d7bd, v16
	v_fmac_f32_e32 v19, v16, v18
	v_mov_b32_e32 v18, 0x3e300f6e
	v_fmac_f32_e32 v18, v16, v19
	v_mov_b32_e32 v19, 0x3f38d0c5
	;; [unrolled: 2-line block ×3, first 2 shown]
	v_fmac_f32_e32 v18, v16, v19
	v_fma_f32 v18, v16, v18, 1.0
	v_rcp_f32_e32 v18, v18
	v_add_f32_e32 v19, 0x40400000, v16
	v_add_f32_e32 v20, 4.0, v16
	v_add_f32_e32 v21, 0x40a00000, v16
	v_mul_f32_e32 v17, v17, v18
	v_add_f32_e32 v18, 2.0, v16
	v_cndmask_b32_e32 v18, 1.0, v18, vcc
	v_cmp_lt_i32_e32 vcc, 3, v15
	v_cndmask_b32_e32 v19, 1.0, v19, vcc
	v_cmp_lt_i32_e32 vcc, 4, v15
	v_mul_f32_e32 v18, v18, v19
	v_cndmask_b32_e32 v19, 1.0, v20, vcc
	v_cmp_lt_i32_e32 vcc, 5, v15
	v_fmac_f32_e32 v17, 0.5, v16
	v_add_f32_e32 v16, 0x40c00000, v16
	v_mul_f32_e32 v18, v19, v18
	v_cndmask_b32_e32 v19, 1.0, v21, vcc
	v_cmp_lt_i32_e32 vcc, 6, v15
	v_mul_f32_e32 v18, v19, v18
	v_cndmask_b32_e32 v15, 1.0, v16, vcc
	v_mul_f32_e32 v15, v15, v18
	v_cmp_gt_f32_e32 vcc, s6, v15
	v_cndmask_b32_e64 v16, 0, 32, vcc
	v_ldexp_f32 v15, v15, v16
	v_log_f32_e32 v15, v15
	s_mov_b32 s6, 0x3f317217
	v_mul_f32_e32 v16, 0x3f317217, v15
	v_fma_f32 v18, v15, s6, -v16
	v_fmac_f32_e32 v18, 0x3377d1cf, v15
	s_mov_b32 s6, 0x7f800000
	v_add_f32_e32 v16, v16, v18
	v_cmp_lt_f32_e64 s[6:7], |v15|, s6
	v_cndmask_b32_e64 v15, v15, v16, s[6:7]
	v_mov_b32_e32 v16, 0x41b17218
	v_cndmask_b32_e32 v16, 0, v16, vcc
	v_sub_f32_e32 v15, v15, v16
	v_add_f32_e32 v15, v15, v17
.LBB155_316:
	s_or_b64 exec, exec, s[14:15]
.LBB155_317:
	s_andn2_saveexec_b64 s[12:13], s[12:13]
	s_cbranch_execz .LBB155_335
; %bb.318:
	s_mov_b32 s6, 0x3f666666
	v_cmp_le_f32_e64 s[6:7], |v6|, s6
                                        ; implicit-def: $vgpr15
                                        ; implicit-def: $vgpr17
                                        ; implicit-def: $vgpr16
	s_and_saveexec_b64 s[14:15], s[6:7]
	s_xor_b64 s[14:15], exec, s[14:15]
	s_cbranch_execz .LBB155_320
; %bb.319:
	s_mov_b32 s6, 0x800000
	v_cmp_lt_f32_e64 vcc, |v6|, s6
	v_cndmask_b32_e64 v15, 0, 32, vcc
	v_ldexp_f32 v15, |v6|, v15
	v_log_f32_e32 v15, v15
	s_mov_b32 s6, 0x3f317217
	s_mov_b32 s7, 0x7f800000
	v_mul_f32_e32 v16, 0x3f317217, v15
	v_fma_f32 v17, v15, s6, -v16
	v_fmac_f32_e32 v17, 0x3377d1cf, v15
	v_add_f32_e32 v16, v16, v17
	v_cmp_lt_f32_e64 s[6:7], |v15|, s7
	v_cndmask_b32_e64 v15, v15, v16, s[6:7]
	v_mov_b32_e32 v16, 0x41b17218
	v_cndmask_b32_e32 v16, 0, v16, vcc
	s_mov_b32 s6, 0x3f3b4a23
	s_mov_b32 s7, 0xbeec5b0c
	v_sub_f32_e32 v15, v15, v16
	v_sub_f32_e64 v16, 1.0, |v6|
	v_add_f32_e64 v17, |v6|, s7
	v_cmp_lt_f32_e64 vcc, |v6|, s6
	s_mov_b32 s6, 0x3e6d3309
	v_cndmask_b32_e32 v16, v16, v17, vcc
	v_cndmask_b32_e64 v17, 0, 1, vcc
	v_cmp_lt_f32_e64 s[6:7], |v6|, s6
	v_xor_b32_e32 v15, 0x80000000, v15
	v_cndmask_b32_e64 v16, v16, |v6|, s[6:7]
	v_cndmask_b32_e64 v17, v17, 2, s[6:7]
.LBB155_320:
	s_andn2_saveexec_b64 s[6:7], s[14:15]
	s_cbranch_execz .LBB155_322
; %bb.321:
	s_mov_b32 s14, 0x3fdda512
	s_mov_b32 s15, 0xbfbb16c3
	v_sub_f32_e64 v15, 2.0, |v6|
	v_add_f32_e64 v16, |v6|, s15
	v_cmp_lt_f32_e64 vcc, |v6|, s14
	v_cndmask_b32_e32 v16, v15, v16, vcc
	v_cndmask_b32_e64 v15, v15, 1.0, vcc
	v_cvt_i32_f32_e32 v15, v15
	s_mov_b32 s14, 0x3f9d70a4
	v_add_f32_e64 v17, |v6|, -1.0
	v_cmp_lt_f32_e64 vcc, |v6|, s14
	v_cndmask_b32_e32 v16, v16, v17, vcc
	v_cndmask_b32_e64 v17, v15, 2, vcc
	v_mov_b32_e32 v15, 0
.LBB155_322:
	s_or_b64 exec, exec, s[6:7]
	v_cmp_lt_i32_e32 vcc, 0, v17
	s_and_saveexec_b64 s[6:7], vcc
	s_xor_b64 s[6:7], exec, s[6:7]
	s_cbranch_execz .LBB155_330
; %bb.323:
	v_cmp_lt_i32_e32 vcc, 1, v17
	s_and_saveexec_b64 s[14:15], vcc
	s_xor_b64 s[14:15], exec, s[14:15]
	s_cbranch_execz .LBB155_327
; %bb.324:
	v_cmp_eq_u32_e32 vcc, 2, v17
	s_and_saveexec_b64 s[16:17], vcc
	s_cbranch_execz .LBB155_326
; %bb.325:
	v_mov_b32_e32 v17, 0x3e6a7578
	v_fmac_f32_e32 v17, 0x3c5b3c5e, v16
	v_mov_b32_e32 v18, 0x3f7a4bb2
	v_fmac_f32_e32 v18, v16, v17
	;; [unrolled: 2-line block ×8, first 2 shown]
	v_fma_f32 v17, v16, v19, 1.0
	v_rcp_f32_e32 v17, v17
	v_mov_b32_e32 v19, 0xbd9e233f
	v_fmac_f32_e32 v19, v16, v18
	v_mul_f32_e32 v18, v16, v19
	v_mul_f32_e32 v17, v18, v17
	v_fmac_f32_e32 v17, -0.5, v16
	v_add_f32_e32 v15, v15, v17
.LBB155_326:
	s_or_b64 exec, exec, s[16:17]
                                        ; implicit-def: $vgpr16
.LBB155_327:
	s_andn2_saveexec_b64 s[14:15], s[14:15]
	s_cbranch_execz .LBB155_329
; %bb.328:
	v_mul_f32_e32 v17, v16, v16
	v_mul_f32_e32 v18, v16, v17
	v_mov_b32_e32 v19, 0xbab7f476
	v_fmac_f32_e32 v19, 0x39a57b6b, v18
	v_mov_b32_e32 v20, 0x3bc7e707
	v_fmac_f32_e32 v20, v18, v19
	;; [unrolled: 2-line block ×12, first 2 shown]
	v_fmac_f32_e32 v21, v16, v22
	s_mov_b32 s16, 0xa2863e55
	v_fma_f32 v16, v18, -v21, s16
	v_fma_f32 v16, v17, v20, -v16
	v_add_f32_e32 v16, 0xbdf8cdce, v16
	v_add_f32_e32 v15, v15, v16
.LBB155_329:
	s_or_b64 exec, exec, s[14:15]
                                        ; implicit-def: $vgpr17
                                        ; implicit-def: $vgpr16
.LBB155_330:
	s_andn2_saveexec_b64 s[6:7], s[6:7]
	s_cbranch_execz .LBB155_334
; %bb.331:
	v_cmp_eq_u32_e32 vcc, 0, v17
	s_and_saveexec_b64 s[14:15], vcc
	s_cbranch_execz .LBB155_333
; %bb.332:
	v_mul_f32_e32 v17, v16, v16
	v_mov_b32_e32 v18, 0x39679767
	v_fmac_f32_e32 v18, 0x37d383a2, v17
	v_mov_b32_e32 v19, 0x3a9c54a1
	v_fmac_f32_e32 v19, v17, v18
	;; [unrolled: 2-line block ×10, first 2 shown]
	v_mul_f32_e32 v17, v17, v19
	v_fmac_f32_e32 v17, v16, v18
	v_fmac_f32_e32 v17, -0.5, v16
	v_add_f32_e32 v15, v15, v17
.LBB155_333:
	s_or_b64 exec, exec, s[14:15]
.LBB155_334:
	s_or_b64 exec, exec, s[6:7]
.LBB155_335:
	s_or_b64 exec, exec, s[12:13]
.LBB155_336:
	s_andn2_saveexec_b64 s[8:9], s[8:9]
	s_cbranch_execz .LBB155_338
; %bb.337:
	s_mov_b32 s6, 0x3e8a8991
	v_mov_b32_e32 v15, 0xbecd26ab
	v_fma_f32 v15, |v6|, s6, v15
	s_mov_b32 s6, 0x3f528d33
	v_fma_f32 v15, |v6|, v15, s6
	s_mov_b32 s6, 0x800000
	v_cmp_lt_f32_e64 vcc, |v6|, s6
	v_cndmask_b32_e64 v16, 0, 32, vcc
	v_ldexp_f32 v16, |v6|, v16
	v_log_f32_e32 v16, v16
	s_mov_b32 s6, 0xbf13c468
	v_fma_f32 v15, |v6|, v15, s6
	s_mov_b32 s6, 0x3f317217
	v_mul_f32_e32 v17, 0x3f317217, v16
	v_fma_f32 v18, v16, s6, -v17
	v_fmac_f32_e32 v18, 0x3377d1cf, v16
	s_mov_b32 s6, 0x7f800000
	v_add_f32_e32 v17, v17, v18
	v_cmp_lt_f32_e64 s[6:7], |v16|, s6
	v_cndmask_b32_e64 v16, v16, v17, s[6:7]
	v_mov_b32_e32 v17, 0x41b17218
	v_cndmask_b32_e32 v17, 0, v17, vcc
	v_sub_f32_e32 v16, v16, v17
	v_fma_f32 v15, |v6|, v15, -v16
.LBB155_338:
	s_or_b64 exec, exec, s[8:9]
	v_cmp_le_f32_e32 vcc, 0, v6
	v_cmp_nle_f32_e64 s[6:7], 0, v6
	s_and_saveexec_b64 s[8:9], s[6:7]
	s_xor_b64 s[12:13], exec, s[8:9]
	s_cbranch_execz .LBB155_342
; %bb.339:
	s_mov_b32 s6, 0x4b000000
	s_mov_b32 s8, 0x35000000
	v_cmp_lt_f32_e64 s[6:7], |v6|, s6
	v_cmp_gt_f32_e64 s[8:9], |v6|, s8
	s_and_b64 s[6:7], s[6:7], s[8:9]
	s_and_saveexec_b64 s[14:15], s[6:7]
	s_cbranch_execz .LBB155_341
; %bb.340:
	v_mul_f32_e64 v16, |v6|, 0.5
	v_floor_f32_e32 v17, v16
	v_sub_f32_e32 v17, v16, v17
	v_min_f32_e32 v17, 0x3f7fffff, v17
	s_mov_b32 s8, 0x7f800000
	v_add_f32_e32 v17, v17, v17
	v_cmp_neq_f32_e64 s[6:7], s8, v16
	v_cndmask_b32_e64 v16, 0, v17, s[6:7]
	v_cmp_gt_f32_e64 s[6:7], |v6|, 1.0
	v_cndmask_b32_e64 v16, |v6|, v16, s[6:7]
	v_add_f32_e32 v17, v16, v16
	v_rndne_f32_e32 v17, v17
	v_fmac_f32_e32 v16, -0.5, v17
	v_mul_f32_e32 v18, v16, v16
	v_mov_b32_e32 v19, 0xbf1f24be
	v_fmac_f32_e32 v19, 0x3e75aa41, v18
	v_mov_b32_e32 v20, 0x40234736
	v_fmac_f32_e32 v20, v18, v19
	;; [unrolled: 2-line block ×3, first 2 shown]
	v_mul_f32_e32 v20, v16, v18
	v_mul_f32_e32 v19, v20, v19
	v_fmac_f32_e32 v19, 0x40490fdb, v16
	v_mov_b32_e32 v16, 0x3e642e9d
	v_cvt_i32_f32_e32 v17, v17
	v_fmac_f32_e32 v16, 0x3d4be544, v18
	v_mov_b32_e32 v20, 0xbfaad1da
	v_fmac_f32_e32 v20, v18, v16
	v_mov_b32_e32 v16, 0x4081e0d3
	;; [unrolled: 2-line block ×3, first 2 shown]
	v_fmac_f32_e32 v20, v18, v16
	v_fma_f32 v16, v18, v20, 1.0
	v_and_b32_e32 v18, 1, v17
	v_cmp_eq_u32_e64 s[6:7], 0, v18
	v_cndmask_b32_e64 v16, v16, v19, s[6:7]
	v_lshlrev_b32_e32 v17, 30, v17
	s_brev_b32 s6, 1
	v_and_or_b32 v8, v17, s6, v8
	v_xor_b32_e32 v8, v8, v16
	v_xor_b32_e32 v8, v8, v6
	v_mul_f32_e32 v8, v6, v8
	v_frexp_mant_f32_e64 v16, |v8|
	v_rcp_f32_e32 v16, v16
	v_frexp_exp_i32_f32_e32 v8, v8
	v_sub_u32_e32 v8, 2, v8
	s_mov_b32 s6, 0x800000
	v_mul_f32_e32 v16, 0x3f490fdb, v16
	v_ldexp_f32 v8, v16, v8
	v_cmp_gt_f32_e64 s[6:7], s6, v8
	v_cndmask_b32_e64 v16, 0, 32, s[6:7]
	v_ldexp_f32 v8, v8, v16
	v_log_f32_e32 v8, v8
	s_mov_b32 s9, 0x3f317217
	v_mul_f32_e32 v16, 0x3f317217, v8
	v_fma_f32 v17, v8, s9, -v16
	v_fmac_f32_e32 v17, 0x3377d1cf, v8
	v_add_f32_e32 v16, v16, v17
	v_cmp_lt_f32_e64 s[8:9], |v8|, s8
	v_cndmask_b32_e64 v8, v8, v16, s[8:9]
	v_mov_b32_e32 v16, 0x41b17218
	v_cndmask_b32_e64 v16, 0, v16, s[6:7]
	v_sub_f32_e32 v8, v8, v16
	v_sub_f32_e32 v8, v8, v15
	v_floor_f32_e32 v15, v6
	v_sub_f32_e32 v15, v6, v15
	v_min_f32_e32 v15, 0x3f7fffff, v15
	v_mov_b32_e32 v16, 0x7f800000
	v_cmp_neq_f32_e64 s[6:7], 0, v15
	v_cndmask_b32_e64 v15, v16, v8, s[6:7]
.LBB155_341:
	s_or_b64 exec, exec, s[14:15]
.LBB155_342:
	s_andn2_saveexec_b64 s[12:13], s[12:13]
; %bb.343:
	v_cmp_eq_f32_e64 s[6:7], 1.0, v6
	v_cmp_eq_f32_e64 s[8:9], 2.0, v6
	s_or_b64 s[6:7], s[6:7], s[8:9]
	v_cndmask_b32_e64 v15, v15, 0, s[6:7]
; %bb.344:
	s_or_b64 exec, exec, s[12:13]
	s_mov_b32 s6, 0x4b000000
	v_cmp_lt_f32_e64 s[6:7], |v6|, s6
	v_mov_b32_e32 v8, 0x264
	v_mov_b32_e32 v16, 0x7f800000
	s_or_b64 vcc, vcc, s[6:7]
	v_cndmask_b32_e32 v15, v16, v15, vcc
	v_cmp_class_f32_e32 vcc, v6, v8
	v_cndmask_b32_e32 v8, v15, v16, vcc
	v_cmp_u_f32_e32 vcc, v6, v6
	v_cndmask_b32_e32 v6, v8, v6, vcc
	v_bfe_u32 v8, v6, 16, 1
	s_movk_i32 s6, 0x7fff
	v_add3_u32 v8, v6, v8, s6
	v_cmp_o_f32_e32 vcc, v6, v6
	v_mov_b32_e32 v6, 0x7fc0
	v_cndmask_b32_sdwa v8, v6, v8, vcc dst_sel:DWORD dst_unused:UNUSED_PAD src0_sel:DWORD src1_sel:WORD_1
	s_or_b64 exec, exec, s[10:11]
	s_and_saveexec_b64 s[6:7], s[4:5]
	s_xor_b64 s[4:5], exec, s[6:7]
	s_cbranch_execz .LBB155_298
.LBB155_345:
	v_mov_b32_e32 v6, 0
	v_lshlrev_b64 v[5:6], 1, v[5:6]
	v_mov_b32_e32 v7, v3
	v_add_co_u32_e32 v5, vcc, v0, v5
	v_addc_co_u32_e32 v6, vcc, v1, v6, vcc
	flat_store_short v[5:6], v2
	s_or_b64 exec, exec, s[4:5]
	v_cmp_lt_i32_e32 vcc, v7, v4
	s_and_saveexec_b64 s[4:5], vcc
	s_cbranch_execz .LBB155_299
.LBB155_346:
	v_add_u32_e32 v2, s18, v7
	v_mov_b32_e32 v3, 0
	v_lshlrev_b64 v[2:3], 1, v[2:3]
	v_add_u32_e32 v7, 0x100, v7
	v_add_co_u32_e32 v2, vcc, v0, v2
	v_addc_co_u32_e32 v3, vcc, v1, v3, vcc
	flat_store_short v[2:3], v10
	s_or_b64 exec, exec, s[4:5]
	v_cmp_lt_i32_e32 vcc, v7, v4
	s_and_saveexec_b64 s[4:5], vcc
	s_cbranch_execz .LBB155_300
.LBB155_347:
	v_add_u32_e32 v2, s18, v7
	v_mov_b32_e32 v3, 0
	v_lshlrev_b64 v[2:3], 1, v[2:3]
	v_add_u32_e32 v7, 0x100, v7
	v_add_co_u32_e32 v2, vcc, v0, v2
	v_addc_co_u32_e32 v3, vcc, v1, v3, vcc
	flat_store_short v[2:3], v11
	s_or_b64 exec, exec, s[4:5]
	v_cmp_lt_i32_e32 vcc, v7, v4
	s_and_saveexec_b64 s[4:5], vcc
	s_cbranch_execz .LBB155_301
.LBB155_348:
	v_add_u32_e32 v2, s18, v7
	v_mov_b32_e32 v3, 0
	v_lshlrev_b64 v[2:3], 1, v[2:3]
	v_add_u32_e32 v7, 0x100, v7
	v_add_co_u32_e32 v2, vcc, v0, v2
	v_addc_co_u32_e32 v3, vcc, v1, v3, vcc
	flat_store_short v[2:3], v14
	s_or_b64 exec, exec, s[4:5]
	v_cmp_lt_i32_e32 vcc, v7, v4
	s_and_saveexec_b64 s[4:5], vcc
	s_cbranch_execz .LBB155_302
.LBB155_349:
	v_add_u32_e32 v2, s18, v7
	v_mov_b32_e32 v3, 0
	v_lshlrev_b64 v[2:3], 1, v[2:3]
	v_add_u32_e32 v7, 0x100, v7
	v_add_co_u32_e32 v2, vcc, v0, v2
	v_addc_co_u32_e32 v3, vcc, v1, v3, vcc
	flat_store_short v[2:3], v13
	s_or_b64 exec, exec, s[4:5]
	v_cmp_lt_i32_e32 vcc, v7, v4
	s_and_saveexec_b64 s[4:5], vcc
	s_cbranch_execz .LBB155_303
.LBB155_350:
	v_add_u32_e32 v2, s18, v7
	v_mov_b32_e32 v3, 0
	v_lshlrev_b64 v[2:3], 1, v[2:3]
	v_add_u32_e32 v7, 0x100, v7
	v_add_co_u32_e32 v2, vcc, v0, v2
	v_addc_co_u32_e32 v3, vcc, v1, v3, vcc
	flat_store_short v[2:3], v12
	s_or_b64 exec, exec, s[4:5]
	v_cmp_lt_i32_e32 vcc, v7, v4
	s_and_saveexec_b64 s[4:5], vcc
	s_cbranch_execz .LBB155_304
.LBB155_351:
	v_add_u32_e32 v2, s18, v7
	v_mov_b32_e32 v3, 0
	v_lshlrev_b64 v[2:3], 1, v[2:3]
	v_add_u32_e32 v7, 0x100, v7
	v_add_co_u32_e32 v2, vcc, v0, v2
	v_addc_co_u32_e32 v3, vcc, v1, v3, vcc
	flat_store_short v[2:3], v9
	s_or_b64 exec, exec, s[4:5]
	v_cmp_lt_i32_e32 vcc, v7, v4
	s_and_saveexec_b64 s[4:5], vcc
	s_cbranch_execz .LBB155_305
.LBB155_352:
	v_add_u32_e32 v2, s18, v7
	v_mov_b32_e32 v3, 0
	v_lshlrev_b64 v[2:3], 1, v[2:3]
	v_add_co_u32_e32 v0, vcc, v0, v2
	v_addc_co_u32_e32 v1, vcc, v1, v3, vcc
	flat_store_short v[0:1], v8
	s_or_b64 exec, exec, s[4:5]
	s_waitcnt vmcnt(0) lgkmcnt(0)
	s_setpc_b64 s[30:31]
.Lfunc_end155:
	.size	_ZN2at6native25elementwise_kernel_helperILb0EZZZNS0_18lgamma_kernel_cudaERNS_18TensorIteratorBaseEENKUlvE_clEvENKUlvE2_clEvEUlN3c108BFloat16EE_NS0_6memory8policies11unroll_baseILi256ESt5arrayIPcLm2EE23TrivialOffsetCalculatorILi1EjESG_NS9_15LoadWithoutCastENS9_16StoreWithoutCastELi8ELi1EEEEEvT0_T1_, .Lfunc_end155-_ZN2at6native25elementwise_kernel_helperILb0EZZZNS0_18lgamma_kernel_cudaERNS_18TensorIteratorBaseEENKUlvE_clEvENKUlvE2_clEvEUlN3c108BFloat16EE_NS0_6memory8policies11unroll_baseILi256ESt5arrayIPcLm2EE23TrivialOffsetCalculatorILi1EjESG_NS9_15LoadWithoutCastENS9_16StoreWithoutCastELi8ELi1EEEEEvT0_T1_
                                        ; -- End function
	.set .L_ZN2at6native25elementwise_kernel_helperILb0EZZZNS0_18lgamma_kernel_cudaERNS_18TensorIteratorBaseEENKUlvE_clEvENKUlvE2_clEvEUlN3c108BFloat16EE_NS0_6memory8policies11unroll_baseILi256ESt5arrayIPcLm2EE23TrivialOffsetCalculatorILi1EjESG_NS9_15LoadWithoutCastENS9_16StoreWithoutCastELi8ELi1EEEEEvT0_T1_.num_vgpr, 32
	.set .L_ZN2at6native25elementwise_kernel_helperILb0EZZZNS0_18lgamma_kernel_cudaERNS_18TensorIteratorBaseEENKUlvE_clEvENKUlvE2_clEvEUlN3c108BFloat16EE_NS0_6memory8policies11unroll_baseILi256ESt5arrayIPcLm2EE23TrivialOffsetCalculatorILi1EjESG_NS9_15LoadWithoutCastENS9_16StoreWithoutCastELi8ELi1EEEEEvT0_T1_.num_agpr, 0
	.set .L_ZN2at6native25elementwise_kernel_helperILb0EZZZNS0_18lgamma_kernel_cudaERNS_18TensorIteratorBaseEENKUlvE_clEvENKUlvE2_clEvEUlN3c108BFloat16EE_NS0_6memory8policies11unroll_baseILi256ESt5arrayIPcLm2EE23TrivialOffsetCalculatorILi1EjESG_NS9_15LoadWithoutCastENS9_16StoreWithoutCastELi8ELi1EEEEEvT0_T1_.numbered_sgpr, 32
	.set .L_ZN2at6native25elementwise_kernel_helperILb0EZZZNS0_18lgamma_kernel_cudaERNS_18TensorIteratorBaseEENKUlvE_clEvENKUlvE2_clEvEUlN3c108BFloat16EE_NS0_6memory8policies11unroll_baseILi256ESt5arrayIPcLm2EE23TrivialOffsetCalculatorILi1EjESG_NS9_15LoadWithoutCastENS9_16StoreWithoutCastELi8ELi1EEEEEvT0_T1_.num_named_barrier, 0
	.set .L_ZN2at6native25elementwise_kernel_helperILb0EZZZNS0_18lgamma_kernel_cudaERNS_18TensorIteratorBaseEENKUlvE_clEvENKUlvE2_clEvEUlN3c108BFloat16EE_NS0_6memory8policies11unroll_baseILi256ESt5arrayIPcLm2EE23TrivialOffsetCalculatorILi1EjESG_NS9_15LoadWithoutCastENS9_16StoreWithoutCastELi8ELi1EEEEEvT0_T1_.private_seg_size, 0
	.set .L_ZN2at6native25elementwise_kernel_helperILb0EZZZNS0_18lgamma_kernel_cudaERNS_18TensorIteratorBaseEENKUlvE_clEvENKUlvE2_clEvEUlN3c108BFloat16EE_NS0_6memory8policies11unroll_baseILi256ESt5arrayIPcLm2EE23TrivialOffsetCalculatorILi1EjESG_NS9_15LoadWithoutCastENS9_16StoreWithoutCastELi8ELi1EEEEEvT0_T1_.uses_vcc, 1
	.set .L_ZN2at6native25elementwise_kernel_helperILb0EZZZNS0_18lgamma_kernel_cudaERNS_18TensorIteratorBaseEENKUlvE_clEvENKUlvE2_clEvEUlN3c108BFloat16EE_NS0_6memory8policies11unroll_baseILi256ESt5arrayIPcLm2EE23TrivialOffsetCalculatorILi1EjESG_NS9_15LoadWithoutCastENS9_16StoreWithoutCastELi8ELi1EEEEEvT0_T1_.uses_flat_scratch, 0
	.set .L_ZN2at6native25elementwise_kernel_helperILb0EZZZNS0_18lgamma_kernel_cudaERNS_18TensorIteratorBaseEENKUlvE_clEvENKUlvE2_clEvEUlN3c108BFloat16EE_NS0_6memory8policies11unroll_baseILi256ESt5arrayIPcLm2EE23TrivialOffsetCalculatorILi1EjESG_NS9_15LoadWithoutCastENS9_16StoreWithoutCastELi8ELi1EEEEEvT0_T1_.has_dyn_sized_stack, 0
	.set .L_ZN2at6native25elementwise_kernel_helperILb0EZZZNS0_18lgamma_kernel_cudaERNS_18TensorIteratorBaseEENKUlvE_clEvENKUlvE2_clEvEUlN3c108BFloat16EE_NS0_6memory8policies11unroll_baseILi256ESt5arrayIPcLm2EE23TrivialOffsetCalculatorILi1EjESG_NS9_15LoadWithoutCastENS9_16StoreWithoutCastELi8ELi1EEEEEvT0_T1_.has_recursion, 0
	.set .L_ZN2at6native25elementwise_kernel_helperILb0EZZZNS0_18lgamma_kernel_cudaERNS_18TensorIteratorBaseEENKUlvE_clEvENKUlvE2_clEvEUlN3c108BFloat16EE_NS0_6memory8policies11unroll_baseILi256ESt5arrayIPcLm2EE23TrivialOffsetCalculatorILi1EjESG_NS9_15LoadWithoutCastENS9_16StoreWithoutCastELi8ELi1EEEEEvT0_T1_.has_indirect_call, 0
	.section	.AMDGPU.csdata,"",@progbits
; Function info:
; codeLenInByte = 22312
; TotalNumSgprs: 36
; NumVgprs: 32
; ScratchSize: 0
; MemoryBound: 0
	.text
	.p2align	2                               ; -- Begin function _ZN2at6native25elementwise_kernel_helperILb0EZZZNS0_18lgamma_kernel_cudaERNS_18TensorIteratorBaseEENKUlvE_clEvENKUlvE2_clEvEUlN3c108BFloat16EE_NS0_6memory8policies10vectorizedILi8ESt5arrayIPcLm2EELi8EEEEEvT0_T1_
	.type	_ZN2at6native25elementwise_kernel_helperILb0EZZZNS0_18lgamma_kernel_cudaERNS_18TensorIteratorBaseEENKUlvE_clEvENKUlvE2_clEvEUlN3c108BFloat16EE_NS0_6memory8policies10vectorizedILi8ESt5arrayIPcLm2EELi8EEEEEvT0_T1_,@function
_ZN2at6native25elementwise_kernel_helperILb0EZZZNS0_18lgamma_kernel_cudaERNS_18TensorIteratorBaseEENKUlvE_clEvENKUlvE2_clEvEUlN3c108BFloat16EE_NS0_6memory8policies10vectorizedILi8ESt5arrayIPcLm2EELi8EEEEEvT0_T1_: ; @_ZN2at6native25elementwise_kernel_helperILb0EZZZNS0_18lgamma_kernel_cudaERNS_18TensorIteratorBaseEENKUlvE_clEvENKUlvE2_clEvEUlN3c108BFloat16EE_NS0_6memory8policies10vectorizedILi8ESt5arrayIPcLm2EELi8EEEEEvT0_T1_
; %bb.0:
	s_waitcnt vmcnt(0) expcnt(0) lgkmcnt(0)
	s_lshl_b32 s4, s12, 11
	s_ashr_i32 s5, s4, 31
	s_lshl_b64 s[22:23], s[4:5], 1
	v_mov_b32_e32 v4, s23
	v_add_co_u32_e32 v2, vcc, s22, v2
	v_addc_co_u32_e32 v3, vcc, v3, v4, vcc
	v_and_b32_e32 v4, 0x3ff, v31
	v_lshlrev_b32_e32 v6, 4, v4
	v_add_co_u32_e32 v2, vcc, v2, v6
	v_addc_co_u32_e32 v3, vcc, 0, v3, vcc
	flat_load_dwordx4 v[2:5], v[2:3]
	s_mov_b32 s4, 0x3c800000
                                        ; implicit-def: $vgpr8
	s_waitcnt vmcnt(0) lgkmcnt(0)
	v_lshlrev_b32_e32 v7, 16, v2
	v_and_b32_e32 v9, 0x7fffffff, v7
	v_cmp_nlt_f32_e64 s[4:5], |v7|, s4
	s_and_saveexec_b64 s[6:7], s[4:5]
	s_xor_b64 s[6:7], exec, s[6:7]
	s_cbranch_execz .LBB156_30
; %bb.1:
	v_cmp_nlt_f32_e64 s[4:5], |v7|, 2.0
                                        ; implicit-def: $vgpr8
	s_and_saveexec_b64 s[8:9], s[4:5]
	s_xor_b64 s[8:9], exec, s[8:9]
	s_cbranch_execz .LBB156_11
; %bb.2:
	s_mov_b32 s4, 0x41000000
	v_cmp_nlt_f32_e64 s[4:5], |v7|, s4
                                        ; implicit-def: $vgpr8
	s_and_saveexec_b64 s[10:11], s[4:5]
	s_xor_b64 s[10:11], exec, s[10:11]
	s_cbranch_execz .LBB156_8
; %bb.3:
	s_mov_b32 s4, 0x5c800000
	v_cmp_nlt_f32_e64 s[4:5], |v7|, s4
                                        ; implicit-def: $vgpr8
	s_and_saveexec_b64 s[12:13], s[4:5]
	s_xor_b64 s[12:13], exec, s[12:13]
	s_cbranch_execz .LBB156_5
; %bb.4:
	s_mov_b32 s4, 0x800000
	v_cmp_lt_f32_e64 vcc, |v7|, s4
	v_cndmask_b32_e64 v8, 0, 32, vcc
	v_ldexp_f32 v8, |v7|, v8
	v_log_f32_e32 v8, v8
	s_mov_b32 s4, 0x3f317217
	s_mov_b32 s5, 0x7f800000
	v_mul_f32_e32 v10, 0x3f317217, v8
	v_fma_f32 v11, v8, s4, -v10
	v_fmac_f32_e32 v11, 0x3377d1cf, v8
	v_add_f32_e32 v10, v10, v11
	v_cmp_lt_f32_e64 s[4:5], |v8|, s5
	v_cndmask_b32_e64 v8, v8, v10, s[4:5]
	v_mov_b32_e32 v10, 0x41b17218
	v_cndmask_b32_e32 v10, 0, v10, vcc
	v_sub_f32_e32 v8, v8, v10
	v_fma_f32 v8, |v7|, v8, -|v7|
.LBB156_5:
	s_andn2_saveexec_b64 s[12:13], s[12:13]
	s_cbranch_execz .LBB156_7
; %bb.6:
	v_rcp_f32_e64 v10, |v7|
	v_mov_b32_e32 v8, 0x3a5b3dd2
	v_mov_b32_e32 v11, 0xba1c065c
	;; [unrolled: 1-line block ×3, first 2 shown]
	v_mul_f32_e32 v13, v10, v10
	v_fmac_f32_e32 v8, 0xbad5c4e8, v13
	v_fmac_f32_e32 v11, v13, v8
	s_mov_b32 s4, 0x800000
	v_fmac_f32_e32 v12, v13, v11
	v_mov_b32_e32 v8, 0xbb360b61
	v_cmp_lt_f32_e64 vcc, |v7|, s4
	v_fmac_f32_e32 v8, v13, v12
	v_cndmask_b32_e64 v12, 0, 32, vcc
	v_ldexp_f32 v12, |v7|, v12
	v_log_f32_e32 v12, v12
	v_mov_b32_e32 v11, 0x3daaaaab
	v_fmac_f32_e32 v11, v13, v8
	v_mov_b32_e32 v8, 0x3ed67f1d
	v_fmac_f32_e32 v8, v10, v11
	s_mov_b32 s4, 0x3f317217
	v_mul_f32_e32 v11, 0x3f317217, v12
	v_fma_f32 v13, v12, s4, -v11
	v_fmac_f32_e32 v13, 0x3377d1cf, v12
	s_mov_b32 s4, 0x7f800000
	v_add_f32_e32 v11, v11, v13
	v_cmp_lt_f32_e64 s[4:5], |v12|, s4
	v_cndmask_b32_e64 v11, v12, v11, s[4:5]
	v_mov_b32_e32 v12, 0x41b17218
	v_cndmask_b32_e32 v12, 0, v12, vcc
	v_sub_f32_e32 v11, v11, v12
	v_add_f32_e64 v10, |v7|, -0.5
	v_add_f32_e32 v11, -1.0, v11
	v_fmac_f32_e32 v8, v10, v11
.LBB156_7:
	s_or_b64 exec, exec, s[12:13]
.LBB156_8:
	s_andn2_saveexec_b64 s[10:11], s[10:11]
	s_cbranch_execz .LBB156_10
; %bb.9:
	v_cvt_i32_f32_e32 v8, v9
	v_mov_b32_e32 v10, 0x3af135b4
	v_mov_b32_e32 v11, 0x3cda40e4
	;; [unrolled: 1-line block ×3, first 2 shown]
	v_cvt_f32_i32_e32 v13, v8
	v_mov_b32_e32 v14, 0x3ea6cc7a
	v_mov_b32_e32 v15, 0x3e5c245a
	v_cmp_lt_i32_e32 vcc, 2, v8
	v_sub_f32_e64 v13, |v7|, v13
	v_fmac_f32_e32 v10, 0x3805ff67, v13
	v_fmac_f32_e32 v11, v13, v10
	;; [unrolled: 1-line block ×3, first 2 shown]
	v_mov_b32_e32 v11, 0x3a4beed6
	v_fmac_f32_e32 v14, v13, v12
	v_fmac_f32_e32 v11, 0x36f5d7bd, v13
	v_mov_b32_e32 v12, 0x3c98bf54
	v_fmac_f32_e32 v12, v13, v11
	v_mov_b32_e32 v11, 0x3e300f6e
	;; [unrolled: 2-line block ×4, first 2 shown]
	v_fmac_f32_e32 v11, v13, v12
	v_add_f32_e32 v12, 2.0, v13
	v_mov_b32_e32 v16, 0xbd9e233f
	v_fmac_f32_e32 v15, v13, v14
	v_add_f32_e32 v14, 0x40400000, v13
	v_cndmask_b32_e32 v12, 1.0, v12, vcc
	v_cmp_lt_i32_e32 vcc, 3, v8
	v_fmac_f32_e32 v16, v13, v15
	v_add_f32_e32 v15, 4.0, v13
	v_cndmask_b32_e32 v14, 1.0, v14, vcc
	v_cmp_lt_i32_e32 vcc, 4, v8
	v_mul_f32_e32 v10, v13, v16
	v_add_f32_e32 v16, 0x40a00000, v13
	v_mul_f32_e32 v12, v12, v14
	v_cndmask_b32_e32 v14, 1.0, v15, vcc
	v_cmp_lt_i32_e32 vcc, 5, v8
	v_add_f32_e32 v17, 0x40c00000, v13
	v_mul_f32_e32 v12, v14, v12
	v_cndmask_b32_e32 v14, 1.0, v16, vcc
	v_cmp_lt_i32_e32 vcc, 6, v8
	v_mul_f32_e32 v12, v14, v12
	v_cndmask_b32_e32 v8, 1.0, v17, vcc
	v_mul_f32_e32 v8, v8, v12
	s_mov_b32 s4, 0x800000
	v_cmp_gt_f32_e32 vcc, s4, v8
	v_cndmask_b32_e64 v12, 0, 32, vcc
	v_fma_f32 v11, v13, v11, 1.0
	v_ldexp_f32 v8, v8, v12
	v_rcp_f32_e32 v11, v11
	v_log_f32_e32 v8, v8
	s_mov_b32 s4, 0x3f317217
	v_mul_f32_e32 v10, v10, v11
	v_mul_f32_e32 v11, 0x3f317217, v8
	v_fma_f32 v12, v8, s4, -v11
	v_fmac_f32_e32 v12, 0x3377d1cf, v8
	s_mov_b32 s4, 0x7f800000
	v_add_f32_e32 v11, v11, v12
	v_cmp_lt_f32_e64 s[4:5], |v8|, s4
	v_cndmask_b32_e64 v8, v8, v11, s[4:5]
	v_mov_b32_e32 v11, 0x41b17218
	v_cndmask_b32_e32 v11, 0, v11, vcc
	v_fmac_f32_e32 v10, 0.5, v13
	v_sub_f32_e32 v8, v8, v11
	v_add_f32_e32 v8, v8, v10
.LBB156_10:
	s_or_b64 exec, exec, s[10:11]
.LBB156_11:
	s_andn2_saveexec_b64 s[8:9], s[8:9]
	s_cbranch_execz .LBB156_29
; %bb.12:
	s_mov_b32 s4, 0x3f666666
	v_cmp_le_f32_e64 s[4:5], |v7|, s4
                                        ; implicit-def: $vgpr8
                                        ; implicit-def: $vgpr11
                                        ; implicit-def: $vgpr10
	s_and_saveexec_b64 s[10:11], s[4:5]
	s_xor_b64 s[10:11], exec, s[10:11]
	s_cbranch_execz .LBB156_14
; %bb.13:
	s_mov_b32 s4, 0x800000
	v_cmp_lt_f32_e64 vcc, |v7|, s4
	v_cndmask_b32_e64 v8, 0, 32, vcc
	v_ldexp_f32 v8, |v7|, v8
	v_log_f32_e32 v8, v8
	s_mov_b32 s4, 0x3f317217
	s_mov_b32 s5, 0x7f800000
	v_mul_f32_e32 v10, 0x3f317217, v8
	v_fma_f32 v11, v8, s4, -v10
	v_fmac_f32_e32 v11, 0x3377d1cf, v8
	v_add_f32_e32 v10, v10, v11
	v_cmp_lt_f32_e64 s[4:5], |v8|, s5
	v_cndmask_b32_e64 v8, v8, v10, s[4:5]
	v_mov_b32_e32 v10, 0x41b17218
	v_cndmask_b32_e32 v10, 0, v10, vcc
	s_mov_b32 s4, 0x3f3b4a23
	s_mov_b32 s5, 0xbeec5b0c
	v_sub_f32_e32 v8, v8, v10
	v_sub_f32_e64 v10, 1.0, |v7|
	v_add_f32_e64 v11, |v7|, s5
	v_cmp_lt_f32_e64 vcc, |v7|, s4
	s_mov_b32 s4, 0x3e6d3309
	v_cndmask_b32_e32 v10, v10, v11, vcc
	v_cndmask_b32_e64 v11, 0, 1, vcc
	v_cmp_lt_f32_e64 s[4:5], |v7|, s4
	v_xor_b32_e32 v8, 0x80000000, v8
	v_cndmask_b32_e64 v10, v10, |v7|, s[4:5]
	v_cndmask_b32_e64 v11, v11, 2, s[4:5]
.LBB156_14:
	s_andn2_saveexec_b64 s[4:5], s[10:11]
	s_cbranch_execz .LBB156_16
; %bb.15:
	s_mov_b32 s10, 0x3fdda512
	s_mov_b32 s11, 0xbfbb16c3
	v_sub_f32_e64 v8, 2.0, |v7|
	v_add_f32_e64 v10, |v7|, s11
	v_cmp_lt_f32_e64 vcc, |v7|, s10
	v_cndmask_b32_e32 v10, v8, v10, vcc
	v_cndmask_b32_e64 v8, v8, 1.0, vcc
	v_cvt_i32_f32_e32 v8, v8
	s_mov_b32 s10, 0x3f9d70a4
	v_add_f32_e64 v11, |v7|, -1.0
	v_cmp_lt_f32_e64 vcc, |v7|, s10
	v_cndmask_b32_e32 v10, v10, v11, vcc
	v_cndmask_b32_e64 v11, v8, 2, vcc
	v_mov_b32_e32 v8, 0
.LBB156_16:
	s_or_b64 exec, exec, s[4:5]
	v_cmp_lt_i32_e32 vcc, 0, v11
	s_and_saveexec_b64 s[4:5], vcc
	s_xor_b64 s[4:5], exec, s[4:5]
	s_cbranch_execz .LBB156_24
; %bb.17:
	v_cmp_lt_i32_e32 vcc, 1, v11
	s_and_saveexec_b64 s[10:11], vcc
	s_xor_b64 s[10:11], exec, s[10:11]
	s_cbranch_execz .LBB156_21
; %bb.18:
	v_cmp_eq_u32_e32 vcc, 2, v11
	s_and_saveexec_b64 s[12:13], vcc
	s_cbranch_execz .LBB156_20
; %bb.19:
	v_mov_b32_e32 v11, 0x3e6a7578
	v_fmac_f32_e32 v11, 0x3c5b3c5e, v10
	v_mov_b32_e32 v12, 0x3f7a4bb2
	v_fmac_f32_e32 v12, v10, v11
	;; [unrolled: 2-line block ×8, first 2 shown]
	v_fma_f32 v11, v10, v13, 1.0
	v_rcp_f32_e32 v11, v11
	v_mov_b32_e32 v13, 0xbd9e233f
	v_fmac_f32_e32 v13, v10, v12
	v_mul_f32_e32 v12, v10, v13
	v_mul_f32_e32 v11, v12, v11
	v_fmac_f32_e32 v11, -0.5, v10
	v_add_f32_e32 v8, v8, v11
.LBB156_20:
	s_or_b64 exec, exec, s[12:13]
                                        ; implicit-def: $vgpr10
.LBB156_21:
	s_andn2_saveexec_b64 s[10:11], s[10:11]
	s_cbranch_execz .LBB156_23
; %bb.22:
	v_mul_f32_e32 v11, v10, v10
	v_mul_f32_e32 v12, v10, v11
	v_mov_b32_e32 v13, 0xbab7f476
	v_fmac_f32_e32 v13, 0x39a57b6b, v12
	v_mov_b32_e32 v14, 0x3bc7e707
	v_fmac_f32_e32 v14, v12, v13
	;; [unrolled: 2-line block ×12, first 2 shown]
	v_fmac_f32_e32 v15, v10, v16
	s_mov_b32 s12, 0xa2863e55
	v_fma_f32 v10, v12, -v15, s12
	v_fma_f32 v10, v11, v14, -v10
	v_add_f32_e32 v10, 0xbdf8cdce, v10
	v_add_f32_e32 v8, v8, v10
.LBB156_23:
	s_or_b64 exec, exec, s[10:11]
                                        ; implicit-def: $vgpr11
                                        ; implicit-def: $vgpr10
.LBB156_24:
	s_andn2_saveexec_b64 s[4:5], s[4:5]
	s_cbranch_execz .LBB156_28
; %bb.25:
	v_cmp_eq_u32_e32 vcc, 0, v11
	s_and_saveexec_b64 s[10:11], vcc
	s_cbranch_execz .LBB156_27
; %bb.26:
	v_mul_f32_e32 v11, v10, v10
	v_mov_b32_e32 v12, 0x39679767
	v_fmac_f32_e32 v12, 0x37d383a2, v11
	v_mov_b32_e32 v13, 0x3a9c54a1
	v_fmac_f32_e32 v13, v11, v12
	;; [unrolled: 2-line block ×10, first 2 shown]
	v_mul_f32_e32 v11, v11, v13
	v_fmac_f32_e32 v11, v10, v12
	v_fmac_f32_e32 v11, -0.5, v10
	v_add_f32_e32 v8, v8, v11
.LBB156_27:
	s_or_b64 exec, exec, s[10:11]
.LBB156_28:
	s_or_b64 exec, exec, s[4:5]
.LBB156_29:
	s_or_b64 exec, exec, s[8:9]
.LBB156_30:
	s_andn2_saveexec_b64 s[6:7], s[6:7]
	s_cbranch_execz .LBB156_32
; %bb.31:
	s_mov_b32 s4, 0x3e8a8991
	v_mov_b32_e32 v8, 0xbecd26ab
	v_fma_f32 v8, |v7|, s4, v8
	s_mov_b32 s4, 0x3f528d33
	v_fma_f32 v8, |v7|, v8, s4
	s_mov_b32 s4, 0x800000
	v_cmp_lt_f32_e64 vcc, |v7|, s4
	v_cndmask_b32_e64 v10, 0, 32, vcc
	v_ldexp_f32 v10, |v7|, v10
	v_log_f32_e32 v10, v10
	s_mov_b32 s4, 0xbf13c468
	v_fma_f32 v8, |v7|, v8, s4
	s_mov_b32 s4, 0x3f317217
	v_mul_f32_e32 v11, 0x3f317217, v10
	v_fma_f32 v12, v10, s4, -v11
	v_fmac_f32_e32 v12, 0x3377d1cf, v10
	s_mov_b32 s4, 0x7f800000
	v_add_f32_e32 v11, v11, v12
	v_cmp_lt_f32_e64 s[4:5], |v10|, s4
	v_cndmask_b32_e64 v10, v10, v11, s[4:5]
	v_mov_b32_e32 v11, 0x41b17218
	v_cndmask_b32_e32 v11, 0, v11, vcc
	v_sub_f32_e32 v10, v10, v11
	v_fma_f32 v8, |v7|, v8, -v10
.LBB156_32:
	s_or_b64 exec, exec, s[6:7]
	v_cmp_le_f32_e32 vcc, 0, v7
	v_cmp_nle_f32_e64 s[4:5], 0, v7
	s_and_saveexec_b64 s[6:7], s[4:5]
	s_xor_b64 s[8:9], exec, s[6:7]
	s_cbranch_execz .LBB156_36
; %bb.33:
	s_mov_b32 s4, 0x4b000000
	s_mov_b32 s6, 0x35000000
	v_cmp_lt_f32_e64 s[4:5], |v7|, s4
	v_cmp_gt_f32_e64 s[6:7], |v7|, s6
	s_and_b64 s[4:5], s[4:5], s[6:7]
	s_and_saveexec_b64 s[10:11], s[4:5]
	s_cbranch_execz .LBB156_35
; %bb.34:
	v_mul_f32_e64 v10, |v7|, 0.5
	v_floor_f32_e32 v11, v10
	v_sub_f32_e32 v11, v10, v11
	v_min_f32_e32 v11, 0x3f7fffff, v11
	s_mov_b32 s6, 0x7f800000
	v_add_f32_e32 v11, v11, v11
	v_cmp_neq_f32_e64 s[4:5], s6, v10
	v_cndmask_b32_e64 v10, 0, v11, s[4:5]
	v_cmp_gt_f32_e64 s[4:5], |v7|, 1.0
	v_cndmask_b32_e64 v10, |v7|, v10, s[4:5]
	v_add_f32_e32 v11, v10, v10
	v_rndne_f32_e32 v11, v11
	v_fmac_f32_e32 v10, -0.5, v11
	v_mul_f32_e32 v12, v10, v10
	v_mov_b32_e32 v13, 0xbf1f24be
	v_fmac_f32_e32 v13, 0x3e75aa41, v12
	v_mov_b32_e32 v14, 0x40234736
	v_fmac_f32_e32 v14, v12, v13
	;; [unrolled: 2-line block ×3, first 2 shown]
	v_mul_f32_e32 v14, v10, v12
	v_mul_f32_e32 v13, v14, v13
	v_fmac_f32_e32 v13, 0x40490fdb, v10
	v_mov_b32_e32 v10, 0x3e642e9d
	v_cvt_i32_f32_e32 v11, v11
	v_fmac_f32_e32 v10, 0x3d4be544, v12
	v_mov_b32_e32 v14, 0xbfaad1da
	v_fmac_f32_e32 v14, v12, v10
	v_mov_b32_e32 v10, 0x4081e0d3
	;; [unrolled: 2-line block ×3, first 2 shown]
	v_fmac_f32_e32 v14, v12, v10
	v_fma_f32 v10, v12, v14, 1.0
	v_and_b32_e32 v12, 1, v11
	v_cmp_eq_u32_e64 s[4:5], 0, v12
	v_cndmask_b32_e64 v10, v10, v13, s[4:5]
	v_lshlrev_b32_e32 v11, 30, v11
	s_brev_b32 s4, 1
	v_and_or_b32 v9, v11, s4, v9
	v_xor_b32_e32 v9, v9, v10
	v_xor_b32_e32 v9, v9, v7
	v_mul_f32_e32 v9, v7, v9
	v_frexp_mant_f32_e64 v10, |v9|
	v_rcp_f32_e32 v10, v10
	v_frexp_exp_i32_f32_e32 v9, v9
	v_sub_u32_e32 v9, 2, v9
	s_mov_b32 s4, 0x800000
	v_mul_f32_e32 v10, 0x3f490fdb, v10
	v_ldexp_f32 v9, v10, v9
	v_cmp_gt_f32_e64 s[4:5], s4, v9
	v_cndmask_b32_e64 v10, 0, 32, s[4:5]
	v_ldexp_f32 v9, v9, v10
	v_log_f32_e32 v9, v9
	s_mov_b32 s7, 0x3f317217
	v_mul_f32_e32 v10, 0x3f317217, v9
	v_fma_f32 v11, v9, s7, -v10
	v_fmac_f32_e32 v11, 0x3377d1cf, v9
	v_add_f32_e32 v10, v10, v11
	v_cmp_lt_f32_e64 s[6:7], |v9|, s6
	v_cndmask_b32_e64 v9, v9, v10, s[6:7]
	v_mov_b32_e32 v10, 0x41b17218
	v_cndmask_b32_e64 v10, 0, v10, s[4:5]
	v_sub_f32_e32 v9, v9, v10
	v_sub_f32_e32 v8, v9, v8
	v_floor_f32_e32 v9, v7
	v_sub_f32_e32 v9, v7, v9
	v_min_f32_e32 v9, 0x3f7fffff, v9
	v_mov_b32_e32 v10, 0x7f800000
	v_cmp_neq_f32_e64 s[4:5], 0, v9
	v_cndmask_b32_e64 v8, v10, v8, s[4:5]
.LBB156_35:
	s_or_b64 exec, exec, s[10:11]
.LBB156_36:
	s_andn2_saveexec_b64 s[8:9], s[8:9]
; %bb.37:
	v_cmp_eq_f32_e64 s[4:5], 1.0, v7
	v_cmp_eq_f32_e64 s[6:7], 2.0, v7
	s_or_b64 s[4:5], s[4:5], s[6:7]
	v_cndmask_b32_e64 v8, v8, 0, s[4:5]
; %bb.38:
	s_or_b64 exec, exec, s[8:9]
	v_and_b32_e32 v2, 0xffff0000, v2
	s_mov_b32 s4, 0x3c800000
	v_and_b32_e32 v10, 0x7fffffff, v2
	v_cmp_nlt_f32_e64 s[4:5], |v2|, s4
                                        ; implicit-def: $vgpr9
	s_and_saveexec_b64 s[6:7], s[4:5]
	s_xor_b64 s[8:9], exec, s[6:7]
	s_cbranch_execz .LBB156_68
; %bb.39:
	v_cmp_nlt_f32_e64 s[4:5], |v2|, 2.0
                                        ; implicit-def: $vgpr9
	s_and_saveexec_b64 s[6:7], s[4:5]
	s_xor_b64 s[10:11], exec, s[6:7]
	s_cbranch_execz .LBB156_49
; %bb.40:
	s_mov_b32 s4, 0x41000000
	v_cmp_nlt_f32_e64 s[4:5], |v2|, s4
                                        ; implicit-def: $vgpr9
	s_and_saveexec_b64 s[6:7], s[4:5]
	s_xor_b64 s[12:13], exec, s[6:7]
	s_cbranch_execz .LBB156_46
; %bb.41:
	s_mov_b32 s4, 0x5c800000
	v_cmp_nlt_f32_e64 s[4:5], |v2|, s4
                                        ; implicit-def: $vgpr9
	s_and_saveexec_b64 s[6:7], s[4:5]
	s_xor_b64 s[14:15], exec, s[6:7]
	s_cbranch_execz .LBB156_43
; %bb.42:
	s_mov_b32 s4, 0x800000
	v_cmp_lt_f32_e64 s[4:5], |v2|, s4
	v_cndmask_b32_e64 v9, 0, 32, s[4:5]
	v_ldexp_f32 v9, |v2|, v9
	v_log_f32_e32 v9, v9
	s_mov_b32 s6, 0x3f317217
	s_mov_b32 s7, 0x7f800000
	v_mul_f32_e32 v11, 0x3f317217, v9
	v_fma_f32 v12, v9, s6, -v11
	v_fmac_f32_e32 v12, 0x3377d1cf, v9
	v_add_f32_e32 v11, v11, v12
	v_cmp_lt_f32_e64 s[6:7], |v9|, s7
	v_cndmask_b32_e64 v9, v9, v11, s[6:7]
	v_mov_b32_e32 v11, 0x41b17218
	v_cndmask_b32_e64 v11, 0, v11, s[4:5]
	v_sub_f32_e32 v9, v9, v11
	v_fma_f32 v9, |v2|, v9, -|v2|
.LBB156_43:
	s_andn2_saveexec_b64 s[14:15], s[14:15]
	s_cbranch_execz .LBB156_45
; %bb.44:
	v_rcp_f32_e64 v11, |v2|
	v_mov_b32_e32 v9, 0x3a5b3dd2
	v_mov_b32_e32 v12, 0xba1c065c
	;; [unrolled: 1-line block ×3, first 2 shown]
	v_mul_f32_e32 v14, v11, v11
	v_fmac_f32_e32 v9, 0xbad5c4e8, v14
	v_fmac_f32_e32 v12, v14, v9
	s_mov_b32 s4, 0x800000
	v_fmac_f32_e32 v13, v14, v12
	v_mov_b32_e32 v9, 0xbb360b61
	v_cmp_lt_f32_e64 s[4:5], |v2|, s4
	v_fmac_f32_e32 v9, v14, v13
	v_cndmask_b32_e64 v13, 0, 32, s[4:5]
	v_ldexp_f32 v13, |v2|, v13
	v_log_f32_e32 v13, v13
	v_mov_b32_e32 v12, 0x3daaaaab
	v_fmac_f32_e32 v12, v14, v9
	v_mov_b32_e32 v9, 0x3ed67f1d
	v_fmac_f32_e32 v9, v11, v12
	s_mov_b32 s6, 0x3f317217
	v_mul_f32_e32 v12, 0x3f317217, v13
	v_fma_f32 v14, v13, s6, -v12
	v_fmac_f32_e32 v14, 0x3377d1cf, v13
	s_mov_b32 s6, 0x7f800000
	v_add_f32_e32 v12, v12, v14
	v_cmp_lt_f32_e64 s[6:7], |v13|, s6
	v_cndmask_b32_e64 v12, v13, v12, s[6:7]
	v_mov_b32_e32 v13, 0x41b17218
	v_cndmask_b32_e64 v13, 0, v13, s[4:5]
	v_sub_f32_e32 v12, v12, v13
	v_add_f32_e64 v11, |v2|, -0.5
	v_add_f32_e32 v12, -1.0, v12
	v_fmac_f32_e32 v9, v11, v12
.LBB156_45:
	s_or_b64 exec, exec, s[14:15]
.LBB156_46:
	s_andn2_saveexec_b64 s[12:13], s[12:13]
	s_cbranch_execz .LBB156_48
; %bb.47:
	v_cvt_i32_f32_e32 v9, v10
	v_mov_b32_e32 v11, 0x3af135b4
	v_mov_b32_e32 v12, 0x3cda40e4
	;; [unrolled: 1-line block ×3, first 2 shown]
	v_cvt_f32_i32_e32 v14, v9
	v_mov_b32_e32 v15, 0x3ea6cc7a
	v_mov_b32_e32 v16, 0x3e5c245a
	v_cmp_lt_i32_e64 s[4:5], 2, v9
	v_sub_f32_e64 v14, |v2|, v14
	v_fmac_f32_e32 v11, 0x3805ff67, v14
	v_fmac_f32_e32 v12, v14, v11
	;; [unrolled: 1-line block ×3, first 2 shown]
	v_mov_b32_e32 v12, 0x3a4beed6
	v_fmac_f32_e32 v15, v14, v13
	v_fmac_f32_e32 v12, 0x36f5d7bd, v14
	v_mov_b32_e32 v13, 0x3c98bf54
	v_fmac_f32_e32 v13, v14, v12
	v_mov_b32_e32 v12, 0x3e300f6e
	;; [unrolled: 2-line block ×4, first 2 shown]
	v_fmac_f32_e32 v12, v14, v13
	v_add_f32_e32 v13, 2.0, v14
	v_mov_b32_e32 v17, 0xbd9e233f
	v_fmac_f32_e32 v16, v14, v15
	v_add_f32_e32 v15, 0x40400000, v14
	v_cndmask_b32_e64 v13, 1.0, v13, s[4:5]
	v_cmp_lt_i32_e64 s[4:5], 3, v9
	v_fmac_f32_e32 v17, v14, v16
	v_add_f32_e32 v16, 4.0, v14
	v_cndmask_b32_e64 v15, 1.0, v15, s[4:5]
	v_cmp_lt_i32_e64 s[4:5], 4, v9
	v_mul_f32_e32 v11, v14, v17
	v_add_f32_e32 v17, 0x40a00000, v14
	v_mul_f32_e32 v13, v13, v15
	v_cndmask_b32_e64 v15, 1.0, v16, s[4:5]
	v_cmp_lt_i32_e64 s[4:5], 5, v9
	v_add_f32_e32 v18, 0x40c00000, v14
	v_mul_f32_e32 v13, v15, v13
	v_cndmask_b32_e64 v15, 1.0, v17, s[4:5]
	v_cmp_lt_i32_e64 s[4:5], 6, v9
	v_mul_f32_e32 v13, v15, v13
	v_cndmask_b32_e64 v9, 1.0, v18, s[4:5]
	v_mul_f32_e32 v9, v9, v13
	s_mov_b32 s4, 0x800000
	v_cmp_gt_f32_e64 s[4:5], s4, v9
	v_cndmask_b32_e64 v13, 0, 32, s[4:5]
	v_fma_f32 v12, v14, v12, 1.0
	v_ldexp_f32 v9, v9, v13
	v_rcp_f32_e32 v12, v12
	v_log_f32_e32 v9, v9
	s_mov_b32 s6, 0x3f317217
	v_mul_f32_e32 v11, v11, v12
	v_mul_f32_e32 v12, 0x3f317217, v9
	v_fma_f32 v13, v9, s6, -v12
	v_fmac_f32_e32 v13, 0x3377d1cf, v9
	s_mov_b32 s6, 0x7f800000
	v_add_f32_e32 v12, v12, v13
	v_cmp_lt_f32_e64 s[6:7], |v9|, s6
	v_cndmask_b32_e64 v9, v9, v12, s[6:7]
	v_mov_b32_e32 v12, 0x41b17218
	v_cndmask_b32_e64 v12, 0, v12, s[4:5]
	v_fmac_f32_e32 v11, 0.5, v14
	v_sub_f32_e32 v9, v9, v12
	v_add_f32_e32 v9, v9, v11
.LBB156_48:
	s_or_b64 exec, exec, s[12:13]
.LBB156_49:
	s_andn2_saveexec_b64 s[10:11], s[10:11]
	s_cbranch_execz .LBB156_67
; %bb.50:
	s_mov_b32 s4, 0x3f666666
	v_cmp_le_f32_e64 s[4:5], |v2|, s4
                                        ; implicit-def: $vgpr9
                                        ; implicit-def: $vgpr12
                                        ; implicit-def: $vgpr11
	s_and_saveexec_b64 s[6:7], s[4:5]
	s_xor_b64 s[12:13], exec, s[6:7]
	s_cbranch_execz .LBB156_52
; %bb.51:
	s_mov_b32 s4, 0x800000
	v_cmp_lt_f32_e64 s[4:5], |v2|, s4
	v_cndmask_b32_e64 v9, 0, 32, s[4:5]
	v_ldexp_f32 v9, |v2|, v9
	v_log_f32_e32 v9, v9
	s_mov_b32 s6, 0x3f317217
	s_mov_b32 s7, 0x7f800000
	v_mul_f32_e32 v11, 0x3f317217, v9
	v_fma_f32 v12, v9, s6, -v11
	v_fmac_f32_e32 v12, 0x3377d1cf, v9
	v_add_f32_e32 v11, v11, v12
	v_cmp_lt_f32_e64 s[6:7], |v9|, s7
	v_cndmask_b32_e64 v9, v9, v11, s[6:7]
	v_mov_b32_e32 v11, 0x41b17218
	v_cndmask_b32_e64 v11, 0, v11, s[4:5]
	s_mov_b32 s4, 0x3f3b4a23
	s_mov_b32 s5, 0xbeec5b0c
	v_sub_f32_e32 v9, v9, v11
	v_sub_f32_e64 v11, 1.0, |v2|
	v_add_f32_e64 v12, |v2|, s5
	v_cmp_lt_f32_e64 s[4:5], |v2|, s4
	v_cndmask_b32_e64 v11, v11, v12, s[4:5]
	v_cndmask_b32_e64 v12, 0, 1, s[4:5]
	s_mov_b32 s4, 0x3e6d3309
	v_cmp_lt_f32_e64 s[4:5], |v2|, s4
	v_xor_b32_e32 v9, 0x80000000, v9
	v_cndmask_b32_e64 v11, v11, |v2|, s[4:5]
	v_cndmask_b32_e64 v12, v12, 2, s[4:5]
.LBB156_52:
	s_andn2_saveexec_b64 s[6:7], s[12:13]
	s_cbranch_execz .LBB156_54
; %bb.53:
	s_mov_b32 s4, 0x3fdda512
	s_mov_b32 s5, 0xbfbb16c3
	v_sub_f32_e64 v9, 2.0, |v2|
	v_add_f32_e64 v11, |v2|, s5
	v_cmp_lt_f32_e64 s[4:5], |v2|, s4
	v_cndmask_b32_e64 v11, v9, v11, s[4:5]
	v_cndmask_b32_e64 v9, v9, 1.0, s[4:5]
	v_cvt_i32_f32_e32 v9, v9
	s_mov_b32 s4, 0x3f9d70a4
	v_add_f32_e64 v12, |v2|, -1.0
	v_cmp_lt_f32_e64 s[4:5], |v2|, s4
	v_cndmask_b32_e64 v11, v11, v12, s[4:5]
	v_cndmask_b32_e64 v12, v9, 2, s[4:5]
	v_mov_b32_e32 v9, 0
.LBB156_54:
	s_or_b64 exec, exec, s[6:7]
	v_cmp_lt_i32_e64 s[4:5], 0, v12
	s_and_saveexec_b64 s[6:7], s[4:5]
	s_xor_b64 s[6:7], exec, s[6:7]
	s_cbranch_execz .LBB156_62
; %bb.55:
	v_cmp_lt_i32_e64 s[4:5], 1, v12
	s_and_saveexec_b64 s[12:13], s[4:5]
	s_xor_b64 s[12:13], exec, s[12:13]
	s_cbranch_execz .LBB156_59
; %bb.56:
	v_cmp_eq_u32_e64 s[4:5], 2, v12
	s_and_saveexec_b64 s[14:15], s[4:5]
	s_cbranch_execz .LBB156_58
; %bb.57:
	v_mov_b32_e32 v12, 0x3e6a7578
	v_fmac_f32_e32 v12, 0x3c5b3c5e, v11
	v_mov_b32_e32 v13, 0x3f7a4bb2
	v_fmac_f32_e32 v13, v11, v12
	;; [unrolled: 2-line block ×8, first 2 shown]
	v_fma_f32 v12, v11, v14, 1.0
	v_rcp_f32_e32 v12, v12
	v_mov_b32_e32 v14, 0xbd9e233f
	v_fmac_f32_e32 v14, v11, v13
	v_mul_f32_e32 v13, v11, v14
	v_mul_f32_e32 v12, v13, v12
	v_fmac_f32_e32 v12, -0.5, v11
	v_add_f32_e32 v9, v9, v12
.LBB156_58:
	s_or_b64 exec, exec, s[14:15]
                                        ; implicit-def: $vgpr11
.LBB156_59:
	s_andn2_saveexec_b64 s[4:5], s[12:13]
	s_cbranch_execz .LBB156_61
; %bb.60:
	v_mul_f32_e32 v12, v11, v11
	v_mul_f32_e32 v13, v11, v12
	v_mov_b32_e32 v14, 0xbab7f476
	v_fmac_f32_e32 v14, 0x39a57b6b, v13
	v_mov_b32_e32 v15, 0x3bc7e707
	v_fmac_f32_e32 v15, v13, v14
	;; [unrolled: 2-line block ×12, first 2 shown]
	v_fmac_f32_e32 v16, v11, v17
	s_mov_b32 s12, 0xa2863e55
	v_fma_f32 v11, v13, -v16, s12
	v_fma_f32 v11, v12, v15, -v11
	v_add_f32_e32 v11, 0xbdf8cdce, v11
	v_add_f32_e32 v9, v9, v11
.LBB156_61:
	s_or_b64 exec, exec, s[4:5]
                                        ; implicit-def: $vgpr12
                                        ; implicit-def: $vgpr11
.LBB156_62:
	s_andn2_saveexec_b64 s[6:7], s[6:7]
	s_cbranch_execz .LBB156_66
; %bb.63:
	v_cmp_eq_u32_e64 s[4:5], 0, v12
	s_and_saveexec_b64 s[12:13], s[4:5]
	s_cbranch_execz .LBB156_65
; %bb.64:
	v_mul_f32_e32 v12, v11, v11
	v_mov_b32_e32 v13, 0x39679767
	v_fmac_f32_e32 v13, 0x37d383a2, v12
	v_mov_b32_e32 v14, 0x3a9c54a1
	v_fmac_f32_e32 v14, v12, v13
	;; [unrolled: 2-line block ×10, first 2 shown]
	v_mul_f32_e32 v12, v12, v14
	v_fmac_f32_e32 v12, v11, v13
	v_fmac_f32_e32 v12, -0.5, v11
	v_add_f32_e32 v9, v9, v12
.LBB156_65:
	s_or_b64 exec, exec, s[12:13]
.LBB156_66:
	s_or_b64 exec, exec, s[6:7]
.LBB156_67:
	s_or_b64 exec, exec, s[10:11]
.LBB156_68:
	s_andn2_saveexec_b64 s[8:9], s[8:9]
	s_cbranch_execz .LBB156_70
; %bb.69:
	s_mov_b32 s4, 0x3e8a8991
	v_mov_b32_e32 v9, 0xbecd26ab
	v_fma_f32 v9, |v2|, s4, v9
	s_mov_b32 s4, 0x3f528d33
	v_fma_f32 v9, |v2|, v9, s4
	s_mov_b32 s4, 0x800000
	v_cmp_lt_f32_e64 s[4:5], |v2|, s4
	v_cndmask_b32_e64 v11, 0, 32, s[4:5]
	v_ldexp_f32 v11, |v2|, v11
	v_log_f32_e32 v11, v11
	s_mov_b32 s6, 0xbf13c468
	v_fma_f32 v9, |v2|, v9, s6
	s_mov_b32 s6, 0x3f317217
	v_mul_f32_e32 v12, 0x3f317217, v11
	v_fma_f32 v13, v11, s6, -v12
	v_fmac_f32_e32 v13, 0x3377d1cf, v11
	s_mov_b32 s6, 0x7f800000
	v_add_f32_e32 v12, v12, v13
	v_cmp_lt_f32_e64 s[6:7], |v11|, s6
	v_cndmask_b32_e64 v11, v11, v12, s[6:7]
	v_mov_b32_e32 v12, 0x41b17218
	v_cndmask_b32_e64 v12, 0, v12, s[4:5]
	v_sub_f32_e32 v11, v11, v12
	v_fma_f32 v9, |v2|, v9, -v11
.LBB156_70:
	s_or_b64 exec, exec, s[8:9]
	v_cmp_le_f32_e64 s[4:5], 0, v2
	v_cmp_nle_f32_e64 s[6:7], 0, v2
	s_and_saveexec_b64 s[8:9], s[6:7]
	s_xor_b64 s[10:11], exec, s[8:9]
	s_cbranch_execz .LBB156_74
; %bb.71:
	s_mov_b32 s6, 0x4b000000
	s_mov_b32 s8, 0x35000000
	v_cmp_lt_f32_e64 s[6:7], |v2|, s6
	v_cmp_gt_f32_e64 s[8:9], |v2|, s8
	s_and_b64 s[6:7], s[6:7], s[8:9]
	s_and_saveexec_b64 s[12:13], s[6:7]
	s_cbranch_execz .LBB156_73
; %bb.72:
	v_mul_f32_e64 v11, |v2|, 0.5
	v_floor_f32_e32 v12, v11
	v_sub_f32_e32 v12, v11, v12
	v_min_f32_e32 v12, 0x3f7fffff, v12
	s_mov_b32 s8, 0x7f800000
	v_add_f32_e32 v12, v12, v12
	v_cmp_neq_f32_e64 s[6:7], s8, v11
	v_cndmask_b32_e64 v11, 0, v12, s[6:7]
	v_cmp_gt_f32_e64 s[6:7], |v2|, 1.0
	v_cndmask_b32_e64 v11, |v2|, v11, s[6:7]
	v_add_f32_e32 v12, v11, v11
	v_rndne_f32_e32 v12, v12
	v_fmac_f32_e32 v11, -0.5, v12
	v_mul_f32_e32 v13, v11, v11
	v_mov_b32_e32 v14, 0xbf1f24be
	v_fmac_f32_e32 v14, 0x3e75aa41, v13
	v_mov_b32_e32 v15, 0x40234736
	v_fmac_f32_e32 v15, v13, v14
	;; [unrolled: 2-line block ×3, first 2 shown]
	v_mul_f32_e32 v15, v11, v13
	v_mul_f32_e32 v14, v15, v14
	v_fmac_f32_e32 v14, 0x40490fdb, v11
	v_mov_b32_e32 v11, 0x3e642e9d
	v_cvt_i32_f32_e32 v12, v12
	v_fmac_f32_e32 v11, 0x3d4be544, v13
	v_mov_b32_e32 v15, 0xbfaad1da
	v_fmac_f32_e32 v15, v13, v11
	v_mov_b32_e32 v11, 0x4081e0d3
	;; [unrolled: 2-line block ×3, first 2 shown]
	v_fmac_f32_e32 v15, v13, v11
	v_fma_f32 v11, v13, v15, 1.0
	v_and_b32_e32 v13, 1, v12
	v_cmp_eq_u32_e64 s[6:7], 0, v13
	v_cndmask_b32_e64 v11, v11, v14, s[6:7]
	v_lshlrev_b32_e32 v12, 30, v12
	s_brev_b32 s6, 1
	v_and_or_b32 v10, v12, s6, v10
	v_xor_b32_e32 v10, v10, v11
	v_xor_b32_e32 v10, v10, v2
	v_mul_f32_e32 v10, v2, v10
	v_frexp_mant_f32_e64 v11, |v10|
	v_rcp_f32_e32 v11, v11
	v_frexp_exp_i32_f32_e32 v10, v10
	v_sub_u32_e32 v10, 2, v10
	s_mov_b32 s6, 0x800000
	v_mul_f32_e32 v11, 0x3f490fdb, v11
	v_ldexp_f32 v10, v11, v10
	v_cmp_gt_f32_e64 s[6:7], s6, v10
	v_cndmask_b32_e64 v11, 0, 32, s[6:7]
	v_ldexp_f32 v10, v10, v11
	v_log_f32_e32 v10, v10
	s_mov_b32 s9, 0x3f317217
	v_mul_f32_e32 v11, 0x3f317217, v10
	v_fma_f32 v12, v10, s9, -v11
	v_fmac_f32_e32 v12, 0x3377d1cf, v10
	v_add_f32_e32 v11, v11, v12
	v_cmp_lt_f32_e64 s[8:9], |v10|, s8
	v_cndmask_b32_e64 v10, v10, v11, s[8:9]
	v_mov_b32_e32 v11, 0x41b17218
	v_cndmask_b32_e64 v11, 0, v11, s[6:7]
	v_sub_f32_e32 v10, v10, v11
	v_sub_f32_e32 v9, v10, v9
	v_floor_f32_e32 v10, v2
	v_sub_f32_e32 v10, v2, v10
	v_min_f32_e32 v10, 0x3f7fffff, v10
	v_mov_b32_e32 v11, 0x7f800000
	v_cmp_neq_f32_e64 s[6:7], 0, v10
	v_cndmask_b32_e64 v9, v11, v9, s[6:7]
.LBB156_73:
	s_or_b64 exec, exec, s[12:13]
.LBB156_74:
	s_andn2_saveexec_b64 s[10:11], s[10:11]
; %bb.75:
	v_cmp_eq_f32_e64 s[6:7], 1.0, v2
	v_cmp_eq_f32_e64 s[8:9], 2.0, v2
	s_or_b64 s[6:7], s[6:7], s[8:9]
	v_cndmask_b32_e64 v9, v9, 0, s[6:7]
; %bb.76:
	s_or_b64 exec, exec, s[10:11]
	v_lshlrev_b32_e32 v10, 16, v3
	s_mov_b32 s6, 0x3c800000
	v_and_b32_e32 v12, 0x7fffffff, v10
	v_cmp_nlt_f32_e64 s[6:7], |v10|, s6
                                        ; implicit-def: $vgpr11
	s_and_saveexec_b64 s[8:9], s[6:7]
	s_xor_b64 s[10:11], exec, s[8:9]
	s_cbranch_execz .LBB156_106
; %bb.77:
	v_cmp_nlt_f32_e64 s[6:7], |v10|, 2.0
                                        ; implicit-def: $vgpr11
	s_and_saveexec_b64 s[8:9], s[6:7]
	s_xor_b64 s[12:13], exec, s[8:9]
	s_cbranch_execz .LBB156_87
; %bb.78:
	s_mov_b32 s6, 0x41000000
	v_cmp_nlt_f32_e64 s[6:7], |v10|, s6
                                        ; implicit-def: $vgpr11
	s_and_saveexec_b64 s[8:9], s[6:7]
	s_xor_b64 s[14:15], exec, s[8:9]
	s_cbranch_execz .LBB156_84
; %bb.79:
	s_mov_b32 s6, 0x5c800000
	v_cmp_nlt_f32_e64 s[6:7], |v10|, s6
                                        ; implicit-def: $vgpr11
	s_and_saveexec_b64 s[8:9], s[6:7]
	s_xor_b64 s[16:17], exec, s[8:9]
	s_cbranch_execz .LBB156_81
; %bb.80:
	s_mov_b32 s6, 0x800000
	v_cmp_lt_f32_e64 s[6:7], |v10|, s6
	v_cndmask_b32_e64 v11, 0, 32, s[6:7]
	v_ldexp_f32 v11, |v10|, v11
	v_log_f32_e32 v11, v11
	s_mov_b32 s8, 0x3f317217
	s_mov_b32 s9, 0x7f800000
	v_mul_f32_e32 v13, 0x3f317217, v11
	v_fma_f32 v14, v11, s8, -v13
	v_fmac_f32_e32 v14, 0x3377d1cf, v11
	v_add_f32_e32 v13, v13, v14
	v_cmp_lt_f32_e64 s[8:9], |v11|, s9
	v_cndmask_b32_e64 v11, v11, v13, s[8:9]
	v_mov_b32_e32 v13, 0x41b17218
	v_cndmask_b32_e64 v13, 0, v13, s[6:7]
	v_sub_f32_e32 v11, v11, v13
	v_fma_f32 v11, |v10|, v11, -|v10|
.LBB156_81:
	s_andn2_saveexec_b64 s[16:17], s[16:17]
	s_cbranch_execz .LBB156_83
; %bb.82:
	v_rcp_f32_e64 v13, |v10|
	v_mov_b32_e32 v11, 0x3a5b3dd2
	v_mov_b32_e32 v14, 0xba1c065c
	;; [unrolled: 1-line block ×3, first 2 shown]
	v_mul_f32_e32 v16, v13, v13
	v_fmac_f32_e32 v11, 0xbad5c4e8, v16
	v_fmac_f32_e32 v14, v16, v11
	s_mov_b32 s6, 0x800000
	v_fmac_f32_e32 v15, v16, v14
	v_mov_b32_e32 v11, 0xbb360b61
	v_cmp_lt_f32_e64 s[6:7], |v10|, s6
	v_fmac_f32_e32 v11, v16, v15
	v_cndmask_b32_e64 v15, 0, 32, s[6:7]
	v_ldexp_f32 v15, |v10|, v15
	v_log_f32_e32 v15, v15
	v_mov_b32_e32 v14, 0x3daaaaab
	v_fmac_f32_e32 v14, v16, v11
	v_mov_b32_e32 v11, 0x3ed67f1d
	v_fmac_f32_e32 v11, v13, v14
	s_mov_b32 s8, 0x3f317217
	v_mul_f32_e32 v14, 0x3f317217, v15
	v_fma_f32 v16, v15, s8, -v14
	v_fmac_f32_e32 v16, 0x3377d1cf, v15
	s_mov_b32 s8, 0x7f800000
	v_add_f32_e32 v14, v14, v16
	v_cmp_lt_f32_e64 s[8:9], |v15|, s8
	v_cndmask_b32_e64 v14, v15, v14, s[8:9]
	v_mov_b32_e32 v15, 0x41b17218
	v_cndmask_b32_e64 v15, 0, v15, s[6:7]
	v_sub_f32_e32 v14, v14, v15
	v_add_f32_e64 v13, |v10|, -0.5
	v_add_f32_e32 v14, -1.0, v14
	v_fmac_f32_e32 v11, v13, v14
.LBB156_83:
	s_or_b64 exec, exec, s[16:17]
.LBB156_84:
	s_andn2_saveexec_b64 s[14:15], s[14:15]
	s_cbranch_execz .LBB156_86
; %bb.85:
	v_cvt_i32_f32_e32 v11, v12
	v_mov_b32_e32 v13, 0x3af135b4
	v_mov_b32_e32 v14, 0x3cda40e4
	;; [unrolled: 1-line block ×3, first 2 shown]
	v_cvt_f32_i32_e32 v16, v11
	v_mov_b32_e32 v17, 0x3ea6cc7a
	v_mov_b32_e32 v18, 0x3e5c245a
	v_cmp_lt_i32_e64 s[6:7], 2, v11
	v_sub_f32_e64 v16, |v10|, v16
	v_fmac_f32_e32 v13, 0x3805ff67, v16
	v_fmac_f32_e32 v14, v16, v13
	;; [unrolled: 1-line block ×3, first 2 shown]
	v_mov_b32_e32 v14, 0x3a4beed6
	v_fmac_f32_e32 v17, v16, v15
	v_fmac_f32_e32 v14, 0x36f5d7bd, v16
	v_mov_b32_e32 v15, 0x3c98bf54
	v_fmac_f32_e32 v15, v16, v14
	v_mov_b32_e32 v14, 0x3e300f6e
	;; [unrolled: 2-line block ×4, first 2 shown]
	v_fmac_f32_e32 v14, v16, v15
	v_add_f32_e32 v15, 2.0, v16
	v_mov_b32_e32 v19, 0xbd9e233f
	v_fmac_f32_e32 v18, v16, v17
	v_add_f32_e32 v17, 0x40400000, v16
	v_cndmask_b32_e64 v15, 1.0, v15, s[6:7]
	v_cmp_lt_i32_e64 s[6:7], 3, v11
	v_fmac_f32_e32 v19, v16, v18
	v_add_f32_e32 v18, 4.0, v16
	v_cndmask_b32_e64 v17, 1.0, v17, s[6:7]
	v_cmp_lt_i32_e64 s[6:7], 4, v11
	v_mul_f32_e32 v13, v16, v19
	v_add_f32_e32 v19, 0x40a00000, v16
	v_mul_f32_e32 v15, v15, v17
	v_cndmask_b32_e64 v17, 1.0, v18, s[6:7]
	v_cmp_lt_i32_e64 s[6:7], 5, v11
	v_add_f32_e32 v20, 0x40c00000, v16
	v_mul_f32_e32 v15, v17, v15
	v_cndmask_b32_e64 v17, 1.0, v19, s[6:7]
	v_cmp_lt_i32_e64 s[6:7], 6, v11
	v_mul_f32_e32 v15, v17, v15
	v_cndmask_b32_e64 v11, 1.0, v20, s[6:7]
	v_mul_f32_e32 v11, v11, v15
	s_mov_b32 s6, 0x800000
	v_cmp_gt_f32_e64 s[6:7], s6, v11
	v_cndmask_b32_e64 v15, 0, 32, s[6:7]
	v_fma_f32 v14, v16, v14, 1.0
	v_ldexp_f32 v11, v11, v15
	v_rcp_f32_e32 v14, v14
	v_log_f32_e32 v11, v11
	s_mov_b32 s8, 0x3f317217
	v_mul_f32_e32 v13, v13, v14
	v_mul_f32_e32 v14, 0x3f317217, v11
	v_fma_f32 v15, v11, s8, -v14
	v_fmac_f32_e32 v15, 0x3377d1cf, v11
	s_mov_b32 s8, 0x7f800000
	v_add_f32_e32 v14, v14, v15
	v_cmp_lt_f32_e64 s[8:9], |v11|, s8
	v_cndmask_b32_e64 v11, v11, v14, s[8:9]
	v_mov_b32_e32 v14, 0x41b17218
	v_cndmask_b32_e64 v14, 0, v14, s[6:7]
	v_fmac_f32_e32 v13, 0.5, v16
	v_sub_f32_e32 v11, v11, v14
	v_add_f32_e32 v11, v11, v13
.LBB156_86:
	s_or_b64 exec, exec, s[14:15]
.LBB156_87:
	s_andn2_saveexec_b64 s[12:13], s[12:13]
	s_cbranch_execz .LBB156_105
; %bb.88:
	s_mov_b32 s6, 0x3f666666
	v_cmp_le_f32_e64 s[6:7], |v10|, s6
                                        ; implicit-def: $vgpr11
                                        ; implicit-def: $vgpr14
                                        ; implicit-def: $vgpr13
	s_and_saveexec_b64 s[8:9], s[6:7]
	s_xor_b64 s[14:15], exec, s[8:9]
	s_cbranch_execz .LBB156_90
; %bb.89:
	s_mov_b32 s6, 0x800000
	v_cmp_lt_f32_e64 s[6:7], |v10|, s6
	v_cndmask_b32_e64 v11, 0, 32, s[6:7]
	v_ldexp_f32 v11, |v10|, v11
	v_log_f32_e32 v11, v11
	s_mov_b32 s8, 0x3f317217
	s_mov_b32 s9, 0x7f800000
	v_mul_f32_e32 v13, 0x3f317217, v11
	v_fma_f32 v14, v11, s8, -v13
	v_fmac_f32_e32 v14, 0x3377d1cf, v11
	v_add_f32_e32 v13, v13, v14
	v_cmp_lt_f32_e64 s[8:9], |v11|, s9
	v_cndmask_b32_e64 v11, v11, v13, s[8:9]
	v_mov_b32_e32 v13, 0x41b17218
	v_cndmask_b32_e64 v13, 0, v13, s[6:7]
	s_mov_b32 s6, 0x3f3b4a23
	s_mov_b32 s7, 0xbeec5b0c
	v_sub_f32_e32 v11, v11, v13
	v_sub_f32_e64 v13, 1.0, |v10|
	v_add_f32_e64 v14, |v10|, s7
	v_cmp_lt_f32_e64 s[6:7], |v10|, s6
	v_cndmask_b32_e64 v13, v13, v14, s[6:7]
	v_cndmask_b32_e64 v14, 0, 1, s[6:7]
	s_mov_b32 s6, 0x3e6d3309
	v_cmp_lt_f32_e64 s[6:7], |v10|, s6
	v_xor_b32_e32 v11, 0x80000000, v11
	v_cndmask_b32_e64 v13, v13, |v10|, s[6:7]
	v_cndmask_b32_e64 v14, v14, 2, s[6:7]
.LBB156_90:
	s_andn2_saveexec_b64 s[8:9], s[14:15]
	s_cbranch_execz .LBB156_92
; %bb.91:
	s_mov_b32 s6, 0x3fdda512
	s_mov_b32 s7, 0xbfbb16c3
	v_sub_f32_e64 v11, 2.0, |v10|
	v_add_f32_e64 v13, |v10|, s7
	v_cmp_lt_f32_e64 s[6:7], |v10|, s6
	v_cndmask_b32_e64 v13, v11, v13, s[6:7]
	v_cndmask_b32_e64 v11, v11, 1.0, s[6:7]
	v_cvt_i32_f32_e32 v11, v11
	s_mov_b32 s6, 0x3f9d70a4
	v_add_f32_e64 v14, |v10|, -1.0
	v_cmp_lt_f32_e64 s[6:7], |v10|, s6
	v_cndmask_b32_e64 v13, v13, v14, s[6:7]
	v_cndmask_b32_e64 v14, v11, 2, s[6:7]
	v_mov_b32_e32 v11, 0
.LBB156_92:
	s_or_b64 exec, exec, s[8:9]
	v_cmp_lt_i32_e64 s[6:7], 0, v14
	s_and_saveexec_b64 s[8:9], s[6:7]
	s_xor_b64 s[8:9], exec, s[8:9]
	s_cbranch_execz .LBB156_100
; %bb.93:
	v_cmp_lt_i32_e64 s[6:7], 1, v14
	s_and_saveexec_b64 s[14:15], s[6:7]
	s_xor_b64 s[14:15], exec, s[14:15]
	s_cbranch_execz .LBB156_97
; %bb.94:
	v_cmp_eq_u32_e64 s[6:7], 2, v14
	s_and_saveexec_b64 s[16:17], s[6:7]
	s_cbranch_execz .LBB156_96
; %bb.95:
	v_mov_b32_e32 v14, 0x3e6a7578
	v_fmac_f32_e32 v14, 0x3c5b3c5e, v13
	v_mov_b32_e32 v15, 0x3f7a4bb2
	v_fmac_f32_e32 v15, v13, v14
	;; [unrolled: 2-line block ×8, first 2 shown]
	v_fma_f32 v14, v13, v16, 1.0
	v_rcp_f32_e32 v14, v14
	v_mov_b32_e32 v16, 0xbd9e233f
	v_fmac_f32_e32 v16, v13, v15
	v_mul_f32_e32 v15, v13, v16
	v_mul_f32_e32 v14, v15, v14
	v_fmac_f32_e32 v14, -0.5, v13
	v_add_f32_e32 v11, v11, v14
.LBB156_96:
	s_or_b64 exec, exec, s[16:17]
                                        ; implicit-def: $vgpr13
.LBB156_97:
	s_andn2_saveexec_b64 s[6:7], s[14:15]
	s_cbranch_execz .LBB156_99
; %bb.98:
	v_mul_f32_e32 v14, v13, v13
	v_mul_f32_e32 v15, v13, v14
	v_mov_b32_e32 v16, 0xbab7f476
	v_fmac_f32_e32 v16, 0x39a57b6b, v15
	v_mov_b32_e32 v17, 0x3bc7e707
	v_fmac_f32_e32 v17, v15, v16
	;; [unrolled: 2-line block ×12, first 2 shown]
	v_fmac_f32_e32 v18, v13, v19
	s_mov_b32 s14, 0xa2863e55
	v_fma_f32 v13, v15, -v18, s14
	v_fma_f32 v13, v14, v17, -v13
	v_add_f32_e32 v13, 0xbdf8cdce, v13
	v_add_f32_e32 v11, v11, v13
.LBB156_99:
	s_or_b64 exec, exec, s[6:7]
                                        ; implicit-def: $vgpr14
                                        ; implicit-def: $vgpr13
.LBB156_100:
	s_andn2_saveexec_b64 s[8:9], s[8:9]
	s_cbranch_execz .LBB156_104
; %bb.101:
	v_cmp_eq_u32_e64 s[6:7], 0, v14
	s_and_saveexec_b64 s[14:15], s[6:7]
	s_cbranch_execz .LBB156_103
; %bb.102:
	v_mul_f32_e32 v14, v13, v13
	v_mov_b32_e32 v15, 0x39679767
	v_fmac_f32_e32 v15, 0x37d383a2, v14
	v_mov_b32_e32 v16, 0x3a9c54a1
	v_fmac_f32_e32 v16, v14, v15
	;; [unrolled: 2-line block ×10, first 2 shown]
	v_mul_f32_e32 v14, v14, v16
	v_fmac_f32_e32 v14, v13, v15
	v_fmac_f32_e32 v14, -0.5, v13
	v_add_f32_e32 v11, v11, v14
.LBB156_103:
	s_or_b64 exec, exec, s[14:15]
.LBB156_104:
	s_or_b64 exec, exec, s[8:9]
.LBB156_105:
	s_or_b64 exec, exec, s[12:13]
.LBB156_106:
	s_andn2_saveexec_b64 s[10:11], s[10:11]
	s_cbranch_execz .LBB156_108
; %bb.107:
	s_mov_b32 s6, 0x3e8a8991
	v_mov_b32_e32 v11, 0xbecd26ab
	v_fma_f32 v11, |v10|, s6, v11
	s_mov_b32 s6, 0x3f528d33
	v_fma_f32 v11, |v10|, v11, s6
	s_mov_b32 s6, 0x800000
	v_cmp_lt_f32_e64 s[6:7], |v10|, s6
	v_cndmask_b32_e64 v13, 0, 32, s[6:7]
	v_ldexp_f32 v13, |v10|, v13
	v_log_f32_e32 v13, v13
	s_mov_b32 s8, 0xbf13c468
	v_fma_f32 v11, |v10|, v11, s8
	s_mov_b32 s8, 0x3f317217
	v_mul_f32_e32 v14, 0x3f317217, v13
	v_fma_f32 v15, v13, s8, -v14
	v_fmac_f32_e32 v15, 0x3377d1cf, v13
	s_mov_b32 s8, 0x7f800000
	v_add_f32_e32 v14, v14, v15
	v_cmp_lt_f32_e64 s[8:9], |v13|, s8
	v_cndmask_b32_e64 v13, v13, v14, s[8:9]
	v_mov_b32_e32 v14, 0x41b17218
	v_cndmask_b32_e64 v14, 0, v14, s[6:7]
	v_sub_f32_e32 v13, v13, v14
	v_fma_f32 v11, |v10|, v11, -v13
.LBB156_108:
	s_or_b64 exec, exec, s[10:11]
	v_cmp_le_f32_e64 s[6:7], 0, v10
	v_cmp_nle_f32_e64 s[8:9], 0, v10
	s_and_saveexec_b64 s[10:11], s[8:9]
	s_xor_b64 s[12:13], exec, s[10:11]
	s_cbranch_execz .LBB156_112
; %bb.109:
	s_mov_b32 s8, 0x4b000000
	s_mov_b32 s10, 0x35000000
	v_cmp_lt_f32_e64 s[8:9], |v10|, s8
	v_cmp_gt_f32_e64 s[10:11], |v10|, s10
	s_and_b64 s[8:9], s[8:9], s[10:11]
	s_and_saveexec_b64 s[14:15], s[8:9]
	s_cbranch_execz .LBB156_111
; %bb.110:
	v_mul_f32_e64 v13, |v10|, 0.5
	v_floor_f32_e32 v14, v13
	v_sub_f32_e32 v14, v13, v14
	v_min_f32_e32 v14, 0x3f7fffff, v14
	s_mov_b32 s10, 0x7f800000
	v_add_f32_e32 v14, v14, v14
	v_cmp_neq_f32_e64 s[8:9], s10, v13
	v_cndmask_b32_e64 v13, 0, v14, s[8:9]
	v_cmp_gt_f32_e64 s[8:9], |v10|, 1.0
	v_cndmask_b32_e64 v13, |v10|, v13, s[8:9]
	v_add_f32_e32 v14, v13, v13
	v_rndne_f32_e32 v14, v14
	v_fmac_f32_e32 v13, -0.5, v14
	v_mul_f32_e32 v15, v13, v13
	v_mov_b32_e32 v16, 0xbf1f24be
	v_fmac_f32_e32 v16, 0x3e75aa41, v15
	v_mov_b32_e32 v17, 0x40234736
	v_fmac_f32_e32 v17, v15, v16
	;; [unrolled: 2-line block ×3, first 2 shown]
	v_mul_f32_e32 v17, v13, v15
	v_mul_f32_e32 v16, v17, v16
	v_fmac_f32_e32 v16, 0x40490fdb, v13
	v_mov_b32_e32 v13, 0x3e642e9d
	v_cvt_i32_f32_e32 v14, v14
	v_fmac_f32_e32 v13, 0x3d4be544, v15
	v_mov_b32_e32 v17, 0xbfaad1da
	v_fmac_f32_e32 v17, v15, v13
	v_mov_b32_e32 v13, 0x4081e0d3
	v_fmac_f32_e32 v13, v15, v17
	v_mov_b32_e32 v17, 0xc09de9e6
	v_fmac_f32_e32 v17, v15, v13
	v_fma_f32 v13, v15, v17, 1.0
	v_and_b32_e32 v15, 1, v14
	v_cmp_eq_u32_e64 s[8:9], 0, v15
	v_cndmask_b32_e64 v13, v13, v16, s[8:9]
	v_lshlrev_b32_e32 v14, 30, v14
	s_brev_b32 s8, 1
	v_and_or_b32 v12, v14, s8, v12
	v_xor_b32_e32 v12, v12, v13
	v_xor_b32_e32 v12, v12, v10
	v_mul_f32_e32 v12, v10, v12
	v_frexp_mant_f32_e64 v13, |v12|
	v_rcp_f32_e32 v13, v13
	v_frexp_exp_i32_f32_e32 v12, v12
	v_sub_u32_e32 v12, 2, v12
	s_mov_b32 s8, 0x800000
	v_mul_f32_e32 v13, 0x3f490fdb, v13
	v_ldexp_f32 v12, v13, v12
	v_cmp_gt_f32_e64 s[8:9], s8, v12
	v_cndmask_b32_e64 v13, 0, 32, s[8:9]
	v_ldexp_f32 v12, v12, v13
	v_log_f32_e32 v12, v12
	s_mov_b32 s11, 0x3f317217
	v_mul_f32_e32 v13, 0x3f317217, v12
	v_fma_f32 v14, v12, s11, -v13
	v_fmac_f32_e32 v14, 0x3377d1cf, v12
	v_add_f32_e32 v13, v13, v14
	v_cmp_lt_f32_e64 s[10:11], |v12|, s10
	v_cndmask_b32_e64 v12, v12, v13, s[10:11]
	v_mov_b32_e32 v13, 0x41b17218
	v_cndmask_b32_e64 v13, 0, v13, s[8:9]
	v_sub_f32_e32 v12, v12, v13
	v_sub_f32_e32 v11, v12, v11
	v_floor_f32_e32 v12, v10
	v_sub_f32_e32 v12, v10, v12
	v_min_f32_e32 v12, 0x3f7fffff, v12
	v_mov_b32_e32 v13, 0x7f800000
	v_cmp_neq_f32_e64 s[8:9], 0, v12
	v_cndmask_b32_e64 v11, v13, v11, s[8:9]
.LBB156_111:
	s_or_b64 exec, exec, s[14:15]
.LBB156_112:
	s_andn2_saveexec_b64 s[12:13], s[12:13]
; %bb.113:
	v_cmp_eq_f32_e64 s[8:9], 1.0, v10
	v_cmp_eq_f32_e64 s[10:11], 2.0, v10
	s_or_b64 s[8:9], s[8:9], s[10:11]
	v_cndmask_b32_e64 v11, v11, 0, s[8:9]
; %bb.114:
	s_or_b64 exec, exec, s[12:13]
	v_and_b32_e32 v3, 0xffff0000, v3
	s_mov_b32 s8, 0x3c800000
	v_and_b32_e32 v13, 0x7fffffff, v3
	v_cmp_nlt_f32_e64 s[8:9], |v3|, s8
                                        ; implicit-def: $vgpr12
	s_and_saveexec_b64 s[10:11], s[8:9]
	s_xor_b64 s[12:13], exec, s[10:11]
	s_cbranch_execz .LBB156_144
; %bb.115:
	v_cmp_nlt_f32_e64 s[8:9], |v3|, 2.0
                                        ; implicit-def: $vgpr12
	s_and_saveexec_b64 s[10:11], s[8:9]
	s_xor_b64 s[14:15], exec, s[10:11]
	s_cbranch_execz .LBB156_125
; %bb.116:
	s_mov_b32 s8, 0x41000000
	v_cmp_nlt_f32_e64 s[8:9], |v3|, s8
                                        ; implicit-def: $vgpr12
	s_and_saveexec_b64 s[10:11], s[8:9]
	s_xor_b64 s[16:17], exec, s[10:11]
	s_cbranch_execz .LBB156_122
; %bb.117:
	s_mov_b32 s8, 0x5c800000
	v_cmp_nlt_f32_e64 s[8:9], |v3|, s8
                                        ; implicit-def: $vgpr12
	s_and_saveexec_b64 s[10:11], s[8:9]
	s_xor_b64 s[18:19], exec, s[10:11]
	s_cbranch_execz .LBB156_119
; %bb.118:
	s_mov_b32 s8, 0x800000
	v_cmp_lt_f32_e64 s[8:9], |v3|, s8
	v_cndmask_b32_e64 v12, 0, 32, s[8:9]
	v_ldexp_f32 v12, |v3|, v12
	v_log_f32_e32 v12, v12
	s_mov_b32 s10, 0x3f317217
	s_mov_b32 s11, 0x7f800000
	v_mul_f32_e32 v14, 0x3f317217, v12
	v_fma_f32 v15, v12, s10, -v14
	v_fmac_f32_e32 v15, 0x3377d1cf, v12
	v_add_f32_e32 v14, v14, v15
	v_cmp_lt_f32_e64 s[10:11], |v12|, s11
	v_cndmask_b32_e64 v12, v12, v14, s[10:11]
	v_mov_b32_e32 v14, 0x41b17218
	v_cndmask_b32_e64 v14, 0, v14, s[8:9]
	v_sub_f32_e32 v12, v12, v14
	v_fma_f32 v12, |v3|, v12, -|v3|
.LBB156_119:
	s_andn2_saveexec_b64 s[18:19], s[18:19]
	s_cbranch_execz .LBB156_121
; %bb.120:
	v_rcp_f32_e64 v14, |v3|
	v_mov_b32_e32 v12, 0x3a5b3dd2
	v_mov_b32_e32 v15, 0xba1c065c
	;; [unrolled: 1-line block ×3, first 2 shown]
	v_mul_f32_e32 v17, v14, v14
	v_fmac_f32_e32 v12, 0xbad5c4e8, v17
	v_fmac_f32_e32 v15, v17, v12
	s_mov_b32 s8, 0x800000
	v_fmac_f32_e32 v16, v17, v15
	v_mov_b32_e32 v12, 0xbb360b61
	v_cmp_lt_f32_e64 s[8:9], |v3|, s8
	v_fmac_f32_e32 v12, v17, v16
	v_cndmask_b32_e64 v16, 0, 32, s[8:9]
	v_ldexp_f32 v16, |v3|, v16
	v_log_f32_e32 v16, v16
	v_mov_b32_e32 v15, 0x3daaaaab
	v_fmac_f32_e32 v15, v17, v12
	v_mov_b32_e32 v12, 0x3ed67f1d
	v_fmac_f32_e32 v12, v14, v15
	s_mov_b32 s10, 0x3f317217
	v_mul_f32_e32 v15, 0x3f317217, v16
	v_fma_f32 v17, v16, s10, -v15
	v_fmac_f32_e32 v17, 0x3377d1cf, v16
	s_mov_b32 s10, 0x7f800000
	v_add_f32_e32 v15, v15, v17
	v_cmp_lt_f32_e64 s[10:11], |v16|, s10
	v_cndmask_b32_e64 v15, v16, v15, s[10:11]
	v_mov_b32_e32 v16, 0x41b17218
	v_cndmask_b32_e64 v16, 0, v16, s[8:9]
	v_sub_f32_e32 v15, v15, v16
	v_add_f32_e64 v14, |v3|, -0.5
	v_add_f32_e32 v15, -1.0, v15
	v_fmac_f32_e32 v12, v14, v15
.LBB156_121:
	s_or_b64 exec, exec, s[18:19]
.LBB156_122:
	s_andn2_saveexec_b64 s[16:17], s[16:17]
	s_cbranch_execz .LBB156_124
; %bb.123:
	v_cvt_i32_f32_e32 v12, v13
	v_mov_b32_e32 v14, 0x3af135b4
	v_mov_b32_e32 v15, 0x3cda40e4
	;; [unrolled: 1-line block ×3, first 2 shown]
	v_cvt_f32_i32_e32 v17, v12
	v_mov_b32_e32 v18, 0x3ea6cc7a
	v_mov_b32_e32 v19, 0x3e5c245a
	v_cmp_lt_i32_e64 s[8:9], 2, v12
	v_sub_f32_e64 v17, |v3|, v17
	v_fmac_f32_e32 v14, 0x3805ff67, v17
	v_fmac_f32_e32 v15, v17, v14
	;; [unrolled: 1-line block ×3, first 2 shown]
	v_mov_b32_e32 v15, 0x3a4beed6
	v_fmac_f32_e32 v18, v17, v16
	v_fmac_f32_e32 v15, 0x36f5d7bd, v17
	v_mov_b32_e32 v16, 0x3c98bf54
	v_fmac_f32_e32 v16, v17, v15
	v_mov_b32_e32 v15, 0x3e300f6e
	;; [unrolled: 2-line block ×4, first 2 shown]
	v_fmac_f32_e32 v15, v17, v16
	v_add_f32_e32 v16, 2.0, v17
	v_mov_b32_e32 v20, 0xbd9e233f
	v_fmac_f32_e32 v19, v17, v18
	v_add_f32_e32 v18, 0x40400000, v17
	v_cndmask_b32_e64 v16, 1.0, v16, s[8:9]
	v_cmp_lt_i32_e64 s[8:9], 3, v12
	v_fmac_f32_e32 v20, v17, v19
	v_add_f32_e32 v19, 4.0, v17
	v_cndmask_b32_e64 v18, 1.0, v18, s[8:9]
	v_cmp_lt_i32_e64 s[8:9], 4, v12
	v_mul_f32_e32 v14, v17, v20
	v_add_f32_e32 v20, 0x40a00000, v17
	v_mul_f32_e32 v16, v16, v18
	v_cndmask_b32_e64 v18, 1.0, v19, s[8:9]
	v_cmp_lt_i32_e64 s[8:9], 5, v12
	v_add_f32_e32 v21, 0x40c00000, v17
	v_mul_f32_e32 v16, v18, v16
	v_cndmask_b32_e64 v18, 1.0, v20, s[8:9]
	v_cmp_lt_i32_e64 s[8:9], 6, v12
	v_mul_f32_e32 v16, v18, v16
	v_cndmask_b32_e64 v12, 1.0, v21, s[8:9]
	v_mul_f32_e32 v12, v12, v16
	s_mov_b32 s8, 0x800000
	v_cmp_gt_f32_e64 s[8:9], s8, v12
	v_cndmask_b32_e64 v16, 0, 32, s[8:9]
	v_fma_f32 v15, v17, v15, 1.0
	v_ldexp_f32 v12, v12, v16
	v_rcp_f32_e32 v15, v15
	v_log_f32_e32 v12, v12
	s_mov_b32 s10, 0x3f317217
	v_mul_f32_e32 v14, v14, v15
	v_mul_f32_e32 v15, 0x3f317217, v12
	v_fma_f32 v16, v12, s10, -v15
	v_fmac_f32_e32 v16, 0x3377d1cf, v12
	s_mov_b32 s10, 0x7f800000
	v_add_f32_e32 v15, v15, v16
	v_cmp_lt_f32_e64 s[10:11], |v12|, s10
	v_cndmask_b32_e64 v12, v12, v15, s[10:11]
	v_mov_b32_e32 v15, 0x41b17218
	v_cndmask_b32_e64 v15, 0, v15, s[8:9]
	v_fmac_f32_e32 v14, 0.5, v17
	v_sub_f32_e32 v12, v12, v15
	v_add_f32_e32 v12, v12, v14
.LBB156_124:
	s_or_b64 exec, exec, s[16:17]
.LBB156_125:
	s_andn2_saveexec_b64 s[14:15], s[14:15]
	s_cbranch_execz .LBB156_143
; %bb.126:
	s_mov_b32 s8, 0x3f666666
	v_cmp_le_f32_e64 s[8:9], |v3|, s8
                                        ; implicit-def: $vgpr12
                                        ; implicit-def: $vgpr15
                                        ; implicit-def: $vgpr14
	s_and_saveexec_b64 s[10:11], s[8:9]
	s_xor_b64 s[16:17], exec, s[10:11]
	s_cbranch_execz .LBB156_128
; %bb.127:
	s_mov_b32 s8, 0x800000
	v_cmp_lt_f32_e64 s[8:9], |v3|, s8
	v_cndmask_b32_e64 v12, 0, 32, s[8:9]
	v_ldexp_f32 v12, |v3|, v12
	v_log_f32_e32 v12, v12
	s_mov_b32 s10, 0x3f317217
	s_mov_b32 s11, 0x7f800000
	v_mul_f32_e32 v14, 0x3f317217, v12
	v_fma_f32 v15, v12, s10, -v14
	v_fmac_f32_e32 v15, 0x3377d1cf, v12
	v_add_f32_e32 v14, v14, v15
	v_cmp_lt_f32_e64 s[10:11], |v12|, s11
	v_cndmask_b32_e64 v12, v12, v14, s[10:11]
	v_mov_b32_e32 v14, 0x41b17218
	v_cndmask_b32_e64 v14, 0, v14, s[8:9]
	s_mov_b32 s8, 0x3f3b4a23
	s_mov_b32 s9, 0xbeec5b0c
	v_sub_f32_e32 v12, v12, v14
	v_sub_f32_e64 v14, 1.0, |v3|
	v_add_f32_e64 v15, |v3|, s9
	v_cmp_lt_f32_e64 s[8:9], |v3|, s8
	v_cndmask_b32_e64 v14, v14, v15, s[8:9]
	v_cndmask_b32_e64 v15, 0, 1, s[8:9]
	s_mov_b32 s8, 0x3e6d3309
	v_cmp_lt_f32_e64 s[8:9], |v3|, s8
	v_xor_b32_e32 v12, 0x80000000, v12
	v_cndmask_b32_e64 v14, v14, |v3|, s[8:9]
	v_cndmask_b32_e64 v15, v15, 2, s[8:9]
.LBB156_128:
	s_andn2_saveexec_b64 s[10:11], s[16:17]
	s_cbranch_execz .LBB156_130
; %bb.129:
	s_mov_b32 s8, 0x3fdda512
	s_mov_b32 s9, 0xbfbb16c3
	v_sub_f32_e64 v12, 2.0, |v3|
	v_add_f32_e64 v14, |v3|, s9
	v_cmp_lt_f32_e64 s[8:9], |v3|, s8
	v_cndmask_b32_e64 v14, v12, v14, s[8:9]
	v_cndmask_b32_e64 v12, v12, 1.0, s[8:9]
	v_cvt_i32_f32_e32 v12, v12
	s_mov_b32 s8, 0x3f9d70a4
	v_add_f32_e64 v15, |v3|, -1.0
	v_cmp_lt_f32_e64 s[8:9], |v3|, s8
	v_cndmask_b32_e64 v14, v14, v15, s[8:9]
	v_cndmask_b32_e64 v15, v12, 2, s[8:9]
	v_mov_b32_e32 v12, 0
.LBB156_130:
	s_or_b64 exec, exec, s[10:11]
	v_cmp_lt_i32_e64 s[8:9], 0, v15
	s_and_saveexec_b64 s[10:11], s[8:9]
	s_xor_b64 s[10:11], exec, s[10:11]
	s_cbranch_execz .LBB156_138
; %bb.131:
	v_cmp_lt_i32_e64 s[8:9], 1, v15
	s_and_saveexec_b64 s[16:17], s[8:9]
	s_xor_b64 s[16:17], exec, s[16:17]
	s_cbranch_execz .LBB156_135
; %bb.132:
	v_cmp_eq_u32_e64 s[8:9], 2, v15
	s_and_saveexec_b64 s[18:19], s[8:9]
	s_cbranch_execz .LBB156_134
; %bb.133:
	v_mov_b32_e32 v15, 0x3e6a7578
	v_fmac_f32_e32 v15, 0x3c5b3c5e, v14
	v_mov_b32_e32 v16, 0x3f7a4bb2
	v_fmac_f32_e32 v16, v14, v15
	;; [unrolled: 2-line block ×8, first 2 shown]
	v_fma_f32 v15, v14, v17, 1.0
	v_rcp_f32_e32 v15, v15
	v_mov_b32_e32 v17, 0xbd9e233f
	v_fmac_f32_e32 v17, v14, v16
	v_mul_f32_e32 v16, v14, v17
	v_mul_f32_e32 v15, v16, v15
	v_fmac_f32_e32 v15, -0.5, v14
	v_add_f32_e32 v12, v12, v15
.LBB156_134:
	s_or_b64 exec, exec, s[18:19]
                                        ; implicit-def: $vgpr14
.LBB156_135:
	s_andn2_saveexec_b64 s[8:9], s[16:17]
	s_cbranch_execz .LBB156_137
; %bb.136:
	v_mul_f32_e32 v15, v14, v14
	v_mul_f32_e32 v16, v14, v15
	v_mov_b32_e32 v17, 0xbab7f476
	v_fmac_f32_e32 v17, 0x39a57b6b, v16
	v_mov_b32_e32 v18, 0x3bc7e707
	v_fmac_f32_e32 v18, v16, v17
	;; [unrolled: 2-line block ×12, first 2 shown]
	v_fmac_f32_e32 v19, v14, v20
	s_mov_b32 s16, 0xa2863e55
	v_fma_f32 v14, v16, -v19, s16
	v_fma_f32 v14, v15, v18, -v14
	v_add_f32_e32 v14, 0xbdf8cdce, v14
	v_add_f32_e32 v12, v12, v14
.LBB156_137:
	s_or_b64 exec, exec, s[8:9]
                                        ; implicit-def: $vgpr15
                                        ; implicit-def: $vgpr14
.LBB156_138:
	s_andn2_saveexec_b64 s[10:11], s[10:11]
	s_cbranch_execz .LBB156_142
; %bb.139:
	v_cmp_eq_u32_e64 s[8:9], 0, v15
	s_and_saveexec_b64 s[16:17], s[8:9]
	s_cbranch_execz .LBB156_141
; %bb.140:
	v_mul_f32_e32 v15, v14, v14
	v_mov_b32_e32 v16, 0x39679767
	v_fmac_f32_e32 v16, 0x37d383a2, v15
	v_mov_b32_e32 v17, 0x3a9c54a1
	v_fmac_f32_e32 v17, v15, v16
	;; [unrolled: 2-line block ×10, first 2 shown]
	v_mul_f32_e32 v15, v15, v17
	v_fmac_f32_e32 v15, v14, v16
	v_fmac_f32_e32 v15, -0.5, v14
	v_add_f32_e32 v12, v12, v15
.LBB156_141:
	s_or_b64 exec, exec, s[16:17]
.LBB156_142:
	s_or_b64 exec, exec, s[10:11]
.LBB156_143:
	s_or_b64 exec, exec, s[14:15]
.LBB156_144:
	s_andn2_saveexec_b64 s[12:13], s[12:13]
	s_cbranch_execz .LBB156_146
; %bb.145:
	s_mov_b32 s8, 0x3e8a8991
	v_mov_b32_e32 v12, 0xbecd26ab
	v_fma_f32 v12, |v3|, s8, v12
	s_mov_b32 s8, 0x3f528d33
	v_fma_f32 v12, |v3|, v12, s8
	s_mov_b32 s8, 0x800000
	v_cmp_lt_f32_e64 s[8:9], |v3|, s8
	v_cndmask_b32_e64 v14, 0, 32, s[8:9]
	v_ldexp_f32 v14, |v3|, v14
	v_log_f32_e32 v14, v14
	s_mov_b32 s10, 0xbf13c468
	v_fma_f32 v12, |v3|, v12, s10
	s_mov_b32 s10, 0x3f317217
	v_mul_f32_e32 v15, 0x3f317217, v14
	v_fma_f32 v16, v14, s10, -v15
	v_fmac_f32_e32 v16, 0x3377d1cf, v14
	s_mov_b32 s10, 0x7f800000
	v_add_f32_e32 v15, v15, v16
	v_cmp_lt_f32_e64 s[10:11], |v14|, s10
	v_cndmask_b32_e64 v14, v14, v15, s[10:11]
	v_mov_b32_e32 v15, 0x41b17218
	v_cndmask_b32_e64 v15, 0, v15, s[8:9]
	v_sub_f32_e32 v14, v14, v15
	v_fma_f32 v12, |v3|, v12, -v14
.LBB156_146:
	s_or_b64 exec, exec, s[12:13]
	v_cmp_le_f32_e64 s[8:9], 0, v3
	v_cmp_nle_f32_e64 s[10:11], 0, v3
	s_and_saveexec_b64 s[12:13], s[10:11]
	s_xor_b64 s[14:15], exec, s[12:13]
	s_cbranch_execz .LBB156_150
; %bb.147:
	s_mov_b32 s10, 0x4b000000
	s_mov_b32 s12, 0x35000000
	v_cmp_lt_f32_e64 s[10:11], |v3|, s10
	v_cmp_gt_f32_e64 s[12:13], |v3|, s12
	s_and_b64 s[10:11], s[10:11], s[12:13]
	s_and_saveexec_b64 s[16:17], s[10:11]
	s_cbranch_execz .LBB156_149
; %bb.148:
	v_mul_f32_e64 v14, |v3|, 0.5
	v_floor_f32_e32 v15, v14
	v_sub_f32_e32 v15, v14, v15
	v_min_f32_e32 v15, 0x3f7fffff, v15
	s_mov_b32 s12, 0x7f800000
	v_add_f32_e32 v15, v15, v15
	v_cmp_neq_f32_e64 s[10:11], s12, v14
	v_cndmask_b32_e64 v14, 0, v15, s[10:11]
	v_cmp_gt_f32_e64 s[10:11], |v3|, 1.0
	v_cndmask_b32_e64 v14, |v3|, v14, s[10:11]
	v_add_f32_e32 v15, v14, v14
	v_rndne_f32_e32 v15, v15
	v_fmac_f32_e32 v14, -0.5, v15
	v_mul_f32_e32 v16, v14, v14
	v_mov_b32_e32 v17, 0xbf1f24be
	v_fmac_f32_e32 v17, 0x3e75aa41, v16
	v_mov_b32_e32 v18, 0x40234736
	v_fmac_f32_e32 v18, v16, v17
	;; [unrolled: 2-line block ×3, first 2 shown]
	v_mul_f32_e32 v18, v14, v16
	v_mul_f32_e32 v17, v18, v17
	v_fmac_f32_e32 v17, 0x40490fdb, v14
	v_mov_b32_e32 v14, 0x3e642e9d
	v_cvt_i32_f32_e32 v15, v15
	v_fmac_f32_e32 v14, 0x3d4be544, v16
	v_mov_b32_e32 v18, 0xbfaad1da
	v_fmac_f32_e32 v18, v16, v14
	v_mov_b32_e32 v14, 0x4081e0d3
	;; [unrolled: 2-line block ×3, first 2 shown]
	v_fmac_f32_e32 v18, v16, v14
	v_fma_f32 v14, v16, v18, 1.0
	v_and_b32_e32 v16, 1, v15
	v_cmp_eq_u32_e64 s[10:11], 0, v16
	v_cndmask_b32_e64 v14, v14, v17, s[10:11]
	v_lshlrev_b32_e32 v15, 30, v15
	s_brev_b32 s10, 1
	v_and_or_b32 v13, v15, s10, v13
	v_xor_b32_e32 v13, v13, v14
	v_xor_b32_e32 v13, v13, v3
	v_mul_f32_e32 v13, v3, v13
	v_frexp_mant_f32_e64 v14, |v13|
	v_rcp_f32_e32 v14, v14
	v_frexp_exp_i32_f32_e32 v13, v13
	v_sub_u32_e32 v13, 2, v13
	s_mov_b32 s10, 0x800000
	v_mul_f32_e32 v14, 0x3f490fdb, v14
	v_ldexp_f32 v13, v14, v13
	v_cmp_gt_f32_e64 s[10:11], s10, v13
	v_cndmask_b32_e64 v14, 0, 32, s[10:11]
	v_ldexp_f32 v13, v13, v14
	v_log_f32_e32 v13, v13
	s_mov_b32 s13, 0x3f317217
	v_mul_f32_e32 v14, 0x3f317217, v13
	v_fma_f32 v15, v13, s13, -v14
	v_fmac_f32_e32 v15, 0x3377d1cf, v13
	v_add_f32_e32 v14, v14, v15
	v_cmp_lt_f32_e64 s[12:13], |v13|, s12
	v_cndmask_b32_e64 v13, v13, v14, s[12:13]
	v_mov_b32_e32 v14, 0x41b17218
	v_cndmask_b32_e64 v14, 0, v14, s[10:11]
	v_sub_f32_e32 v13, v13, v14
	v_sub_f32_e32 v12, v13, v12
	v_floor_f32_e32 v13, v3
	v_sub_f32_e32 v13, v3, v13
	v_min_f32_e32 v13, 0x3f7fffff, v13
	v_mov_b32_e32 v14, 0x7f800000
	v_cmp_neq_f32_e64 s[10:11], 0, v13
	v_cndmask_b32_e64 v12, v14, v12, s[10:11]
.LBB156_149:
	s_or_b64 exec, exec, s[16:17]
.LBB156_150:
	s_andn2_saveexec_b64 s[14:15], s[14:15]
; %bb.151:
	v_cmp_eq_f32_e64 s[10:11], 1.0, v3
	v_cmp_eq_f32_e64 s[12:13], 2.0, v3
	s_or_b64 s[10:11], s[10:11], s[12:13]
	v_cndmask_b32_e64 v12, v12, 0, s[10:11]
; %bb.152:
	s_or_b64 exec, exec, s[14:15]
	v_lshlrev_b32_e32 v13, 16, v4
	s_mov_b32 s10, 0x3c800000
	v_and_b32_e32 v15, 0x7fffffff, v13
	v_cmp_nlt_f32_e64 s[10:11], |v13|, s10
                                        ; implicit-def: $vgpr14
	s_and_saveexec_b64 s[12:13], s[10:11]
	s_xor_b64 s[14:15], exec, s[12:13]
	s_cbranch_execz .LBB156_182
; %bb.153:
	v_cmp_nlt_f32_e64 s[10:11], |v13|, 2.0
                                        ; implicit-def: $vgpr14
	s_and_saveexec_b64 s[12:13], s[10:11]
	s_xor_b64 s[16:17], exec, s[12:13]
	s_cbranch_execz .LBB156_163
; %bb.154:
	s_mov_b32 s10, 0x41000000
	v_cmp_nlt_f32_e64 s[10:11], |v13|, s10
                                        ; implicit-def: $vgpr14
	s_and_saveexec_b64 s[12:13], s[10:11]
	s_xor_b64 s[18:19], exec, s[12:13]
	s_cbranch_execz .LBB156_160
; %bb.155:
	s_mov_b32 s10, 0x5c800000
	v_cmp_nlt_f32_e64 s[10:11], |v13|, s10
                                        ; implicit-def: $vgpr14
	s_and_saveexec_b64 s[12:13], s[10:11]
	s_xor_b64 s[20:21], exec, s[12:13]
	s_cbranch_execz .LBB156_157
; %bb.156:
	s_mov_b32 s10, 0x800000
	v_cmp_lt_f32_e64 s[10:11], |v13|, s10
	v_cndmask_b32_e64 v14, 0, 32, s[10:11]
	v_ldexp_f32 v14, |v13|, v14
	v_log_f32_e32 v14, v14
	s_mov_b32 s12, 0x3f317217
	s_mov_b32 s13, 0x7f800000
	v_mul_f32_e32 v16, 0x3f317217, v14
	v_fma_f32 v17, v14, s12, -v16
	v_fmac_f32_e32 v17, 0x3377d1cf, v14
	v_add_f32_e32 v16, v16, v17
	v_cmp_lt_f32_e64 s[12:13], |v14|, s13
	v_cndmask_b32_e64 v14, v14, v16, s[12:13]
	v_mov_b32_e32 v16, 0x41b17218
	v_cndmask_b32_e64 v16, 0, v16, s[10:11]
	v_sub_f32_e32 v14, v14, v16
	v_fma_f32 v14, |v13|, v14, -|v13|
.LBB156_157:
	s_andn2_saveexec_b64 s[20:21], s[20:21]
	s_cbranch_execz .LBB156_159
; %bb.158:
	v_rcp_f32_e64 v16, |v13|
	v_mov_b32_e32 v14, 0x3a5b3dd2
	v_mov_b32_e32 v17, 0xba1c065c
	;; [unrolled: 1-line block ×3, first 2 shown]
	v_mul_f32_e32 v19, v16, v16
	v_fmac_f32_e32 v14, 0xbad5c4e8, v19
	v_fmac_f32_e32 v17, v19, v14
	s_mov_b32 s10, 0x800000
	v_fmac_f32_e32 v18, v19, v17
	v_mov_b32_e32 v14, 0xbb360b61
	v_cmp_lt_f32_e64 s[10:11], |v13|, s10
	v_fmac_f32_e32 v14, v19, v18
	v_cndmask_b32_e64 v18, 0, 32, s[10:11]
	v_ldexp_f32 v18, |v13|, v18
	v_log_f32_e32 v18, v18
	v_mov_b32_e32 v17, 0x3daaaaab
	v_fmac_f32_e32 v17, v19, v14
	v_mov_b32_e32 v14, 0x3ed67f1d
	v_fmac_f32_e32 v14, v16, v17
	s_mov_b32 s12, 0x3f317217
	v_mul_f32_e32 v17, 0x3f317217, v18
	v_fma_f32 v19, v18, s12, -v17
	v_fmac_f32_e32 v19, 0x3377d1cf, v18
	s_mov_b32 s12, 0x7f800000
	v_add_f32_e32 v17, v17, v19
	v_cmp_lt_f32_e64 s[12:13], |v18|, s12
	v_cndmask_b32_e64 v17, v18, v17, s[12:13]
	v_mov_b32_e32 v18, 0x41b17218
	v_cndmask_b32_e64 v18, 0, v18, s[10:11]
	v_sub_f32_e32 v17, v17, v18
	v_add_f32_e64 v16, |v13|, -0.5
	v_add_f32_e32 v17, -1.0, v17
	v_fmac_f32_e32 v14, v16, v17
.LBB156_159:
	s_or_b64 exec, exec, s[20:21]
.LBB156_160:
	s_andn2_saveexec_b64 s[18:19], s[18:19]
	s_cbranch_execz .LBB156_162
; %bb.161:
	v_cvt_i32_f32_e32 v14, v15
	v_mov_b32_e32 v17, 0x3af135b4
	v_mov_b32_e32 v18, 0x3cda40e4
	;; [unrolled: 1-line block ×3, first 2 shown]
	v_cvt_f32_i32_e32 v16, v14
	v_cmp_lt_i32_e64 s[10:11], 2, v14
	s_mov_b32 s12, 0x3f317217
	v_sub_f32_e64 v16, |v13|, v16
	v_fmac_f32_e32 v17, 0x3805ff67, v16
	v_fmac_f32_e32 v18, v16, v17
	v_mov_b32_e32 v17, 0x3e15dce6
	v_fmac_f32_e32 v17, v16, v18
	v_mov_b32_e32 v18, 0x3ea6cc7a
	;; [unrolled: 2-line block ×4, first 2 shown]
	v_fmac_f32_e32 v18, v16, v17
	v_mul_f32_e32 v17, v16, v18
	v_mov_b32_e32 v18, 0x3a4beed6
	v_fmac_f32_e32 v18, 0x36f5d7bd, v16
	v_fmac_f32_e32 v19, v16, v18
	v_mov_b32_e32 v18, 0x3e300f6e
	v_fmac_f32_e32 v18, v16, v19
	v_mov_b32_e32 v19, 0x3f38d0c5
	;; [unrolled: 2-line block ×3, first 2 shown]
	v_fmac_f32_e32 v18, v16, v19
	v_fma_f32 v18, v16, v18, 1.0
	v_rcp_f32_e32 v18, v18
	v_add_f32_e32 v19, 0x40400000, v16
	v_add_f32_e32 v20, 4.0, v16
	v_add_f32_e32 v21, 0x40a00000, v16
	v_mul_f32_e32 v17, v17, v18
	v_add_f32_e32 v18, 2.0, v16
	v_cndmask_b32_e64 v18, 1.0, v18, s[10:11]
	v_cmp_lt_i32_e64 s[10:11], 3, v14
	v_cndmask_b32_e64 v19, 1.0, v19, s[10:11]
	v_cmp_lt_i32_e64 s[10:11], 4, v14
	v_mul_f32_e32 v18, v18, v19
	v_cndmask_b32_e64 v19, 1.0, v20, s[10:11]
	v_cmp_lt_i32_e64 s[10:11], 5, v14
	v_fmac_f32_e32 v17, 0.5, v16
	v_add_f32_e32 v16, 0x40c00000, v16
	v_mul_f32_e32 v18, v19, v18
	v_cndmask_b32_e64 v19, 1.0, v21, s[10:11]
	v_cmp_lt_i32_e64 s[10:11], 6, v14
	v_mul_f32_e32 v18, v19, v18
	v_cndmask_b32_e64 v14, 1.0, v16, s[10:11]
	v_mul_f32_e32 v14, v14, v18
	s_mov_b32 s10, 0x800000
	v_cmp_gt_f32_e64 s[10:11], s10, v14
	v_cndmask_b32_e64 v16, 0, 32, s[10:11]
	v_ldexp_f32 v14, v14, v16
	v_log_f32_e32 v14, v14
	v_mul_f32_e32 v16, 0x3f317217, v14
	v_fma_f32 v18, v14, s12, -v16
	v_fmac_f32_e32 v18, 0x3377d1cf, v14
	s_mov_b32 s12, 0x7f800000
	v_add_f32_e32 v16, v16, v18
	v_cmp_lt_f32_e64 s[12:13], |v14|, s12
	v_cndmask_b32_e64 v14, v14, v16, s[12:13]
	v_mov_b32_e32 v16, 0x41b17218
	v_cndmask_b32_e64 v16, 0, v16, s[10:11]
	v_sub_f32_e32 v14, v14, v16
	v_add_f32_e32 v14, v14, v17
.LBB156_162:
	s_or_b64 exec, exec, s[18:19]
.LBB156_163:
	s_andn2_saveexec_b64 s[16:17], s[16:17]
	s_cbranch_execz .LBB156_181
; %bb.164:
	s_mov_b32 s10, 0x3f666666
	v_cmp_le_f32_e64 s[10:11], |v13|, s10
                                        ; implicit-def: $vgpr14
                                        ; implicit-def: $vgpr17
                                        ; implicit-def: $vgpr16
	s_and_saveexec_b64 s[12:13], s[10:11]
	s_xor_b64 s[18:19], exec, s[12:13]
	s_cbranch_execz .LBB156_166
; %bb.165:
	s_mov_b32 s10, 0x800000
	v_cmp_lt_f32_e64 s[10:11], |v13|, s10
	v_cndmask_b32_e64 v14, 0, 32, s[10:11]
	v_ldexp_f32 v14, |v13|, v14
	v_log_f32_e32 v14, v14
	s_mov_b32 s12, 0x3f317217
	s_mov_b32 s13, 0x7f800000
	v_mul_f32_e32 v16, 0x3f317217, v14
	v_fma_f32 v17, v14, s12, -v16
	v_fmac_f32_e32 v17, 0x3377d1cf, v14
	v_add_f32_e32 v16, v16, v17
	v_cmp_lt_f32_e64 s[12:13], |v14|, s13
	v_cndmask_b32_e64 v14, v14, v16, s[12:13]
	v_mov_b32_e32 v16, 0x41b17218
	v_cndmask_b32_e64 v16, 0, v16, s[10:11]
	s_mov_b32 s10, 0x3f3b4a23
	s_mov_b32 s11, 0xbeec5b0c
	v_sub_f32_e32 v14, v14, v16
	v_sub_f32_e64 v16, 1.0, |v13|
	v_add_f32_e64 v17, |v13|, s11
	v_cmp_lt_f32_e64 s[10:11], |v13|, s10
	v_cndmask_b32_e64 v16, v16, v17, s[10:11]
	v_cndmask_b32_e64 v17, 0, 1, s[10:11]
	s_mov_b32 s10, 0x3e6d3309
	v_cmp_lt_f32_e64 s[10:11], |v13|, s10
	v_xor_b32_e32 v14, 0x80000000, v14
	v_cndmask_b32_e64 v16, v16, |v13|, s[10:11]
	v_cndmask_b32_e64 v17, v17, 2, s[10:11]
.LBB156_166:
	s_andn2_saveexec_b64 s[12:13], s[18:19]
	s_cbranch_execz .LBB156_168
; %bb.167:
	s_mov_b32 s10, 0x3fdda512
	s_mov_b32 s11, 0xbfbb16c3
	v_sub_f32_e64 v14, 2.0, |v13|
	v_add_f32_e64 v16, |v13|, s11
	v_cmp_lt_f32_e64 s[10:11], |v13|, s10
	v_cndmask_b32_e64 v16, v14, v16, s[10:11]
	v_cndmask_b32_e64 v14, v14, 1.0, s[10:11]
	v_cvt_i32_f32_e32 v14, v14
	s_mov_b32 s10, 0x3f9d70a4
	v_add_f32_e64 v17, |v13|, -1.0
	v_cmp_lt_f32_e64 s[10:11], |v13|, s10
	v_cndmask_b32_e64 v16, v16, v17, s[10:11]
	v_cndmask_b32_e64 v17, v14, 2, s[10:11]
	v_mov_b32_e32 v14, 0
.LBB156_168:
	s_or_b64 exec, exec, s[12:13]
	v_cmp_lt_i32_e64 s[10:11], 0, v17
	s_and_saveexec_b64 s[12:13], s[10:11]
	s_xor_b64 s[12:13], exec, s[12:13]
	s_cbranch_execz .LBB156_176
; %bb.169:
	v_cmp_lt_i32_e64 s[10:11], 1, v17
	s_and_saveexec_b64 s[18:19], s[10:11]
	s_xor_b64 s[18:19], exec, s[18:19]
	s_cbranch_execz .LBB156_173
; %bb.170:
	v_cmp_eq_u32_e64 s[10:11], 2, v17
	s_and_saveexec_b64 s[20:21], s[10:11]
	s_cbranch_execz .LBB156_172
; %bb.171:
	v_mov_b32_e32 v17, 0x3e6a7578
	v_fmac_f32_e32 v17, 0x3c5b3c5e, v16
	v_mov_b32_e32 v18, 0x3f7a4bb2
	v_fmac_f32_e32 v18, v16, v17
	v_mov_b32_e32 v17, 0x3fba3ae7
	v_fmac_f32_e32 v17, v16, v18
	v_mov_b32_e32 v18, 0x3f2200f4
	v_fmac_f32_e32 v18, v16, v17
	v_mov_b32_e32 v17, 0x3dd572af
	v_fmac_f32_e32 v17, 0x3b52d5db, v16
	v_mov_b32_e32 v19, 0x3f44efdf
	v_fmac_f32_e32 v19, v16, v17
	v_mov_b32_e32 v17, 0x4008392d
	v_fmac_f32_e32 v17, v16, v19
	v_mov_b32_e32 v19, 0x401d2ebe
	v_fmac_f32_e32 v19, v16, v17
	v_fma_f32 v17, v16, v19, 1.0
	v_rcp_f32_e32 v17, v17
	v_mov_b32_e32 v19, 0xbd9e233f
	v_fmac_f32_e32 v19, v16, v18
	v_mul_f32_e32 v18, v16, v19
	v_mul_f32_e32 v17, v18, v17
	v_fmac_f32_e32 v17, -0.5, v16
	v_add_f32_e32 v14, v14, v17
.LBB156_172:
	s_or_b64 exec, exec, s[20:21]
                                        ; implicit-def: $vgpr16
.LBB156_173:
	s_andn2_saveexec_b64 s[10:11], s[18:19]
	s_cbranch_execz .LBB156_175
; %bb.174:
	v_mul_f32_e32 v17, v16, v16
	v_mul_f32_e32 v18, v16, v17
	v_mov_b32_e32 v19, 0xbab7f476
	v_fmac_f32_e32 v19, 0x39a57b6b, v18
	v_mov_b32_e32 v20, 0x3bc7e707
	v_fmac_f32_e32 v20, v18, v19
	;; [unrolled: 2-line block ×12, first 2 shown]
	v_fmac_f32_e32 v21, v16, v22
	s_mov_b32 s18, 0xa2863e55
	v_fma_f32 v16, v18, -v21, s18
	v_fma_f32 v16, v17, v20, -v16
	v_add_f32_e32 v16, 0xbdf8cdce, v16
	v_add_f32_e32 v14, v14, v16
.LBB156_175:
	s_or_b64 exec, exec, s[10:11]
                                        ; implicit-def: $vgpr17
                                        ; implicit-def: $vgpr16
.LBB156_176:
	s_andn2_saveexec_b64 s[12:13], s[12:13]
	s_cbranch_execz .LBB156_180
; %bb.177:
	v_cmp_eq_u32_e64 s[10:11], 0, v17
	s_and_saveexec_b64 s[18:19], s[10:11]
	s_cbranch_execz .LBB156_179
; %bb.178:
	v_mul_f32_e32 v17, v16, v16
	v_mov_b32_e32 v18, 0x39679767
	v_fmac_f32_e32 v18, 0x37d383a2, v17
	v_mov_b32_e32 v19, 0x3a9c54a1
	v_fmac_f32_e32 v19, v17, v18
	;; [unrolled: 2-line block ×10, first 2 shown]
	v_mul_f32_e32 v17, v17, v19
	v_fmac_f32_e32 v17, v16, v18
	v_fmac_f32_e32 v17, -0.5, v16
	v_add_f32_e32 v14, v14, v17
.LBB156_179:
	s_or_b64 exec, exec, s[18:19]
.LBB156_180:
	s_or_b64 exec, exec, s[12:13]
.LBB156_181:
	s_or_b64 exec, exec, s[16:17]
.LBB156_182:
	s_andn2_saveexec_b64 s[14:15], s[14:15]
	s_cbranch_execz .LBB156_184
; %bb.183:
	s_mov_b32 s10, 0x3e8a8991
	v_mov_b32_e32 v14, 0xbecd26ab
	v_fma_f32 v14, |v13|, s10, v14
	s_mov_b32 s10, 0x3f528d33
	v_fma_f32 v14, |v13|, v14, s10
	s_mov_b32 s10, 0x800000
	v_cmp_lt_f32_e64 s[10:11], |v13|, s10
	v_cndmask_b32_e64 v16, 0, 32, s[10:11]
	v_ldexp_f32 v16, |v13|, v16
	v_log_f32_e32 v16, v16
	s_mov_b32 s12, 0xbf13c468
	v_fma_f32 v14, |v13|, v14, s12
	s_mov_b32 s12, 0x3f317217
	v_mul_f32_e32 v17, 0x3f317217, v16
	v_fma_f32 v18, v16, s12, -v17
	v_fmac_f32_e32 v18, 0x3377d1cf, v16
	s_mov_b32 s12, 0x7f800000
	v_add_f32_e32 v17, v17, v18
	v_cmp_lt_f32_e64 s[12:13], |v16|, s12
	v_cndmask_b32_e64 v16, v16, v17, s[12:13]
	v_mov_b32_e32 v17, 0x41b17218
	v_cndmask_b32_e64 v17, 0, v17, s[10:11]
	v_sub_f32_e32 v16, v16, v17
	v_fma_f32 v14, |v13|, v14, -v16
.LBB156_184:
	s_or_b64 exec, exec, s[14:15]
	v_cmp_le_f32_e64 s[10:11], 0, v13
	v_cmp_nle_f32_e64 s[12:13], 0, v13
	s_and_saveexec_b64 s[14:15], s[12:13]
	s_xor_b64 s[16:17], exec, s[14:15]
	s_cbranch_execz .LBB156_188
; %bb.185:
	s_mov_b32 s12, 0x4b000000
	s_mov_b32 s14, 0x35000000
	v_cmp_lt_f32_e64 s[12:13], |v13|, s12
	v_cmp_gt_f32_e64 s[14:15], |v13|, s14
	s_and_b64 s[12:13], s[12:13], s[14:15]
	s_and_saveexec_b64 s[18:19], s[12:13]
	s_cbranch_execz .LBB156_187
; %bb.186:
	v_mul_f32_e64 v16, |v13|, 0.5
	v_floor_f32_e32 v17, v16
	v_sub_f32_e32 v17, v16, v17
	v_min_f32_e32 v17, 0x3f7fffff, v17
	s_mov_b32 s14, 0x7f800000
	v_add_f32_e32 v17, v17, v17
	v_cmp_neq_f32_e64 s[12:13], s14, v16
	v_cndmask_b32_e64 v16, 0, v17, s[12:13]
	v_cmp_gt_f32_e64 s[12:13], |v13|, 1.0
	v_cndmask_b32_e64 v16, |v13|, v16, s[12:13]
	v_add_f32_e32 v17, v16, v16
	v_rndne_f32_e32 v17, v17
	v_fmac_f32_e32 v16, -0.5, v17
	v_mul_f32_e32 v18, v16, v16
	v_mov_b32_e32 v19, 0xbf1f24be
	v_fmac_f32_e32 v19, 0x3e75aa41, v18
	v_mov_b32_e32 v20, 0x40234736
	v_fmac_f32_e32 v20, v18, v19
	;; [unrolled: 2-line block ×3, first 2 shown]
	v_mul_f32_e32 v20, v16, v18
	v_mul_f32_e32 v19, v20, v19
	v_fmac_f32_e32 v19, 0x40490fdb, v16
	v_mov_b32_e32 v16, 0x3e642e9d
	v_cvt_i32_f32_e32 v17, v17
	v_fmac_f32_e32 v16, 0x3d4be544, v18
	v_mov_b32_e32 v20, 0xbfaad1da
	v_fmac_f32_e32 v20, v18, v16
	v_mov_b32_e32 v16, 0x4081e0d3
	v_fmac_f32_e32 v16, v18, v20
	v_mov_b32_e32 v20, 0xc09de9e6
	v_fmac_f32_e32 v20, v18, v16
	v_fma_f32 v16, v18, v20, 1.0
	v_and_b32_e32 v18, 1, v17
	v_cmp_eq_u32_e64 s[12:13], 0, v18
	v_cndmask_b32_e64 v16, v16, v19, s[12:13]
	v_lshlrev_b32_e32 v17, 30, v17
	s_brev_b32 s12, 1
	v_and_or_b32 v15, v17, s12, v15
	v_xor_b32_e32 v15, v15, v16
	v_xor_b32_e32 v15, v15, v13
	v_mul_f32_e32 v15, v13, v15
	v_frexp_mant_f32_e64 v16, |v15|
	v_rcp_f32_e32 v16, v16
	v_frexp_exp_i32_f32_e32 v15, v15
	v_sub_u32_e32 v15, 2, v15
	s_mov_b32 s12, 0x800000
	v_mul_f32_e32 v16, 0x3f490fdb, v16
	v_ldexp_f32 v15, v16, v15
	v_cmp_gt_f32_e64 s[12:13], s12, v15
	v_cndmask_b32_e64 v16, 0, 32, s[12:13]
	v_ldexp_f32 v15, v15, v16
	v_log_f32_e32 v15, v15
	s_mov_b32 s15, 0x3f317217
	v_mul_f32_e32 v16, 0x3f317217, v15
	v_fma_f32 v17, v15, s15, -v16
	v_fmac_f32_e32 v17, 0x3377d1cf, v15
	v_add_f32_e32 v16, v16, v17
	v_cmp_lt_f32_e64 s[14:15], |v15|, s14
	v_cndmask_b32_e64 v15, v15, v16, s[14:15]
	v_mov_b32_e32 v16, 0x41b17218
	v_cndmask_b32_e64 v16, 0, v16, s[12:13]
	v_sub_f32_e32 v15, v15, v16
	v_sub_f32_e32 v14, v15, v14
	v_floor_f32_e32 v15, v13
	v_sub_f32_e32 v15, v13, v15
	v_min_f32_e32 v15, 0x3f7fffff, v15
	v_mov_b32_e32 v16, 0x7f800000
	v_cmp_neq_f32_e64 s[12:13], 0, v15
	v_cndmask_b32_e64 v14, v16, v14, s[12:13]
.LBB156_187:
	s_or_b64 exec, exec, s[18:19]
.LBB156_188:
	s_andn2_saveexec_b64 s[16:17], s[16:17]
; %bb.189:
	v_cmp_eq_f32_e64 s[12:13], 1.0, v13
	v_cmp_eq_f32_e64 s[14:15], 2.0, v13
	s_or_b64 s[12:13], s[12:13], s[14:15]
	v_cndmask_b32_e64 v14, v14, 0, s[12:13]
; %bb.190:
	s_or_b64 exec, exec, s[16:17]
	v_and_b32_e32 v4, 0xffff0000, v4
	s_mov_b32 s12, 0x3c800000
	v_and_b32_e32 v16, 0x7fffffff, v4
	v_cmp_nlt_f32_e64 s[12:13], |v4|, s12
                                        ; implicit-def: $vgpr15
	s_and_saveexec_b64 s[14:15], s[12:13]
	s_xor_b64 s[16:17], exec, s[14:15]
	s_cbranch_execz .LBB156_220
; %bb.191:
	v_cmp_nlt_f32_e64 s[12:13], |v4|, 2.0
                                        ; implicit-def: $vgpr15
	s_and_saveexec_b64 s[14:15], s[12:13]
	s_xor_b64 s[18:19], exec, s[14:15]
	s_cbranch_execz .LBB156_201
; %bb.192:
	s_mov_b32 s12, 0x41000000
	v_cmp_nlt_f32_e64 s[12:13], |v4|, s12
                                        ; implicit-def: $vgpr15
	s_and_saveexec_b64 s[14:15], s[12:13]
	s_xor_b64 s[20:21], exec, s[14:15]
	s_cbranch_execz .LBB156_198
; %bb.193:
	s_mov_b32 s12, 0x5c800000
	v_cmp_nlt_f32_e64 s[12:13], |v4|, s12
                                        ; implicit-def: $vgpr15
	s_and_saveexec_b64 s[14:15], s[12:13]
	s_xor_b64 s[24:25], exec, s[14:15]
	s_cbranch_execz .LBB156_195
; %bb.194:
	s_mov_b32 s12, 0x800000
	v_cmp_lt_f32_e64 s[12:13], |v4|, s12
	v_cndmask_b32_e64 v15, 0, 32, s[12:13]
	v_ldexp_f32 v15, |v4|, v15
	v_log_f32_e32 v15, v15
	s_mov_b32 s14, 0x3f317217
	s_mov_b32 s15, 0x7f800000
	v_mul_f32_e32 v17, 0x3f317217, v15
	v_fma_f32 v18, v15, s14, -v17
	v_fmac_f32_e32 v18, 0x3377d1cf, v15
	v_add_f32_e32 v17, v17, v18
	v_cmp_lt_f32_e64 s[14:15], |v15|, s15
	v_cndmask_b32_e64 v15, v15, v17, s[14:15]
	v_mov_b32_e32 v17, 0x41b17218
	v_cndmask_b32_e64 v17, 0, v17, s[12:13]
	v_sub_f32_e32 v15, v15, v17
	v_fma_f32 v15, |v4|, v15, -|v4|
.LBB156_195:
	s_andn2_saveexec_b64 s[24:25], s[24:25]
	s_cbranch_execz .LBB156_197
; %bb.196:
	v_rcp_f32_e64 v17, |v4|
	v_mov_b32_e32 v15, 0x3a5b3dd2
	v_mov_b32_e32 v18, 0xba1c065c
	;; [unrolled: 1-line block ×3, first 2 shown]
	v_mul_f32_e32 v20, v17, v17
	v_fmac_f32_e32 v15, 0xbad5c4e8, v20
	v_fmac_f32_e32 v18, v20, v15
	s_mov_b32 s12, 0x800000
	v_fmac_f32_e32 v19, v20, v18
	v_mov_b32_e32 v15, 0xbb360b61
	v_cmp_lt_f32_e64 s[12:13], |v4|, s12
	v_fmac_f32_e32 v15, v20, v19
	v_cndmask_b32_e64 v19, 0, 32, s[12:13]
	v_ldexp_f32 v19, |v4|, v19
	v_log_f32_e32 v19, v19
	v_mov_b32_e32 v18, 0x3daaaaab
	v_fmac_f32_e32 v18, v20, v15
	v_mov_b32_e32 v15, 0x3ed67f1d
	v_fmac_f32_e32 v15, v17, v18
	s_mov_b32 s14, 0x3f317217
	v_mul_f32_e32 v18, 0x3f317217, v19
	v_fma_f32 v20, v19, s14, -v18
	v_fmac_f32_e32 v20, 0x3377d1cf, v19
	s_mov_b32 s14, 0x7f800000
	v_add_f32_e32 v18, v18, v20
	v_cmp_lt_f32_e64 s[14:15], |v19|, s14
	v_cndmask_b32_e64 v18, v19, v18, s[14:15]
	v_mov_b32_e32 v19, 0x41b17218
	v_cndmask_b32_e64 v19, 0, v19, s[12:13]
	v_sub_f32_e32 v18, v18, v19
	v_add_f32_e64 v17, |v4|, -0.5
	v_add_f32_e32 v18, -1.0, v18
	v_fmac_f32_e32 v15, v17, v18
.LBB156_197:
	s_or_b64 exec, exec, s[24:25]
.LBB156_198:
	s_andn2_saveexec_b64 s[20:21], s[20:21]
	s_cbranch_execz .LBB156_200
; %bb.199:
	v_cvt_i32_f32_e32 v15, v16
	v_mov_b32_e32 v18, 0x3af135b4
	v_mov_b32_e32 v19, 0x3cda40e4
	;; [unrolled: 1-line block ×3, first 2 shown]
	v_cvt_f32_i32_e32 v17, v15
	v_cmp_lt_i32_e64 s[12:13], 2, v15
	s_mov_b32 s14, 0x3f317217
	v_sub_f32_e64 v17, |v4|, v17
	v_fmac_f32_e32 v18, 0x3805ff67, v17
	v_fmac_f32_e32 v19, v17, v18
	v_mov_b32_e32 v18, 0x3e15dce6
	v_fmac_f32_e32 v18, v17, v19
	v_mov_b32_e32 v19, 0x3ea6cc7a
	;; [unrolled: 2-line block ×4, first 2 shown]
	v_fmac_f32_e32 v19, v17, v18
	v_mul_f32_e32 v18, v17, v19
	v_mov_b32_e32 v19, 0x3a4beed6
	v_fmac_f32_e32 v19, 0x36f5d7bd, v17
	v_fmac_f32_e32 v20, v17, v19
	v_mov_b32_e32 v19, 0x3e300f6e
	v_fmac_f32_e32 v19, v17, v20
	v_mov_b32_e32 v20, 0x3f38d0c5
	;; [unrolled: 2-line block ×3, first 2 shown]
	v_fmac_f32_e32 v19, v17, v20
	v_fma_f32 v19, v17, v19, 1.0
	v_rcp_f32_e32 v19, v19
	v_add_f32_e32 v20, 0x40400000, v17
	v_add_f32_e32 v21, 4.0, v17
	v_add_f32_e32 v22, 0x40a00000, v17
	v_mul_f32_e32 v18, v18, v19
	v_add_f32_e32 v19, 2.0, v17
	v_cndmask_b32_e64 v19, 1.0, v19, s[12:13]
	v_cmp_lt_i32_e64 s[12:13], 3, v15
	v_cndmask_b32_e64 v20, 1.0, v20, s[12:13]
	v_cmp_lt_i32_e64 s[12:13], 4, v15
	v_mul_f32_e32 v19, v19, v20
	v_cndmask_b32_e64 v20, 1.0, v21, s[12:13]
	v_cmp_lt_i32_e64 s[12:13], 5, v15
	v_fmac_f32_e32 v18, 0.5, v17
	v_add_f32_e32 v17, 0x40c00000, v17
	v_mul_f32_e32 v19, v20, v19
	v_cndmask_b32_e64 v20, 1.0, v22, s[12:13]
	v_cmp_lt_i32_e64 s[12:13], 6, v15
	v_mul_f32_e32 v19, v20, v19
	v_cndmask_b32_e64 v15, 1.0, v17, s[12:13]
	v_mul_f32_e32 v15, v15, v19
	s_mov_b32 s12, 0x800000
	v_cmp_gt_f32_e64 s[12:13], s12, v15
	v_cndmask_b32_e64 v17, 0, 32, s[12:13]
	v_ldexp_f32 v15, v15, v17
	v_log_f32_e32 v15, v15
	v_mul_f32_e32 v17, 0x3f317217, v15
	v_fma_f32 v19, v15, s14, -v17
	v_fmac_f32_e32 v19, 0x3377d1cf, v15
	s_mov_b32 s14, 0x7f800000
	v_add_f32_e32 v17, v17, v19
	v_cmp_lt_f32_e64 s[14:15], |v15|, s14
	v_cndmask_b32_e64 v15, v15, v17, s[14:15]
	v_mov_b32_e32 v17, 0x41b17218
	v_cndmask_b32_e64 v17, 0, v17, s[12:13]
	v_sub_f32_e32 v15, v15, v17
	v_add_f32_e32 v15, v15, v18
.LBB156_200:
	s_or_b64 exec, exec, s[20:21]
.LBB156_201:
	s_andn2_saveexec_b64 s[18:19], s[18:19]
	s_cbranch_execz .LBB156_219
; %bb.202:
	s_mov_b32 s12, 0x3f666666
	v_cmp_le_f32_e64 s[12:13], |v4|, s12
                                        ; implicit-def: $vgpr15
                                        ; implicit-def: $vgpr18
                                        ; implicit-def: $vgpr17
	s_and_saveexec_b64 s[14:15], s[12:13]
	s_xor_b64 s[20:21], exec, s[14:15]
	s_cbranch_execz .LBB156_204
; %bb.203:
	s_mov_b32 s12, 0x800000
	v_cmp_lt_f32_e64 s[12:13], |v4|, s12
	v_cndmask_b32_e64 v15, 0, 32, s[12:13]
	v_ldexp_f32 v15, |v4|, v15
	v_log_f32_e32 v15, v15
	s_mov_b32 s14, 0x3f317217
	s_mov_b32 s15, 0x7f800000
	v_mul_f32_e32 v17, 0x3f317217, v15
	v_fma_f32 v18, v15, s14, -v17
	v_fmac_f32_e32 v18, 0x3377d1cf, v15
	v_add_f32_e32 v17, v17, v18
	v_cmp_lt_f32_e64 s[14:15], |v15|, s15
	v_cndmask_b32_e64 v15, v15, v17, s[14:15]
	v_mov_b32_e32 v17, 0x41b17218
	v_cndmask_b32_e64 v17, 0, v17, s[12:13]
	s_mov_b32 s12, 0x3f3b4a23
	s_mov_b32 s13, 0xbeec5b0c
	v_sub_f32_e32 v15, v15, v17
	v_sub_f32_e64 v17, 1.0, |v4|
	v_add_f32_e64 v18, |v4|, s13
	v_cmp_lt_f32_e64 s[12:13], |v4|, s12
	v_cndmask_b32_e64 v17, v17, v18, s[12:13]
	v_cndmask_b32_e64 v18, 0, 1, s[12:13]
	s_mov_b32 s12, 0x3e6d3309
	v_cmp_lt_f32_e64 s[12:13], |v4|, s12
	v_xor_b32_e32 v15, 0x80000000, v15
	v_cndmask_b32_e64 v17, v17, |v4|, s[12:13]
	v_cndmask_b32_e64 v18, v18, 2, s[12:13]
.LBB156_204:
	s_andn2_saveexec_b64 s[14:15], s[20:21]
	s_cbranch_execz .LBB156_206
; %bb.205:
	s_mov_b32 s12, 0x3fdda512
	s_mov_b32 s13, 0xbfbb16c3
	v_sub_f32_e64 v15, 2.0, |v4|
	v_add_f32_e64 v17, |v4|, s13
	v_cmp_lt_f32_e64 s[12:13], |v4|, s12
	v_cndmask_b32_e64 v17, v15, v17, s[12:13]
	v_cndmask_b32_e64 v15, v15, 1.0, s[12:13]
	v_cvt_i32_f32_e32 v15, v15
	s_mov_b32 s12, 0x3f9d70a4
	v_add_f32_e64 v18, |v4|, -1.0
	v_cmp_lt_f32_e64 s[12:13], |v4|, s12
	v_cndmask_b32_e64 v17, v17, v18, s[12:13]
	v_cndmask_b32_e64 v18, v15, 2, s[12:13]
	v_mov_b32_e32 v15, 0
.LBB156_206:
	s_or_b64 exec, exec, s[14:15]
	v_cmp_lt_i32_e64 s[12:13], 0, v18
	s_and_saveexec_b64 s[14:15], s[12:13]
	s_xor_b64 s[14:15], exec, s[14:15]
	s_cbranch_execz .LBB156_214
; %bb.207:
	v_cmp_lt_i32_e64 s[12:13], 1, v18
	s_and_saveexec_b64 s[20:21], s[12:13]
	s_xor_b64 s[20:21], exec, s[20:21]
	s_cbranch_execz .LBB156_211
; %bb.208:
	v_cmp_eq_u32_e64 s[12:13], 2, v18
	s_and_saveexec_b64 s[24:25], s[12:13]
	s_cbranch_execz .LBB156_210
; %bb.209:
	v_mov_b32_e32 v18, 0x3e6a7578
	v_fmac_f32_e32 v18, 0x3c5b3c5e, v17
	v_mov_b32_e32 v19, 0x3f7a4bb2
	v_fmac_f32_e32 v19, v17, v18
	;; [unrolled: 2-line block ×8, first 2 shown]
	v_fma_f32 v18, v17, v20, 1.0
	v_rcp_f32_e32 v18, v18
	v_mov_b32_e32 v20, 0xbd9e233f
	v_fmac_f32_e32 v20, v17, v19
	v_mul_f32_e32 v19, v17, v20
	v_mul_f32_e32 v18, v19, v18
	v_fmac_f32_e32 v18, -0.5, v17
	v_add_f32_e32 v15, v15, v18
.LBB156_210:
	s_or_b64 exec, exec, s[24:25]
                                        ; implicit-def: $vgpr17
.LBB156_211:
	s_andn2_saveexec_b64 s[12:13], s[20:21]
	s_cbranch_execz .LBB156_213
; %bb.212:
	v_mul_f32_e32 v18, v17, v17
	v_mul_f32_e32 v19, v17, v18
	v_mov_b32_e32 v20, 0xbab7f476
	v_fmac_f32_e32 v20, 0x39a57b6b, v19
	v_mov_b32_e32 v21, 0x3bc7e707
	v_fmac_f32_e32 v21, v19, v20
	;; [unrolled: 2-line block ×12, first 2 shown]
	v_fmac_f32_e32 v22, v17, v23
	s_mov_b32 s20, 0xa2863e55
	v_fma_f32 v17, v19, -v22, s20
	v_fma_f32 v17, v18, v21, -v17
	v_add_f32_e32 v17, 0xbdf8cdce, v17
	v_add_f32_e32 v15, v15, v17
.LBB156_213:
	s_or_b64 exec, exec, s[12:13]
                                        ; implicit-def: $vgpr18
                                        ; implicit-def: $vgpr17
.LBB156_214:
	s_andn2_saveexec_b64 s[14:15], s[14:15]
	s_cbranch_execz .LBB156_218
; %bb.215:
	v_cmp_eq_u32_e64 s[12:13], 0, v18
	s_and_saveexec_b64 s[20:21], s[12:13]
	s_cbranch_execz .LBB156_217
; %bb.216:
	v_mul_f32_e32 v18, v17, v17
	v_mov_b32_e32 v19, 0x39679767
	v_fmac_f32_e32 v19, 0x37d383a2, v18
	v_mov_b32_e32 v20, 0x3a9c54a1
	v_fmac_f32_e32 v20, v18, v19
	;; [unrolled: 2-line block ×10, first 2 shown]
	v_mul_f32_e32 v18, v18, v20
	v_fmac_f32_e32 v18, v17, v19
	v_fmac_f32_e32 v18, -0.5, v17
	v_add_f32_e32 v15, v15, v18
.LBB156_217:
	s_or_b64 exec, exec, s[20:21]
.LBB156_218:
	s_or_b64 exec, exec, s[14:15]
.LBB156_219:
	s_or_b64 exec, exec, s[18:19]
.LBB156_220:
	s_andn2_saveexec_b64 s[16:17], s[16:17]
	s_cbranch_execz .LBB156_222
; %bb.221:
	s_mov_b32 s12, 0x3e8a8991
	v_mov_b32_e32 v15, 0xbecd26ab
	v_fma_f32 v15, |v4|, s12, v15
	s_mov_b32 s12, 0x3f528d33
	v_fma_f32 v15, |v4|, v15, s12
	s_mov_b32 s12, 0x800000
	v_cmp_lt_f32_e64 s[12:13], |v4|, s12
	v_cndmask_b32_e64 v17, 0, 32, s[12:13]
	v_ldexp_f32 v17, |v4|, v17
	v_log_f32_e32 v17, v17
	s_mov_b32 s14, 0xbf13c468
	v_fma_f32 v15, |v4|, v15, s14
	s_mov_b32 s14, 0x3f317217
	v_mul_f32_e32 v18, 0x3f317217, v17
	v_fma_f32 v19, v17, s14, -v18
	v_fmac_f32_e32 v19, 0x3377d1cf, v17
	s_mov_b32 s14, 0x7f800000
	v_add_f32_e32 v18, v18, v19
	v_cmp_lt_f32_e64 s[14:15], |v17|, s14
	v_cndmask_b32_e64 v17, v17, v18, s[14:15]
	v_mov_b32_e32 v18, 0x41b17218
	v_cndmask_b32_e64 v18, 0, v18, s[12:13]
	v_sub_f32_e32 v17, v17, v18
	v_fma_f32 v15, |v4|, v15, -v17
.LBB156_222:
	s_or_b64 exec, exec, s[16:17]
	v_cmp_le_f32_e64 s[12:13], 0, v4
	v_cmp_nle_f32_e64 s[14:15], 0, v4
	s_and_saveexec_b64 s[16:17], s[14:15]
	s_xor_b64 s[18:19], exec, s[16:17]
	s_cbranch_execz .LBB156_226
; %bb.223:
	s_mov_b32 s14, 0x4b000000
	s_mov_b32 s16, 0x35000000
	v_cmp_lt_f32_e64 s[14:15], |v4|, s14
	v_cmp_gt_f32_e64 s[16:17], |v4|, s16
	s_and_b64 s[14:15], s[14:15], s[16:17]
	s_and_saveexec_b64 s[20:21], s[14:15]
	s_cbranch_execz .LBB156_225
; %bb.224:
	v_mul_f32_e64 v17, |v4|, 0.5
	v_floor_f32_e32 v18, v17
	v_sub_f32_e32 v18, v17, v18
	v_min_f32_e32 v18, 0x3f7fffff, v18
	s_mov_b32 s16, 0x7f800000
	v_add_f32_e32 v18, v18, v18
	v_cmp_neq_f32_e64 s[14:15], s16, v17
	v_cndmask_b32_e64 v17, 0, v18, s[14:15]
	v_cmp_gt_f32_e64 s[14:15], |v4|, 1.0
	v_cndmask_b32_e64 v17, |v4|, v17, s[14:15]
	v_add_f32_e32 v18, v17, v17
	v_rndne_f32_e32 v18, v18
	v_fmac_f32_e32 v17, -0.5, v18
	v_mul_f32_e32 v19, v17, v17
	v_mov_b32_e32 v20, 0xbf1f24be
	v_fmac_f32_e32 v20, 0x3e75aa41, v19
	v_mov_b32_e32 v21, 0x40234736
	v_fmac_f32_e32 v21, v19, v20
	;; [unrolled: 2-line block ×3, first 2 shown]
	v_mul_f32_e32 v21, v17, v19
	v_mul_f32_e32 v20, v21, v20
	v_fmac_f32_e32 v20, 0x40490fdb, v17
	v_mov_b32_e32 v17, 0x3e642e9d
	v_cvt_i32_f32_e32 v18, v18
	v_fmac_f32_e32 v17, 0x3d4be544, v19
	v_mov_b32_e32 v21, 0xbfaad1da
	v_fmac_f32_e32 v21, v19, v17
	v_mov_b32_e32 v17, 0x4081e0d3
	;; [unrolled: 2-line block ×3, first 2 shown]
	v_fmac_f32_e32 v21, v19, v17
	v_fma_f32 v17, v19, v21, 1.0
	v_and_b32_e32 v19, 1, v18
	v_cmp_eq_u32_e64 s[14:15], 0, v19
	v_cndmask_b32_e64 v17, v17, v20, s[14:15]
	v_lshlrev_b32_e32 v18, 30, v18
	s_brev_b32 s14, 1
	v_and_or_b32 v16, v18, s14, v16
	v_xor_b32_e32 v16, v16, v17
	v_xor_b32_e32 v16, v16, v4
	v_mul_f32_e32 v16, v4, v16
	v_frexp_mant_f32_e64 v17, |v16|
	v_rcp_f32_e32 v17, v17
	v_frexp_exp_i32_f32_e32 v16, v16
	v_sub_u32_e32 v16, 2, v16
	s_mov_b32 s14, 0x800000
	v_mul_f32_e32 v17, 0x3f490fdb, v17
	v_ldexp_f32 v16, v17, v16
	v_cmp_gt_f32_e64 s[14:15], s14, v16
	v_cndmask_b32_e64 v17, 0, 32, s[14:15]
	v_ldexp_f32 v16, v16, v17
	v_log_f32_e32 v16, v16
	s_mov_b32 s17, 0x3f317217
	v_mul_f32_e32 v17, 0x3f317217, v16
	v_fma_f32 v18, v16, s17, -v17
	v_fmac_f32_e32 v18, 0x3377d1cf, v16
	v_add_f32_e32 v17, v17, v18
	v_cmp_lt_f32_e64 s[16:17], |v16|, s16
	v_cndmask_b32_e64 v16, v16, v17, s[16:17]
	v_mov_b32_e32 v17, 0x41b17218
	v_cndmask_b32_e64 v17, 0, v17, s[14:15]
	v_sub_f32_e32 v16, v16, v17
	v_sub_f32_e32 v15, v16, v15
	v_floor_f32_e32 v16, v4
	v_sub_f32_e32 v16, v4, v16
	v_min_f32_e32 v16, 0x3f7fffff, v16
	v_mov_b32_e32 v17, 0x7f800000
	v_cmp_neq_f32_e64 s[14:15], 0, v16
	v_cndmask_b32_e64 v15, v17, v15, s[14:15]
.LBB156_225:
	s_or_b64 exec, exec, s[20:21]
.LBB156_226:
	s_andn2_saveexec_b64 s[18:19], s[18:19]
; %bb.227:
	v_cmp_eq_f32_e64 s[14:15], 1.0, v4
	v_cmp_eq_f32_e64 s[16:17], 2.0, v4
	s_or_b64 s[14:15], s[14:15], s[16:17]
	v_cndmask_b32_e64 v15, v15, 0, s[14:15]
; %bb.228:
	s_or_b64 exec, exec, s[18:19]
	v_lshlrev_b32_e32 v16, 16, v5
	s_mov_b32 s14, 0x3c800000
	v_and_b32_e32 v18, 0x7fffffff, v16
	v_cmp_nlt_f32_e64 s[14:15], |v16|, s14
                                        ; implicit-def: $vgpr17
	s_and_saveexec_b64 s[16:17], s[14:15]
	s_xor_b64 s[18:19], exec, s[16:17]
	s_cbranch_execz .LBB156_258
; %bb.229:
	v_cmp_nlt_f32_e64 s[14:15], |v16|, 2.0
                                        ; implicit-def: $vgpr17
	s_and_saveexec_b64 s[16:17], s[14:15]
	s_xor_b64 s[20:21], exec, s[16:17]
	s_cbranch_execz .LBB156_239
; %bb.230:
	s_mov_b32 s14, 0x41000000
	v_cmp_nlt_f32_e64 s[14:15], |v16|, s14
                                        ; implicit-def: $vgpr17
	s_and_saveexec_b64 s[16:17], s[14:15]
	s_xor_b64 s[24:25], exec, s[16:17]
	s_cbranch_execz .LBB156_236
; %bb.231:
	s_mov_b32 s14, 0x5c800000
	v_cmp_nlt_f32_e64 s[14:15], |v16|, s14
                                        ; implicit-def: $vgpr17
	s_and_saveexec_b64 s[16:17], s[14:15]
	s_xor_b64 s[26:27], exec, s[16:17]
	s_cbranch_execz .LBB156_233
; %bb.232:
	s_mov_b32 s14, 0x800000
	v_cmp_lt_f32_e64 s[14:15], |v16|, s14
	v_cndmask_b32_e64 v17, 0, 32, s[14:15]
	v_ldexp_f32 v17, |v16|, v17
	v_log_f32_e32 v17, v17
	s_mov_b32 s16, 0x3f317217
	s_mov_b32 s17, 0x7f800000
	v_mul_f32_e32 v19, 0x3f317217, v17
	v_fma_f32 v20, v17, s16, -v19
	v_fmac_f32_e32 v20, 0x3377d1cf, v17
	v_add_f32_e32 v19, v19, v20
	v_cmp_lt_f32_e64 s[16:17], |v17|, s17
	v_cndmask_b32_e64 v17, v17, v19, s[16:17]
	v_mov_b32_e32 v19, 0x41b17218
	v_cndmask_b32_e64 v19, 0, v19, s[14:15]
	v_sub_f32_e32 v17, v17, v19
	v_fma_f32 v17, |v16|, v17, -|v16|
.LBB156_233:
	s_andn2_saveexec_b64 s[26:27], s[26:27]
	s_cbranch_execz .LBB156_235
; %bb.234:
	v_rcp_f32_e64 v19, |v16|
	v_mov_b32_e32 v17, 0x3a5b3dd2
	v_mov_b32_e32 v20, 0xba1c065c
	;; [unrolled: 1-line block ×3, first 2 shown]
	v_mul_f32_e32 v22, v19, v19
	v_fmac_f32_e32 v17, 0xbad5c4e8, v22
	v_fmac_f32_e32 v20, v22, v17
	s_mov_b32 s14, 0x800000
	v_fmac_f32_e32 v21, v22, v20
	v_mov_b32_e32 v17, 0xbb360b61
	v_cmp_lt_f32_e64 s[14:15], |v16|, s14
	v_fmac_f32_e32 v17, v22, v21
	v_cndmask_b32_e64 v21, 0, 32, s[14:15]
	v_ldexp_f32 v21, |v16|, v21
	v_log_f32_e32 v21, v21
	v_mov_b32_e32 v20, 0x3daaaaab
	v_fmac_f32_e32 v20, v22, v17
	v_mov_b32_e32 v17, 0x3ed67f1d
	v_fmac_f32_e32 v17, v19, v20
	s_mov_b32 s16, 0x3f317217
	v_mul_f32_e32 v20, 0x3f317217, v21
	v_fma_f32 v22, v21, s16, -v20
	v_fmac_f32_e32 v22, 0x3377d1cf, v21
	s_mov_b32 s16, 0x7f800000
	v_add_f32_e32 v20, v20, v22
	v_cmp_lt_f32_e64 s[16:17], |v21|, s16
	v_cndmask_b32_e64 v20, v21, v20, s[16:17]
	v_mov_b32_e32 v21, 0x41b17218
	v_cndmask_b32_e64 v21, 0, v21, s[14:15]
	v_sub_f32_e32 v20, v20, v21
	v_add_f32_e64 v19, |v16|, -0.5
	v_add_f32_e32 v20, -1.0, v20
	v_fmac_f32_e32 v17, v19, v20
.LBB156_235:
	s_or_b64 exec, exec, s[26:27]
.LBB156_236:
	s_andn2_saveexec_b64 s[24:25], s[24:25]
	s_cbranch_execz .LBB156_238
; %bb.237:
	v_cvt_i32_f32_e32 v17, v18
	v_mov_b32_e32 v19, 0x3af135b4
	v_mov_b32_e32 v20, 0x3cda40e4
	;; [unrolled: 1-line block ×3, first 2 shown]
	v_cvt_f32_i32_e32 v22, v17
	v_mov_b32_e32 v23, 0x3ea6cc7a
	v_mov_b32_e32 v24, 0x3e5c245a
	v_cmp_lt_i32_e64 s[14:15], 2, v17
	v_sub_f32_e64 v22, |v16|, v22
	v_fmac_f32_e32 v19, 0x3805ff67, v22
	v_fmac_f32_e32 v20, v22, v19
	;; [unrolled: 1-line block ×3, first 2 shown]
	v_mov_b32_e32 v20, 0x3a4beed6
	v_fmac_f32_e32 v23, v22, v21
	v_fmac_f32_e32 v20, 0x36f5d7bd, v22
	v_mov_b32_e32 v21, 0x3c98bf54
	v_fmac_f32_e32 v21, v22, v20
	v_mov_b32_e32 v20, 0x3e300f6e
	;; [unrolled: 2-line block ×4, first 2 shown]
	v_fmac_f32_e32 v20, v22, v21
	v_add_f32_e32 v21, 2.0, v22
	v_mov_b32_e32 v25, 0xbd9e233f
	v_fmac_f32_e32 v24, v22, v23
	v_add_f32_e32 v23, 0x40400000, v22
	v_cndmask_b32_e64 v21, 1.0, v21, s[14:15]
	v_cmp_lt_i32_e64 s[14:15], 3, v17
	v_fmac_f32_e32 v25, v22, v24
	v_add_f32_e32 v24, 4.0, v22
	v_cndmask_b32_e64 v23, 1.0, v23, s[14:15]
	v_cmp_lt_i32_e64 s[14:15], 4, v17
	v_mul_f32_e32 v19, v22, v25
	v_add_f32_e32 v25, 0x40a00000, v22
	v_mul_f32_e32 v21, v21, v23
	v_cndmask_b32_e64 v23, 1.0, v24, s[14:15]
	v_cmp_lt_i32_e64 s[14:15], 5, v17
	v_add_f32_e32 v26, 0x40c00000, v22
	v_mul_f32_e32 v21, v23, v21
	v_cndmask_b32_e64 v23, 1.0, v25, s[14:15]
	v_cmp_lt_i32_e64 s[14:15], 6, v17
	v_mul_f32_e32 v21, v23, v21
	v_cndmask_b32_e64 v17, 1.0, v26, s[14:15]
	v_mul_f32_e32 v17, v17, v21
	s_mov_b32 s14, 0x800000
	v_cmp_gt_f32_e64 s[14:15], s14, v17
	v_cndmask_b32_e64 v21, 0, 32, s[14:15]
	v_fma_f32 v20, v22, v20, 1.0
	v_ldexp_f32 v17, v17, v21
	v_rcp_f32_e32 v20, v20
	v_log_f32_e32 v17, v17
	s_mov_b32 s16, 0x3f317217
	v_mul_f32_e32 v19, v19, v20
	v_mul_f32_e32 v20, 0x3f317217, v17
	v_fma_f32 v21, v17, s16, -v20
	v_fmac_f32_e32 v21, 0x3377d1cf, v17
	s_mov_b32 s16, 0x7f800000
	v_add_f32_e32 v20, v20, v21
	v_cmp_lt_f32_e64 s[16:17], |v17|, s16
	v_cndmask_b32_e64 v17, v17, v20, s[16:17]
	v_mov_b32_e32 v20, 0x41b17218
	v_cndmask_b32_e64 v20, 0, v20, s[14:15]
	v_fmac_f32_e32 v19, 0.5, v22
	v_sub_f32_e32 v17, v17, v20
	v_add_f32_e32 v17, v17, v19
.LBB156_238:
	s_or_b64 exec, exec, s[24:25]
.LBB156_239:
	s_andn2_saveexec_b64 s[20:21], s[20:21]
	s_cbranch_execz .LBB156_257
; %bb.240:
	s_mov_b32 s14, 0x3f666666
	v_cmp_le_f32_e64 s[14:15], |v16|, s14
                                        ; implicit-def: $vgpr17
                                        ; implicit-def: $vgpr20
                                        ; implicit-def: $vgpr19
	s_and_saveexec_b64 s[16:17], s[14:15]
	s_xor_b64 s[24:25], exec, s[16:17]
	s_cbranch_execz .LBB156_242
; %bb.241:
	s_mov_b32 s14, 0x800000
	v_cmp_lt_f32_e64 s[14:15], |v16|, s14
	v_cndmask_b32_e64 v17, 0, 32, s[14:15]
	v_ldexp_f32 v17, |v16|, v17
	v_log_f32_e32 v17, v17
	s_mov_b32 s16, 0x3f317217
	s_mov_b32 s17, 0x7f800000
	v_mul_f32_e32 v19, 0x3f317217, v17
	v_fma_f32 v20, v17, s16, -v19
	v_fmac_f32_e32 v20, 0x3377d1cf, v17
	v_add_f32_e32 v19, v19, v20
	v_cmp_lt_f32_e64 s[16:17], |v17|, s17
	v_cndmask_b32_e64 v17, v17, v19, s[16:17]
	v_mov_b32_e32 v19, 0x41b17218
	v_cndmask_b32_e64 v19, 0, v19, s[14:15]
	s_mov_b32 s14, 0x3f3b4a23
	s_mov_b32 s15, 0xbeec5b0c
	v_sub_f32_e32 v17, v17, v19
	v_sub_f32_e64 v19, 1.0, |v16|
	v_add_f32_e64 v20, |v16|, s15
	v_cmp_lt_f32_e64 s[14:15], |v16|, s14
	v_cndmask_b32_e64 v19, v19, v20, s[14:15]
	v_cndmask_b32_e64 v20, 0, 1, s[14:15]
	s_mov_b32 s14, 0x3e6d3309
	v_cmp_lt_f32_e64 s[14:15], |v16|, s14
	v_xor_b32_e32 v17, 0x80000000, v17
	v_cndmask_b32_e64 v19, v19, |v16|, s[14:15]
	v_cndmask_b32_e64 v20, v20, 2, s[14:15]
.LBB156_242:
	s_andn2_saveexec_b64 s[16:17], s[24:25]
	s_cbranch_execz .LBB156_244
; %bb.243:
	s_mov_b32 s14, 0x3fdda512
	s_mov_b32 s15, 0xbfbb16c3
	v_sub_f32_e64 v17, 2.0, |v16|
	v_add_f32_e64 v19, |v16|, s15
	v_cmp_lt_f32_e64 s[14:15], |v16|, s14
	v_cndmask_b32_e64 v19, v17, v19, s[14:15]
	v_cndmask_b32_e64 v17, v17, 1.0, s[14:15]
	v_cvt_i32_f32_e32 v17, v17
	s_mov_b32 s14, 0x3f9d70a4
	v_add_f32_e64 v20, |v16|, -1.0
	v_cmp_lt_f32_e64 s[14:15], |v16|, s14
	v_cndmask_b32_e64 v19, v19, v20, s[14:15]
	v_cndmask_b32_e64 v20, v17, 2, s[14:15]
	v_mov_b32_e32 v17, 0
.LBB156_244:
	s_or_b64 exec, exec, s[16:17]
	v_cmp_lt_i32_e64 s[14:15], 0, v20
	s_and_saveexec_b64 s[16:17], s[14:15]
	s_xor_b64 s[16:17], exec, s[16:17]
	s_cbranch_execz .LBB156_252
; %bb.245:
	v_cmp_lt_i32_e64 s[14:15], 1, v20
	s_and_saveexec_b64 s[24:25], s[14:15]
	s_xor_b64 s[24:25], exec, s[24:25]
	s_cbranch_execz .LBB156_249
; %bb.246:
	v_cmp_eq_u32_e64 s[14:15], 2, v20
	s_and_saveexec_b64 s[26:27], s[14:15]
	s_cbranch_execz .LBB156_248
; %bb.247:
	v_mov_b32_e32 v20, 0x3e6a7578
	v_fmac_f32_e32 v20, 0x3c5b3c5e, v19
	v_mov_b32_e32 v21, 0x3f7a4bb2
	v_fmac_f32_e32 v21, v19, v20
	;; [unrolled: 2-line block ×8, first 2 shown]
	v_fma_f32 v20, v19, v22, 1.0
	v_rcp_f32_e32 v20, v20
	v_mov_b32_e32 v22, 0xbd9e233f
	v_fmac_f32_e32 v22, v19, v21
	v_mul_f32_e32 v21, v19, v22
	v_mul_f32_e32 v20, v21, v20
	v_fmac_f32_e32 v20, -0.5, v19
	v_add_f32_e32 v17, v17, v20
.LBB156_248:
	s_or_b64 exec, exec, s[26:27]
                                        ; implicit-def: $vgpr19
.LBB156_249:
	s_andn2_saveexec_b64 s[14:15], s[24:25]
	s_cbranch_execz .LBB156_251
; %bb.250:
	v_mul_f32_e32 v20, v19, v19
	v_mul_f32_e32 v21, v19, v20
	v_mov_b32_e32 v22, 0xbab7f476
	v_fmac_f32_e32 v22, 0x39a57b6b, v21
	v_mov_b32_e32 v23, 0x3bc7e707
	v_fmac_f32_e32 v23, v21, v22
	;; [unrolled: 2-line block ×12, first 2 shown]
	v_fmac_f32_e32 v24, v19, v25
	s_mov_b32 s24, 0xa2863e55
	v_fma_f32 v19, v21, -v24, s24
	v_fma_f32 v19, v20, v23, -v19
	v_add_f32_e32 v19, 0xbdf8cdce, v19
	v_add_f32_e32 v17, v17, v19
.LBB156_251:
	s_or_b64 exec, exec, s[14:15]
                                        ; implicit-def: $vgpr20
                                        ; implicit-def: $vgpr19
.LBB156_252:
	s_andn2_saveexec_b64 s[16:17], s[16:17]
	s_cbranch_execz .LBB156_256
; %bb.253:
	v_cmp_eq_u32_e64 s[14:15], 0, v20
	s_and_saveexec_b64 s[24:25], s[14:15]
	s_cbranch_execz .LBB156_255
; %bb.254:
	v_mul_f32_e32 v20, v19, v19
	v_mov_b32_e32 v21, 0x39679767
	v_fmac_f32_e32 v21, 0x37d383a2, v20
	v_mov_b32_e32 v22, 0x3a9c54a1
	v_fmac_f32_e32 v22, v20, v21
	;; [unrolled: 2-line block ×10, first 2 shown]
	v_mul_f32_e32 v20, v20, v22
	v_fmac_f32_e32 v20, v19, v21
	v_fmac_f32_e32 v20, -0.5, v19
	v_add_f32_e32 v17, v17, v20
.LBB156_255:
	s_or_b64 exec, exec, s[24:25]
.LBB156_256:
	s_or_b64 exec, exec, s[16:17]
.LBB156_257:
	s_or_b64 exec, exec, s[20:21]
.LBB156_258:
	s_andn2_saveexec_b64 s[18:19], s[18:19]
	s_cbranch_execz .LBB156_260
; %bb.259:
	s_mov_b32 s14, 0x3e8a8991
	v_mov_b32_e32 v17, 0xbecd26ab
	v_fma_f32 v17, |v16|, s14, v17
	s_mov_b32 s14, 0x3f528d33
	v_fma_f32 v17, |v16|, v17, s14
	s_mov_b32 s14, 0x800000
	v_cmp_lt_f32_e64 s[14:15], |v16|, s14
	v_cndmask_b32_e64 v19, 0, 32, s[14:15]
	v_ldexp_f32 v19, |v16|, v19
	v_log_f32_e32 v19, v19
	s_mov_b32 s16, 0xbf13c468
	v_fma_f32 v17, |v16|, v17, s16
	s_mov_b32 s16, 0x3f317217
	v_mul_f32_e32 v20, 0x3f317217, v19
	v_fma_f32 v21, v19, s16, -v20
	v_fmac_f32_e32 v21, 0x3377d1cf, v19
	s_mov_b32 s16, 0x7f800000
	v_add_f32_e32 v20, v20, v21
	v_cmp_lt_f32_e64 s[16:17], |v19|, s16
	v_cndmask_b32_e64 v19, v19, v20, s[16:17]
	v_mov_b32_e32 v20, 0x41b17218
	v_cndmask_b32_e64 v20, 0, v20, s[14:15]
	v_sub_f32_e32 v19, v19, v20
	v_fma_f32 v17, |v16|, v17, -v19
.LBB156_260:
	s_or_b64 exec, exec, s[18:19]
	v_cmp_le_f32_e64 s[14:15], 0, v16
	v_cmp_nle_f32_e64 s[16:17], 0, v16
	s_and_saveexec_b64 s[18:19], s[16:17]
	s_xor_b64 s[20:21], exec, s[18:19]
	s_cbranch_execz .LBB156_264
; %bb.261:
	s_mov_b32 s16, 0x4b000000
	s_mov_b32 s18, 0x35000000
	v_cmp_lt_f32_e64 s[16:17], |v16|, s16
	v_cmp_gt_f32_e64 s[18:19], |v16|, s18
	s_and_b64 s[16:17], s[16:17], s[18:19]
	s_and_saveexec_b64 s[24:25], s[16:17]
	s_cbranch_execz .LBB156_263
; %bb.262:
	v_mul_f32_e64 v19, |v16|, 0.5
	v_floor_f32_e32 v20, v19
	v_sub_f32_e32 v20, v19, v20
	v_min_f32_e32 v20, 0x3f7fffff, v20
	s_mov_b32 s18, 0x7f800000
	v_add_f32_e32 v20, v20, v20
	v_cmp_neq_f32_e64 s[16:17], s18, v19
	v_cndmask_b32_e64 v19, 0, v20, s[16:17]
	v_cmp_gt_f32_e64 s[16:17], |v16|, 1.0
	v_cndmask_b32_e64 v19, |v16|, v19, s[16:17]
	v_add_f32_e32 v20, v19, v19
	v_rndne_f32_e32 v20, v20
	v_fmac_f32_e32 v19, -0.5, v20
	v_mul_f32_e32 v21, v19, v19
	v_mov_b32_e32 v22, 0xbf1f24be
	v_fmac_f32_e32 v22, 0x3e75aa41, v21
	v_mov_b32_e32 v23, 0x40234736
	v_fmac_f32_e32 v23, v21, v22
	;; [unrolled: 2-line block ×3, first 2 shown]
	v_mul_f32_e32 v23, v19, v21
	v_mul_f32_e32 v22, v23, v22
	v_fmac_f32_e32 v22, 0x40490fdb, v19
	v_mov_b32_e32 v19, 0x3e642e9d
	v_cvt_i32_f32_e32 v20, v20
	v_fmac_f32_e32 v19, 0x3d4be544, v21
	v_mov_b32_e32 v23, 0xbfaad1da
	v_fmac_f32_e32 v23, v21, v19
	v_mov_b32_e32 v19, 0x4081e0d3
	;; [unrolled: 2-line block ×3, first 2 shown]
	v_fmac_f32_e32 v23, v21, v19
	v_fma_f32 v19, v21, v23, 1.0
	v_and_b32_e32 v21, 1, v20
	v_cmp_eq_u32_e64 s[16:17], 0, v21
	v_cndmask_b32_e64 v19, v19, v22, s[16:17]
	v_lshlrev_b32_e32 v20, 30, v20
	s_brev_b32 s16, 1
	v_and_or_b32 v18, v20, s16, v18
	v_xor_b32_e32 v18, v18, v19
	v_xor_b32_e32 v18, v18, v16
	v_mul_f32_e32 v18, v16, v18
	v_frexp_mant_f32_e64 v19, |v18|
	v_rcp_f32_e32 v19, v19
	v_frexp_exp_i32_f32_e32 v18, v18
	v_sub_u32_e32 v18, 2, v18
	s_mov_b32 s16, 0x800000
	v_mul_f32_e32 v19, 0x3f490fdb, v19
	v_ldexp_f32 v18, v19, v18
	v_cmp_gt_f32_e64 s[16:17], s16, v18
	v_cndmask_b32_e64 v19, 0, 32, s[16:17]
	v_ldexp_f32 v18, v18, v19
	v_log_f32_e32 v18, v18
	s_mov_b32 s19, 0x3f317217
	v_mul_f32_e32 v19, 0x3f317217, v18
	v_fma_f32 v20, v18, s19, -v19
	v_fmac_f32_e32 v20, 0x3377d1cf, v18
	v_add_f32_e32 v19, v19, v20
	v_cmp_lt_f32_e64 s[18:19], |v18|, s18
	v_cndmask_b32_e64 v18, v18, v19, s[18:19]
	v_mov_b32_e32 v19, 0x41b17218
	v_cndmask_b32_e64 v19, 0, v19, s[16:17]
	v_sub_f32_e32 v18, v18, v19
	v_sub_f32_e32 v17, v18, v17
	v_floor_f32_e32 v18, v16
	v_sub_f32_e32 v18, v16, v18
	v_min_f32_e32 v18, 0x3f7fffff, v18
	v_mov_b32_e32 v19, 0x7f800000
	v_cmp_neq_f32_e64 s[16:17], 0, v18
	v_cndmask_b32_e64 v17, v19, v17, s[16:17]
.LBB156_263:
	s_or_b64 exec, exec, s[24:25]
.LBB156_264:
	s_andn2_saveexec_b64 s[20:21], s[20:21]
; %bb.265:
	v_cmp_eq_f32_e64 s[16:17], 1.0, v16
	v_cmp_eq_f32_e64 s[18:19], 2.0, v16
	s_or_b64 s[16:17], s[16:17], s[18:19]
	v_cndmask_b32_e64 v17, v17, 0, s[16:17]
; %bb.266:
	s_or_b64 exec, exec, s[20:21]
	v_and_b32_e32 v5, 0xffff0000, v5
	s_mov_b32 s16, 0x3c800000
	v_and_b32_e32 v18, 0x7fffffff, v5
	v_cmp_nlt_f32_e64 s[16:17], |v5|, s16
                                        ; implicit-def: $vgpr19
	s_and_saveexec_b64 s[18:19], s[16:17]
	s_xor_b64 s[20:21], exec, s[18:19]
	s_cbranch_execz .LBB156_296
; %bb.267:
	v_cmp_nlt_f32_e64 s[16:17], |v5|, 2.0
                                        ; implicit-def: $vgpr19
	s_and_saveexec_b64 s[18:19], s[16:17]
	s_xor_b64 s[24:25], exec, s[18:19]
	s_cbranch_execz .LBB156_277
; %bb.268:
	s_mov_b32 s16, 0x41000000
	v_cmp_nlt_f32_e64 s[16:17], |v5|, s16
                                        ; implicit-def: $vgpr19
	s_and_saveexec_b64 s[18:19], s[16:17]
	s_xor_b64 s[26:27], exec, s[18:19]
	s_cbranch_execz .LBB156_274
; %bb.269:
	s_mov_b32 s16, 0x5c800000
	v_cmp_nlt_f32_e64 s[16:17], |v5|, s16
                                        ; implicit-def: $vgpr19
	s_and_saveexec_b64 s[18:19], s[16:17]
	s_xor_b64 s[28:29], exec, s[18:19]
	s_cbranch_execz .LBB156_271
; %bb.270:
	s_mov_b32 s16, 0x800000
	v_cmp_lt_f32_e64 s[16:17], |v5|, s16
	v_cndmask_b32_e64 v19, 0, 32, s[16:17]
	v_ldexp_f32 v19, |v5|, v19
	v_log_f32_e32 v19, v19
	s_mov_b32 s18, 0x3f317217
	s_mov_b32 s19, 0x7f800000
	v_mul_f32_e32 v20, 0x3f317217, v19
	v_fma_f32 v21, v19, s18, -v20
	v_fmac_f32_e32 v21, 0x3377d1cf, v19
	v_add_f32_e32 v20, v20, v21
	v_cmp_lt_f32_e64 s[18:19], |v19|, s19
	v_cndmask_b32_e64 v19, v19, v20, s[18:19]
	v_mov_b32_e32 v20, 0x41b17218
	v_cndmask_b32_e64 v20, 0, v20, s[16:17]
	v_sub_f32_e32 v19, v19, v20
	v_fma_f32 v19, |v5|, v19, -|v5|
.LBB156_271:
	s_andn2_saveexec_b64 s[28:29], s[28:29]
	s_cbranch_execz .LBB156_273
; %bb.272:
	v_rcp_f32_e64 v20, |v5|
	v_mov_b32_e32 v19, 0x3a5b3dd2
	v_mov_b32_e32 v21, 0xba1c065c
	;; [unrolled: 1-line block ×3, first 2 shown]
	v_mul_f32_e32 v23, v20, v20
	v_fmac_f32_e32 v19, 0xbad5c4e8, v23
	v_fmac_f32_e32 v21, v23, v19
	s_mov_b32 s16, 0x800000
	v_fmac_f32_e32 v22, v23, v21
	v_mov_b32_e32 v19, 0xbb360b61
	v_cmp_lt_f32_e64 s[16:17], |v5|, s16
	v_fmac_f32_e32 v19, v23, v22
	v_cndmask_b32_e64 v22, 0, 32, s[16:17]
	v_ldexp_f32 v22, |v5|, v22
	v_log_f32_e32 v22, v22
	v_mov_b32_e32 v21, 0x3daaaaab
	v_fmac_f32_e32 v21, v23, v19
	v_mov_b32_e32 v19, 0x3ed67f1d
	v_fmac_f32_e32 v19, v20, v21
	s_mov_b32 s18, 0x3f317217
	v_mul_f32_e32 v21, 0x3f317217, v22
	v_fma_f32 v23, v22, s18, -v21
	v_fmac_f32_e32 v23, 0x3377d1cf, v22
	s_mov_b32 s18, 0x7f800000
	v_add_f32_e32 v21, v21, v23
	v_cmp_lt_f32_e64 s[18:19], |v22|, s18
	v_cndmask_b32_e64 v21, v22, v21, s[18:19]
	v_mov_b32_e32 v22, 0x41b17218
	v_cndmask_b32_e64 v22, 0, v22, s[16:17]
	v_sub_f32_e32 v21, v21, v22
	v_add_f32_e64 v20, |v5|, -0.5
	v_add_f32_e32 v21, -1.0, v21
	v_fmac_f32_e32 v19, v20, v21
.LBB156_273:
	s_or_b64 exec, exec, s[28:29]
.LBB156_274:
	s_andn2_saveexec_b64 s[26:27], s[26:27]
	s_cbranch_execz .LBB156_276
; %bb.275:
	v_cvt_i32_f32_e32 v19, v18
	v_mov_b32_e32 v21, 0x3af135b4
	v_mov_b32_e32 v22, 0x3cda40e4
	;; [unrolled: 1-line block ×3, first 2 shown]
	v_cvt_f32_i32_e32 v20, v19
	v_cmp_lt_i32_e64 s[16:17], 2, v19
	s_mov_b32 s18, 0x3f317217
	v_sub_f32_e64 v20, |v5|, v20
	v_fmac_f32_e32 v21, 0x3805ff67, v20
	v_fmac_f32_e32 v22, v20, v21
	v_mov_b32_e32 v21, 0x3e15dce6
	v_fmac_f32_e32 v21, v20, v22
	v_mov_b32_e32 v22, 0x3ea6cc7a
	;; [unrolled: 2-line block ×4, first 2 shown]
	v_fmac_f32_e32 v22, v20, v21
	v_mul_f32_e32 v21, v20, v22
	v_mov_b32_e32 v22, 0x3a4beed6
	v_fmac_f32_e32 v22, 0x36f5d7bd, v20
	v_fmac_f32_e32 v23, v20, v22
	v_mov_b32_e32 v22, 0x3e300f6e
	v_fmac_f32_e32 v22, v20, v23
	v_mov_b32_e32 v23, 0x3f38d0c5
	;; [unrolled: 2-line block ×3, first 2 shown]
	v_fmac_f32_e32 v22, v20, v23
	v_fma_f32 v22, v20, v22, 1.0
	v_rcp_f32_e32 v22, v22
	v_add_f32_e32 v23, 0x40400000, v20
	v_add_f32_e32 v24, 4.0, v20
	v_add_f32_e32 v25, 0x40a00000, v20
	v_mul_f32_e32 v21, v21, v22
	v_add_f32_e32 v22, 2.0, v20
	v_cndmask_b32_e64 v22, 1.0, v22, s[16:17]
	v_cmp_lt_i32_e64 s[16:17], 3, v19
	v_cndmask_b32_e64 v23, 1.0, v23, s[16:17]
	v_cmp_lt_i32_e64 s[16:17], 4, v19
	v_mul_f32_e32 v22, v22, v23
	v_cndmask_b32_e64 v23, 1.0, v24, s[16:17]
	v_cmp_lt_i32_e64 s[16:17], 5, v19
	v_fmac_f32_e32 v21, 0.5, v20
	v_add_f32_e32 v20, 0x40c00000, v20
	v_mul_f32_e32 v22, v23, v22
	v_cndmask_b32_e64 v23, 1.0, v25, s[16:17]
	v_cmp_lt_i32_e64 s[16:17], 6, v19
	v_mul_f32_e32 v22, v23, v22
	v_cndmask_b32_e64 v19, 1.0, v20, s[16:17]
	v_mul_f32_e32 v19, v19, v22
	s_mov_b32 s16, 0x800000
	v_cmp_gt_f32_e64 s[16:17], s16, v19
	v_cndmask_b32_e64 v20, 0, 32, s[16:17]
	v_ldexp_f32 v19, v19, v20
	v_log_f32_e32 v19, v19
	v_mul_f32_e32 v20, 0x3f317217, v19
	v_fma_f32 v22, v19, s18, -v20
	v_fmac_f32_e32 v22, 0x3377d1cf, v19
	s_mov_b32 s18, 0x7f800000
	v_add_f32_e32 v20, v20, v22
	v_cmp_lt_f32_e64 s[18:19], |v19|, s18
	v_cndmask_b32_e64 v19, v19, v20, s[18:19]
	v_mov_b32_e32 v20, 0x41b17218
	v_cndmask_b32_e64 v20, 0, v20, s[16:17]
	v_sub_f32_e32 v19, v19, v20
	v_add_f32_e32 v19, v19, v21
.LBB156_276:
	s_or_b64 exec, exec, s[26:27]
.LBB156_277:
	s_andn2_saveexec_b64 s[24:25], s[24:25]
	s_cbranch_execz .LBB156_295
; %bb.278:
	s_mov_b32 s16, 0x3f666666
	v_cmp_le_f32_e64 s[16:17], |v5|, s16
                                        ; implicit-def: $vgpr19
                                        ; implicit-def: $vgpr21
                                        ; implicit-def: $vgpr20
	s_and_saveexec_b64 s[18:19], s[16:17]
	s_xor_b64 s[26:27], exec, s[18:19]
	s_cbranch_execz .LBB156_280
; %bb.279:
	s_mov_b32 s16, 0x800000
	v_cmp_lt_f32_e64 s[16:17], |v5|, s16
	v_cndmask_b32_e64 v19, 0, 32, s[16:17]
	v_ldexp_f32 v19, |v5|, v19
	v_log_f32_e32 v19, v19
	s_mov_b32 s18, 0x3f317217
	s_mov_b32 s19, 0x7f800000
	v_mul_f32_e32 v20, 0x3f317217, v19
	v_fma_f32 v21, v19, s18, -v20
	v_fmac_f32_e32 v21, 0x3377d1cf, v19
	v_add_f32_e32 v20, v20, v21
	v_cmp_lt_f32_e64 s[18:19], |v19|, s19
	v_cndmask_b32_e64 v19, v19, v20, s[18:19]
	v_mov_b32_e32 v20, 0x41b17218
	v_cndmask_b32_e64 v20, 0, v20, s[16:17]
	s_mov_b32 s16, 0x3f3b4a23
	s_mov_b32 s17, 0xbeec5b0c
	v_sub_f32_e32 v19, v19, v20
	v_sub_f32_e64 v20, 1.0, |v5|
	v_add_f32_e64 v21, |v5|, s17
	v_cmp_lt_f32_e64 s[16:17], |v5|, s16
	v_cndmask_b32_e64 v20, v20, v21, s[16:17]
	v_cndmask_b32_e64 v21, 0, 1, s[16:17]
	s_mov_b32 s16, 0x3e6d3309
	v_cmp_lt_f32_e64 s[16:17], |v5|, s16
	v_xor_b32_e32 v19, 0x80000000, v19
	v_cndmask_b32_e64 v20, v20, |v5|, s[16:17]
	v_cndmask_b32_e64 v21, v21, 2, s[16:17]
.LBB156_280:
	s_andn2_saveexec_b64 s[18:19], s[26:27]
	s_cbranch_execz .LBB156_282
; %bb.281:
	s_mov_b32 s16, 0x3fdda512
	s_mov_b32 s17, 0xbfbb16c3
	v_sub_f32_e64 v19, 2.0, |v5|
	v_add_f32_e64 v20, |v5|, s17
	v_cmp_lt_f32_e64 s[16:17], |v5|, s16
	v_cndmask_b32_e64 v20, v19, v20, s[16:17]
	v_cndmask_b32_e64 v19, v19, 1.0, s[16:17]
	v_cvt_i32_f32_e32 v19, v19
	s_mov_b32 s16, 0x3f9d70a4
	v_add_f32_e64 v21, |v5|, -1.0
	v_cmp_lt_f32_e64 s[16:17], |v5|, s16
	v_cndmask_b32_e64 v20, v20, v21, s[16:17]
	v_cndmask_b32_e64 v21, v19, 2, s[16:17]
	v_mov_b32_e32 v19, 0
.LBB156_282:
	s_or_b64 exec, exec, s[18:19]
	v_cmp_lt_i32_e64 s[16:17], 0, v21
	s_and_saveexec_b64 s[18:19], s[16:17]
	s_xor_b64 s[18:19], exec, s[18:19]
	s_cbranch_execz .LBB156_290
; %bb.283:
	v_cmp_lt_i32_e64 s[16:17], 1, v21
	s_and_saveexec_b64 s[26:27], s[16:17]
	s_xor_b64 s[26:27], exec, s[26:27]
	s_cbranch_execz .LBB156_287
; %bb.284:
	v_cmp_eq_u32_e64 s[16:17], 2, v21
	s_and_saveexec_b64 s[28:29], s[16:17]
	s_cbranch_execz .LBB156_286
; %bb.285:
	v_mov_b32_e32 v21, 0x3e6a7578
	v_fmac_f32_e32 v21, 0x3c5b3c5e, v20
	v_mov_b32_e32 v22, 0x3f7a4bb2
	v_fmac_f32_e32 v22, v20, v21
	;; [unrolled: 2-line block ×8, first 2 shown]
	v_fma_f32 v21, v20, v23, 1.0
	v_rcp_f32_e32 v21, v21
	v_mov_b32_e32 v23, 0xbd9e233f
	v_fmac_f32_e32 v23, v20, v22
	v_mul_f32_e32 v22, v20, v23
	v_mul_f32_e32 v21, v22, v21
	v_fmac_f32_e32 v21, -0.5, v20
	v_add_f32_e32 v19, v19, v21
.LBB156_286:
	s_or_b64 exec, exec, s[28:29]
                                        ; implicit-def: $vgpr20
.LBB156_287:
	s_andn2_saveexec_b64 s[16:17], s[26:27]
	s_cbranch_execz .LBB156_289
; %bb.288:
	v_mul_f32_e32 v21, v20, v20
	v_mul_f32_e32 v22, v20, v21
	v_mov_b32_e32 v23, 0xbab7f476
	v_fmac_f32_e32 v23, 0x39a57b6b, v22
	v_mov_b32_e32 v24, 0x3bc7e707
	v_fmac_f32_e32 v24, v22, v23
	v_mov_b32_e32 v23, 0xbd064d47
	v_fmac_f32_e32 v23, v22, v24
	v_mov_b32_e32 v24, 0x3ef7b95e
	v_fmac_f32_e32 v24, v22, v23
	v_mov_b32_e32 v23, 0x3a66f867
	v_fmac_f32_e32 v23, 0xb9a3f927, v22
	v_mov_b32_e32 v25, 0xbb7177fe
	v_fmac_f32_e32 v25, v22, v23
	v_mov_b32_e32 v23, 0x3c93373d
	v_fmac_f32_e32 v23, v22, v25
	v_mov_b32_e32 v25, 0xbe17213c
	v_fmac_f32_e32 v25, v22, v23
	v_mov_b32_e32 v23, 0xba0d3085
	v_fmac_f32_e32 v23, 0x39afe9f7, v22
	v_mov_b32_e32 v26, 0x3b141699
	v_fmac_f32_e32 v26, v22, v23
	v_mov_b32_e32 v23, 0xbc28fcfe
	v_fmac_f32_e32 v23, v22, v26
	v_mov_b32_e32 v26, 0x3d845a15
	v_fmac_f32_e32 v26, v22, v23
	v_fmac_f32_e32 v25, v20, v26
	s_mov_b32 s26, 0xa2863e55
	v_fma_f32 v20, v22, -v25, s26
	v_fma_f32 v20, v21, v24, -v20
	v_add_f32_e32 v20, 0xbdf8cdce, v20
	v_add_f32_e32 v19, v19, v20
.LBB156_289:
	s_or_b64 exec, exec, s[16:17]
                                        ; implicit-def: $vgpr21
                                        ; implicit-def: $vgpr20
.LBB156_290:
	s_andn2_saveexec_b64 s[18:19], s[18:19]
	s_cbranch_execz .LBB156_294
; %bb.291:
	v_cmp_eq_u32_e64 s[16:17], 0, v21
	s_and_saveexec_b64 s[26:27], s[16:17]
	s_cbranch_execz .LBB156_293
; %bb.292:
	v_mul_f32_e32 v21, v20, v20
	v_mov_b32_e32 v22, 0x39679767
	v_fmac_f32_e32 v22, 0x37d383a2, v21
	v_mov_b32_e32 v23, 0x3a9c54a1
	v_fmac_f32_e32 v23, v21, v22
	;; [unrolled: 2-line block ×10, first 2 shown]
	v_mul_f32_e32 v21, v21, v23
	v_fmac_f32_e32 v21, v20, v22
	v_fmac_f32_e32 v21, -0.5, v20
	v_add_f32_e32 v19, v19, v21
.LBB156_293:
	s_or_b64 exec, exec, s[26:27]
.LBB156_294:
	s_or_b64 exec, exec, s[18:19]
.LBB156_295:
	s_or_b64 exec, exec, s[24:25]
.LBB156_296:
	s_andn2_saveexec_b64 s[20:21], s[20:21]
	s_cbranch_execz .LBB156_298
; %bb.297:
	s_mov_b32 s16, 0x3e8a8991
	v_mov_b32_e32 v19, 0xbecd26ab
	v_fma_f32 v19, |v5|, s16, v19
	s_mov_b32 s16, 0x3f528d33
	v_fma_f32 v19, |v5|, v19, s16
	s_mov_b32 s16, 0x800000
	v_cmp_lt_f32_e64 s[16:17], |v5|, s16
	v_cndmask_b32_e64 v20, 0, 32, s[16:17]
	v_ldexp_f32 v20, |v5|, v20
	v_log_f32_e32 v20, v20
	s_mov_b32 s18, 0xbf13c468
	v_fma_f32 v19, |v5|, v19, s18
	s_mov_b32 s18, 0x3f317217
	v_mul_f32_e32 v21, 0x3f317217, v20
	v_fma_f32 v22, v20, s18, -v21
	v_fmac_f32_e32 v22, 0x3377d1cf, v20
	s_mov_b32 s18, 0x7f800000
	v_add_f32_e32 v21, v21, v22
	v_cmp_lt_f32_e64 s[18:19], |v20|, s18
	v_cndmask_b32_e64 v20, v20, v21, s[18:19]
	v_mov_b32_e32 v21, 0x41b17218
	v_cndmask_b32_e64 v21, 0, v21, s[16:17]
	v_sub_f32_e32 v20, v20, v21
	v_fma_f32 v19, |v5|, v19, -v20
.LBB156_298:
	s_or_b64 exec, exec, s[20:21]
	v_cmp_le_f32_e64 s[16:17], 0, v5
	v_cmp_nle_f32_e64 s[18:19], 0, v5
	s_and_saveexec_b64 s[20:21], s[18:19]
	s_xor_b64 s[24:25], exec, s[20:21]
	s_cbranch_execz .LBB156_302
; %bb.299:
	s_mov_b32 s18, 0x4b000000
	s_mov_b32 s20, 0x35000000
	v_cmp_lt_f32_e64 s[18:19], |v5|, s18
	v_cmp_gt_f32_e64 s[20:21], |v5|, s20
	s_and_b64 s[18:19], s[18:19], s[20:21]
	s_and_saveexec_b64 s[26:27], s[18:19]
	s_cbranch_execz .LBB156_301
; %bb.300:
	v_mul_f32_e64 v20, |v5|, 0.5
	v_floor_f32_e32 v21, v20
	v_sub_f32_e32 v21, v20, v21
	v_min_f32_e32 v21, 0x3f7fffff, v21
	s_mov_b32 s20, 0x7f800000
	v_add_f32_e32 v21, v21, v21
	v_cmp_neq_f32_e64 s[18:19], s20, v20
	v_cndmask_b32_e64 v20, 0, v21, s[18:19]
	v_cmp_gt_f32_e64 s[18:19], |v5|, 1.0
	v_cndmask_b32_e64 v20, |v5|, v20, s[18:19]
	v_add_f32_e32 v21, v20, v20
	v_rndne_f32_e32 v21, v21
	v_fmac_f32_e32 v20, -0.5, v21
	v_mul_f32_e32 v22, v20, v20
	v_mov_b32_e32 v23, 0xbf1f24be
	v_fmac_f32_e32 v23, 0x3e75aa41, v22
	v_mov_b32_e32 v24, 0x40234736
	v_fmac_f32_e32 v24, v22, v23
	;; [unrolled: 2-line block ×3, first 2 shown]
	v_mul_f32_e32 v24, v20, v22
	v_mul_f32_e32 v23, v24, v23
	v_fmac_f32_e32 v23, 0x40490fdb, v20
	v_mov_b32_e32 v20, 0x3e642e9d
	v_cvt_i32_f32_e32 v21, v21
	v_fmac_f32_e32 v20, 0x3d4be544, v22
	v_mov_b32_e32 v24, 0xbfaad1da
	v_fmac_f32_e32 v24, v22, v20
	v_mov_b32_e32 v20, 0x4081e0d3
	;; [unrolled: 2-line block ×3, first 2 shown]
	v_fmac_f32_e32 v24, v22, v20
	v_fma_f32 v20, v22, v24, 1.0
	v_and_b32_e32 v22, 1, v21
	v_cmp_eq_u32_e64 s[18:19], 0, v22
	v_cndmask_b32_e64 v20, v20, v23, s[18:19]
	v_lshlrev_b32_e32 v21, 30, v21
	s_brev_b32 s18, 1
	v_and_or_b32 v18, v21, s18, v18
	v_xor_b32_e32 v18, v18, v20
	v_xor_b32_e32 v18, v18, v5
	v_mul_f32_e32 v18, v5, v18
	v_frexp_mant_f32_e64 v20, |v18|
	v_rcp_f32_e32 v20, v20
	v_frexp_exp_i32_f32_e32 v18, v18
	v_sub_u32_e32 v18, 2, v18
	s_mov_b32 s18, 0x800000
	v_mul_f32_e32 v20, 0x3f490fdb, v20
	v_ldexp_f32 v18, v20, v18
	v_cmp_gt_f32_e64 s[18:19], s18, v18
	v_cndmask_b32_e64 v20, 0, 32, s[18:19]
	v_ldexp_f32 v18, v18, v20
	v_log_f32_e32 v18, v18
	s_mov_b32 s21, 0x3f317217
	v_mul_f32_e32 v20, 0x3f317217, v18
	v_fma_f32 v21, v18, s21, -v20
	v_fmac_f32_e32 v21, 0x3377d1cf, v18
	v_add_f32_e32 v20, v20, v21
	v_cmp_lt_f32_e64 s[20:21], |v18|, s20
	v_cndmask_b32_e64 v18, v18, v20, s[20:21]
	v_mov_b32_e32 v20, 0x41b17218
	v_cndmask_b32_e64 v20, 0, v20, s[18:19]
	v_sub_f32_e32 v18, v18, v20
	v_sub_f32_e32 v18, v18, v19
	v_floor_f32_e32 v19, v5
	v_sub_f32_e32 v19, v5, v19
	v_min_f32_e32 v19, 0x3f7fffff, v19
	v_mov_b32_e32 v20, 0x7f800000
	v_cmp_neq_f32_e64 s[18:19], 0, v19
	v_cndmask_b32_e64 v19, v20, v18, s[18:19]
.LBB156_301:
	s_or_b64 exec, exec, s[26:27]
.LBB156_302:
	s_andn2_saveexec_b64 s[24:25], s[24:25]
; %bb.303:
	v_cmp_eq_f32_e64 s[18:19], 1.0, v5
	v_cmp_eq_f32_e64 s[20:21], 2.0, v5
	s_or_b64 s[18:19], s[18:19], s[20:21]
	v_cndmask_b32_e64 v19, v19, 0, s[18:19]
; %bb.304:
	s_or_b64 exec, exec, s[24:25]
	s_mov_b32 s20, 0x4b000000
	v_cmp_lt_f32_e64 s[18:19], |v16|, s20
	v_mov_b32_e32 v18, 0x264
	v_mov_b32_e32 v20, 0x7f800000
	s_or_b64 s[14:15], s[14:15], s[18:19]
	v_cndmask_b32_e64 v17, v20, v17, s[14:15]
	v_cmp_class_f32_e64 s[14:15], v16, v18
	v_cndmask_b32_e64 v17, v17, v20, s[14:15]
	v_cmp_u_f32_e64 s[14:15], v16, v16
	v_cndmask_b32_e64 v16, v17, v16, s[14:15]
	v_bfe_u32 v17, v16, 16, 1
	s_movk_i32 s18, 0x7fff
	v_add3_u32 v17, v16, v17, s18
	v_lshrrev_b32_e32 v17, 16, v17
	v_mov_b32_e32 v21, 0x7fc0
	v_cmp_o_f32_e64 s[14:15], v16, v16
	v_cndmask_b32_e64 v16, v21, v17, s[14:15]
	v_cmp_lt_f32_e64 s[14:15], |v4|, s20
	s_or_b64 s[12:13], s[12:13], s[14:15]
	v_cndmask_b32_e64 v15, v20, v15, s[12:13]
	v_cmp_class_f32_e64 s[12:13], v4, v18
	v_cndmask_b32_e64 v15, v15, v20, s[12:13]
	v_cmp_u_f32_e64 s[12:13], v4, v4
	v_cndmask_b32_e64 v4, v15, v4, s[12:13]
	v_bfe_u32 v15, v4, 16, 1
	v_add3_u32 v15, v4, v15, s18
	v_lshrrev_b32_e32 v15, 16, v15
	v_cmp_o_f32_e64 s[12:13], v4, v4
	v_cndmask_b32_e64 v15, v21, v15, s[12:13]
	v_cmp_lt_f32_e64 s[12:13], |v13|, s20
	s_or_b64 s[10:11], s[10:11], s[12:13]
	v_cndmask_b32_e64 v4, v20, v14, s[10:11]
	v_cmp_class_f32_e64 s[10:11], v13, v18
	v_cndmask_b32_e64 v4, v4, v20, s[10:11]
	v_cmp_u_f32_e64 s[10:11], v13, v13
	v_cndmask_b32_e64 v4, v4, v13, s[10:11]
	v_bfe_u32 v13, v4, 16, 1
	v_add3_u32 v13, v4, v13, s18
	v_lshrrev_b32_e32 v13, 16, v13
	;; [unrolled: 12-line block ×5, first 2 shown]
	v_cmp_o_f32_e64 s[4:5], v2, v2
	v_cndmask_b32_e64 v9, v21, v3, s[4:5]
	v_cmp_lt_f32_e64 s[4:5], |v7|, s20
	s_or_b64 vcc, vcc, s[4:5]
	v_cndmask_b32_e32 v2, v20, v8, vcc
	v_cmp_class_f32_e32 vcc, v7, v18
	v_cndmask_b32_e32 v2, v2, v20, vcc
	v_cmp_u_f32_e32 vcc, v7, v7
	v_cndmask_b32_e32 v2, v2, v7, vcc
	v_bfe_u32 v3, v2, 16, 1
	v_add3_u32 v3, v2, v3, s18
	v_lshrrev_b32_e32 v3, 16, v3
	v_cmp_o_f32_e32 vcc, v2, v2
	v_cmp_lt_f32_e64 s[4:5], |v5|, s20
	v_cndmask_b32_e32 v7, v21, v3, vcc
	s_or_b64 vcc, s[16:17], s[4:5]
	v_cndmask_b32_e32 v2, v20, v19, vcc
	v_cmp_class_f32_e32 vcc, v5, v18
	v_cndmask_b32_e32 v2, v2, v20, vcc
	v_cmp_u_f32_e32 vcc, v5, v5
	v_cndmask_b32_e32 v2, v2, v5, vcc
	v_bfe_u32 v3, v2, 16, 1
	v_add3_u32 v3, v2, v3, s18
	v_lshrrev_b32_e32 v3, 16, v3
	v_cmp_o_f32_e32 vcc, v2, v2
	v_cndmask_b32_e32 v2, v21, v3, vcc
	v_mov_b32_e32 v3, s23
	v_add_co_u32_e32 v0, vcc, s22, v0
	v_addc_co_u32_e32 v1, vcc, v1, v3, vcc
	v_add_co_u32_e32 v4, vcc, v0, v6
	s_mov_b32 s4, 0x5040100
	v_addc_co_u32_e32 v5, vcc, 0, v1, vcc
	v_perm_b32 v3, v2, v16, s4
	v_perm_b32 v2, v15, v13, s4
	;; [unrolled: 1-line block ×4, first 2 shown]
	flat_store_dwordx4 v[4:5], v[0:3]
	s_waitcnt vmcnt(0) lgkmcnt(0)
	s_setpc_b64 s[30:31]
.Lfunc_end156:
	.size	_ZN2at6native25elementwise_kernel_helperILb0EZZZNS0_18lgamma_kernel_cudaERNS_18TensorIteratorBaseEENKUlvE_clEvENKUlvE2_clEvEUlN3c108BFloat16EE_NS0_6memory8policies10vectorizedILi8ESt5arrayIPcLm2EELi8EEEEEvT0_T1_, .Lfunc_end156-_ZN2at6native25elementwise_kernel_helperILb0EZZZNS0_18lgamma_kernel_cudaERNS_18TensorIteratorBaseEENKUlvE_clEvENKUlvE2_clEvEUlN3c108BFloat16EE_NS0_6memory8policies10vectorizedILi8ESt5arrayIPcLm2EELi8EEEEEvT0_T1_
                                        ; -- End function
	.set .L_ZN2at6native25elementwise_kernel_helperILb0EZZZNS0_18lgamma_kernel_cudaERNS_18TensorIteratorBaseEENKUlvE_clEvENKUlvE2_clEvEUlN3c108BFloat16EE_NS0_6memory8policies10vectorizedILi8ESt5arrayIPcLm2EELi8EEEEEvT0_T1_.num_vgpr, 32
	.set .L_ZN2at6native25elementwise_kernel_helperILb0EZZZNS0_18lgamma_kernel_cudaERNS_18TensorIteratorBaseEENKUlvE_clEvENKUlvE2_clEvEUlN3c108BFloat16EE_NS0_6memory8policies10vectorizedILi8ESt5arrayIPcLm2EELi8EEEEEvT0_T1_.num_agpr, 0
	.set .L_ZN2at6native25elementwise_kernel_helperILb0EZZZNS0_18lgamma_kernel_cudaERNS_18TensorIteratorBaseEENKUlvE_clEvENKUlvE2_clEvEUlN3c108BFloat16EE_NS0_6memory8policies10vectorizedILi8ESt5arrayIPcLm2EELi8EEEEEvT0_T1_.numbered_sgpr, 32
	.set .L_ZN2at6native25elementwise_kernel_helperILb0EZZZNS0_18lgamma_kernel_cudaERNS_18TensorIteratorBaseEENKUlvE_clEvENKUlvE2_clEvEUlN3c108BFloat16EE_NS0_6memory8policies10vectorizedILi8ESt5arrayIPcLm2EELi8EEEEEvT0_T1_.num_named_barrier, 0
	.set .L_ZN2at6native25elementwise_kernel_helperILb0EZZZNS0_18lgamma_kernel_cudaERNS_18TensorIteratorBaseEENKUlvE_clEvENKUlvE2_clEvEUlN3c108BFloat16EE_NS0_6memory8policies10vectorizedILi8ESt5arrayIPcLm2EELi8EEEEEvT0_T1_.private_seg_size, 0
	.set .L_ZN2at6native25elementwise_kernel_helperILb0EZZZNS0_18lgamma_kernel_cudaERNS_18TensorIteratorBaseEENKUlvE_clEvENKUlvE2_clEvEUlN3c108BFloat16EE_NS0_6memory8policies10vectorizedILi8ESt5arrayIPcLm2EELi8EEEEEvT0_T1_.uses_vcc, 1
	.set .L_ZN2at6native25elementwise_kernel_helperILb0EZZZNS0_18lgamma_kernel_cudaERNS_18TensorIteratorBaseEENKUlvE_clEvENKUlvE2_clEvEUlN3c108BFloat16EE_NS0_6memory8policies10vectorizedILi8ESt5arrayIPcLm2EELi8EEEEEvT0_T1_.uses_flat_scratch, 0
	.set .L_ZN2at6native25elementwise_kernel_helperILb0EZZZNS0_18lgamma_kernel_cudaERNS_18TensorIteratorBaseEENKUlvE_clEvENKUlvE2_clEvEUlN3c108BFloat16EE_NS0_6memory8policies10vectorizedILi8ESt5arrayIPcLm2EELi8EEEEEvT0_T1_.has_dyn_sized_stack, 0
	.set .L_ZN2at6native25elementwise_kernel_helperILb0EZZZNS0_18lgamma_kernel_cudaERNS_18TensorIteratorBaseEENKUlvE_clEvENKUlvE2_clEvEUlN3c108BFloat16EE_NS0_6memory8policies10vectorizedILi8ESt5arrayIPcLm2EELi8EEEEEvT0_T1_.has_recursion, 0
	.set .L_ZN2at6native25elementwise_kernel_helperILb0EZZZNS0_18lgamma_kernel_cudaERNS_18TensorIteratorBaseEENKUlvE_clEvENKUlvE2_clEvEUlN3c108BFloat16EE_NS0_6memory8policies10vectorizedILi8ESt5arrayIPcLm2EELi8EEEEEvT0_T1_.has_indirect_call, 0
	.section	.AMDGPU.csdata,"",@progbits
; Function info:
; codeLenInByte = 21732
; TotalNumSgprs: 36
; NumVgprs: 32
; ScratchSize: 0
; MemoryBound: 0
	.section	.text._ZN2at6native29vectorized_elementwise_kernelILi16EZZZNS0_18lgamma_kernel_cudaERNS_18TensorIteratorBaseEENKUlvE_clEvENKUlvE2_clEvEUlN3c108BFloat16EE_St5arrayIPcLm2EEEEviT0_T1_,"axG",@progbits,_ZN2at6native29vectorized_elementwise_kernelILi16EZZZNS0_18lgamma_kernel_cudaERNS_18TensorIteratorBaseEENKUlvE_clEvENKUlvE2_clEvEUlN3c108BFloat16EE_St5arrayIPcLm2EEEEviT0_T1_,comdat
	.globl	_ZN2at6native29vectorized_elementwise_kernelILi16EZZZNS0_18lgamma_kernel_cudaERNS_18TensorIteratorBaseEENKUlvE_clEvENKUlvE2_clEvEUlN3c108BFloat16EE_St5arrayIPcLm2EEEEviT0_T1_ ; -- Begin function _ZN2at6native29vectorized_elementwise_kernelILi16EZZZNS0_18lgamma_kernel_cudaERNS_18TensorIteratorBaseEENKUlvE_clEvENKUlvE2_clEvEUlN3c108BFloat16EE_St5arrayIPcLm2EEEEviT0_T1_
	.p2align	8
	.type	_ZN2at6native29vectorized_elementwise_kernelILi16EZZZNS0_18lgamma_kernel_cudaERNS_18TensorIteratorBaseEENKUlvE_clEvENKUlvE2_clEvEUlN3c108BFloat16EE_St5arrayIPcLm2EEEEviT0_T1_,@function
_ZN2at6native29vectorized_elementwise_kernelILi16EZZZNS0_18lgamma_kernel_cudaERNS_18TensorIteratorBaseEENKUlvE_clEvENKUlvE2_clEvEUlN3c108BFloat16EE_St5arrayIPcLm2EEEEviT0_T1_: ; @_ZN2at6native29vectorized_elementwise_kernelILi16EZZZNS0_18lgamma_kernel_cudaERNS_18TensorIteratorBaseEENKUlvE_clEvENKUlvE2_clEvEUlN3c108BFloat16EE_St5arrayIPcLm2EEEEviT0_T1_
; %bb.0:
	s_mov_b32 s33, s6
	s_load_dword s6, s[4:5], 0x0
	s_load_dwordx4 s[36:39], s[4:5], 0x8
	s_add_u32 s0, s0, s7
	s_addc_u32 s1, s1, 0
	s_lshl_b32 s4, s33, 11
	s_waitcnt lgkmcnt(0)
	s_sub_i32 s34, s6, s4
	v_mov_b32_e32 v31, v0
	s_cmpk_gt_i32 s34, 0x7ff
	s_mov_b64 s[4:5], -1
	s_mov_b32 s32, 0
	s_cbranch_scc1 .LBB157_3
; %bb.1:
	s_andn2_b64 vcc, exec, s[4:5]
	s_cbranch_vccz .LBB157_4
.LBB157_2:
	s_endpgm
.LBB157_3:
	s_getpc_b64 s[4:5]
	s_add_u32 s4, s4, _ZN2at6native25elementwise_kernel_helperILb0EZZZNS0_18lgamma_kernel_cudaERNS_18TensorIteratorBaseEENKUlvE_clEvENKUlvE2_clEvEUlN3c108BFloat16EE_NS0_6memory8policies10vectorizedILi8ESt5arrayIPcLm2EELi8EEEEEvT0_T1_@rel32@lo+4
	s_addc_u32 s5, s5, _ZN2at6native25elementwise_kernel_helperILb0EZZZNS0_18lgamma_kernel_cudaERNS_18TensorIteratorBaseEENKUlvE_clEvENKUlvE2_clEvEUlN3c108BFloat16EE_NS0_6memory8policies10vectorizedILi8ESt5arrayIPcLm2EELi8EEEEEvT0_T1_@rel32@hi+12
	s_mov_b32 s12, s33
	v_mov_b32_e32 v0, s36
	v_mov_b32_e32 v1, s37
	;; [unrolled: 1-line block ×4, first 2 shown]
	s_swappc_b64 s[30:31], s[4:5]
	s_cbranch_execnz .LBB157_2
.LBB157_4:
	s_getpc_b64 s[4:5]
	s_add_u32 s4, s4, _ZN2at6native25elementwise_kernel_helperILb0EZZZNS0_18lgamma_kernel_cudaERNS_18TensorIteratorBaseEENKUlvE_clEvENKUlvE2_clEvEUlN3c108BFloat16EE_NS0_6memory8policies11unroll_baseILi256ESt5arrayIPcLm2EE23TrivialOffsetCalculatorILi1EjESG_NS9_15LoadWithoutCastENS9_16StoreWithoutCastELi8ELi1EEEEEvT0_T1_@rel32@lo+4
	s_addc_u32 s5, s5, _ZN2at6native25elementwise_kernel_helperILb0EZZZNS0_18lgamma_kernel_cudaERNS_18TensorIteratorBaseEENKUlvE_clEvENKUlvE2_clEvEUlN3c108BFloat16EE_NS0_6memory8policies11unroll_baseILi256ESt5arrayIPcLm2EE23TrivialOffsetCalculatorILi1EjESG_NS9_15LoadWithoutCastENS9_16StoreWithoutCastELi8ELi1EEEEEvT0_T1_@rel32@hi+12
	s_mov_b32 s12, s33
	v_mov_b32_e32 v0, s36
	v_mov_b32_e32 v1, s37
	;; [unrolled: 1-line block ×5, first 2 shown]
	s_swappc_b64 s[30:31], s[4:5]
	s_endpgm
	.section	.rodata,"a",@progbits
	.p2align	6, 0x0
	.amdhsa_kernel _ZN2at6native29vectorized_elementwise_kernelILi16EZZZNS0_18lgamma_kernel_cudaERNS_18TensorIteratorBaseEENKUlvE_clEvENKUlvE2_clEvEUlN3c108BFloat16EE_St5arrayIPcLm2EEEEviT0_T1_
		.amdhsa_group_segment_fixed_size 0
		.amdhsa_private_segment_fixed_size 0
		.amdhsa_kernarg_size 24
		.amdhsa_user_sgpr_count 6
		.amdhsa_user_sgpr_private_segment_buffer 1
		.amdhsa_user_sgpr_dispatch_ptr 0
		.amdhsa_user_sgpr_queue_ptr 0
		.amdhsa_user_sgpr_kernarg_segment_ptr 1
		.amdhsa_user_sgpr_dispatch_id 0
		.amdhsa_user_sgpr_flat_scratch_init 0
		.amdhsa_user_sgpr_private_segment_size 0
		.amdhsa_uses_dynamic_stack 0
		.amdhsa_system_sgpr_private_segment_wavefront_offset 0
		.amdhsa_system_sgpr_workgroup_id_x 1
		.amdhsa_system_sgpr_workgroup_id_y 0
		.amdhsa_system_sgpr_workgroup_id_z 0
		.amdhsa_system_sgpr_workgroup_info 0
		.amdhsa_system_vgpr_workitem_id 0
		.amdhsa_next_free_vgpr 32
		.amdhsa_next_free_sgpr 40
		.amdhsa_reserve_vcc 1
		.amdhsa_reserve_flat_scratch 0
		.amdhsa_float_round_mode_32 0
		.amdhsa_float_round_mode_16_64 0
		.amdhsa_float_denorm_mode_32 3
		.amdhsa_float_denorm_mode_16_64 3
		.amdhsa_dx10_clamp 1
		.amdhsa_ieee_mode 1
		.amdhsa_fp16_overflow 0
		.amdhsa_exception_fp_ieee_invalid_op 0
		.amdhsa_exception_fp_denorm_src 0
		.amdhsa_exception_fp_ieee_div_zero 0
		.amdhsa_exception_fp_ieee_overflow 0
		.amdhsa_exception_fp_ieee_underflow 0
		.amdhsa_exception_fp_ieee_inexact 0
		.amdhsa_exception_int_div_zero 0
	.end_amdhsa_kernel
	.section	.text._ZN2at6native29vectorized_elementwise_kernelILi16EZZZNS0_18lgamma_kernel_cudaERNS_18TensorIteratorBaseEENKUlvE_clEvENKUlvE2_clEvEUlN3c108BFloat16EE_St5arrayIPcLm2EEEEviT0_T1_,"axG",@progbits,_ZN2at6native29vectorized_elementwise_kernelILi16EZZZNS0_18lgamma_kernel_cudaERNS_18TensorIteratorBaseEENKUlvE_clEvENKUlvE2_clEvEUlN3c108BFloat16EE_St5arrayIPcLm2EEEEviT0_T1_,comdat
.Lfunc_end157:
	.size	_ZN2at6native29vectorized_elementwise_kernelILi16EZZZNS0_18lgamma_kernel_cudaERNS_18TensorIteratorBaseEENKUlvE_clEvENKUlvE2_clEvEUlN3c108BFloat16EE_St5arrayIPcLm2EEEEviT0_T1_, .Lfunc_end157-_ZN2at6native29vectorized_elementwise_kernelILi16EZZZNS0_18lgamma_kernel_cudaERNS_18TensorIteratorBaseEENKUlvE_clEvENKUlvE2_clEvEUlN3c108BFloat16EE_St5arrayIPcLm2EEEEviT0_T1_
                                        ; -- End function
	.set _ZN2at6native29vectorized_elementwise_kernelILi16EZZZNS0_18lgamma_kernel_cudaERNS_18TensorIteratorBaseEENKUlvE_clEvENKUlvE2_clEvEUlN3c108BFloat16EE_St5arrayIPcLm2EEEEviT0_T1_.num_vgpr, max(32, .L_ZN2at6native25elementwise_kernel_helperILb0EZZZNS0_18lgamma_kernel_cudaERNS_18TensorIteratorBaseEENKUlvE_clEvENKUlvE2_clEvEUlN3c108BFloat16EE_NS0_6memory8policies10vectorizedILi8ESt5arrayIPcLm2EELi8EEEEEvT0_T1_.num_vgpr, .L_ZN2at6native25elementwise_kernel_helperILb0EZZZNS0_18lgamma_kernel_cudaERNS_18TensorIteratorBaseEENKUlvE_clEvENKUlvE2_clEvEUlN3c108BFloat16EE_NS0_6memory8policies11unroll_baseILi256ESt5arrayIPcLm2EE23TrivialOffsetCalculatorILi1EjESG_NS9_15LoadWithoutCastENS9_16StoreWithoutCastELi8ELi1EEEEEvT0_T1_.num_vgpr)
	.set _ZN2at6native29vectorized_elementwise_kernelILi16EZZZNS0_18lgamma_kernel_cudaERNS_18TensorIteratorBaseEENKUlvE_clEvENKUlvE2_clEvEUlN3c108BFloat16EE_St5arrayIPcLm2EEEEviT0_T1_.num_agpr, max(0, .L_ZN2at6native25elementwise_kernel_helperILb0EZZZNS0_18lgamma_kernel_cudaERNS_18TensorIteratorBaseEENKUlvE_clEvENKUlvE2_clEvEUlN3c108BFloat16EE_NS0_6memory8policies10vectorizedILi8ESt5arrayIPcLm2EELi8EEEEEvT0_T1_.num_agpr, .L_ZN2at6native25elementwise_kernel_helperILb0EZZZNS0_18lgamma_kernel_cudaERNS_18TensorIteratorBaseEENKUlvE_clEvENKUlvE2_clEvEUlN3c108BFloat16EE_NS0_6memory8policies11unroll_baseILi256ESt5arrayIPcLm2EE23TrivialOffsetCalculatorILi1EjESG_NS9_15LoadWithoutCastENS9_16StoreWithoutCastELi8ELi1EEEEEvT0_T1_.num_agpr)
	.set _ZN2at6native29vectorized_elementwise_kernelILi16EZZZNS0_18lgamma_kernel_cudaERNS_18TensorIteratorBaseEENKUlvE_clEvENKUlvE2_clEvEUlN3c108BFloat16EE_St5arrayIPcLm2EEEEviT0_T1_.numbered_sgpr, max(40, .L_ZN2at6native25elementwise_kernel_helperILb0EZZZNS0_18lgamma_kernel_cudaERNS_18TensorIteratorBaseEENKUlvE_clEvENKUlvE2_clEvEUlN3c108BFloat16EE_NS0_6memory8policies10vectorizedILi8ESt5arrayIPcLm2EELi8EEEEEvT0_T1_.numbered_sgpr, .L_ZN2at6native25elementwise_kernel_helperILb0EZZZNS0_18lgamma_kernel_cudaERNS_18TensorIteratorBaseEENKUlvE_clEvENKUlvE2_clEvEUlN3c108BFloat16EE_NS0_6memory8policies11unroll_baseILi256ESt5arrayIPcLm2EE23TrivialOffsetCalculatorILi1EjESG_NS9_15LoadWithoutCastENS9_16StoreWithoutCastELi8ELi1EEEEEvT0_T1_.numbered_sgpr)
	.set _ZN2at6native29vectorized_elementwise_kernelILi16EZZZNS0_18lgamma_kernel_cudaERNS_18TensorIteratorBaseEENKUlvE_clEvENKUlvE2_clEvEUlN3c108BFloat16EE_St5arrayIPcLm2EEEEviT0_T1_.num_named_barrier, max(0, .L_ZN2at6native25elementwise_kernel_helperILb0EZZZNS0_18lgamma_kernel_cudaERNS_18TensorIteratorBaseEENKUlvE_clEvENKUlvE2_clEvEUlN3c108BFloat16EE_NS0_6memory8policies10vectorizedILi8ESt5arrayIPcLm2EELi8EEEEEvT0_T1_.num_named_barrier, .L_ZN2at6native25elementwise_kernel_helperILb0EZZZNS0_18lgamma_kernel_cudaERNS_18TensorIteratorBaseEENKUlvE_clEvENKUlvE2_clEvEUlN3c108BFloat16EE_NS0_6memory8policies11unroll_baseILi256ESt5arrayIPcLm2EE23TrivialOffsetCalculatorILi1EjESG_NS9_15LoadWithoutCastENS9_16StoreWithoutCastELi8ELi1EEEEEvT0_T1_.num_named_barrier)
	.set _ZN2at6native29vectorized_elementwise_kernelILi16EZZZNS0_18lgamma_kernel_cudaERNS_18TensorIteratorBaseEENKUlvE_clEvENKUlvE2_clEvEUlN3c108BFloat16EE_St5arrayIPcLm2EEEEviT0_T1_.private_seg_size, 0+max(.L_ZN2at6native25elementwise_kernel_helperILb0EZZZNS0_18lgamma_kernel_cudaERNS_18TensorIteratorBaseEENKUlvE_clEvENKUlvE2_clEvEUlN3c108BFloat16EE_NS0_6memory8policies10vectorizedILi8ESt5arrayIPcLm2EELi8EEEEEvT0_T1_.private_seg_size, .L_ZN2at6native25elementwise_kernel_helperILb0EZZZNS0_18lgamma_kernel_cudaERNS_18TensorIteratorBaseEENKUlvE_clEvENKUlvE2_clEvEUlN3c108BFloat16EE_NS0_6memory8policies11unroll_baseILi256ESt5arrayIPcLm2EE23TrivialOffsetCalculatorILi1EjESG_NS9_15LoadWithoutCastENS9_16StoreWithoutCastELi8ELi1EEEEEvT0_T1_.private_seg_size)
	.set _ZN2at6native29vectorized_elementwise_kernelILi16EZZZNS0_18lgamma_kernel_cudaERNS_18TensorIteratorBaseEENKUlvE_clEvENKUlvE2_clEvEUlN3c108BFloat16EE_St5arrayIPcLm2EEEEviT0_T1_.uses_vcc, or(1, .L_ZN2at6native25elementwise_kernel_helperILb0EZZZNS0_18lgamma_kernel_cudaERNS_18TensorIteratorBaseEENKUlvE_clEvENKUlvE2_clEvEUlN3c108BFloat16EE_NS0_6memory8policies10vectorizedILi8ESt5arrayIPcLm2EELi8EEEEEvT0_T1_.uses_vcc, .L_ZN2at6native25elementwise_kernel_helperILb0EZZZNS0_18lgamma_kernel_cudaERNS_18TensorIteratorBaseEENKUlvE_clEvENKUlvE2_clEvEUlN3c108BFloat16EE_NS0_6memory8policies11unroll_baseILi256ESt5arrayIPcLm2EE23TrivialOffsetCalculatorILi1EjESG_NS9_15LoadWithoutCastENS9_16StoreWithoutCastELi8ELi1EEEEEvT0_T1_.uses_vcc)
	.set _ZN2at6native29vectorized_elementwise_kernelILi16EZZZNS0_18lgamma_kernel_cudaERNS_18TensorIteratorBaseEENKUlvE_clEvENKUlvE2_clEvEUlN3c108BFloat16EE_St5arrayIPcLm2EEEEviT0_T1_.uses_flat_scratch, or(0, .L_ZN2at6native25elementwise_kernel_helperILb0EZZZNS0_18lgamma_kernel_cudaERNS_18TensorIteratorBaseEENKUlvE_clEvENKUlvE2_clEvEUlN3c108BFloat16EE_NS0_6memory8policies10vectorizedILi8ESt5arrayIPcLm2EELi8EEEEEvT0_T1_.uses_flat_scratch, .L_ZN2at6native25elementwise_kernel_helperILb0EZZZNS0_18lgamma_kernel_cudaERNS_18TensorIteratorBaseEENKUlvE_clEvENKUlvE2_clEvEUlN3c108BFloat16EE_NS0_6memory8policies11unroll_baseILi256ESt5arrayIPcLm2EE23TrivialOffsetCalculatorILi1EjESG_NS9_15LoadWithoutCastENS9_16StoreWithoutCastELi8ELi1EEEEEvT0_T1_.uses_flat_scratch)
	.set _ZN2at6native29vectorized_elementwise_kernelILi16EZZZNS0_18lgamma_kernel_cudaERNS_18TensorIteratorBaseEENKUlvE_clEvENKUlvE2_clEvEUlN3c108BFloat16EE_St5arrayIPcLm2EEEEviT0_T1_.has_dyn_sized_stack, or(0, .L_ZN2at6native25elementwise_kernel_helperILb0EZZZNS0_18lgamma_kernel_cudaERNS_18TensorIteratorBaseEENKUlvE_clEvENKUlvE2_clEvEUlN3c108BFloat16EE_NS0_6memory8policies10vectorizedILi8ESt5arrayIPcLm2EELi8EEEEEvT0_T1_.has_dyn_sized_stack, .L_ZN2at6native25elementwise_kernel_helperILb0EZZZNS0_18lgamma_kernel_cudaERNS_18TensorIteratorBaseEENKUlvE_clEvENKUlvE2_clEvEUlN3c108BFloat16EE_NS0_6memory8policies11unroll_baseILi256ESt5arrayIPcLm2EE23TrivialOffsetCalculatorILi1EjESG_NS9_15LoadWithoutCastENS9_16StoreWithoutCastELi8ELi1EEEEEvT0_T1_.has_dyn_sized_stack)
	.set _ZN2at6native29vectorized_elementwise_kernelILi16EZZZNS0_18lgamma_kernel_cudaERNS_18TensorIteratorBaseEENKUlvE_clEvENKUlvE2_clEvEUlN3c108BFloat16EE_St5arrayIPcLm2EEEEviT0_T1_.has_recursion, or(0, .L_ZN2at6native25elementwise_kernel_helperILb0EZZZNS0_18lgamma_kernel_cudaERNS_18TensorIteratorBaseEENKUlvE_clEvENKUlvE2_clEvEUlN3c108BFloat16EE_NS0_6memory8policies10vectorizedILi8ESt5arrayIPcLm2EELi8EEEEEvT0_T1_.has_recursion, .L_ZN2at6native25elementwise_kernel_helperILb0EZZZNS0_18lgamma_kernel_cudaERNS_18TensorIteratorBaseEENKUlvE_clEvENKUlvE2_clEvEUlN3c108BFloat16EE_NS0_6memory8policies11unroll_baseILi256ESt5arrayIPcLm2EE23TrivialOffsetCalculatorILi1EjESG_NS9_15LoadWithoutCastENS9_16StoreWithoutCastELi8ELi1EEEEEvT0_T1_.has_recursion)
	.set _ZN2at6native29vectorized_elementwise_kernelILi16EZZZNS0_18lgamma_kernel_cudaERNS_18TensorIteratorBaseEENKUlvE_clEvENKUlvE2_clEvEUlN3c108BFloat16EE_St5arrayIPcLm2EEEEviT0_T1_.has_indirect_call, or(0, .L_ZN2at6native25elementwise_kernel_helperILb0EZZZNS0_18lgamma_kernel_cudaERNS_18TensorIteratorBaseEENKUlvE_clEvENKUlvE2_clEvEUlN3c108BFloat16EE_NS0_6memory8policies10vectorizedILi8ESt5arrayIPcLm2EELi8EEEEEvT0_T1_.has_indirect_call, .L_ZN2at6native25elementwise_kernel_helperILb0EZZZNS0_18lgamma_kernel_cudaERNS_18TensorIteratorBaseEENKUlvE_clEvENKUlvE2_clEvEUlN3c108BFloat16EE_NS0_6memory8policies11unroll_baseILi256ESt5arrayIPcLm2EE23TrivialOffsetCalculatorILi1EjESG_NS9_15LoadWithoutCastENS9_16StoreWithoutCastELi8ELi1EEEEEvT0_T1_.has_indirect_call)
	.section	.AMDGPU.csdata,"",@progbits
; Kernel info:
; codeLenInByte = 172
; TotalNumSgprs: 44
; NumVgprs: 32
; ScratchSize: 0
; MemoryBound: 0
; FloatMode: 240
; IeeeMode: 1
; LDSByteSize: 0 bytes/workgroup (compile time only)
; SGPRBlocks: 5
; VGPRBlocks: 7
; NumSGPRsForWavesPerEU: 44
; NumVGPRsForWavesPerEU: 32
; Occupancy: 8
; WaveLimiterHint : 0
; COMPUTE_PGM_RSRC2:SCRATCH_EN: 0
; COMPUTE_PGM_RSRC2:USER_SGPR: 6
; COMPUTE_PGM_RSRC2:TRAP_HANDLER: 0
; COMPUTE_PGM_RSRC2:TGID_X_EN: 1
; COMPUTE_PGM_RSRC2:TGID_Y_EN: 0
; COMPUTE_PGM_RSRC2:TGID_Z_EN: 0
; COMPUTE_PGM_RSRC2:TIDIG_COMP_CNT: 0
	.section	.text._ZN2at6native29vectorized_elementwise_kernelILi8EZZZNS0_18lgamma_kernel_cudaERNS_18TensorIteratorBaseEENKUlvE_clEvENKUlvE2_clEvEUlN3c108BFloat16EE_St5arrayIPcLm2EEEEviT0_T1_,"axG",@progbits,_ZN2at6native29vectorized_elementwise_kernelILi8EZZZNS0_18lgamma_kernel_cudaERNS_18TensorIteratorBaseEENKUlvE_clEvENKUlvE2_clEvEUlN3c108BFloat16EE_St5arrayIPcLm2EEEEviT0_T1_,comdat
	.globl	_ZN2at6native29vectorized_elementwise_kernelILi8EZZZNS0_18lgamma_kernel_cudaERNS_18TensorIteratorBaseEENKUlvE_clEvENKUlvE2_clEvEUlN3c108BFloat16EE_St5arrayIPcLm2EEEEviT0_T1_ ; -- Begin function _ZN2at6native29vectorized_elementwise_kernelILi8EZZZNS0_18lgamma_kernel_cudaERNS_18TensorIteratorBaseEENKUlvE_clEvENKUlvE2_clEvEUlN3c108BFloat16EE_St5arrayIPcLm2EEEEviT0_T1_
	.p2align	8
	.type	_ZN2at6native29vectorized_elementwise_kernelILi8EZZZNS0_18lgamma_kernel_cudaERNS_18TensorIteratorBaseEENKUlvE_clEvENKUlvE2_clEvEUlN3c108BFloat16EE_St5arrayIPcLm2EEEEviT0_T1_,@function
_ZN2at6native29vectorized_elementwise_kernelILi8EZZZNS0_18lgamma_kernel_cudaERNS_18TensorIteratorBaseEENKUlvE_clEvENKUlvE2_clEvEUlN3c108BFloat16EE_St5arrayIPcLm2EEEEviT0_T1_: ; @_ZN2at6native29vectorized_elementwise_kernelILi8EZZZNS0_18lgamma_kernel_cudaERNS_18TensorIteratorBaseEENKUlvE_clEvENKUlvE2_clEvEUlN3c108BFloat16EE_St5arrayIPcLm2EEEEviT0_T1_
; %bb.0:
	s_mov_b32 s33, s6
	s_load_dword s6, s[4:5], 0x0
	s_load_dwordx4 s[36:39], s[4:5], 0x8
	s_add_u32 s0, s0, s7
	s_addc_u32 s1, s1, 0
	s_lshl_b32 s4, s33, 11
	s_waitcnt lgkmcnt(0)
	s_sub_i32 s34, s6, s4
	v_mov_b32_e32 v31, v0
	s_cmpk_gt_i32 s34, 0x7ff
	s_mov_b64 s[4:5], -1
	s_mov_b32 s32, 0
	s_cbranch_scc1 .LBB158_3
; %bb.1:
	s_andn2_b64 vcc, exec, s[4:5]
	s_cbranch_vccz .LBB158_4
.LBB158_2:
	s_endpgm
.LBB158_3:
	s_getpc_b64 s[4:5]
	s_add_u32 s4, s4, _ZN2at6native25elementwise_kernel_helperILb0EZZZNS0_18lgamma_kernel_cudaERNS_18TensorIteratorBaseEENKUlvE_clEvENKUlvE2_clEvEUlN3c108BFloat16EE_NS0_6memory8policies10vectorizedILi8ESt5arrayIPcLm2EELi8EEEEEvT0_T1_@rel32@lo+4
	s_addc_u32 s5, s5, _ZN2at6native25elementwise_kernel_helperILb0EZZZNS0_18lgamma_kernel_cudaERNS_18TensorIteratorBaseEENKUlvE_clEvENKUlvE2_clEvEUlN3c108BFloat16EE_NS0_6memory8policies10vectorizedILi8ESt5arrayIPcLm2EELi8EEEEEvT0_T1_@rel32@hi+12
	s_mov_b32 s12, s33
	v_mov_b32_e32 v0, s36
	v_mov_b32_e32 v1, s37
	v_mov_b32_e32 v2, s38
	v_mov_b32_e32 v3, s39
	s_swappc_b64 s[30:31], s[4:5]
	s_cbranch_execnz .LBB158_2
.LBB158_4:
	s_getpc_b64 s[4:5]
	s_add_u32 s4, s4, _ZN2at6native25elementwise_kernel_helperILb0EZZZNS0_18lgamma_kernel_cudaERNS_18TensorIteratorBaseEENKUlvE_clEvENKUlvE2_clEvEUlN3c108BFloat16EE_NS0_6memory8policies11unroll_baseILi256ESt5arrayIPcLm2EE23TrivialOffsetCalculatorILi1EjESG_NS9_15LoadWithoutCastENS9_16StoreWithoutCastELi8ELi1EEEEEvT0_T1_@rel32@lo+4
	s_addc_u32 s5, s5, _ZN2at6native25elementwise_kernel_helperILb0EZZZNS0_18lgamma_kernel_cudaERNS_18TensorIteratorBaseEENKUlvE_clEvENKUlvE2_clEvEUlN3c108BFloat16EE_NS0_6memory8policies11unroll_baseILi256ESt5arrayIPcLm2EE23TrivialOffsetCalculatorILi1EjESG_NS9_15LoadWithoutCastENS9_16StoreWithoutCastELi8ELi1EEEEEvT0_T1_@rel32@hi+12
	s_mov_b32 s12, s33
	v_mov_b32_e32 v0, s36
	v_mov_b32_e32 v1, s37
	;; [unrolled: 1-line block ×5, first 2 shown]
	s_swappc_b64 s[30:31], s[4:5]
	s_endpgm
	.section	.rodata,"a",@progbits
	.p2align	6, 0x0
	.amdhsa_kernel _ZN2at6native29vectorized_elementwise_kernelILi8EZZZNS0_18lgamma_kernel_cudaERNS_18TensorIteratorBaseEENKUlvE_clEvENKUlvE2_clEvEUlN3c108BFloat16EE_St5arrayIPcLm2EEEEviT0_T1_
		.amdhsa_group_segment_fixed_size 0
		.amdhsa_private_segment_fixed_size 0
		.amdhsa_kernarg_size 24
		.amdhsa_user_sgpr_count 6
		.amdhsa_user_sgpr_private_segment_buffer 1
		.amdhsa_user_sgpr_dispatch_ptr 0
		.amdhsa_user_sgpr_queue_ptr 0
		.amdhsa_user_sgpr_kernarg_segment_ptr 1
		.amdhsa_user_sgpr_dispatch_id 0
		.amdhsa_user_sgpr_flat_scratch_init 0
		.amdhsa_user_sgpr_private_segment_size 0
		.amdhsa_uses_dynamic_stack 0
		.amdhsa_system_sgpr_private_segment_wavefront_offset 0
		.amdhsa_system_sgpr_workgroup_id_x 1
		.amdhsa_system_sgpr_workgroup_id_y 0
		.amdhsa_system_sgpr_workgroup_id_z 0
		.amdhsa_system_sgpr_workgroup_info 0
		.amdhsa_system_vgpr_workitem_id 0
		.amdhsa_next_free_vgpr 32
		.amdhsa_next_free_sgpr 40
		.amdhsa_reserve_vcc 1
		.amdhsa_reserve_flat_scratch 0
		.amdhsa_float_round_mode_32 0
		.amdhsa_float_round_mode_16_64 0
		.amdhsa_float_denorm_mode_32 3
		.amdhsa_float_denorm_mode_16_64 3
		.amdhsa_dx10_clamp 1
		.amdhsa_ieee_mode 1
		.amdhsa_fp16_overflow 0
		.amdhsa_exception_fp_ieee_invalid_op 0
		.amdhsa_exception_fp_denorm_src 0
		.amdhsa_exception_fp_ieee_div_zero 0
		.amdhsa_exception_fp_ieee_overflow 0
		.amdhsa_exception_fp_ieee_underflow 0
		.amdhsa_exception_fp_ieee_inexact 0
		.amdhsa_exception_int_div_zero 0
	.end_amdhsa_kernel
	.section	.text._ZN2at6native29vectorized_elementwise_kernelILi8EZZZNS0_18lgamma_kernel_cudaERNS_18TensorIteratorBaseEENKUlvE_clEvENKUlvE2_clEvEUlN3c108BFloat16EE_St5arrayIPcLm2EEEEviT0_T1_,"axG",@progbits,_ZN2at6native29vectorized_elementwise_kernelILi8EZZZNS0_18lgamma_kernel_cudaERNS_18TensorIteratorBaseEENKUlvE_clEvENKUlvE2_clEvEUlN3c108BFloat16EE_St5arrayIPcLm2EEEEviT0_T1_,comdat
.Lfunc_end158:
	.size	_ZN2at6native29vectorized_elementwise_kernelILi8EZZZNS0_18lgamma_kernel_cudaERNS_18TensorIteratorBaseEENKUlvE_clEvENKUlvE2_clEvEUlN3c108BFloat16EE_St5arrayIPcLm2EEEEviT0_T1_, .Lfunc_end158-_ZN2at6native29vectorized_elementwise_kernelILi8EZZZNS0_18lgamma_kernel_cudaERNS_18TensorIteratorBaseEENKUlvE_clEvENKUlvE2_clEvEUlN3c108BFloat16EE_St5arrayIPcLm2EEEEviT0_T1_
                                        ; -- End function
	.set _ZN2at6native29vectorized_elementwise_kernelILi8EZZZNS0_18lgamma_kernel_cudaERNS_18TensorIteratorBaseEENKUlvE_clEvENKUlvE2_clEvEUlN3c108BFloat16EE_St5arrayIPcLm2EEEEviT0_T1_.num_vgpr, max(32, .L_ZN2at6native25elementwise_kernel_helperILb0EZZZNS0_18lgamma_kernel_cudaERNS_18TensorIteratorBaseEENKUlvE_clEvENKUlvE2_clEvEUlN3c108BFloat16EE_NS0_6memory8policies10vectorizedILi8ESt5arrayIPcLm2EELi8EEEEEvT0_T1_.num_vgpr, .L_ZN2at6native25elementwise_kernel_helperILb0EZZZNS0_18lgamma_kernel_cudaERNS_18TensorIteratorBaseEENKUlvE_clEvENKUlvE2_clEvEUlN3c108BFloat16EE_NS0_6memory8policies11unroll_baseILi256ESt5arrayIPcLm2EE23TrivialOffsetCalculatorILi1EjESG_NS9_15LoadWithoutCastENS9_16StoreWithoutCastELi8ELi1EEEEEvT0_T1_.num_vgpr)
	.set _ZN2at6native29vectorized_elementwise_kernelILi8EZZZNS0_18lgamma_kernel_cudaERNS_18TensorIteratorBaseEENKUlvE_clEvENKUlvE2_clEvEUlN3c108BFloat16EE_St5arrayIPcLm2EEEEviT0_T1_.num_agpr, max(0, .L_ZN2at6native25elementwise_kernel_helperILb0EZZZNS0_18lgamma_kernel_cudaERNS_18TensorIteratorBaseEENKUlvE_clEvENKUlvE2_clEvEUlN3c108BFloat16EE_NS0_6memory8policies10vectorizedILi8ESt5arrayIPcLm2EELi8EEEEEvT0_T1_.num_agpr, .L_ZN2at6native25elementwise_kernel_helperILb0EZZZNS0_18lgamma_kernel_cudaERNS_18TensorIteratorBaseEENKUlvE_clEvENKUlvE2_clEvEUlN3c108BFloat16EE_NS0_6memory8policies11unroll_baseILi256ESt5arrayIPcLm2EE23TrivialOffsetCalculatorILi1EjESG_NS9_15LoadWithoutCastENS9_16StoreWithoutCastELi8ELi1EEEEEvT0_T1_.num_agpr)
	.set _ZN2at6native29vectorized_elementwise_kernelILi8EZZZNS0_18lgamma_kernel_cudaERNS_18TensorIteratorBaseEENKUlvE_clEvENKUlvE2_clEvEUlN3c108BFloat16EE_St5arrayIPcLm2EEEEviT0_T1_.numbered_sgpr, max(40, .L_ZN2at6native25elementwise_kernel_helperILb0EZZZNS0_18lgamma_kernel_cudaERNS_18TensorIteratorBaseEENKUlvE_clEvENKUlvE2_clEvEUlN3c108BFloat16EE_NS0_6memory8policies10vectorizedILi8ESt5arrayIPcLm2EELi8EEEEEvT0_T1_.numbered_sgpr, .L_ZN2at6native25elementwise_kernel_helperILb0EZZZNS0_18lgamma_kernel_cudaERNS_18TensorIteratorBaseEENKUlvE_clEvENKUlvE2_clEvEUlN3c108BFloat16EE_NS0_6memory8policies11unroll_baseILi256ESt5arrayIPcLm2EE23TrivialOffsetCalculatorILi1EjESG_NS9_15LoadWithoutCastENS9_16StoreWithoutCastELi8ELi1EEEEEvT0_T1_.numbered_sgpr)
	.set _ZN2at6native29vectorized_elementwise_kernelILi8EZZZNS0_18lgamma_kernel_cudaERNS_18TensorIteratorBaseEENKUlvE_clEvENKUlvE2_clEvEUlN3c108BFloat16EE_St5arrayIPcLm2EEEEviT0_T1_.num_named_barrier, max(0, .L_ZN2at6native25elementwise_kernel_helperILb0EZZZNS0_18lgamma_kernel_cudaERNS_18TensorIteratorBaseEENKUlvE_clEvENKUlvE2_clEvEUlN3c108BFloat16EE_NS0_6memory8policies10vectorizedILi8ESt5arrayIPcLm2EELi8EEEEEvT0_T1_.num_named_barrier, .L_ZN2at6native25elementwise_kernel_helperILb0EZZZNS0_18lgamma_kernel_cudaERNS_18TensorIteratorBaseEENKUlvE_clEvENKUlvE2_clEvEUlN3c108BFloat16EE_NS0_6memory8policies11unroll_baseILi256ESt5arrayIPcLm2EE23TrivialOffsetCalculatorILi1EjESG_NS9_15LoadWithoutCastENS9_16StoreWithoutCastELi8ELi1EEEEEvT0_T1_.num_named_barrier)
	.set _ZN2at6native29vectorized_elementwise_kernelILi8EZZZNS0_18lgamma_kernel_cudaERNS_18TensorIteratorBaseEENKUlvE_clEvENKUlvE2_clEvEUlN3c108BFloat16EE_St5arrayIPcLm2EEEEviT0_T1_.private_seg_size, 0+max(.L_ZN2at6native25elementwise_kernel_helperILb0EZZZNS0_18lgamma_kernel_cudaERNS_18TensorIteratorBaseEENKUlvE_clEvENKUlvE2_clEvEUlN3c108BFloat16EE_NS0_6memory8policies10vectorizedILi8ESt5arrayIPcLm2EELi8EEEEEvT0_T1_.private_seg_size, .L_ZN2at6native25elementwise_kernel_helperILb0EZZZNS0_18lgamma_kernel_cudaERNS_18TensorIteratorBaseEENKUlvE_clEvENKUlvE2_clEvEUlN3c108BFloat16EE_NS0_6memory8policies11unroll_baseILi256ESt5arrayIPcLm2EE23TrivialOffsetCalculatorILi1EjESG_NS9_15LoadWithoutCastENS9_16StoreWithoutCastELi8ELi1EEEEEvT0_T1_.private_seg_size)
	.set _ZN2at6native29vectorized_elementwise_kernelILi8EZZZNS0_18lgamma_kernel_cudaERNS_18TensorIteratorBaseEENKUlvE_clEvENKUlvE2_clEvEUlN3c108BFloat16EE_St5arrayIPcLm2EEEEviT0_T1_.uses_vcc, or(1, .L_ZN2at6native25elementwise_kernel_helperILb0EZZZNS0_18lgamma_kernel_cudaERNS_18TensorIteratorBaseEENKUlvE_clEvENKUlvE2_clEvEUlN3c108BFloat16EE_NS0_6memory8policies10vectorizedILi8ESt5arrayIPcLm2EELi8EEEEEvT0_T1_.uses_vcc, .L_ZN2at6native25elementwise_kernel_helperILb0EZZZNS0_18lgamma_kernel_cudaERNS_18TensorIteratorBaseEENKUlvE_clEvENKUlvE2_clEvEUlN3c108BFloat16EE_NS0_6memory8policies11unroll_baseILi256ESt5arrayIPcLm2EE23TrivialOffsetCalculatorILi1EjESG_NS9_15LoadWithoutCastENS9_16StoreWithoutCastELi8ELi1EEEEEvT0_T1_.uses_vcc)
	.set _ZN2at6native29vectorized_elementwise_kernelILi8EZZZNS0_18lgamma_kernel_cudaERNS_18TensorIteratorBaseEENKUlvE_clEvENKUlvE2_clEvEUlN3c108BFloat16EE_St5arrayIPcLm2EEEEviT0_T1_.uses_flat_scratch, or(0, .L_ZN2at6native25elementwise_kernel_helperILb0EZZZNS0_18lgamma_kernel_cudaERNS_18TensorIteratorBaseEENKUlvE_clEvENKUlvE2_clEvEUlN3c108BFloat16EE_NS0_6memory8policies10vectorizedILi8ESt5arrayIPcLm2EELi8EEEEEvT0_T1_.uses_flat_scratch, .L_ZN2at6native25elementwise_kernel_helperILb0EZZZNS0_18lgamma_kernel_cudaERNS_18TensorIteratorBaseEENKUlvE_clEvENKUlvE2_clEvEUlN3c108BFloat16EE_NS0_6memory8policies11unroll_baseILi256ESt5arrayIPcLm2EE23TrivialOffsetCalculatorILi1EjESG_NS9_15LoadWithoutCastENS9_16StoreWithoutCastELi8ELi1EEEEEvT0_T1_.uses_flat_scratch)
	.set _ZN2at6native29vectorized_elementwise_kernelILi8EZZZNS0_18lgamma_kernel_cudaERNS_18TensorIteratorBaseEENKUlvE_clEvENKUlvE2_clEvEUlN3c108BFloat16EE_St5arrayIPcLm2EEEEviT0_T1_.has_dyn_sized_stack, or(0, .L_ZN2at6native25elementwise_kernel_helperILb0EZZZNS0_18lgamma_kernel_cudaERNS_18TensorIteratorBaseEENKUlvE_clEvENKUlvE2_clEvEUlN3c108BFloat16EE_NS0_6memory8policies10vectorizedILi8ESt5arrayIPcLm2EELi8EEEEEvT0_T1_.has_dyn_sized_stack, .L_ZN2at6native25elementwise_kernel_helperILb0EZZZNS0_18lgamma_kernel_cudaERNS_18TensorIteratorBaseEENKUlvE_clEvENKUlvE2_clEvEUlN3c108BFloat16EE_NS0_6memory8policies11unroll_baseILi256ESt5arrayIPcLm2EE23TrivialOffsetCalculatorILi1EjESG_NS9_15LoadWithoutCastENS9_16StoreWithoutCastELi8ELi1EEEEEvT0_T1_.has_dyn_sized_stack)
	.set _ZN2at6native29vectorized_elementwise_kernelILi8EZZZNS0_18lgamma_kernel_cudaERNS_18TensorIteratorBaseEENKUlvE_clEvENKUlvE2_clEvEUlN3c108BFloat16EE_St5arrayIPcLm2EEEEviT0_T1_.has_recursion, or(0, .L_ZN2at6native25elementwise_kernel_helperILb0EZZZNS0_18lgamma_kernel_cudaERNS_18TensorIteratorBaseEENKUlvE_clEvENKUlvE2_clEvEUlN3c108BFloat16EE_NS0_6memory8policies10vectorizedILi8ESt5arrayIPcLm2EELi8EEEEEvT0_T1_.has_recursion, .L_ZN2at6native25elementwise_kernel_helperILb0EZZZNS0_18lgamma_kernel_cudaERNS_18TensorIteratorBaseEENKUlvE_clEvENKUlvE2_clEvEUlN3c108BFloat16EE_NS0_6memory8policies11unroll_baseILi256ESt5arrayIPcLm2EE23TrivialOffsetCalculatorILi1EjESG_NS9_15LoadWithoutCastENS9_16StoreWithoutCastELi8ELi1EEEEEvT0_T1_.has_recursion)
	.set _ZN2at6native29vectorized_elementwise_kernelILi8EZZZNS0_18lgamma_kernel_cudaERNS_18TensorIteratorBaseEENKUlvE_clEvENKUlvE2_clEvEUlN3c108BFloat16EE_St5arrayIPcLm2EEEEviT0_T1_.has_indirect_call, or(0, .L_ZN2at6native25elementwise_kernel_helperILb0EZZZNS0_18lgamma_kernel_cudaERNS_18TensorIteratorBaseEENKUlvE_clEvENKUlvE2_clEvEUlN3c108BFloat16EE_NS0_6memory8policies10vectorizedILi8ESt5arrayIPcLm2EELi8EEEEEvT0_T1_.has_indirect_call, .L_ZN2at6native25elementwise_kernel_helperILb0EZZZNS0_18lgamma_kernel_cudaERNS_18TensorIteratorBaseEENKUlvE_clEvENKUlvE2_clEvEUlN3c108BFloat16EE_NS0_6memory8policies11unroll_baseILi256ESt5arrayIPcLm2EE23TrivialOffsetCalculatorILi1EjESG_NS9_15LoadWithoutCastENS9_16StoreWithoutCastELi8ELi1EEEEEvT0_T1_.has_indirect_call)
	.section	.AMDGPU.csdata,"",@progbits
; Kernel info:
; codeLenInByte = 172
; TotalNumSgprs: 44
; NumVgprs: 32
; ScratchSize: 0
; MemoryBound: 0
; FloatMode: 240
; IeeeMode: 1
; LDSByteSize: 0 bytes/workgroup (compile time only)
; SGPRBlocks: 5
; VGPRBlocks: 7
; NumSGPRsForWavesPerEU: 44
; NumVGPRsForWavesPerEU: 32
; Occupancy: 8
; WaveLimiterHint : 0
; COMPUTE_PGM_RSRC2:SCRATCH_EN: 0
; COMPUTE_PGM_RSRC2:USER_SGPR: 6
; COMPUTE_PGM_RSRC2:TRAP_HANDLER: 0
; COMPUTE_PGM_RSRC2:TGID_X_EN: 1
; COMPUTE_PGM_RSRC2:TGID_Y_EN: 0
; COMPUTE_PGM_RSRC2:TGID_Z_EN: 0
; COMPUTE_PGM_RSRC2:TIDIG_COMP_CNT: 0
	.section	.text._ZN2at6native29vectorized_elementwise_kernelILi4EZZZNS0_18lgamma_kernel_cudaERNS_18TensorIteratorBaseEENKUlvE_clEvENKUlvE2_clEvEUlN3c108BFloat16EE_St5arrayIPcLm2EEEEviT0_T1_,"axG",@progbits,_ZN2at6native29vectorized_elementwise_kernelILi4EZZZNS0_18lgamma_kernel_cudaERNS_18TensorIteratorBaseEENKUlvE_clEvENKUlvE2_clEvEUlN3c108BFloat16EE_St5arrayIPcLm2EEEEviT0_T1_,comdat
	.globl	_ZN2at6native29vectorized_elementwise_kernelILi4EZZZNS0_18lgamma_kernel_cudaERNS_18TensorIteratorBaseEENKUlvE_clEvENKUlvE2_clEvEUlN3c108BFloat16EE_St5arrayIPcLm2EEEEviT0_T1_ ; -- Begin function _ZN2at6native29vectorized_elementwise_kernelILi4EZZZNS0_18lgamma_kernel_cudaERNS_18TensorIteratorBaseEENKUlvE_clEvENKUlvE2_clEvEUlN3c108BFloat16EE_St5arrayIPcLm2EEEEviT0_T1_
	.p2align	8
	.type	_ZN2at6native29vectorized_elementwise_kernelILi4EZZZNS0_18lgamma_kernel_cudaERNS_18TensorIteratorBaseEENKUlvE_clEvENKUlvE2_clEvEUlN3c108BFloat16EE_St5arrayIPcLm2EEEEviT0_T1_,@function
_ZN2at6native29vectorized_elementwise_kernelILi4EZZZNS0_18lgamma_kernel_cudaERNS_18TensorIteratorBaseEENKUlvE_clEvENKUlvE2_clEvEUlN3c108BFloat16EE_St5arrayIPcLm2EEEEviT0_T1_: ; @_ZN2at6native29vectorized_elementwise_kernelILi4EZZZNS0_18lgamma_kernel_cudaERNS_18TensorIteratorBaseEENKUlvE_clEvENKUlvE2_clEvEUlN3c108BFloat16EE_St5arrayIPcLm2EEEEviT0_T1_
; %bb.0:
	s_add_u32 s0, s0, s7
	s_load_dword s7, s[4:5], 0x0
	s_load_dwordx4 s[24:27], s[4:5], 0x8
	s_addc_u32 s1, s1, 0
	s_lshl_b32 s4, s6, 11
	s_mov_b64 s[8:9], -1
	s_waitcnt lgkmcnt(0)
	s_sub_i32 s7, s7, s4
	s_cmpk_gt_i32 s7, 0x7ff
	s_mov_b32 s32, 0
	s_cbranch_scc1 .LBB159_3
; %bb.1:
	s_and_b64 vcc, exec, s[8:9]
	s_cbranch_vccnz .LBB159_308
.LBB159_2:
	s_endpgm
.LBB159_3:
	s_ashr_i32 s5, s4, 31
	s_lshl_b64 s[28:29], s[4:5], 1
	s_add_u32 s4, s26, s28
	s_addc_u32 s5, s27, s29
	v_lshlrev_b32_e32 v5, 3, v0
	global_load_dwordx2 v[3:4], v5, s[4:5]
	global_load_dwordx2 v[1:2], v5, s[4:5] offset:2048
	s_mov_b32 s4, 0x3c800000
                                        ; implicit-def: $vgpr7
	s_waitcnt vmcnt(1)
	v_lshlrev_b32_e32 v6, 16, v3
	v_and_b32_e32 v8, 0x7fffffff, v6
	v_cmp_nlt_f32_e64 s[4:5], |v6|, s4
	s_and_saveexec_b64 s[8:9], s[4:5]
	s_xor_b64 s[8:9], exec, s[8:9]
	s_cbranch_execz .LBB159_33
; %bb.4:
	v_cmp_nlt_f32_e64 s[4:5], |v6|, 2.0
                                        ; implicit-def: $vgpr7
	s_and_saveexec_b64 s[10:11], s[4:5]
	s_xor_b64 s[10:11], exec, s[10:11]
	s_cbranch_execz .LBB159_14
; %bb.5:
	s_mov_b32 s4, 0x41000000
	v_cmp_nlt_f32_e64 s[4:5], |v6|, s4
                                        ; implicit-def: $vgpr7
	s_and_saveexec_b64 s[12:13], s[4:5]
	s_xor_b64 s[12:13], exec, s[12:13]
	s_cbranch_execz .LBB159_11
; %bb.6:
	s_mov_b32 s4, 0x5c800000
	v_cmp_nlt_f32_e64 s[4:5], |v6|, s4
                                        ; implicit-def: $vgpr7
	s_and_saveexec_b64 s[14:15], s[4:5]
	s_xor_b64 s[14:15], exec, s[14:15]
	s_cbranch_execz .LBB159_8
; %bb.7:
	s_mov_b32 s4, 0x800000
	v_cmp_lt_f32_e64 vcc, |v6|, s4
	v_cndmask_b32_e64 v7, 0, 32, vcc
	v_ldexp_f32 v7, |v6|, v7
	v_log_f32_e32 v7, v7
	s_mov_b32 s4, 0x3f317217
	s_mov_b32 s5, 0x7f800000
	v_mul_f32_e32 v9, 0x3f317217, v7
	v_fma_f32 v10, v7, s4, -v9
	v_fmac_f32_e32 v10, 0x3377d1cf, v7
	v_add_f32_e32 v9, v9, v10
	v_cmp_lt_f32_e64 s[4:5], |v7|, s5
	v_cndmask_b32_e64 v7, v7, v9, s[4:5]
	v_mov_b32_e32 v9, 0x41b17218
	v_cndmask_b32_e32 v9, 0, v9, vcc
	v_sub_f32_e32 v7, v7, v9
	v_fma_f32 v7, |v6|, v7, -|v6|
.LBB159_8:
	s_andn2_saveexec_b64 s[14:15], s[14:15]
	s_cbranch_execz .LBB159_10
; %bb.9:
	v_rcp_f32_e64 v9, |v6|
	v_mov_b32_e32 v7, 0x3a5b3dd2
	v_mov_b32_e32 v10, 0xba1c065c
	;; [unrolled: 1-line block ×3, first 2 shown]
	v_mul_f32_e32 v12, v9, v9
	v_fmac_f32_e32 v7, 0xbad5c4e8, v12
	v_fmac_f32_e32 v10, v12, v7
	s_mov_b32 s4, 0x800000
	v_fmac_f32_e32 v11, v12, v10
	v_mov_b32_e32 v7, 0xbb360b61
	v_cmp_lt_f32_e64 vcc, |v6|, s4
	v_fmac_f32_e32 v7, v12, v11
	v_cndmask_b32_e64 v11, 0, 32, vcc
	v_ldexp_f32 v11, |v6|, v11
	v_log_f32_e32 v11, v11
	v_mov_b32_e32 v10, 0x3daaaaab
	v_fmac_f32_e32 v10, v12, v7
	v_mov_b32_e32 v7, 0x3ed67f1d
	v_fmac_f32_e32 v7, v9, v10
	s_mov_b32 s4, 0x3f317217
	v_mul_f32_e32 v10, 0x3f317217, v11
	v_fma_f32 v12, v11, s4, -v10
	v_fmac_f32_e32 v12, 0x3377d1cf, v11
	s_mov_b32 s4, 0x7f800000
	v_add_f32_e32 v10, v10, v12
	v_cmp_lt_f32_e64 s[4:5], |v11|, s4
	v_cndmask_b32_e64 v10, v11, v10, s[4:5]
	v_mov_b32_e32 v11, 0x41b17218
	v_cndmask_b32_e32 v11, 0, v11, vcc
	v_sub_f32_e32 v10, v10, v11
	v_add_f32_e64 v9, |v6|, -0.5
	v_add_f32_e32 v10, -1.0, v10
	v_fmac_f32_e32 v7, v9, v10
.LBB159_10:
	s_or_b64 exec, exec, s[14:15]
.LBB159_11:
	s_andn2_saveexec_b64 s[12:13], s[12:13]
	s_cbranch_execz .LBB159_13
; %bb.12:
	v_cvt_i32_f32_e32 v7, v8
	v_mov_b32_e32 v9, 0x3af135b4
	v_mov_b32_e32 v10, 0x3cda40e4
	v_mov_b32_e32 v11, 0x3e15dce6
	v_cvt_f32_i32_e32 v12, v7
	v_mov_b32_e32 v13, 0x3ea6cc7a
	v_mov_b32_e32 v14, 0x3e5c245a
	v_cmp_lt_i32_e32 vcc, 2, v7
	v_sub_f32_e64 v12, |v6|, v12
	v_fmac_f32_e32 v9, 0x3805ff67, v12
	v_fmac_f32_e32 v10, v12, v9
	;; [unrolled: 1-line block ×3, first 2 shown]
	v_mov_b32_e32 v10, 0x3a4beed6
	v_fmac_f32_e32 v13, v12, v11
	v_fmac_f32_e32 v10, 0x36f5d7bd, v12
	v_mov_b32_e32 v11, 0x3c98bf54
	v_fmac_f32_e32 v11, v12, v10
	v_mov_b32_e32 v10, 0x3e300f6e
	;; [unrolled: 2-line block ×4, first 2 shown]
	v_fmac_f32_e32 v10, v12, v11
	v_add_f32_e32 v11, 2.0, v12
	v_mov_b32_e32 v15, 0xbd9e233f
	v_fmac_f32_e32 v14, v12, v13
	v_add_f32_e32 v13, 0x40400000, v12
	v_cndmask_b32_e32 v11, 1.0, v11, vcc
	v_cmp_lt_i32_e32 vcc, 3, v7
	v_fmac_f32_e32 v15, v12, v14
	v_add_f32_e32 v14, 4.0, v12
	v_cndmask_b32_e32 v13, 1.0, v13, vcc
	v_cmp_lt_i32_e32 vcc, 4, v7
	v_mul_f32_e32 v9, v12, v15
	v_add_f32_e32 v15, 0x40a00000, v12
	v_mul_f32_e32 v11, v11, v13
	v_cndmask_b32_e32 v13, 1.0, v14, vcc
	v_cmp_lt_i32_e32 vcc, 5, v7
	v_add_f32_e32 v16, 0x40c00000, v12
	v_mul_f32_e32 v11, v13, v11
	v_cndmask_b32_e32 v13, 1.0, v15, vcc
	v_cmp_lt_i32_e32 vcc, 6, v7
	v_mul_f32_e32 v11, v13, v11
	v_cndmask_b32_e32 v7, 1.0, v16, vcc
	v_mul_f32_e32 v7, v7, v11
	s_mov_b32 s4, 0x800000
	v_cmp_gt_f32_e32 vcc, s4, v7
	v_cndmask_b32_e64 v11, 0, 32, vcc
	v_fma_f32 v10, v12, v10, 1.0
	v_ldexp_f32 v7, v7, v11
	v_rcp_f32_e32 v10, v10
	v_log_f32_e32 v7, v7
	s_mov_b32 s4, 0x3f317217
	v_mul_f32_e32 v9, v9, v10
	v_mul_f32_e32 v10, 0x3f317217, v7
	v_fma_f32 v11, v7, s4, -v10
	v_fmac_f32_e32 v11, 0x3377d1cf, v7
	s_mov_b32 s4, 0x7f800000
	v_add_f32_e32 v10, v10, v11
	v_cmp_lt_f32_e64 s[4:5], |v7|, s4
	v_cndmask_b32_e64 v7, v7, v10, s[4:5]
	v_mov_b32_e32 v10, 0x41b17218
	v_cndmask_b32_e32 v10, 0, v10, vcc
	v_fmac_f32_e32 v9, 0.5, v12
	v_sub_f32_e32 v7, v7, v10
	v_add_f32_e32 v7, v7, v9
.LBB159_13:
	s_or_b64 exec, exec, s[12:13]
.LBB159_14:
	s_andn2_saveexec_b64 s[10:11], s[10:11]
	s_cbranch_execz .LBB159_32
; %bb.15:
	s_mov_b32 s4, 0x3f666666
	v_cmp_le_f32_e64 s[4:5], |v6|, s4
                                        ; implicit-def: $vgpr7
                                        ; implicit-def: $vgpr10
                                        ; implicit-def: $vgpr9
	s_and_saveexec_b64 s[12:13], s[4:5]
	s_xor_b64 s[12:13], exec, s[12:13]
	s_cbranch_execz .LBB159_17
; %bb.16:
	s_mov_b32 s4, 0x800000
	v_cmp_lt_f32_e64 vcc, |v6|, s4
	v_cndmask_b32_e64 v7, 0, 32, vcc
	v_ldexp_f32 v7, |v6|, v7
	v_log_f32_e32 v7, v7
	s_mov_b32 s4, 0x3f317217
	s_mov_b32 s5, 0x7f800000
	v_mul_f32_e32 v9, 0x3f317217, v7
	v_fma_f32 v10, v7, s4, -v9
	v_fmac_f32_e32 v10, 0x3377d1cf, v7
	v_add_f32_e32 v9, v9, v10
	v_cmp_lt_f32_e64 s[4:5], |v7|, s5
	v_cndmask_b32_e64 v7, v7, v9, s[4:5]
	v_mov_b32_e32 v9, 0x41b17218
	v_cndmask_b32_e32 v9, 0, v9, vcc
	s_mov_b32 s4, 0x3f3b4a23
	s_mov_b32 s5, 0xbeec5b0c
	v_sub_f32_e32 v7, v7, v9
	v_sub_f32_e64 v9, 1.0, |v6|
	v_add_f32_e64 v10, |v6|, s5
	v_cmp_lt_f32_e64 vcc, |v6|, s4
	s_mov_b32 s4, 0x3e6d3309
	v_cndmask_b32_e32 v9, v9, v10, vcc
	v_cndmask_b32_e64 v10, 0, 1, vcc
	v_cmp_lt_f32_e64 s[4:5], |v6|, s4
	v_xor_b32_e32 v7, 0x80000000, v7
	v_cndmask_b32_e64 v9, v9, |v6|, s[4:5]
	v_cndmask_b32_e64 v10, v10, 2, s[4:5]
.LBB159_17:
	s_andn2_saveexec_b64 s[4:5], s[12:13]
	s_cbranch_execz .LBB159_19
; %bb.18:
	s_mov_b32 s12, 0x3fdda512
	s_mov_b32 s13, 0xbfbb16c3
	v_sub_f32_e64 v7, 2.0, |v6|
	v_add_f32_e64 v9, |v6|, s13
	v_cmp_lt_f32_e64 vcc, |v6|, s12
	v_cndmask_b32_e32 v9, v7, v9, vcc
	v_cndmask_b32_e64 v7, v7, 1.0, vcc
	v_cvt_i32_f32_e32 v7, v7
	s_mov_b32 s12, 0x3f9d70a4
	v_add_f32_e64 v10, |v6|, -1.0
	v_cmp_lt_f32_e64 vcc, |v6|, s12
	v_cndmask_b32_e32 v9, v9, v10, vcc
	v_cndmask_b32_e64 v10, v7, 2, vcc
	v_mov_b32_e32 v7, 0
.LBB159_19:
	s_or_b64 exec, exec, s[4:5]
	v_cmp_lt_i32_e32 vcc, 0, v10
	s_and_saveexec_b64 s[4:5], vcc
	s_xor_b64 s[4:5], exec, s[4:5]
	s_cbranch_execz .LBB159_27
; %bb.20:
	v_cmp_lt_i32_e32 vcc, 1, v10
	s_and_saveexec_b64 s[12:13], vcc
	s_xor_b64 s[12:13], exec, s[12:13]
	s_cbranch_execz .LBB159_24
; %bb.21:
	v_cmp_eq_u32_e32 vcc, 2, v10
	s_and_saveexec_b64 s[14:15], vcc
	s_cbranch_execz .LBB159_23
; %bb.22:
	v_mov_b32_e32 v10, 0x3e6a7578
	v_fmac_f32_e32 v10, 0x3c5b3c5e, v9
	v_mov_b32_e32 v11, 0x3f7a4bb2
	v_fmac_f32_e32 v11, v9, v10
	;; [unrolled: 2-line block ×8, first 2 shown]
	v_fma_f32 v10, v9, v12, 1.0
	v_rcp_f32_e32 v10, v10
	v_mov_b32_e32 v12, 0xbd9e233f
	v_fmac_f32_e32 v12, v9, v11
	v_mul_f32_e32 v11, v9, v12
	v_mul_f32_e32 v10, v11, v10
	v_fmac_f32_e32 v10, -0.5, v9
	v_add_f32_e32 v7, v7, v10
.LBB159_23:
	s_or_b64 exec, exec, s[14:15]
                                        ; implicit-def: $vgpr9
.LBB159_24:
	s_andn2_saveexec_b64 s[12:13], s[12:13]
	s_cbranch_execz .LBB159_26
; %bb.25:
	v_mul_f32_e32 v10, v9, v9
	v_mul_f32_e32 v11, v9, v10
	v_mov_b32_e32 v12, 0xbab7f476
	v_fmac_f32_e32 v12, 0x39a57b6b, v11
	v_mov_b32_e32 v13, 0x3bc7e707
	v_fmac_f32_e32 v13, v11, v12
	;; [unrolled: 2-line block ×12, first 2 shown]
	v_fmac_f32_e32 v14, v9, v15
	s_mov_b32 s14, 0xa2863e55
	v_fma_f32 v9, v11, -v14, s14
	v_fma_f32 v9, v10, v13, -v9
	v_add_f32_e32 v9, 0xbdf8cdce, v9
	v_add_f32_e32 v7, v7, v9
.LBB159_26:
	s_or_b64 exec, exec, s[12:13]
                                        ; implicit-def: $vgpr10
                                        ; implicit-def: $vgpr9
.LBB159_27:
	s_andn2_saveexec_b64 s[4:5], s[4:5]
	s_cbranch_execz .LBB159_31
; %bb.28:
	v_cmp_eq_u32_e32 vcc, 0, v10
	s_and_saveexec_b64 s[12:13], vcc
	s_cbranch_execz .LBB159_30
; %bb.29:
	v_mul_f32_e32 v10, v9, v9
	v_mov_b32_e32 v11, 0x39679767
	v_fmac_f32_e32 v11, 0x37d383a2, v10
	v_mov_b32_e32 v12, 0x3a9c54a1
	v_fmac_f32_e32 v12, v10, v11
	;; [unrolled: 2-line block ×10, first 2 shown]
	v_mul_f32_e32 v10, v10, v12
	v_fmac_f32_e32 v10, v9, v11
	v_fmac_f32_e32 v10, -0.5, v9
	v_add_f32_e32 v7, v7, v10
.LBB159_30:
	s_or_b64 exec, exec, s[12:13]
.LBB159_31:
	s_or_b64 exec, exec, s[4:5]
.LBB159_32:
	s_or_b64 exec, exec, s[10:11]
.LBB159_33:
	s_andn2_saveexec_b64 s[8:9], s[8:9]
	s_cbranch_execz .LBB159_35
; %bb.34:
	s_mov_b32 s4, 0x3e8a8991
	v_mov_b32_e32 v7, 0xbecd26ab
	v_fma_f32 v7, |v6|, s4, v7
	s_mov_b32 s4, 0x3f528d33
	v_fma_f32 v7, |v6|, v7, s4
	s_mov_b32 s4, 0x800000
	v_cmp_lt_f32_e64 vcc, |v6|, s4
	v_cndmask_b32_e64 v9, 0, 32, vcc
	v_ldexp_f32 v9, |v6|, v9
	v_log_f32_e32 v9, v9
	s_mov_b32 s4, 0xbf13c468
	v_fma_f32 v7, |v6|, v7, s4
	s_mov_b32 s4, 0x3f317217
	v_mul_f32_e32 v10, 0x3f317217, v9
	v_fma_f32 v11, v9, s4, -v10
	v_fmac_f32_e32 v11, 0x3377d1cf, v9
	s_mov_b32 s4, 0x7f800000
	v_add_f32_e32 v10, v10, v11
	v_cmp_lt_f32_e64 s[4:5], |v9|, s4
	v_cndmask_b32_e64 v9, v9, v10, s[4:5]
	v_mov_b32_e32 v10, 0x41b17218
	v_cndmask_b32_e32 v10, 0, v10, vcc
	v_sub_f32_e32 v9, v9, v10
	v_fma_f32 v7, |v6|, v7, -v9
.LBB159_35:
	s_or_b64 exec, exec, s[8:9]
	v_cmp_le_f32_e32 vcc, 0, v6
	v_cmp_nle_f32_e64 s[4:5], 0, v6
	s_and_saveexec_b64 s[8:9], s[4:5]
	s_xor_b64 s[10:11], exec, s[8:9]
	s_cbranch_execz .LBB159_39
; %bb.36:
	s_mov_b32 s4, 0x4b000000
	s_mov_b32 s8, 0x35000000
	v_cmp_lt_f32_e64 s[4:5], |v6|, s4
	v_cmp_gt_f32_e64 s[8:9], |v6|, s8
	s_and_b64 s[4:5], s[4:5], s[8:9]
	s_and_saveexec_b64 s[12:13], s[4:5]
	s_cbranch_execz .LBB159_38
; %bb.37:
	v_mul_f32_e64 v9, |v6|, 0.5
	v_floor_f32_e32 v10, v9
	v_sub_f32_e32 v10, v9, v10
	v_min_f32_e32 v10, 0x3f7fffff, v10
	s_mov_b32 s8, 0x7f800000
	v_add_f32_e32 v10, v10, v10
	v_cmp_neq_f32_e64 s[4:5], s8, v9
	v_cndmask_b32_e64 v9, 0, v10, s[4:5]
	v_cmp_gt_f32_e64 s[4:5], |v6|, 1.0
	v_cndmask_b32_e64 v9, |v6|, v9, s[4:5]
	v_add_f32_e32 v10, v9, v9
	v_rndne_f32_e32 v10, v10
	v_fmac_f32_e32 v9, -0.5, v10
	v_mul_f32_e32 v11, v9, v9
	v_mov_b32_e32 v12, 0xbf1f24be
	v_fmac_f32_e32 v12, 0x3e75aa41, v11
	v_mov_b32_e32 v13, 0x40234736
	v_fmac_f32_e32 v13, v11, v12
	;; [unrolled: 2-line block ×3, first 2 shown]
	v_mul_f32_e32 v13, v9, v11
	v_mul_f32_e32 v12, v13, v12
	v_fmac_f32_e32 v12, 0x40490fdb, v9
	v_mov_b32_e32 v9, 0x3e642e9d
	v_cvt_i32_f32_e32 v10, v10
	v_fmac_f32_e32 v9, 0x3d4be544, v11
	v_mov_b32_e32 v13, 0xbfaad1da
	v_fmac_f32_e32 v13, v11, v9
	v_mov_b32_e32 v9, 0x4081e0d3
	;; [unrolled: 2-line block ×3, first 2 shown]
	v_fmac_f32_e32 v13, v11, v9
	v_fma_f32 v9, v11, v13, 1.0
	v_and_b32_e32 v11, 1, v10
	v_cmp_eq_u32_e64 s[4:5], 0, v11
	v_cndmask_b32_e64 v9, v9, v12, s[4:5]
	v_lshlrev_b32_e32 v10, 30, v10
	s_brev_b32 s4, 1
	v_and_or_b32 v8, v10, s4, v8
	v_xor_b32_e32 v8, v8, v9
	v_xor_b32_e32 v8, v8, v6
	v_mul_f32_e32 v8, v6, v8
	v_frexp_mant_f32_e64 v9, |v8|
	v_rcp_f32_e32 v9, v9
	v_frexp_exp_i32_f32_e32 v8, v8
	v_sub_u32_e32 v8, 2, v8
	s_mov_b32 s4, 0x800000
	v_mul_f32_e32 v9, 0x3f490fdb, v9
	v_ldexp_f32 v8, v9, v8
	v_cmp_gt_f32_e64 s[4:5], s4, v8
	v_cndmask_b32_e64 v9, 0, 32, s[4:5]
	v_ldexp_f32 v8, v8, v9
	v_log_f32_e32 v8, v8
	s_mov_b32 s9, 0x3f317217
	v_mul_f32_e32 v9, 0x3f317217, v8
	v_fma_f32 v10, v8, s9, -v9
	v_fmac_f32_e32 v10, 0x3377d1cf, v8
	v_add_f32_e32 v9, v9, v10
	v_cmp_lt_f32_e64 s[8:9], |v8|, s8
	v_cndmask_b32_e64 v8, v8, v9, s[8:9]
	v_mov_b32_e32 v9, 0x41b17218
	v_cndmask_b32_e64 v9, 0, v9, s[4:5]
	v_sub_f32_e32 v8, v8, v9
	v_sub_f32_e32 v7, v8, v7
	v_floor_f32_e32 v8, v6
	v_sub_f32_e32 v8, v6, v8
	v_min_f32_e32 v8, 0x3f7fffff, v8
	v_mov_b32_e32 v9, 0x7f800000
	v_cmp_neq_f32_e64 s[4:5], 0, v8
	v_cndmask_b32_e64 v7, v9, v7, s[4:5]
.LBB159_38:
	s_or_b64 exec, exec, s[12:13]
.LBB159_39:
	s_andn2_saveexec_b64 s[10:11], s[10:11]
; %bb.40:
	v_cmp_eq_f32_e64 s[4:5], 1.0, v6
	v_cmp_eq_f32_e64 s[8:9], 2.0, v6
	s_or_b64 s[4:5], s[4:5], s[8:9]
	v_cndmask_b32_e64 v7, v7, 0, s[4:5]
; %bb.41:
	s_or_b64 exec, exec, s[10:11]
	v_and_b32_e32 v3, 0xffff0000, v3
	s_mov_b32 s4, 0x3c800000
	v_and_b32_e32 v9, 0x7fffffff, v3
	v_cmp_nlt_f32_e64 s[4:5], |v3|, s4
                                        ; implicit-def: $vgpr8
	s_and_saveexec_b64 s[8:9], s[4:5]
	s_xor_b64 s[10:11], exec, s[8:9]
	s_cbranch_execz .LBB159_71
; %bb.42:
	v_cmp_nlt_f32_e64 s[4:5], |v3|, 2.0
                                        ; implicit-def: $vgpr8
	s_and_saveexec_b64 s[8:9], s[4:5]
	s_xor_b64 s[12:13], exec, s[8:9]
	s_cbranch_execz .LBB159_52
; %bb.43:
	s_mov_b32 s4, 0x41000000
	v_cmp_nlt_f32_e64 s[4:5], |v3|, s4
                                        ; implicit-def: $vgpr8
	s_and_saveexec_b64 s[8:9], s[4:5]
	s_xor_b64 s[14:15], exec, s[8:9]
	s_cbranch_execz .LBB159_49
; %bb.44:
	s_mov_b32 s4, 0x5c800000
	v_cmp_nlt_f32_e64 s[4:5], |v3|, s4
                                        ; implicit-def: $vgpr8
	s_and_saveexec_b64 s[8:9], s[4:5]
	s_xor_b64 s[16:17], exec, s[8:9]
	s_cbranch_execz .LBB159_46
; %bb.45:
	s_mov_b32 s4, 0x800000
	v_cmp_lt_f32_e64 s[4:5], |v3|, s4
	v_cndmask_b32_e64 v8, 0, 32, s[4:5]
	v_ldexp_f32 v8, |v3|, v8
	v_log_f32_e32 v8, v8
	s_mov_b32 s8, 0x3f317217
	s_mov_b32 s9, 0x7f800000
	v_mul_f32_e32 v10, 0x3f317217, v8
	v_fma_f32 v11, v8, s8, -v10
	v_fmac_f32_e32 v11, 0x3377d1cf, v8
	v_add_f32_e32 v10, v10, v11
	v_cmp_lt_f32_e64 s[8:9], |v8|, s9
	v_cndmask_b32_e64 v8, v8, v10, s[8:9]
	v_mov_b32_e32 v10, 0x41b17218
	v_cndmask_b32_e64 v10, 0, v10, s[4:5]
	v_sub_f32_e32 v8, v8, v10
	v_fma_f32 v8, |v3|, v8, -|v3|
.LBB159_46:
	s_andn2_saveexec_b64 s[16:17], s[16:17]
	s_cbranch_execz .LBB159_48
; %bb.47:
	v_rcp_f32_e64 v10, |v3|
	v_mov_b32_e32 v8, 0x3a5b3dd2
	v_mov_b32_e32 v11, 0xba1c065c
	;; [unrolled: 1-line block ×3, first 2 shown]
	v_mul_f32_e32 v13, v10, v10
	v_fmac_f32_e32 v8, 0xbad5c4e8, v13
	v_fmac_f32_e32 v11, v13, v8
	s_mov_b32 s4, 0x800000
	v_fmac_f32_e32 v12, v13, v11
	v_mov_b32_e32 v8, 0xbb360b61
	v_cmp_lt_f32_e64 s[4:5], |v3|, s4
	v_fmac_f32_e32 v8, v13, v12
	v_cndmask_b32_e64 v12, 0, 32, s[4:5]
	v_ldexp_f32 v12, |v3|, v12
	v_log_f32_e32 v12, v12
	v_mov_b32_e32 v11, 0x3daaaaab
	v_fmac_f32_e32 v11, v13, v8
	v_mov_b32_e32 v8, 0x3ed67f1d
	v_fmac_f32_e32 v8, v10, v11
	s_mov_b32 s8, 0x3f317217
	v_mul_f32_e32 v11, 0x3f317217, v12
	v_fma_f32 v13, v12, s8, -v11
	v_fmac_f32_e32 v13, 0x3377d1cf, v12
	s_mov_b32 s8, 0x7f800000
	v_add_f32_e32 v11, v11, v13
	v_cmp_lt_f32_e64 s[8:9], |v12|, s8
	v_cndmask_b32_e64 v11, v12, v11, s[8:9]
	v_mov_b32_e32 v12, 0x41b17218
	v_cndmask_b32_e64 v12, 0, v12, s[4:5]
	v_sub_f32_e32 v11, v11, v12
	v_add_f32_e64 v10, |v3|, -0.5
	v_add_f32_e32 v11, -1.0, v11
	v_fmac_f32_e32 v8, v10, v11
.LBB159_48:
	s_or_b64 exec, exec, s[16:17]
.LBB159_49:
	s_andn2_saveexec_b64 s[14:15], s[14:15]
	s_cbranch_execz .LBB159_51
; %bb.50:
	v_cvt_i32_f32_e32 v8, v9
	v_mov_b32_e32 v10, 0x3af135b4
	v_mov_b32_e32 v11, 0x3cda40e4
	;; [unrolled: 1-line block ×3, first 2 shown]
	v_cvt_f32_i32_e32 v13, v8
	v_mov_b32_e32 v14, 0x3ea6cc7a
	v_mov_b32_e32 v15, 0x3e5c245a
	v_cmp_lt_i32_e64 s[4:5], 2, v8
	v_sub_f32_e64 v13, |v3|, v13
	v_fmac_f32_e32 v10, 0x3805ff67, v13
	v_fmac_f32_e32 v11, v13, v10
	;; [unrolled: 1-line block ×3, first 2 shown]
	v_mov_b32_e32 v11, 0x3a4beed6
	v_fmac_f32_e32 v14, v13, v12
	v_fmac_f32_e32 v11, 0x36f5d7bd, v13
	v_mov_b32_e32 v12, 0x3c98bf54
	v_fmac_f32_e32 v12, v13, v11
	v_mov_b32_e32 v11, 0x3e300f6e
	;; [unrolled: 2-line block ×4, first 2 shown]
	v_fmac_f32_e32 v11, v13, v12
	v_add_f32_e32 v12, 2.0, v13
	v_mov_b32_e32 v16, 0xbd9e233f
	v_fmac_f32_e32 v15, v13, v14
	v_add_f32_e32 v14, 0x40400000, v13
	v_cndmask_b32_e64 v12, 1.0, v12, s[4:5]
	v_cmp_lt_i32_e64 s[4:5], 3, v8
	v_fmac_f32_e32 v16, v13, v15
	v_add_f32_e32 v15, 4.0, v13
	v_cndmask_b32_e64 v14, 1.0, v14, s[4:5]
	v_cmp_lt_i32_e64 s[4:5], 4, v8
	v_mul_f32_e32 v10, v13, v16
	v_add_f32_e32 v16, 0x40a00000, v13
	v_mul_f32_e32 v12, v12, v14
	v_cndmask_b32_e64 v14, 1.0, v15, s[4:5]
	v_cmp_lt_i32_e64 s[4:5], 5, v8
	v_add_f32_e32 v17, 0x40c00000, v13
	v_mul_f32_e32 v12, v14, v12
	v_cndmask_b32_e64 v14, 1.0, v16, s[4:5]
	v_cmp_lt_i32_e64 s[4:5], 6, v8
	v_mul_f32_e32 v12, v14, v12
	v_cndmask_b32_e64 v8, 1.0, v17, s[4:5]
	v_mul_f32_e32 v8, v8, v12
	s_mov_b32 s4, 0x800000
	v_cmp_gt_f32_e64 s[4:5], s4, v8
	v_cndmask_b32_e64 v12, 0, 32, s[4:5]
	v_fma_f32 v11, v13, v11, 1.0
	v_ldexp_f32 v8, v8, v12
	v_rcp_f32_e32 v11, v11
	v_log_f32_e32 v8, v8
	s_mov_b32 s8, 0x3f317217
	v_mul_f32_e32 v10, v10, v11
	v_mul_f32_e32 v11, 0x3f317217, v8
	v_fma_f32 v12, v8, s8, -v11
	v_fmac_f32_e32 v12, 0x3377d1cf, v8
	s_mov_b32 s8, 0x7f800000
	v_add_f32_e32 v11, v11, v12
	v_cmp_lt_f32_e64 s[8:9], |v8|, s8
	v_cndmask_b32_e64 v8, v8, v11, s[8:9]
	v_mov_b32_e32 v11, 0x41b17218
	v_cndmask_b32_e64 v11, 0, v11, s[4:5]
	v_fmac_f32_e32 v10, 0.5, v13
	v_sub_f32_e32 v8, v8, v11
	v_add_f32_e32 v8, v8, v10
.LBB159_51:
	s_or_b64 exec, exec, s[14:15]
.LBB159_52:
	s_andn2_saveexec_b64 s[12:13], s[12:13]
	s_cbranch_execz .LBB159_70
; %bb.53:
	s_mov_b32 s4, 0x3f666666
	v_cmp_le_f32_e64 s[4:5], |v3|, s4
                                        ; implicit-def: $vgpr8
                                        ; implicit-def: $vgpr11
                                        ; implicit-def: $vgpr10
	s_and_saveexec_b64 s[8:9], s[4:5]
	s_xor_b64 s[14:15], exec, s[8:9]
	s_cbranch_execz .LBB159_55
; %bb.54:
	s_mov_b32 s4, 0x800000
	v_cmp_lt_f32_e64 s[4:5], |v3|, s4
	v_cndmask_b32_e64 v8, 0, 32, s[4:5]
	v_ldexp_f32 v8, |v3|, v8
	v_log_f32_e32 v8, v8
	s_mov_b32 s8, 0x3f317217
	s_mov_b32 s9, 0x7f800000
	v_mul_f32_e32 v10, 0x3f317217, v8
	v_fma_f32 v11, v8, s8, -v10
	v_fmac_f32_e32 v11, 0x3377d1cf, v8
	v_add_f32_e32 v10, v10, v11
	v_cmp_lt_f32_e64 s[8:9], |v8|, s9
	v_cndmask_b32_e64 v8, v8, v10, s[8:9]
	v_mov_b32_e32 v10, 0x41b17218
	v_cndmask_b32_e64 v10, 0, v10, s[4:5]
	s_mov_b32 s4, 0x3f3b4a23
	s_mov_b32 s5, 0xbeec5b0c
	v_sub_f32_e32 v8, v8, v10
	v_sub_f32_e64 v10, 1.0, |v3|
	v_add_f32_e64 v11, |v3|, s5
	v_cmp_lt_f32_e64 s[4:5], |v3|, s4
	v_cndmask_b32_e64 v10, v10, v11, s[4:5]
	v_cndmask_b32_e64 v11, 0, 1, s[4:5]
	s_mov_b32 s4, 0x3e6d3309
	v_cmp_lt_f32_e64 s[4:5], |v3|, s4
	v_xor_b32_e32 v8, 0x80000000, v8
	v_cndmask_b32_e64 v10, v10, |v3|, s[4:5]
	v_cndmask_b32_e64 v11, v11, 2, s[4:5]
.LBB159_55:
	s_andn2_saveexec_b64 s[8:9], s[14:15]
	s_cbranch_execz .LBB159_57
; %bb.56:
	s_mov_b32 s4, 0x3fdda512
	s_mov_b32 s5, 0xbfbb16c3
	v_sub_f32_e64 v8, 2.0, |v3|
	v_add_f32_e64 v10, |v3|, s5
	v_cmp_lt_f32_e64 s[4:5], |v3|, s4
	v_cndmask_b32_e64 v10, v8, v10, s[4:5]
	v_cndmask_b32_e64 v8, v8, 1.0, s[4:5]
	v_cvt_i32_f32_e32 v8, v8
	s_mov_b32 s4, 0x3f9d70a4
	v_add_f32_e64 v11, |v3|, -1.0
	v_cmp_lt_f32_e64 s[4:5], |v3|, s4
	v_cndmask_b32_e64 v10, v10, v11, s[4:5]
	v_cndmask_b32_e64 v11, v8, 2, s[4:5]
	v_mov_b32_e32 v8, 0
.LBB159_57:
	s_or_b64 exec, exec, s[8:9]
	v_cmp_lt_i32_e64 s[4:5], 0, v11
	s_and_saveexec_b64 s[8:9], s[4:5]
	s_xor_b64 s[8:9], exec, s[8:9]
	s_cbranch_execz .LBB159_65
; %bb.58:
	v_cmp_lt_i32_e64 s[4:5], 1, v11
	s_and_saveexec_b64 s[14:15], s[4:5]
	s_xor_b64 s[14:15], exec, s[14:15]
	s_cbranch_execz .LBB159_62
; %bb.59:
	v_cmp_eq_u32_e64 s[4:5], 2, v11
	s_and_saveexec_b64 s[16:17], s[4:5]
	s_cbranch_execz .LBB159_61
; %bb.60:
	v_mov_b32_e32 v11, 0x3e6a7578
	v_fmac_f32_e32 v11, 0x3c5b3c5e, v10
	v_mov_b32_e32 v12, 0x3f7a4bb2
	v_fmac_f32_e32 v12, v10, v11
	;; [unrolled: 2-line block ×8, first 2 shown]
	v_fma_f32 v11, v10, v13, 1.0
	v_rcp_f32_e32 v11, v11
	v_mov_b32_e32 v13, 0xbd9e233f
	v_fmac_f32_e32 v13, v10, v12
	v_mul_f32_e32 v12, v10, v13
	v_mul_f32_e32 v11, v12, v11
	v_fmac_f32_e32 v11, -0.5, v10
	v_add_f32_e32 v8, v8, v11
.LBB159_61:
	s_or_b64 exec, exec, s[16:17]
                                        ; implicit-def: $vgpr10
.LBB159_62:
	s_andn2_saveexec_b64 s[4:5], s[14:15]
	s_cbranch_execz .LBB159_64
; %bb.63:
	v_mul_f32_e32 v11, v10, v10
	v_mul_f32_e32 v12, v10, v11
	v_mov_b32_e32 v13, 0xbab7f476
	v_fmac_f32_e32 v13, 0x39a57b6b, v12
	v_mov_b32_e32 v14, 0x3bc7e707
	v_fmac_f32_e32 v14, v12, v13
	;; [unrolled: 2-line block ×12, first 2 shown]
	v_fmac_f32_e32 v15, v10, v16
	s_mov_b32 s14, 0xa2863e55
	v_fma_f32 v10, v12, -v15, s14
	v_fma_f32 v10, v11, v14, -v10
	v_add_f32_e32 v10, 0xbdf8cdce, v10
	v_add_f32_e32 v8, v8, v10
.LBB159_64:
	s_or_b64 exec, exec, s[4:5]
                                        ; implicit-def: $vgpr11
                                        ; implicit-def: $vgpr10
.LBB159_65:
	s_andn2_saveexec_b64 s[8:9], s[8:9]
	s_cbranch_execz .LBB159_69
; %bb.66:
	v_cmp_eq_u32_e64 s[4:5], 0, v11
	s_and_saveexec_b64 s[14:15], s[4:5]
	s_cbranch_execz .LBB159_68
; %bb.67:
	v_mul_f32_e32 v11, v10, v10
	v_mov_b32_e32 v12, 0x39679767
	v_fmac_f32_e32 v12, 0x37d383a2, v11
	v_mov_b32_e32 v13, 0x3a9c54a1
	v_fmac_f32_e32 v13, v11, v12
	;; [unrolled: 2-line block ×10, first 2 shown]
	v_mul_f32_e32 v11, v11, v13
	v_fmac_f32_e32 v11, v10, v12
	v_fmac_f32_e32 v11, -0.5, v10
	v_add_f32_e32 v8, v8, v11
.LBB159_68:
	s_or_b64 exec, exec, s[14:15]
.LBB159_69:
	s_or_b64 exec, exec, s[8:9]
.LBB159_70:
	s_or_b64 exec, exec, s[12:13]
.LBB159_71:
	s_andn2_saveexec_b64 s[10:11], s[10:11]
	s_cbranch_execz .LBB159_73
; %bb.72:
	s_mov_b32 s4, 0x3e8a8991
	v_mov_b32_e32 v8, 0xbecd26ab
	v_fma_f32 v8, |v3|, s4, v8
	s_mov_b32 s4, 0x3f528d33
	v_fma_f32 v8, |v3|, v8, s4
	s_mov_b32 s4, 0x800000
	v_cmp_lt_f32_e64 s[4:5], |v3|, s4
	v_cndmask_b32_e64 v10, 0, 32, s[4:5]
	v_ldexp_f32 v10, |v3|, v10
	v_log_f32_e32 v10, v10
	s_mov_b32 s8, 0xbf13c468
	v_fma_f32 v8, |v3|, v8, s8
	s_mov_b32 s8, 0x3f317217
	v_mul_f32_e32 v11, 0x3f317217, v10
	v_fma_f32 v12, v10, s8, -v11
	v_fmac_f32_e32 v12, 0x3377d1cf, v10
	s_mov_b32 s8, 0x7f800000
	v_add_f32_e32 v11, v11, v12
	v_cmp_lt_f32_e64 s[8:9], |v10|, s8
	v_cndmask_b32_e64 v10, v10, v11, s[8:9]
	v_mov_b32_e32 v11, 0x41b17218
	v_cndmask_b32_e64 v11, 0, v11, s[4:5]
	v_sub_f32_e32 v10, v10, v11
	v_fma_f32 v8, |v3|, v8, -v10
.LBB159_73:
	s_or_b64 exec, exec, s[10:11]
	v_cmp_le_f32_e64 s[4:5], 0, v3
	v_cmp_nle_f32_e64 s[8:9], 0, v3
	s_and_saveexec_b64 s[10:11], s[8:9]
	s_xor_b64 s[12:13], exec, s[10:11]
	s_cbranch_execz .LBB159_77
; %bb.74:
	s_mov_b32 s8, 0x4b000000
	s_mov_b32 s10, 0x35000000
	v_cmp_lt_f32_e64 s[8:9], |v3|, s8
	v_cmp_gt_f32_e64 s[10:11], |v3|, s10
	s_and_b64 s[8:9], s[8:9], s[10:11]
	s_and_saveexec_b64 s[14:15], s[8:9]
	s_cbranch_execz .LBB159_76
; %bb.75:
	v_mul_f32_e64 v10, |v3|, 0.5
	v_floor_f32_e32 v11, v10
	v_sub_f32_e32 v11, v10, v11
	v_min_f32_e32 v11, 0x3f7fffff, v11
	s_mov_b32 s10, 0x7f800000
	v_add_f32_e32 v11, v11, v11
	v_cmp_neq_f32_e64 s[8:9], s10, v10
	v_cndmask_b32_e64 v10, 0, v11, s[8:9]
	v_cmp_gt_f32_e64 s[8:9], |v3|, 1.0
	v_cndmask_b32_e64 v10, |v3|, v10, s[8:9]
	v_add_f32_e32 v11, v10, v10
	v_rndne_f32_e32 v11, v11
	v_fmac_f32_e32 v10, -0.5, v11
	v_mul_f32_e32 v12, v10, v10
	v_mov_b32_e32 v13, 0xbf1f24be
	v_fmac_f32_e32 v13, 0x3e75aa41, v12
	v_mov_b32_e32 v14, 0x40234736
	v_fmac_f32_e32 v14, v12, v13
	;; [unrolled: 2-line block ×3, first 2 shown]
	v_mul_f32_e32 v14, v10, v12
	v_mul_f32_e32 v13, v14, v13
	v_fmac_f32_e32 v13, 0x40490fdb, v10
	v_mov_b32_e32 v10, 0x3e642e9d
	v_cvt_i32_f32_e32 v11, v11
	v_fmac_f32_e32 v10, 0x3d4be544, v12
	v_mov_b32_e32 v14, 0xbfaad1da
	v_fmac_f32_e32 v14, v12, v10
	v_mov_b32_e32 v10, 0x4081e0d3
	;; [unrolled: 2-line block ×3, first 2 shown]
	v_fmac_f32_e32 v14, v12, v10
	v_fma_f32 v10, v12, v14, 1.0
	v_and_b32_e32 v12, 1, v11
	v_cmp_eq_u32_e64 s[8:9], 0, v12
	v_cndmask_b32_e64 v10, v10, v13, s[8:9]
	v_lshlrev_b32_e32 v11, 30, v11
	s_brev_b32 s8, 1
	v_and_or_b32 v9, v11, s8, v9
	v_xor_b32_e32 v9, v9, v10
	v_xor_b32_e32 v9, v9, v3
	v_mul_f32_e32 v9, v3, v9
	v_frexp_mant_f32_e64 v10, |v9|
	v_rcp_f32_e32 v10, v10
	v_frexp_exp_i32_f32_e32 v9, v9
	v_sub_u32_e32 v9, 2, v9
	s_mov_b32 s8, 0x800000
	v_mul_f32_e32 v10, 0x3f490fdb, v10
	v_ldexp_f32 v9, v10, v9
	v_cmp_gt_f32_e64 s[8:9], s8, v9
	v_cndmask_b32_e64 v10, 0, 32, s[8:9]
	v_ldexp_f32 v9, v9, v10
	v_log_f32_e32 v9, v9
	s_mov_b32 s11, 0x3f317217
	v_mul_f32_e32 v10, 0x3f317217, v9
	v_fma_f32 v11, v9, s11, -v10
	v_fmac_f32_e32 v11, 0x3377d1cf, v9
	v_add_f32_e32 v10, v10, v11
	v_cmp_lt_f32_e64 s[10:11], |v9|, s10
	v_cndmask_b32_e64 v9, v9, v10, s[10:11]
	v_mov_b32_e32 v10, 0x41b17218
	v_cndmask_b32_e64 v10, 0, v10, s[8:9]
	v_sub_f32_e32 v9, v9, v10
	v_sub_f32_e32 v8, v9, v8
	v_floor_f32_e32 v9, v3
	v_sub_f32_e32 v9, v3, v9
	v_min_f32_e32 v9, 0x3f7fffff, v9
	v_mov_b32_e32 v10, 0x7f800000
	v_cmp_neq_f32_e64 s[8:9], 0, v9
	v_cndmask_b32_e64 v8, v10, v8, s[8:9]
.LBB159_76:
	s_or_b64 exec, exec, s[14:15]
.LBB159_77:
	s_andn2_saveexec_b64 s[12:13], s[12:13]
; %bb.78:
	v_cmp_eq_f32_e64 s[8:9], 1.0, v3
	v_cmp_eq_f32_e64 s[10:11], 2.0, v3
	s_or_b64 s[8:9], s[8:9], s[10:11]
	v_cndmask_b32_e64 v8, v8, 0, s[8:9]
; %bb.79:
	s_or_b64 exec, exec, s[12:13]
	v_lshlrev_b32_e32 v9, 16, v4
	s_mov_b32 s8, 0x3c800000
	v_and_b32_e32 v11, 0x7fffffff, v9
	v_cmp_nlt_f32_e64 s[8:9], |v9|, s8
                                        ; implicit-def: $vgpr10
	s_and_saveexec_b64 s[10:11], s[8:9]
	s_xor_b64 s[12:13], exec, s[10:11]
	s_cbranch_execz .LBB159_109
; %bb.80:
	v_cmp_nlt_f32_e64 s[8:9], |v9|, 2.0
                                        ; implicit-def: $vgpr10
	s_and_saveexec_b64 s[10:11], s[8:9]
	s_xor_b64 s[14:15], exec, s[10:11]
	s_cbranch_execz .LBB159_90
; %bb.81:
	s_mov_b32 s8, 0x41000000
	v_cmp_nlt_f32_e64 s[8:9], |v9|, s8
                                        ; implicit-def: $vgpr10
	s_and_saveexec_b64 s[10:11], s[8:9]
	s_xor_b64 s[16:17], exec, s[10:11]
	s_cbranch_execz .LBB159_87
; %bb.82:
	s_mov_b32 s8, 0x5c800000
	v_cmp_nlt_f32_e64 s[8:9], |v9|, s8
                                        ; implicit-def: $vgpr10
	s_and_saveexec_b64 s[10:11], s[8:9]
	s_xor_b64 s[18:19], exec, s[10:11]
	s_cbranch_execz .LBB159_84
; %bb.83:
	s_mov_b32 s8, 0x800000
	v_cmp_lt_f32_e64 s[8:9], |v9|, s8
	v_cndmask_b32_e64 v10, 0, 32, s[8:9]
	v_ldexp_f32 v10, |v9|, v10
	v_log_f32_e32 v10, v10
	s_mov_b32 s10, 0x3f317217
	s_mov_b32 s11, 0x7f800000
	v_mul_f32_e32 v12, 0x3f317217, v10
	v_fma_f32 v13, v10, s10, -v12
	v_fmac_f32_e32 v13, 0x3377d1cf, v10
	v_add_f32_e32 v12, v12, v13
	v_cmp_lt_f32_e64 s[10:11], |v10|, s11
	v_cndmask_b32_e64 v10, v10, v12, s[10:11]
	v_mov_b32_e32 v12, 0x41b17218
	v_cndmask_b32_e64 v12, 0, v12, s[8:9]
	v_sub_f32_e32 v10, v10, v12
	v_fma_f32 v10, |v9|, v10, -|v9|
.LBB159_84:
	s_andn2_saveexec_b64 s[18:19], s[18:19]
	s_cbranch_execz .LBB159_86
; %bb.85:
	v_rcp_f32_e64 v12, |v9|
	v_mov_b32_e32 v10, 0x3a5b3dd2
	v_mov_b32_e32 v13, 0xba1c065c
	;; [unrolled: 1-line block ×3, first 2 shown]
	v_mul_f32_e32 v15, v12, v12
	v_fmac_f32_e32 v10, 0xbad5c4e8, v15
	v_fmac_f32_e32 v13, v15, v10
	s_mov_b32 s8, 0x800000
	v_fmac_f32_e32 v14, v15, v13
	v_mov_b32_e32 v10, 0xbb360b61
	v_cmp_lt_f32_e64 s[8:9], |v9|, s8
	v_fmac_f32_e32 v10, v15, v14
	v_cndmask_b32_e64 v14, 0, 32, s[8:9]
	v_ldexp_f32 v14, |v9|, v14
	v_log_f32_e32 v14, v14
	v_mov_b32_e32 v13, 0x3daaaaab
	v_fmac_f32_e32 v13, v15, v10
	v_mov_b32_e32 v10, 0x3ed67f1d
	v_fmac_f32_e32 v10, v12, v13
	s_mov_b32 s10, 0x3f317217
	v_mul_f32_e32 v13, 0x3f317217, v14
	v_fma_f32 v15, v14, s10, -v13
	v_fmac_f32_e32 v15, 0x3377d1cf, v14
	s_mov_b32 s10, 0x7f800000
	v_add_f32_e32 v13, v13, v15
	v_cmp_lt_f32_e64 s[10:11], |v14|, s10
	v_cndmask_b32_e64 v13, v14, v13, s[10:11]
	v_mov_b32_e32 v14, 0x41b17218
	v_cndmask_b32_e64 v14, 0, v14, s[8:9]
	v_sub_f32_e32 v13, v13, v14
	v_add_f32_e64 v12, |v9|, -0.5
	v_add_f32_e32 v13, -1.0, v13
	v_fmac_f32_e32 v10, v12, v13
.LBB159_86:
	s_or_b64 exec, exec, s[18:19]
.LBB159_87:
	s_andn2_saveexec_b64 s[16:17], s[16:17]
	s_cbranch_execz .LBB159_89
; %bb.88:
	v_cvt_i32_f32_e32 v10, v11
	v_mov_b32_e32 v12, 0x3af135b4
	v_mov_b32_e32 v13, 0x3cda40e4
	;; [unrolled: 1-line block ×3, first 2 shown]
	v_cvt_f32_i32_e32 v15, v10
	v_mov_b32_e32 v16, 0x3ea6cc7a
	v_mov_b32_e32 v17, 0x3e5c245a
	v_cmp_lt_i32_e64 s[8:9], 2, v10
	v_sub_f32_e64 v15, |v9|, v15
	v_fmac_f32_e32 v12, 0x3805ff67, v15
	v_fmac_f32_e32 v13, v15, v12
	v_fmac_f32_e32 v14, v15, v13
	v_mov_b32_e32 v13, 0x3a4beed6
	v_fmac_f32_e32 v16, v15, v14
	v_fmac_f32_e32 v13, 0x36f5d7bd, v15
	v_mov_b32_e32 v14, 0x3c98bf54
	v_fmac_f32_e32 v14, v15, v13
	v_mov_b32_e32 v13, 0x3e300f6e
	;; [unrolled: 2-line block ×4, first 2 shown]
	v_fmac_f32_e32 v13, v15, v14
	v_add_f32_e32 v14, 2.0, v15
	v_mov_b32_e32 v18, 0xbd9e233f
	v_fmac_f32_e32 v17, v15, v16
	v_add_f32_e32 v16, 0x40400000, v15
	v_cndmask_b32_e64 v14, 1.0, v14, s[8:9]
	v_cmp_lt_i32_e64 s[8:9], 3, v10
	v_fmac_f32_e32 v18, v15, v17
	v_add_f32_e32 v17, 4.0, v15
	v_cndmask_b32_e64 v16, 1.0, v16, s[8:9]
	v_cmp_lt_i32_e64 s[8:9], 4, v10
	v_mul_f32_e32 v12, v15, v18
	v_add_f32_e32 v18, 0x40a00000, v15
	v_mul_f32_e32 v14, v14, v16
	v_cndmask_b32_e64 v16, 1.0, v17, s[8:9]
	v_cmp_lt_i32_e64 s[8:9], 5, v10
	v_add_f32_e32 v19, 0x40c00000, v15
	v_mul_f32_e32 v14, v16, v14
	v_cndmask_b32_e64 v16, 1.0, v18, s[8:9]
	v_cmp_lt_i32_e64 s[8:9], 6, v10
	v_mul_f32_e32 v14, v16, v14
	v_cndmask_b32_e64 v10, 1.0, v19, s[8:9]
	v_mul_f32_e32 v10, v10, v14
	s_mov_b32 s8, 0x800000
	v_cmp_gt_f32_e64 s[8:9], s8, v10
	v_cndmask_b32_e64 v14, 0, 32, s[8:9]
	v_fma_f32 v13, v15, v13, 1.0
	v_ldexp_f32 v10, v10, v14
	v_rcp_f32_e32 v13, v13
	v_log_f32_e32 v10, v10
	s_mov_b32 s10, 0x3f317217
	v_mul_f32_e32 v12, v12, v13
	v_mul_f32_e32 v13, 0x3f317217, v10
	v_fma_f32 v14, v10, s10, -v13
	v_fmac_f32_e32 v14, 0x3377d1cf, v10
	s_mov_b32 s10, 0x7f800000
	v_add_f32_e32 v13, v13, v14
	v_cmp_lt_f32_e64 s[10:11], |v10|, s10
	v_cndmask_b32_e64 v10, v10, v13, s[10:11]
	v_mov_b32_e32 v13, 0x41b17218
	v_cndmask_b32_e64 v13, 0, v13, s[8:9]
	v_fmac_f32_e32 v12, 0.5, v15
	v_sub_f32_e32 v10, v10, v13
	v_add_f32_e32 v10, v10, v12
.LBB159_89:
	s_or_b64 exec, exec, s[16:17]
.LBB159_90:
	s_andn2_saveexec_b64 s[14:15], s[14:15]
	s_cbranch_execz .LBB159_108
; %bb.91:
	s_mov_b32 s8, 0x3f666666
	v_cmp_le_f32_e64 s[8:9], |v9|, s8
                                        ; implicit-def: $vgpr10
                                        ; implicit-def: $vgpr13
                                        ; implicit-def: $vgpr12
	s_and_saveexec_b64 s[10:11], s[8:9]
	s_xor_b64 s[16:17], exec, s[10:11]
	s_cbranch_execz .LBB159_93
; %bb.92:
	s_mov_b32 s8, 0x800000
	v_cmp_lt_f32_e64 s[8:9], |v9|, s8
	v_cndmask_b32_e64 v10, 0, 32, s[8:9]
	v_ldexp_f32 v10, |v9|, v10
	v_log_f32_e32 v10, v10
	s_mov_b32 s10, 0x3f317217
	s_mov_b32 s11, 0x7f800000
	v_mul_f32_e32 v12, 0x3f317217, v10
	v_fma_f32 v13, v10, s10, -v12
	v_fmac_f32_e32 v13, 0x3377d1cf, v10
	v_add_f32_e32 v12, v12, v13
	v_cmp_lt_f32_e64 s[10:11], |v10|, s11
	v_cndmask_b32_e64 v10, v10, v12, s[10:11]
	v_mov_b32_e32 v12, 0x41b17218
	v_cndmask_b32_e64 v12, 0, v12, s[8:9]
	s_mov_b32 s8, 0x3f3b4a23
	s_mov_b32 s9, 0xbeec5b0c
	v_sub_f32_e32 v10, v10, v12
	v_sub_f32_e64 v12, 1.0, |v9|
	v_add_f32_e64 v13, |v9|, s9
	v_cmp_lt_f32_e64 s[8:9], |v9|, s8
	v_cndmask_b32_e64 v12, v12, v13, s[8:9]
	v_cndmask_b32_e64 v13, 0, 1, s[8:9]
	s_mov_b32 s8, 0x3e6d3309
	v_cmp_lt_f32_e64 s[8:9], |v9|, s8
	v_xor_b32_e32 v10, 0x80000000, v10
	v_cndmask_b32_e64 v12, v12, |v9|, s[8:9]
	v_cndmask_b32_e64 v13, v13, 2, s[8:9]
.LBB159_93:
	s_andn2_saveexec_b64 s[10:11], s[16:17]
	s_cbranch_execz .LBB159_95
; %bb.94:
	s_mov_b32 s8, 0x3fdda512
	s_mov_b32 s9, 0xbfbb16c3
	v_sub_f32_e64 v10, 2.0, |v9|
	v_add_f32_e64 v12, |v9|, s9
	v_cmp_lt_f32_e64 s[8:9], |v9|, s8
	v_cndmask_b32_e64 v12, v10, v12, s[8:9]
	v_cndmask_b32_e64 v10, v10, 1.0, s[8:9]
	v_cvt_i32_f32_e32 v10, v10
	s_mov_b32 s8, 0x3f9d70a4
	v_add_f32_e64 v13, |v9|, -1.0
	v_cmp_lt_f32_e64 s[8:9], |v9|, s8
	v_cndmask_b32_e64 v12, v12, v13, s[8:9]
	v_cndmask_b32_e64 v13, v10, 2, s[8:9]
	v_mov_b32_e32 v10, 0
.LBB159_95:
	s_or_b64 exec, exec, s[10:11]
	v_cmp_lt_i32_e64 s[8:9], 0, v13
	s_and_saveexec_b64 s[10:11], s[8:9]
	s_xor_b64 s[10:11], exec, s[10:11]
	s_cbranch_execz .LBB159_103
; %bb.96:
	v_cmp_lt_i32_e64 s[8:9], 1, v13
	s_and_saveexec_b64 s[16:17], s[8:9]
	s_xor_b64 s[16:17], exec, s[16:17]
	s_cbranch_execz .LBB159_100
; %bb.97:
	v_cmp_eq_u32_e64 s[8:9], 2, v13
	s_and_saveexec_b64 s[18:19], s[8:9]
	s_cbranch_execz .LBB159_99
; %bb.98:
	v_mov_b32_e32 v13, 0x3e6a7578
	v_fmac_f32_e32 v13, 0x3c5b3c5e, v12
	v_mov_b32_e32 v14, 0x3f7a4bb2
	v_fmac_f32_e32 v14, v12, v13
	;; [unrolled: 2-line block ×8, first 2 shown]
	v_fma_f32 v13, v12, v15, 1.0
	v_rcp_f32_e32 v13, v13
	v_mov_b32_e32 v15, 0xbd9e233f
	v_fmac_f32_e32 v15, v12, v14
	v_mul_f32_e32 v14, v12, v15
	v_mul_f32_e32 v13, v14, v13
	v_fmac_f32_e32 v13, -0.5, v12
	v_add_f32_e32 v10, v10, v13
.LBB159_99:
	s_or_b64 exec, exec, s[18:19]
                                        ; implicit-def: $vgpr12
.LBB159_100:
	s_andn2_saveexec_b64 s[8:9], s[16:17]
	s_cbranch_execz .LBB159_102
; %bb.101:
	v_mul_f32_e32 v13, v12, v12
	v_mul_f32_e32 v14, v12, v13
	v_mov_b32_e32 v15, 0xbab7f476
	v_fmac_f32_e32 v15, 0x39a57b6b, v14
	v_mov_b32_e32 v16, 0x3bc7e707
	v_fmac_f32_e32 v16, v14, v15
	v_mov_b32_e32 v15, 0xbd064d47
	v_fmac_f32_e32 v15, v14, v16
	v_mov_b32_e32 v16, 0x3ef7b95e
	v_fmac_f32_e32 v16, v14, v15
	v_mov_b32_e32 v15, 0x3a66f867
	v_fmac_f32_e32 v15, 0xb9a3f927, v14
	v_mov_b32_e32 v17, 0xbb7177fe
	v_fmac_f32_e32 v17, v14, v15
	v_mov_b32_e32 v15, 0x3c93373d
	v_fmac_f32_e32 v15, v14, v17
	v_mov_b32_e32 v17, 0xbe17213c
	v_fmac_f32_e32 v17, v14, v15
	v_mov_b32_e32 v15, 0xba0d3085
	v_fmac_f32_e32 v15, 0x39afe9f7, v14
	v_mov_b32_e32 v18, 0x3b141699
	v_fmac_f32_e32 v18, v14, v15
	v_mov_b32_e32 v15, 0xbc28fcfe
	v_fmac_f32_e32 v15, v14, v18
	v_mov_b32_e32 v18, 0x3d845a15
	v_fmac_f32_e32 v18, v14, v15
	v_fmac_f32_e32 v17, v12, v18
	s_mov_b32 s16, 0xa2863e55
	v_fma_f32 v12, v14, -v17, s16
	v_fma_f32 v12, v13, v16, -v12
	v_add_f32_e32 v12, 0xbdf8cdce, v12
	v_add_f32_e32 v10, v10, v12
.LBB159_102:
	s_or_b64 exec, exec, s[8:9]
                                        ; implicit-def: $vgpr13
                                        ; implicit-def: $vgpr12
.LBB159_103:
	s_andn2_saveexec_b64 s[10:11], s[10:11]
	s_cbranch_execz .LBB159_107
; %bb.104:
	v_cmp_eq_u32_e64 s[8:9], 0, v13
	s_and_saveexec_b64 s[16:17], s[8:9]
	s_cbranch_execz .LBB159_106
; %bb.105:
	v_mul_f32_e32 v13, v12, v12
	v_mov_b32_e32 v14, 0x39679767
	v_fmac_f32_e32 v14, 0x37d383a2, v13
	v_mov_b32_e32 v15, 0x3a9c54a1
	v_fmac_f32_e32 v15, v13, v14
	;; [unrolled: 2-line block ×10, first 2 shown]
	v_mul_f32_e32 v13, v13, v15
	v_fmac_f32_e32 v13, v12, v14
	v_fmac_f32_e32 v13, -0.5, v12
	v_add_f32_e32 v10, v10, v13
.LBB159_106:
	s_or_b64 exec, exec, s[16:17]
.LBB159_107:
	s_or_b64 exec, exec, s[10:11]
.LBB159_108:
	s_or_b64 exec, exec, s[14:15]
.LBB159_109:
	s_andn2_saveexec_b64 s[12:13], s[12:13]
	s_cbranch_execz .LBB159_111
; %bb.110:
	s_mov_b32 s8, 0x3e8a8991
	v_mov_b32_e32 v10, 0xbecd26ab
	v_fma_f32 v10, |v9|, s8, v10
	s_mov_b32 s8, 0x3f528d33
	v_fma_f32 v10, |v9|, v10, s8
	s_mov_b32 s8, 0x800000
	v_cmp_lt_f32_e64 s[8:9], |v9|, s8
	v_cndmask_b32_e64 v12, 0, 32, s[8:9]
	v_ldexp_f32 v12, |v9|, v12
	v_log_f32_e32 v12, v12
	s_mov_b32 s10, 0xbf13c468
	v_fma_f32 v10, |v9|, v10, s10
	s_mov_b32 s10, 0x3f317217
	v_mul_f32_e32 v13, 0x3f317217, v12
	v_fma_f32 v14, v12, s10, -v13
	v_fmac_f32_e32 v14, 0x3377d1cf, v12
	s_mov_b32 s10, 0x7f800000
	v_add_f32_e32 v13, v13, v14
	v_cmp_lt_f32_e64 s[10:11], |v12|, s10
	v_cndmask_b32_e64 v12, v12, v13, s[10:11]
	v_mov_b32_e32 v13, 0x41b17218
	v_cndmask_b32_e64 v13, 0, v13, s[8:9]
	v_sub_f32_e32 v12, v12, v13
	v_fma_f32 v10, |v9|, v10, -v12
.LBB159_111:
	s_or_b64 exec, exec, s[12:13]
	v_cmp_le_f32_e64 s[18:19], 0, v9
	v_cmp_nle_f32_e64 s[8:9], 0, v9
	s_and_saveexec_b64 s[10:11], s[8:9]
	s_xor_b64 s[12:13], exec, s[10:11]
	s_cbranch_execz .LBB159_115
; %bb.112:
	s_mov_b32 s8, 0x4b000000
	s_mov_b32 s10, 0x35000000
	v_cmp_lt_f32_e64 s[8:9], |v9|, s8
	v_cmp_gt_f32_e64 s[10:11], |v9|, s10
	s_and_b64 s[8:9], s[8:9], s[10:11]
	s_and_saveexec_b64 s[14:15], s[8:9]
	s_cbranch_execz .LBB159_114
; %bb.113:
	v_mul_f32_e64 v12, |v9|, 0.5
	v_floor_f32_e32 v13, v12
	v_sub_f32_e32 v13, v12, v13
	v_min_f32_e32 v13, 0x3f7fffff, v13
	s_mov_b32 s10, 0x7f800000
	v_add_f32_e32 v13, v13, v13
	v_cmp_neq_f32_e64 s[8:9], s10, v12
	v_cndmask_b32_e64 v12, 0, v13, s[8:9]
	v_cmp_gt_f32_e64 s[8:9], |v9|, 1.0
	v_cndmask_b32_e64 v12, |v9|, v12, s[8:9]
	v_add_f32_e32 v13, v12, v12
	v_rndne_f32_e32 v13, v13
	v_fmac_f32_e32 v12, -0.5, v13
	v_mul_f32_e32 v14, v12, v12
	v_mov_b32_e32 v15, 0xbf1f24be
	v_fmac_f32_e32 v15, 0x3e75aa41, v14
	v_mov_b32_e32 v16, 0x40234736
	v_fmac_f32_e32 v16, v14, v15
	;; [unrolled: 2-line block ×3, first 2 shown]
	v_mul_f32_e32 v16, v12, v14
	v_mul_f32_e32 v15, v16, v15
	v_fmac_f32_e32 v15, 0x40490fdb, v12
	v_mov_b32_e32 v12, 0x3e642e9d
	v_cvt_i32_f32_e32 v13, v13
	v_fmac_f32_e32 v12, 0x3d4be544, v14
	v_mov_b32_e32 v16, 0xbfaad1da
	v_fmac_f32_e32 v16, v14, v12
	v_mov_b32_e32 v12, 0x4081e0d3
	;; [unrolled: 2-line block ×3, first 2 shown]
	v_fmac_f32_e32 v16, v14, v12
	v_fma_f32 v12, v14, v16, 1.0
	v_and_b32_e32 v14, 1, v13
	v_cmp_eq_u32_e64 s[8:9], 0, v14
	v_cndmask_b32_e64 v12, v12, v15, s[8:9]
	v_lshlrev_b32_e32 v13, 30, v13
	s_brev_b32 s8, 1
	v_and_or_b32 v11, v13, s8, v11
	v_xor_b32_e32 v11, v11, v12
	v_xor_b32_e32 v11, v11, v9
	v_mul_f32_e32 v11, v9, v11
	v_frexp_mant_f32_e64 v12, |v11|
	v_rcp_f32_e32 v12, v12
	v_frexp_exp_i32_f32_e32 v11, v11
	v_sub_u32_e32 v11, 2, v11
	s_mov_b32 s8, 0x800000
	v_mul_f32_e32 v12, 0x3f490fdb, v12
	v_ldexp_f32 v11, v12, v11
	v_cmp_gt_f32_e64 s[8:9], s8, v11
	v_cndmask_b32_e64 v12, 0, 32, s[8:9]
	v_ldexp_f32 v11, v11, v12
	v_log_f32_e32 v11, v11
	s_mov_b32 s11, 0x3f317217
	v_mul_f32_e32 v12, 0x3f317217, v11
	v_fma_f32 v13, v11, s11, -v12
	v_fmac_f32_e32 v13, 0x3377d1cf, v11
	v_add_f32_e32 v12, v12, v13
	v_cmp_lt_f32_e64 s[10:11], |v11|, s10
	v_cndmask_b32_e64 v11, v11, v12, s[10:11]
	v_mov_b32_e32 v12, 0x41b17218
	v_cndmask_b32_e64 v12, 0, v12, s[8:9]
	v_sub_f32_e32 v11, v11, v12
	v_sub_f32_e32 v10, v11, v10
	v_floor_f32_e32 v11, v9
	v_sub_f32_e32 v11, v9, v11
	v_min_f32_e32 v11, 0x3f7fffff, v11
	v_mov_b32_e32 v12, 0x7f800000
	v_cmp_neq_f32_e64 s[8:9], 0, v11
	v_cndmask_b32_e64 v10, v12, v10, s[8:9]
.LBB159_114:
	s_or_b64 exec, exec, s[14:15]
.LBB159_115:
	s_andn2_saveexec_b64 s[12:13], s[12:13]
; %bb.116:
	v_cmp_eq_f32_e64 s[8:9], 1.0, v9
	v_cmp_eq_f32_e64 s[10:11], 2.0, v9
	s_or_b64 s[8:9], s[8:9], s[10:11]
	v_cndmask_b32_e64 v10, v10, 0, s[8:9]
; %bb.117:
	s_or_b64 exec, exec, s[12:13]
	v_and_b32_e32 v4, 0xffff0000, v4
	s_mov_b32 s8, 0x3c800000
	v_and_b32_e32 v12, 0x7fffffff, v4
	v_cmp_nlt_f32_e64 s[8:9], |v4|, s8
                                        ; implicit-def: $vgpr11
	s_and_saveexec_b64 s[10:11], s[8:9]
	s_xor_b64 s[12:13], exec, s[10:11]
	s_cbranch_execz .LBB159_147
; %bb.118:
	v_cmp_nlt_f32_e64 s[8:9], |v4|, 2.0
                                        ; implicit-def: $vgpr11
	s_and_saveexec_b64 s[10:11], s[8:9]
	s_xor_b64 s[14:15], exec, s[10:11]
	s_cbranch_execz .LBB159_128
; %bb.119:
	s_mov_b32 s8, 0x41000000
	v_cmp_nlt_f32_e64 s[8:9], |v4|, s8
                                        ; implicit-def: $vgpr11
	s_and_saveexec_b64 s[10:11], s[8:9]
	s_xor_b64 s[16:17], exec, s[10:11]
	s_cbranch_execz .LBB159_125
; %bb.120:
	s_mov_b32 s8, 0x5c800000
	v_cmp_nlt_f32_e64 s[8:9], |v4|, s8
                                        ; implicit-def: $vgpr11
	s_and_saveexec_b64 s[10:11], s[8:9]
	s_xor_b64 s[20:21], exec, s[10:11]
	s_cbranch_execz .LBB159_122
; %bb.121:
	s_mov_b32 s8, 0x800000
	v_cmp_lt_f32_e64 s[8:9], |v4|, s8
	v_cndmask_b32_e64 v11, 0, 32, s[8:9]
	v_ldexp_f32 v11, |v4|, v11
	v_log_f32_e32 v11, v11
	s_mov_b32 s10, 0x3f317217
	s_mov_b32 s11, 0x7f800000
	v_mul_f32_e32 v13, 0x3f317217, v11
	v_fma_f32 v14, v11, s10, -v13
	v_fmac_f32_e32 v14, 0x3377d1cf, v11
	v_add_f32_e32 v13, v13, v14
	v_cmp_lt_f32_e64 s[10:11], |v11|, s11
	v_cndmask_b32_e64 v11, v11, v13, s[10:11]
	v_mov_b32_e32 v13, 0x41b17218
	v_cndmask_b32_e64 v13, 0, v13, s[8:9]
	v_sub_f32_e32 v11, v11, v13
	v_fma_f32 v11, |v4|, v11, -|v4|
.LBB159_122:
	s_andn2_saveexec_b64 s[20:21], s[20:21]
	s_cbranch_execz .LBB159_124
; %bb.123:
	v_rcp_f32_e64 v13, |v4|
	v_mov_b32_e32 v11, 0x3a5b3dd2
	v_mov_b32_e32 v14, 0xba1c065c
	;; [unrolled: 1-line block ×3, first 2 shown]
	v_mul_f32_e32 v16, v13, v13
	v_fmac_f32_e32 v11, 0xbad5c4e8, v16
	v_fmac_f32_e32 v14, v16, v11
	s_mov_b32 s8, 0x800000
	v_fmac_f32_e32 v15, v16, v14
	v_mov_b32_e32 v11, 0xbb360b61
	v_cmp_lt_f32_e64 s[8:9], |v4|, s8
	v_fmac_f32_e32 v11, v16, v15
	v_cndmask_b32_e64 v15, 0, 32, s[8:9]
	v_ldexp_f32 v15, |v4|, v15
	v_log_f32_e32 v15, v15
	v_mov_b32_e32 v14, 0x3daaaaab
	v_fmac_f32_e32 v14, v16, v11
	v_mov_b32_e32 v11, 0x3ed67f1d
	v_fmac_f32_e32 v11, v13, v14
	s_mov_b32 s10, 0x3f317217
	v_mul_f32_e32 v14, 0x3f317217, v15
	v_fma_f32 v16, v15, s10, -v14
	v_fmac_f32_e32 v16, 0x3377d1cf, v15
	s_mov_b32 s10, 0x7f800000
	v_add_f32_e32 v14, v14, v16
	v_cmp_lt_f32_e64 s[10:11], |v15|, s10
	v_cndmask_b32_e64 v14, v15, v14, s[10:11]
	v_mov_b32_e32 v15, 0x41b17218
	v_cndmask_b32_e64 v15, 0, v15, s[8:9]
	v_sub_f32_e32 v14, v14, v15
	v_add_f32_e64 v13, |v4|, -0.5
	v_add_f32_e32 v14, -1.0, v14
	v_fmac_f32_e32 v11, v13, v14
.LBB159_124:
	s_or_b64 exec, exec, s[20:21]
.LBB159_125:
	s_andn2_saveexec_b64 s[16:17], s[16:17]
	s_cbranch_execz .LBB159_127
; %bb.126:
	v_cvt_i32_f32_e32 v11, v12
	v_mov_b32_e32 v13, 0x3af135b4
	v_mov_b32_e32 v14, 0x3cda40e4
	;; [unrolled: 1-line block ×3, first 2 shown]
	v_cvt_f32_i32_e32 v16, v11
	v_mov_b32_e32 v17, 0x3ea6cc7a
	v_mov_b32_e32 v18, 0x3e5c245a
	v_cmp_lt_i32_e64 s[8:9], 2, v11
	v_sub_f32_e64 v16, |v4|, v16
	v_fmac_f32_e32 v13, 0x3805ff67, v16
	v_fmac_f32_e32 v14, v16, v13
	;; [unrolled: 1-line block ×3, first 2 shown]
	v_mov_b32_e32 v14, 0x3a4beed6
	v_fmac_f32_e32 v17, v16, v15
	v_fmac_f32_e32 v14, 0x36f5d7bd, v16
	v_mov_b32_e32 v15, 0x3c98bf54
	v_fmac_f32_e32 v15, v16, v14
	v_mov_b32_e32 v14, 0x3e300f6e
	;; [unrolled: 2-line block ×4, first 2 shown]
	v_fmac_f32_e32 v14, v16, v15
	v_add_f32_e32 v15, 2.0, v16
	v_mov_b32_e32 v19, 0xbd9e233f
	v_fmac_f32_e32 v18, v16, v17
	v_add_f32_e32 v17, 0x40400000, v16
	v_cndmask_b32_e64 v15, 1.0, v15, s[8:9]
	v_cmp_lt_i32_e64 s[8:9], 3, v11
	v_fmac_f32_e32 v19, v16, v18
	v_add_f32_e32 v18, 4.0, v16
	v_cndmask_b32_e64 v17, 1.0, v17, s[8:9]
	v_cmp_lt_i32_e64 s[8:9], 4, v11
	v_mul_f32_e32 v13, v16, v19
	v_add_f32_e32 v19, 0x40a00000, v16
	v_mul_f32_e32 v15, v15, v17
	v_cndmask_b32_e64 v17, 1.0, v18, s[8:9]
	v_cmp_lt_i32_e64 s[8:9], 5, v11
	v_add_f32_e32 v20, 0x40c00000, v16
	v_mul_f32_e32 v15, v17, v15
	v_cndmask_b32_e64 v17, 1.0, v19, s[8:9]
	v_cmp_lt_i32_e64 s[8:9], 6, v11
	v_mul_f32_e32 v15, v17, v15
	v_cndmask_b32_e64 v11, 1.0, v20, s[8:9]
	v_mul_f32_e32 v11, v11, v15
	s_mov_b32 s8, 0x800000
	v_cmp_gt_f32_e64 s[8:9], s8, v11
	v_cndmask_b32_e64 v15, 0, 32, s[8:9]
	v_fma_f32 v14, v16, v14, 1.0
	v_ldexp_f32 v11, v11, v15
	v_rcp_f32_e32 v14, v14
	v_log_f32_e32 v11, v11
	s_mov_b32 s10, 0x3f317217
	v_mul_f32_e32 v13, v13, v14
	v_mul_f32_e32 v14, 0x3f317217, v11
	v_fma_f32 v15, v11, s10, -v14
	v_fmac_f32_e32 v15, 0x3377d1cf, v11
	s_mov_b32 s10, 0x7f800000
	v_add_f32_e32 v14, v14, v15
	v_cmp_lt_f32_e64 s[10:11], |v11|, s10
	v_cndmask_b32_e64 v11, v11, v14, s[10:11]
	v_mov_b32_e32 v14, 0x41b17218
	v_cndmask_b32_e64 v14, 0, v14, s[8:9]
	v_fmac_f32_e32 v13, 0.5, v16
	v_sub_f32_e32 v11, v11, v14
	v_add_f32_e32 v11, v11, v13
.LBB159_127:
	s_or_b64 exec, exec, s[16:17]
.LBB159_128:
	s_andn2_saveexec_b64 s[14:15], s[14:15]
	s_cbranch_execz .LBB159_146
; %bb.129:
	s_mov_b32 s8, 0x3f666666
	v_cmp_le_f32_e64 s[8:9], |v4|, s8
                                        ; implicit-def: $vgpr11
                                        ; implicit-def: $vgpr14
                                        ; implicit-def: $vgpr13
	s_and_saveexec_b64 s[10:11], s[8:9]
	s_xor_b64 s[16:17], exec, s[10:11]
	s_cbranch_execz .LBB159_131
; %bb.130:
	s_mov_b32 s8, 0x800000
	v_cmp_lt_f32_e64 s[8:9], |v4|, s8
	v_cndmask_b32_e64 v11, 0, 32, s[8:9]
	v_ldexp_f32 v11, |v4|, v11
	v_log_f32_e32 v11, v11
	s_mov_b32 s10, 0x3f317217
	s_mov_b32 s11, 0x7f800000
	v_mul_f32_e32 v13, 0x3f317217, v11
	v_fma_f32 v14, v11, s10, -v13
	v_fmac_f32_e32 v14, 0x3377d1cf, v11
	v_add_f32_e32 v13, v13, v14
	v_cmp_lt_f32_e64 s[10:11], |v11|, s11
	v_cndmask_b32_e64 v11, v11, v13, s[10:11]
	v_mov_b32_e32 v13, 0x41b17218
	v_cndmask_b32_e64 v13, 0, v13, s[8:9]
	s_mov_b32 s8, 0x3f3b4a23
	s_mov_b32 s9, 0xbeec5b0c
	v_sub_f32_e32 v11, v11, v13
	v_sub_f32_e64 v13, 1.0, |v4|
	v_add_f32_e64 v14, |v4|, s9
	v_cmp_lt_f32_e64 s[8:9], |v4|, s8
	v_cndmask_b32_e64 v13, v13, v14, s[8:9]
	v_cndmask_b32_e64 v14, 0, 1, s[8:9]
	s_mov_b32 s8, 0x3e6d3309
	v_cmp_lt_f32_e64 s[8:9], |v4|, s8
	v_xor_b32_e32 v11, 0x80000000, v11
	v_cndmask_b32_e64 v13, v13, |v4|, s[8:9]
	v_cndmask_b32_e64 v14, v14, 2, s[8:9]
.LBB159_131:
	s_andn2_saveexec_b64 s[10:11], s[16:17]
	s_cbranch_execz .LBB159_133
; %bb.132:
	s_mov_b32 s8, 0x3fdda512
	s_mov_b32 s9, 0xbfbb16c3
	v_sub_f32_e64 v11, 2.0, |v4|
	v_add_f32_e64 v13, |v4|, s9
	v_cmp_lt_f32_e64 s[8:9], |v4|, s8
	v_cndmask_b32_e64 v13, v11, v13, s[8:9]
	v_cndmask_b32_e64 v11, v11, 1.0, s[8:9]
	v_cvt_i32_f32_e32 v11, v11
	s_mov_b32 s8, 0x3f9d70a4
	v_add_f32_e64 v14, |v4|, -1.0
	v_cmp_lt_f32_e64 s[8:9], |v4|, s8
	v_cndmask_b32_e64 v13, v13, v14, s[8:9]
	v_cndmask_b32_e64 v14, v11, 2, s[8:9]
	v_mov_b32_e32 v11, 0
.LBB159_133:
	s_or_b64 exec, exec, s[10:11]
	v_cmp_lt_i32_e64 s[8:9], 0, v14
	s_and_saveexec_b64 s[10:11], s[8:9]
	s_xor_b64 s[10:11], exec, s[10:11]
	s_cbranch_execz .LBB159_141
; %bb.134:
	v_cmp_lt_i32_e64 s[8:9], 1, v14
	s_and_saveexec_b64 s[16:17], s[8:9]
	s_xor_b64 s[16:17], exec, s[16:17]
	s_cbranch_execz .LBB159_138
; %bb.135:
	v_cmp_eq_u32_e64 s[8:9], 2, v14
	s_and_saveexec_b64 s[20:21], s[8:9]
	s_cbranch_execz .LBB159_137
; %bb.136:
	v_mov_b32_e32 v14, 0x3e6a7578
	v_fmac_f32_e32 v14, 0x3c5b3c5e, v13
	v_mov_b32_e32 v15, 0x3f7a4bb2
	v_fmac_f32_e32 v15, v13, v14
	;; [unrolled: 2-line block ×8, first 2 shown]
	v_fma_f32 v14, v13, v16, 1.0
	v_rcp_f32_e32 v14, v14
	v_mov_b32_e32 v16, 0xbd9e233f
	v_fmac_f32_e32 v16, v13, v15
	v_mul_f32_e32 v15, v13, v16
	v_mul_f32_e32 v14, v15, v14
	v_fmac_f32_e32 v14, -0.5, v13
	v_add_f32_e32 v11, v11, v14
.LBB159_137:
	s_or_b64 exec, exec, s[20:21]
                                        ; implicit-def: $vgpr13
.LBB159_138:
	s_andn2_saveexec_b64 s[8:9], s[16:17]
	s_cbranch_execz .LBB159_140
; %bb.139:
	v_mul_f32_e32 v14, v13, v13
	v_mul_f32_e32 v15, v13, v14
	v_mov_b32_e32 v16, 0xbab7f476
	v_fmac_f32_e32 v16, 0x39a57b6b, v15
	v_mov_b32_e32 v17, 0x3bc7e707
	v_fmac_f32_e32 v17, v15, v16
	;; [unrolled: 2-line block ×12, first 2 shown]
	v_fmac_f32_e32 v18, v13, v19
	s_mov_b32 s16, 0xa2863e55
	v_fma_f32 v13, v15, -v18, s16
	v_fma_f32 v13, v14, v17, -v13
	v_add_f32_e32 v13, 0xbdf8cdce, v13
	v_add_f32_e32 v11, v11, v13
.LBB159_140:
	s_or_b64 exec, exec, s[8:9]
                                        ; implicit-def: $vgpr14
                                        ; implicit-def: $vgpr13
.LBB159_141:
	s_andn2_saveexec_b64 s[10:11], s[10:11]
	s_cbranch_execz .LBB159_145
; %bb.142:
	v_cmp_eq_u32_e64 s[8:9], 0, v14
	s_and_saveexec_b64 s[16:17], s[8:9]
	s_cbranch_execz .LBB159_144
; %bb.143:
	v_mul_f32_e32 v14, v13, v13
	v_mov_b32_e32 v15, 0x39679767
	v_fmac_f32_e32 v15, 0x37d383a2, v14
	v_mov_b32_e32 v16, 0x3a9c54a1
	v_fmac_f32_e32 v16, v14, v15
	;; [unrolled: 2-line block ×10, first 2 shown]
	v_mul_f32_e32 v14, v14, v16
	v_fmac_f32_e32 v14, v13, v15
	v_fmac_f32_e32 v14, -0.5, v13
	v_add_f32_e32 v11, v11, v14
.LBB159_144:
	s_or_b64 exec, exec, s[16:17]
.LBB159_145:
	s_or_b64 exec, exec, s[10:11]
.LBB159_146:
	s_or_b64 exec, exec, s[14:15]
.LBB159_147:
	s_andn2_saveexec_b64 s[12:13], s[12:13]
	s_cbranch_execz .LBB159_149
; %bb.148:
	s_mov_b32 s8, 0x3e8a8991
	v_mov_b32_e32 v11, 0xbecd26ab
	v_fma_f32 v11, |v4|, s8, v11
	s_mov_b32 s8, 0x3f528d33
	v_fma_f32 v11, |v4|, v11, s8
	s_mov_b32 s8, 0x800000
	v_cmp_lt_f32_e64 s[8:9], |v4|, s8
	v_cndmask_b32_e64 v13, 0, 32, s[8:9]
	v_ldexp_f32 v13, |v4|, v13
	v_log_f32_e32 v13, v13
	s_mov_b32 s10, 0xbf13c468
	v_fma_f32 v11, |v4|, v11, s10
	s_mov_b32 s10, 0x3f317217
	v_mul_f32_e32 v14, 0x3f317217, v13
	v_fma_f32 v15, v13, s10, -v14
	v_fmac_f32_e32 v15, 0x3377d1cf, v13
	s_mov_b32 s10, 0x7f800000
	v_add_f32_e32 v14, v14, v15
	v_cmp_lt_f32_e64 s[10:11], |v13|, s10
	v_cndmask_b32_e64 v13, v13, v14, s[10:11]
	v_mov_b32_e32 v14, 0x41b17218
	v_cndmask_b32_e64 v14, 0, v14, s[8:9]
	v_sub_f32_e32 v13, v13, v14
	v_fma_f32 v11, |v4|, v11, -v13
.LBB159_149:
	s_or_b64 exec, exec, s[12:13]
	v_cmp_le_f32_e64 s[8:9], 0, v4
	v_cmp_nle_f32_e64 s[10:11], 0, v4
	s_and_saveexec_b64 s[12:13], s[10:11]
	s_xor_b64 s[14:15], exec, s[12:13]
	s_cbranch_execz .LBB159_153
; %bb.150:
	s_mov_b32 s10, 0x4b000000
	s_mov_b32 s12, 0x35000000
	v_cmp_lt_f32_e64 s[10:11], |v4|, s10
	v_cmp_gt_f32_e64 s[12:13], |v4|, s12
	s_and_b64 s[10:11], s[10:11], s[12:13]
	s_and_saveexec_b64 s[16:17], s[10:11]
	s_cbranch_execz .LBB159_152
; %bb.151:
	v_mul_f32_e64 v13, |v4|, 0.5
	v_floor_f32_e32 v14, v13
	v_sub_f32_e32 v14, v13, v14
	v_min_f32_e32 v14, 0x3f7fffff, v14
	s_mov_b32 s12, 0x7f800000
	v_add_f32_e32 v14, v14, v14
	v_cmp_neq_f32_e64 s[10:11], s12, v13
	v_cndmask_b32_e64 v13, 0, v14, s[10:11]
	v_cmp_gt_f32_e64 s[10:11], |v4|, 1.0
	v_cndmask_b32_e64 v13, |v4|, v13, s[10:11]
	v_add_f32_e32 v14, v13, v13
	v_rndne_f32_e32 v14, v14
	v_fmac_f32_e32 v13, -0.5, v14
	v_mul_f32_e32 v15, v13, v13
	v_mov_b32_e32 v16, 0xbf1f24be
	v_fmac_f32_e32 v16, 0x3e75aa41, v15
	v_mov_b32_e32 v17, 0x40234736
	v_fmac_f32_e32 v17, v15, v16
	;; [unrolled: 2-line block ×3, first 2 shown]
	v_mul_f32_e32 v17, v13, v15
	v_mul_f32_e32 v16, v17, v16
	v_fmac_f32_e32 v16, 0x40490fdb, v13
	v_mov_b32_e32 v13, 0x3e642e9d
	v_cvt_i32_f32_e32 v14, v14
	v_fmac_f32_e32 v13, 0x3d4be544, v15
	v_mov_b32_e32 v17, 0xbfaad1da
	v_fmac_f32_e32 v17, v15, v13
	v_mov_b32_e32 v13, 0x4081e0d3
	;; [unrolled: 2-line block ×3, first 2 shown]
	v_fmac_f32_e32 v17, v15, v13
	v_fma_f32 v13, v15, v17, 1.0
	v_and_b32_e32 v15, 1, v14
	v_cmp_eq_u32_e64 s[10:11], 0, v15
	v_cndmask_b32_e64 v13, v13, v16, s[10:11]
	v_lshlrev_b32_e32 v14, 30, v14
	s_brev_b32 s10, 1
	v_and_or_b32 v12, v14, s10, v12
	v_xor_b32_e32 v12, v12, v13
	v_xor_b32_e32 v12, v12, v4
	v_mul_f32_e32 v12, v4, v12
	v_frexp_mant_f32_e64 v13, |v12|
	v_rcp_f32_e32 v13, v13
	v_frexp_exp_i32_f32_e32 v12, v12
	v_sub_u32_e32 v12, 2, v12
	s_mov_b32 s10, 0x800000
	v_mul_f32_e32 v13, 0x3f490fdb, v13
	v_ldexp_f32 v12, v13, v12
	v_cmp_gt_f32_e64 s[10:11], s10, v12
	v_cndmask_b32_e64 v13, 0, 32, s[10:11]
	v_ldexp_f32 v12, v12, v13
	v_log_f32_e32 v12, v12
	s_mov_b32 s13, 0x3f317217
	v_mul_f32_e32 v13, 0x3f317217, v12
	v_fma_f32 v14, v12, s13, -v13
	v_fmac_f32_e32 v14, 0x3377d1cf, v12
	v_add_f32_e32 v13, v13, v14
	v_cmp_lt_f32_e64 s[12:13], |v12|, s12
	v_cndmask_b32_e64 v12, v12, v13, s[12:13]
	v_mov_b32_e32 v13, 0x41b17218
	v_cndmask_b32_e64 v13, 0, v13, s[10:11]
	v_sub_f32_e32 v12, v12, v13
	v_sub_f32_e32 v11, v12, v11
	v_floor_f32_e32 v12, v4
	v_sub_f32_e32 v12, v4, v12
	v_min_f32_e32 v12, 0x3f7fffff, v12
	v_mov_b32_e32 v13, 0x7f800000
	v_cmp_neq_f32_e64 s[10:11], 0, v12
	v_cndmask_b32_e64 v11, v13, v11, s[10:11]
.LBB159_152:
	s_or_b64 exec, exec, s[16:17]
.LBB159_153:
	s_andn2_saveexec_b64 s[14:15], s[14:15]
; %bb.154:
	v_cmp_eq_f32_e64 s[10:11], 1.0, v4
	v_cmp_eq_f32_e64 s[12:13], 2.0, v4
	s_or_b64 s[10:11], s[10:11], s[12:13]
	v_cndmask_b32_e64 v11, v11, 0, s[10:11]
; %bb.155:
	s_or_b64 exec, exec, s[14:15]
	s_waitcnt vmcnt(0)
	v_lshlrev_b32_e32 v12, 16, v1
	s_mov_b32 s10, 0x3c800000
	v_and_b32_e32 v14, 0x7fffffff, v12
	v_cmp_nlt_f32_e64 s[10:11], |v12|, s10
                                        ; implicit-def: $vgpr13
	s_and_saveexec_b64 s[12:13], s[10:11]
	s_xor_b64 s[14:15], exec, s[12:13]
	s_cbranch_execz .LBB159_185
; %bb.156:
	v_cmp_nlt_f32_e64 s[10:11], |v12|, 2.0
                                        ; implicit-def: $vgpr13
	s_and_saveexec_b64 s[12:13], s[10:11]
	s_xor_b64 s[16:17], exec, s[12:13]
	s_cbranch_execz .LBB159_166
; %bb.157:
	s_mov_b32 s10, 0x41000000
	v_cmp_nlt_f32_e64 s[10:11], |v12|, s10
                                        ; implicit-def: $vgpr13
	s_and_saveexec_b64 s[12:13], s[10:11]
	s_xor_b64 s[20:21], exec, s[12:13]
	s_cbranch_execz .LBB159_163
; %bb.158:
	s_mov_b32 s10, 0x5c800000
	v_cmp_nlt_f32_e64 s[10:11], |v12|, s10
                                        ; implicit-def: $vgpr13
	s_and_saveexec_b64 s[12:13], s[10:11]
	s_xor_b64 s[22:23], exec, s[12:13]
	s_cbranch_execz .LBB159_160
; %bb.159:
	s_mov_b32 s10, 0x800000
	v_cmp_lt_f32_e64 s[10:11], |v12|, s10
	v_cndmask_b32_e64 v13, 0, 32, s[10:11]
	v_ldexp_f32 v13, |v12|, v13
	v_log_f32_e32 v13, v13
	s_mov_b32 s12, 0x3f317217
	s_mov_b32 s13, 0x7f800000
	v_mul_f32_e32 v15, 0x3f317217, v13
	v_fma_f32 v16, v13, s12, -v15
	v_fmac_f32_e32 v16, 0x3377d1cf, v13
	v_add_f32_e32 v15, v15, v16
	v_cmp_lt_f32_e64 s[12:13], |v13|, s13
	v_cndmask_b32_e64 v13, v13, v15, s[12:13]
	v_mov_b32_e32 v15, 0x41b17218
	v_cndmask_b32_e64 v15, 0, v15, s[10:11]
	v_sub_f32_e32 v13, v13, v15
	v_fma_f32 v13, |v12|, v13, -|v12|
.LBB159_160:
	s_andn2_saveexec_b64 s[22:23], s[22:23]
	s_cbranch_execz .LBB159_162
; %bb.161:
	v_rcp_f32_e64 v15, |v12|
	v_mov_b32_e32 v13, 0x3a5b3dd2
	v_mov_b32_e32 v16, 0xba1c065c
	;; [unrolled: 1-line block ×3, first 2 shown]
	v_mul_f32_e32 v18, v15, v15
	v_fmac_f32_e32 v13, 0xbad5c4e8, v18
	v_fmac_f32_e32 v16, v18, v13
	s_mov_b32 s10, 0x800000
	v_fmac_f32_e32 v17, v18, v16
	v_mov_b32_e32 v13, 0xbb360b61
	v_cmp_lt_f32_e64 s[10:11], |v12|, s10
	v_fmac_f32_e32 v13, v18, v17
	v_cndmask_b32_e64 v17, 0, 32, s[10:11]
	v_ldexp_f32 v17, |v12|, v17
	v_log_f32_e32 v17, v17
	v_mov_b32_e32 v16, 0x3daaaaab
	v_fmac_f32_e32 v16, v18, v13
	v_mov_b32_e32 v13, 0x3ed67f1d
	v_fmac_f32_e32 v13, v15, v16
	s_mov_b32 s12, 0x3f317217
	v_mul_f32_e32 v16, 0x3f317217, v17
	v_fma_f32 v18, v17, s12, -v16
	v_fmac_f32_e32 v18, 0x3377d1cf, v17
	s_mov_b32 s12, 0x7f800000
	v_add_f32_e32 v16, v16, v18
	v_cmp_lt_f32_e64 s[12:13], |v17|, s12
	v_cndmask_b32_e64 v16, v17, v16, s[12:13]
	v_mov_b32_e32 v17, 0x41b17218
	v_cndmask_b32_e64 v17, 0, v17, s[10:11]
	v_sub_f32_e32 v16, v16, v17
	v_add_f32_e64 v15, |v12|, -0.5
	v_add_f32_e32 v16, -1.0, v16
	v_fmac_f32_e32 v13, v15, v16
.LBB159_162:
	s_or_b64 exec, exec, s[22:23]
.LBB159_163:
	s_andn2_saveexec_b64 s[20:21], s[20:21]
	s_cbranch_execz .LBB159_165
; %bb.164:
	v_cvt_i32_f32_e32 v13, v14
	v_mov_b32_e32 v15, 0x3af135b4
	v_mov_b32_e32 v16, 0x3cda40e4
	;; [unrolled: 1-line block ×3, first 2 shown]
	v_cvt_f32_i32_e32 v18, v13
	v_mov_b32_e32 v19, 0x3ea6cc7a
	v_mov_b32_e32 v20, 0x3e5c245a
	v_cmp_lt_i32_e64 s[10:11], 2, v13
	v_sub_f32_e64 v18, |v12|, v18
	v_fmac_f32_e32 v15, 0x3805ff67, v18
	v_fmac_f32_e32 v16, v18, v15
	;; [unrolled: 1-line block ×3, first 2 shown]
	v_mov_b32_e32 v16, 0x3a4beed6
	v_fmac_f32_e32 v19, v18, v17
	v_fmac_f32_e32 v16, 0x36f5d7bd, v18
	v_mov_b32_e32 v17, 0x3c98bf54
	v_fmac_f32_e32 v17, v18, v16
	v_mov_b32_e32 v16, 0x3e300f6e
	;; [unrolled: 2-line block ×4, first 2 shown]
	v_fmac_f32_e32 v16, v18, v17
	v_add_f32_e32 v17, 2.0, v18
	v_mov_b32_e32 v21, 0xbd9e233f
	v_fmac_f32_e32 v20, v18, v19
	v_add_f32_e32 v19, 0x40400000, v18
	v_cndmask_b32_e64 v17, 1.0, v17, s[10:11]
	v_cmp_lt_i32_e64 s[10:11], 3, v13
	v_fmac_f32_e32 v21, v18, v20
	v_add_f32_e32 v20, 4.0, v18
	v_cndmask_b32_e64 v19, 1.0, v19, s[10:11]
	v_cmp_lt_i32_e64 s[10:11], 4, v13
	v_mul_f32_e32 v15, v18, v21
	v_add_f32_e32 v21, 0x40a00000, v18
	v_mul_f32_e32 v17, v17, v19
	v_cndmask_b32_e64 v19, 1.0, v20, s[10:11]
	v_cmp_lt_i32_e64 s[10:11], 5, v13
	v_add_f32_e32 v22, 0x40c00000, v18
	v_mul_f32_e32 v17, v19, v17
	v_cndmask_b32_e64 v19, 1.0, v21, s[10:11]
	v_cmp_lt_i32_e64 s[10:11], 6, v13
	v_mul_f32_e32 v17, v19, v17
	v_cndmask_b32_e64 v13, 1.0, v22, s[10:11]
	v_mul_f32_e32 v13, v13, v17
	s_mov_b32 s10, 0x800000
	v_cmp_gt_f32_e64 s[10:11], s10, v13
	v_cndmask_b32_e64 v17, 0, 32, s[10:11]
	v_fma_f32 v16, v18, v16, 1.0
	v_ldexp_f32 v13, v13, v17
	v_rcp_f32_e32 v16, v16
	v_log_f32_e32 v13, v13
	s_mov_b32 s12, 0x3f317217
	v_mul_f32_e32 v15, v15, v16
	v_mul_f32_e32 v16, 0x3f317217, v13
	v_fma_f32 v17, v13, s12, -v16
	v_fmac_f32_e32 v17, 0x3377d1cf, v13
	s_mov_b32 s12, 0x7f800000
	v_add_f32_e32 v16, v16, v17
	v_cmp_lt_f32_e64 s[12:13], |v13|, s12
	v_cndmask_b32_e64 v13, v13, v16, s[12:13]
	v_mov_b32_e32 v16, 0x41b17218
	v_cndmask_b32_e64 v16, 0, v16, s[10:11]
	v_fmac_f32_e32 v15, 0.5, v18
	v_sub_f32_e32 v13, v13, v16
	v_add_f32_e32 v13, v13, v15
.LBB159_165:
	s_or_b64 exec, exec, s[20:21]
.LBB159_166:
	s_andn2_saveexec_b64 s[16:17], s[16:17]
	s_cbranch_execz .LBB159_184
; %bb.167:
	s_mov_b32 s10, 0x3f666666
	v_cmp_le_f32_e64 s[10:11], |v12|, s10
                                        ; implicit-def: $vgpr13
                                        ; implicit-def: $vgpr16
                                        ; implicit-def: $vgpr15
	s_and_saveexec_b64 s[12:13], s[10:11]
	s_xor_b64 s[20:21], exec, s[12:13]
	s_cbranch_execz .LBB159_169
; %bb.168:
	s_mov_b32 s10, 0x800000
	v_cmp_lt_f32_e64 s[10:11], |v12|, s10
	v_cndmask_b32_e64 v13, 0, 32, s[10:11]
	v_ldexp_f32 v13, |v12|, v13
	v_log_f32_e32 v13, v13
	s_mov_b32 s12, 0x3f317217
	s_mov_b32 s13, 0x7f800000
	v_mul_f32_e32 v15, 0x3f317217, v13
	v_fma_f32 v16, v13, s12, -v15
	v_fmac_f32_e32 v16, 0x3377d1cf, v13
	v_add_f32_e32 v15, v15, v16
	v_cmp_lt_f32_e64 s[12:13], |v13|, s13
	v_cndmask_b32_e64 v13, v13, v15, s[12:13]
	v_mov_b32_e32 v15, 0x41b17218
	v_cndmask_b32_e64 v15, 0, v15, s[10:11]
	s_mov_b32 s10, 0x3f3b4a23
	s_mov_b32 s11, 0xbeec5b0c
	v_sub_f32_e32 v13, v13, v15
	v_sub_f32_e64 v15, 1.0, |v12|
	v_add_f32_e64 v16, |v12|, s11
	v_cmp_lt_f32_e64 s[10:11], |v12|, s10
	v_cndmask_b32_e64 v15, v15, v16, s[10:11]
	v_cndmask_b32_e64 v16, 0, 1, s[10:11]
	s_mov_b32 s10, 0x3e6d3309
	v_cmp_lt_f32_e64 s[10:11], |v12|, s10
	v_xor_b32_e32 v13, 0x80000000, v13
	v_cndmask_b32_e64 v15, v15, |v12|, s[10:11]
	v_cndmask_b32_e64 v16, v16, 2, s[10:11]
.LBB159_169:
	s_andn2_saveexec_b64 s[12:13], s[20:21]
	s_cbranch_execz .LBB159_171
; %bb.170:
	s_mov_b32 s10, 0x3fdda512
	s_mov_b32 s11, 0xbfbb16c3
	v_sub_f32_e64 v13, 2.0, |v12|
	v_add_f32_e64 v15, |v12|, s11
	v_cmp_lt_f32_e64 s[10:11], |v12|, s10
	v_cndmask_b32_e64 v15, v13, v15, s[10:11]
	v_cndmask_b32_e64 v13, v13, 1.0, s[10:11]
	v_cvt_i32_f32_e32 v13, v13
	s_mov_b32 s10, 0x3f9d70a4
	v_add_f32_e64 v16, |v12|, -1.0
	v_cmp_lt_f32_e64 s[10:11], |v12|, s10
	v_cndmask_b32_e64 v15, v15, v16, s[10:11]
	v_cndmask_b32_e64 v16, v13, 2, s[10:11]
	v_mov_b32_e32 v13, 0
.LBB159_171:
	s_or_b64 exec, exec, s[12:13]
	v_cmp_lt_i32_e64 s[10:11], 0, v16
	s_and_saveexec_b64 s[12:13], s[10:11]
	s_xor_b64 s[12:13], exec, s[12:13]
	s_cbranch_execz .LBB159_179
; %bb.172:
	v_cmp_lt_i32_e64 s[10:11], 1, v16
	s_and_saveexec_b64 s[20:21], s[10:11]
	s_xor_b64 s[20:21], exec, s[20:21]
	s_cbranch_execz .LBB159_176
; %bb.173:
	v_cmp_eq_u32_e64 s[10:11], 2, v16
	s_and_saveexec_b64 s[22:23], s[10:11]
	s_cbranch_execz .LBB159_175
; %bb.174:
	v_mov_b32_e32 v16, 0x3e6a7578
	v_fmac_f32_e32 v16, 0x3c5b3c5e, v15
	v_mov_b32_e32 v17, 0x3f7a4bb2
	v_fmac_f32_e32 v17, v15, v16
	;; [unrolled: 2-line block ×8, first 2 shown]
	v_fma_f32 v16, v15, v18, 1.0
	v_rcp_f32_e32 v16, v16
	v_mov_b32_e32 v18, 0xbd9e233f
	v_fmac_f32_e32 v18, v15, v17
	v_mul_f32_e32 v17, v15, v18
	v_mul_f32_e32 v16, v17, v16
	v_fmac_f32_e32 v16, -0.5, v15
	v_add_f32_e32 v13, v13, v16
.LBB159_175:
	s_or_b64 exec, exec, s[22:23]
                                        ; implicit-def: $vgpr15
.LBB159_176:
	s_andn2_saveexec_b64 s[10:11], s[20:21]
	s_cbranch_execz .LBB159_178
; %bb.177:
	v_mul_f32_e32 v16, v15, v15
	v_mul_f32_e32 v17, v15, v16
	v_mov_b32_e32 v18, 0xbab7f476
	v_fmac_f32_e32 v18, 0x39a57b6b, v17
	v_mov_b32_e32 v19, 0x3bc7e707
	v_fmac_f32_e32 v19, v17, v18
	;; [unrolled: 2-line block ×12, first 2 shown]
	v_fmac_f32_e32 v20, v15, v21
	s_mov_b32 s20, 0xa2863e55
	v_fma_f32 v15, v17, -v20, s20
	v_fma_f32 v15, v16, v19, -v15
	v_add_f32_e32 v15, 0xbdf8cdce, v15
	v_add_f32_e32 v13, v13, v15
.LBB159_178:
	s_or_b64 exec, exec, s[10:11]
                                        ; implicit-def: $vgpr16
                                        ; implicit-def: $vgpr15
.LBB159_179:
	s_andn2_saveexec_b64 s[12:13], s[12:13]
	s_cbranch_execz .LBB159_183
; %bb.180:
	v_cmp_eq_u32_e64 s[10:11], 0, v16
	s_and_saveexec_b64 s[20:21], s[10:11]
	s_cbranch_execz .LBB159_182
; %bb.181:
	v_mul_f32_e32 v16, v15, v15
	v_mov_b32_e32 v17, 0x39679767
	v_fmac_f32_e32 v17, 0x37d383a2, v16
	v_mov_b32_e32 v18, 0x3a9c54a1
	v_fmac_f32_e32 v18, v16, v17
	v_mov_b32_e32 v17, 0x3bf2027e
	v_fmac_f32_e32 v17, v16, v18
	v_mov_b32_e32 v18, 0x3d89f001
	v_fmac_f32_e32 v18, v16, v17
	v_mov_b32_e32 v17, 0x3d9e233f
	v_fmac_f32_e32 v17, v16, v18
	v_mov_b32_e32 v18, 0x38e28445
	v_fmac_f32_e32 v18, 0x383c2c75, v16
	v_mov_b32_e32 v19, 0x3a05b634
	v_fmac_f32_e32 v19, v16, v18
	v_mov_b32_e32 v18, 0x3b3d6ec6
	v_fmac_f32_e32 v18, v16, v19
	v_mov_b32_e32 v19, 0x3ca89915
	v_fmac_f32_e32 v19, v16, v18
	v_mov_b32_e32 v18, 0x3ea51a66
	v_fmac_f32_e32 v18, v16, v19
	v_mul_f32_e32 v16, v16, v18
	v_fmac_f32_e32 v16, v15, v17
	v_fmac_f32_e32 v16, -0.5, v15
	v_add_f32_e32 v13, v13, v16
.LBB159_182:
	s_or_b64 exec, exec, s[20:21]
.LBB159_183:
	s_or_b64 exec, exec, s[12:13]
.LBB159_184:
	s_or_b64 exec, exec, s[16:17]
.LBB159_185:
	s_andn2_saveexec_b64 s[14:15], s[14:15]
	s_cbranch_execz .LBB159_187
; %bb.186:
	s_mov_b32 s10, 0x3e8a8991
	v_mov_b32_e32 v13, 0xbecd26ab
	v_fma_f32 v13, |v12|, s10, v13
	s_mov_b32 s10, 0x3f528d33
	v_fma_f32 v13, |v12|, v13, s10
	s_mov_b32 s10, 0x800000
	v_cmp_lt_f32_e64 s[10:11], |v12|, s10
	v_cndmask_b32_e64 v15, 0, 32, s[10:11]
	v_ldexp_f32 v15, |v12|, v15
	v_log_f32_e32 v15, v15
	s_mov_b32 s12, 0xbf13c468
	v_fma_f32 v13, |v12|, v13, s12
	s_mov_b32 s12, 0x3f317217
	v_mul_f32_e32 v16, 0x3f317217, v15
	v_fma_f32 v17, v15, s12, -v16
	v_fmac_f32_e32 v17, 0x3377d1cf, v15
	s_mov_b32 s12, 0x7f800000
	v_add_f32_e32 v16, v16, v17
	v_cmp_lt_f32_e64 s[12:13], |v15|, s12
	v_cndmask_b32_e64 v15, v15, v16, s[12:13]
	v_mov_b32_e32 v16, 0x41b17218
	v_cndmask_b32_e64 v16, 0, v16, s[10:11]
	v_sub_f32_e32 v15, v15, v16
	v_fma_f32 v13, |v12|, v13, -v15
.LBB159_187:
	s_or_b64 exec, exec, s[14:15]
	v_cmp_le_f32_e64 s[10:11], 0, v12
	v_cmp_nle_f32_e64 s[12:13], 0, v12
	s_and_saveexec_b64 s[14:15], s[12:13]
	s_xor_b64 s[16:17], exec, s[14:15]
	s_cbranch_execz .LBB159_191
; %bb.188:
	s_mov_b32 s12, 0x4b000000
	s_mov_b32 s14, 0x35000000
	v_cmp_lt_f32_e64 s[12:13], |v12|, s12
	v_cmp_gt_f32_e64 s[14:15], |v12|, s14
	s_and_b64 s[12:13], s[12:13], s[14:15]
	s_and_saveexec_b64 s[20:21], s[12:13]
	s_cbranch_execz .LBB159_190
; %bb.189:
	v_mul_f32_e64 v15, |v12|, 0.5
	v_floor_f32_e32 v16, v15
	v_sub_f32_e32 v16, v15, v16
	v_min_f32_e32 v16, 0x3f7fffff, v16
	s_mov_b32 s14, 0x7f800000
	v_add_f32_e32 v16, v16, v16
	v_cmp_neq_f32_e64 s[12:13], s14, v15
	v_cndmask_b32_e64 v15, 0, v16, s[12:13]
	v_cmp_gt_f32_e64 s[12:13], |v12|, 1.0
	v_cndmask_b32_e64 v15, |v12|, v15, s[12:13]
	v_add_f32_e32 v16, v15, v15
	v_rndne_f32_e32 v16, v16
	v_fmac_f32_e32 v15, -0.5, v16
	v_mul_f32_e32 v17, v15, v15
	v_mov_b32_e32 v18, 0xbf1f24be
	v_fmac_f32_e32 v18, 0x3e75aa41, v17
	v_mov_b32_e32 v19, 0x40234736
	v_fmac_f32_e32 v19, v17, v18
	v_mov_b32_e32 v18, 0xc0a55e0e
	v_fmac_f32_e32 v18, v17, v19
	v_mul_f32_e32 v19, v15, v17
	v_mul_f32_e32 v18, v19, v18
	v_fmac_f32_e32 v18, 0x40490fdb, v15
	v_mov_b32_e32 v15, 0x3e642e9d
	v_cvt_i32_f32_e32 v16, v16
	v_fmac_f32_e32 v15, 0x3d4be544, v17
	v_mov_b32_e32 v19, 0xbfaad1da
	v_fmac_f32_e32 v19, v17, v15
	v_mov_b32_e32 v15, 0x4081e0d3
	;; [unrolled: 2-line block ×3, first 2 shown]
	v_fmac_f32_e32 v19, v17, v15
	v_fma_f32 v15, v17, v19, 1.0
	v_and_b32_e32 v17, 1, v16
	v_cmp_eq_u32_e64 s[12:13], 0, v17
	v_cndmask_b32_e64 v15, v15, v18, s[12:13]
	v_lshlrev_b32_e32 v16, 30, v16
	s_brev_b32 s12, 1
	v_and_or_b32 v14, v16, s12, v14
	v_xor_b32_e32 v14, v14, v15
	v_xor_b32_e32 v14, v14, v12
	v_mul_f32_e32 v14, v12, v14
	v_frexp_mant_f32_e64 v15, |v14|
	v_rcp_f32_e32 v15, v15
	v_frexp_exp_i32_f32_e32 v14, v14
	v_sub_u32_e32 v14, 2, v14
	s_mov_b32 s12, 0x800000
	v_mul_f32_e32 v15, 0x3f490fdb, v15
	v_ldexp_f32 v14, v15, v14
	v_cmp_gt_f32_e64 s[12:13], s12, v14
	v_cndmask_b32_e64 v15, 0, 32, s[12:13]
	v_ldexp_f32 v14, v14, v15
	v_log_f32_e32 v14, v14
	s_mov_b32 s15, 0x3f317217
	v_mul_f32_e32 v15, 0x3f317217, v14
	v_fma_f32 v16, v14, s15, -v15
	v_fmac_f32_e32 v16, 0x3377d1cf, v14
	v_add_f32_e32 v15, v15, v16
	v_cmp_lt_f32_e64 s[14:15], |v14|, s14
	v_cndmask_b32_e64 v14, v14, v15, s[14:15]
	v_mov_b32_e32 v15, 0x41b17218
	v_cndmask_b32_e64 v15, 0, v15, s[12:13]
	v_sub_f32_e32 v14, v14, v15
	v_sub_f32_e32 v13, v14, v13
	v_floor_f32_e32 v14, v12
	v_sub_f32_e32 v14, v12, v14
	v_min_f32_e32 v14, 0x3f7fffff, v14
	v_mov_b32_e32 v15, 0x7f800000
	v_cmp_neq_f32_e64 s[12:13], 0, v14
	v_cndmask_b32_e64 v13, v15, v13, s[12:13]
.LBB159_190:
	s_or_b64 exec, exec, s[20:21]
.LBB159_191:
	s_andn2_saveexec_b64 s[16:17], s[16:17]
; %bb.192:
	v_cmp_eq_f32_e64 s[12:13], 1.0, v12
	v_cmp_eq_f32_e64 s[14:15], 2.0, v12
	s_or_b64 s[12:13], s[12:13], s[14:15]
	v_cndmask_b32_e64 v13, v13, 0, s[12:13]
; %bb.193:
	s_or_b64 exec, exec, s[16:17]
	v_and_b32_e32 v1, 0xffff0000, v1
	s_mov_b32 s12, 0x3c800000
	v_and_b32_e32 v15, 0x7fffffff, v1
	v_cmp_nlt_f32_e64 s[12:13], |v1|, s12
                                        ; implicit-def: $vgpr14
	s_and_saveexec_b64 s[14:15], s[12:13]
	s_xor_b64 s[16:17], exec, s[14:15]
	s_cbranch_execz .LBB159_223
; %bb.194:
	v_cmp_nlt_f32_e64 s[12:13], |v1|, 2.0
                                        ; implicit-def: $vgpr14
	s_and_saveexec_b64 s[14:15], s[12:13]
	s_xor_b64 s[20:21], exec, s[14:15]
	s_cbranch_execz .LBB159_204
; %bb.195:
	s_mov_b32 s12, 0x41000000
	v_cmp_nlt_f32_e64 s[12:13], |v1|, s12
                                        ; implicit-def: $vgpr14
	s_and_saveexec_b64 s[14:15], s[12:13]
	s_xor_b64 s[22:23], exec, s[14:15]
	s_cbranch_execz .LBB159_201
; %bb.196:
	s_mov_b32 s12, 0x5c800000
	v_cmp_nlt_f32_e64 s[12:13], |v1|, s12
                                        ; implicit-def: $vgpr14
	s_and_saveexec_b64 s[14:15], s[12:13]
	s_xor_b64 s[30:31], exec, s[14:15]
	s_cbranch_execz .LBB159_198
; %bb.197:
	s_mov_b32 s12, 0x800000
	v_cmp_lt_f32_e64 s[12:13], |v1|, s12
	v_cndmask_b32_e64 v14, 0, 32, s[12:13]
	v_ldexp_f32 v14, |v1|, v14
	v_log_f32_e32 v14, v14
	s_mov_b32 s14, 0x3f317217
	s_mov_b32 s15, 0x7f800000
	v_mul_f32_e32 v16, 0x3f317217, v14
	v_fma_f32 v17, v14, s14, -v16
	v_fmac_f32_e32 v17, 0x3377d1cf, v14
	v_add_f32_e32 v16, v16, v17
	v_cmp_lt_f32_e64 s[14:15], |v14|, s15
	v_cndmask_b32_e64 v14, v14, v16, s[14:15]
	v_mov_b32_e32 v16, 0x41b17218
	v_cndmask_b32_e64 v16, 0, v16, s[12:13]
	v_sub_f32_e32 v14, v14, v16
	v_fma_f32 v14, |v1|, v14, -|v1|
.LBB159_198:
	s_andn2_saveexec_b64 s[30:31], s[30:31]
	s_cbranch_execz .LBB159_200
; %bb.199:
	v_rcp_f32_e64 v16, |v1|
	v_mov_b32_e32 v14, 0x3a5b3dd2
	v_mov_b32_e32 v17, 0xba1c065c
	v_mov_b32_e32 v18, 0x3a500cfd
	v_mul_f32_e32 v19, v16, v16
	v_fmac_f32_e32 v14, 0xbad5c4e8, v19
	v_fmac_f32_e32 v17, v19, v14
	s_mov_b32 s12, 0x800000
	v_fmac_f32_e32 v18, v19, v17
	v_mov_b32_e32 v14, 0xbb360b61
	v_cmp_lt_f32_e64 s[12:13], |v1|, s12
	v_fmac_f32_e32 v14, v19, v18
	v_cndmask_b32_e64 v18, 0, 32, s[12:13]
	v_ldexp_f32 v18, |v1|, v18
	v_log_f32_e32 v18, v18
	v_mov_b32_e32 v17, 0x3daaaaab
	v_fmac_f32_e32 v17, v19, v14
	v_mov_b32_e32 v14, 0x3ed67f1d
	v_fmac_f32_e32 v14, v16, v17
	s_mov_b32 s14, 0x3f317217
	v_mul_f32_e32 v17, 0x3f317217, v18
	v_fma_f32 v19, v18, s14, -v17
	v_fmac_f32_e32 v19, 0x3377d1cf, v18
	s_mov_b32 s14, 0x7f800000
	v_add_f32_e32 v17, v17, v19
	v_cmp_lt_f32_e64 s[14:15], |v18|, s14
	v_cndmask_b32_e64 v17, v18, v17, s[14:15]
	v_mov_b32_e32 v18, 0x41b17218
	v_cndmask_b32_e64 v18, 0, v18, s[12:13]
	v_sub_f32_e32 v17, v17, v18
	v_add_f32_e64 v16, |v1|, -0.5
	v_add_f32_e32 v17, -1.0, v17
	v_fmac_f32_e32 v14, v16, v17
.LBB159_200:
	s_or_b64 exec, exec, s[30:31]
.LBB159_201:
	s_andn2_saveexec_b64 s[22:23], s[22:23]
	s_cbranch_execz .LBB159_203
; %bb.202:
	v_cvt_i32_f32_e32 v14, v15
	v_mov_b32_e32 v16, 0x3af135b4
	v_mov_b32_e32 v17, 0x3cda40e4
	;; [unrolled: 1-line block ×3, first 2 shown]
	v_cvt_f32_i32_e32 v19, v14
	v_mov_b32_e32 v20, 0x3ea6cc7a
	v_mov_b32_e32 v21, 0x3e5c245a
	v_cmp_lt_i32_e64 s[12:13], 2, v14
	v_sub_f32_e64 v19, |v1|, v19
	v_fmac_f32_e32 v16, 0x3805ff67, v19
	v_fmac_f32_e32 v17, v19, v16
	;; [unrolled: 1-line block ×3, first 2 shown]
	v_mov_b32_e32 v17, 0x3a4beed6
	v_fmac_f32_e32 v20, v19, v18
	v_fmac_f32_e32 v17, 0x36f5d7bd, v19
	v_mov_b32_e32 v18, 0x3c98bf54
	v_fmac_f32_e32 v18, v19, v17
	v_mov_b32_e32 v17, 0x3e300f6e
	;; [unrolled: 2-line block ×4, first 2 shown]
	v_fmac_f32_e32 v17, v19, v18
	v_add_f32_e32 v18, 2.0, v19
	v_mov_b32_e32 v22, 0xbd9e233f
	v_fmac_f32_e32 v21, v19, v20
	v_add_f32_e32 v20, 0x40400000, v19
	v_cndmask_b32_e64 v18, 1.0, v18, s[12:13]
	v_cmp_lt_i32_e64 s[12:13], 3, v14
	v_fmac_f32_e32 v22, v19, v21
	v_add_f32_e32 v21, 4.0, v19
	v_cndmask_b32_e64 v20, 1.0, v20, s[12:13]
	v_cmp_lt_i32_e64 s[12:13], 4, v14
	v_mul_f32_e32 v16, v19, v22
	v_add_f32_e32 v22, 0x40a00000, v19
	v_mul_f32_e32 v18, v18, v20
	v_cndmask_b32_e64 v20, 1.0, v21, s[12:13]
	v_cmp_lt_i32_e64 s[12:13], 5, v14
	v_add_f32_e32 v23, 0x40c00000, v19
	v_mul_f32_e32 v18, v20, v18
	v_cndmask_b32_e64 v20, 1.0, v22, s[12:13]
	v_cmp_lt_i32_e64 s[12:13], 6, v14
	v_mul_f32_e32 v18, v20, v18
	v_cndmask_b32_e64 v14, 1.0, v23, s[12:13]
	v_mul_f32_e32 v14, v14, v18
	s_mov_b32 s12, 0x800000
	v_cmp_gt_f32_e64 s[12:13], s12, v14
	v_cndmask_b32_e64 v18, 0, 32, s[12:13]
	v_fma_f32 v17, v19, v17, 1.0
	v_ldexp_f32 v14, v14, v18
	v_rcp_f32_e32 v17, v17
	v_log_f32_e32 v14, v14
	s_mov_b32 s14, 0x3f317217
	v_mul_f32_e32 v16, v16, v17
	v_mul_f32_e32 v17, 0x3f317217, v14
	v_fma_f32 v18, v14, s14, -v17
	v_fmac_f32_e32 v18, 0x3377d1cf, v14
	s_mov_b32 s14, 0x7f800000
	v_add_f32_e32 v17, v17, v18
	v_cmp_lt_f32_e64 s[14:15], |v14|, s14
	v_cndmask_b32_e64 v14, v14, v17, s[14:15]
	v_mov_b32_e32 v17, 0x41b17218
	v_cndmask_b32_e64 v17, 0, v17, s[12:13]
	v_fmac_f32_e32 v16, 0.5, v19
	v_sub_f32_e32 v14, v14, v17
	v_add_f32_e32 v14, v14, v16
.LBB159_203:
	s_or_b64 exec, exec, s[22:23]
.LBB159_204:
	s_andn2_saveexec_b64 s[20:21], s[20:21]
	s_cbranch_execz .LBB159_222
; %bb.205:
	s_mov_b32 s12, 0x3f666666
	v_cmp_le_f32_e64 s[12:13], |v1|, s12
                                        ; implicit-def: $vgpr14
                                        ; implicit-def: $vgpr17
                                        ; implicit-def: $vgpr16
	s_and_saveexec_b64 s[14:15], s[12:13]
	s_xor_b64 s[22:23], exec, s[14:15]
	s_cbranch_execz .LBB159_207
; %bb.206:
	s_mov_b32 s12, 0x800000
	v_cmp_lt_f32_e64 s[12:13], |v1|, s12
	v_cndmask_b32_e64 v14, 0, 32, s[12:13]
	v_ldexp_f32 v14, |v1|, v14
	v_log_f32_e32 v14, v14
	s_mov_b32 s14, 0x3f317217
	s_mov_b32 s15, 0x7f800000
	v_mul_f32_e32 v16, 0x3f317217, v14
	v_fma_f32 v17, v14, s14, -v16
	v_fmac_f32_e32 v17, 0x3377d1cf, v14
	v_add_f32_e32 v16, v16, v17
	v_cmp_lt_f32_e64 s[14:15], |v14|, s15
	v_cndmask_b32_e64 v14, v14, v16, s[14:15]
	v_mov_b32_e32 v16, 0x41b17218
	v_cndmask_b32_e64 v16, 0, v16, s[12:13]
	s_mov_b32 s12, 0x3f3b4a23
	s_mov_b32 s13, 0xbeec5b0c
	v_sub_f32_e32 v14, v14, v16
	v_sub_f32_e64 v16, 1.0, |v1|
	v_add_f32_e64 v17, |v1|, s13
	v_cmp_lt_f32_e64 s[12:13], |v1|, s12
	v_cndmask_b32_e64 v16, v16, v17, s[12:13]
	v_cndmask_b32_e64 v17, 0, 1, s[12:13]
	s_mov_b32 s12, 0x3e6d3309
	v_cmp_lt_f32_e64 s[12:13], |v1|, s12
	v_xor_b32_e32 v14, 0x80000000, v14
	v_cndmask_b32_e64 v16, v16, |v1|, s[12:13]
	v_cndmask_b32_e64 v17, v17, 2, s[12:13]
.LBB159_207:
	s_andn2_saveexec_b64 s[14:15], s[22:23]
	s_cbranch_execz .LBB159_209
; %bb.208:
	s_mov_b32 s12, 0x3fdda512
	s_mov_b32 s13, 0xbfbb16c3
	v_sub_f32_e64 v14, 2.0, |v1|
	v_add_f32_e64 v16, |v1|, s13
	v_cmp_lt_f32_e64 s[12:13], |v1|, s12
	v_cndmask_b32_e64 v16, v14, v16, s[12:13]
	v_cndmask_b32_e64 v14, v14, 1.0, s[12:13]
	v_cvt_i32_f32_e32 v14, v14
	s_mov_b32 s12, 0x3f9d70a4
	v_add_f32_e64 v17, |v1|, -1.0
	v_cmp_lt_f32_e64 s[12:13], |v1|, s12
	v_cndmask_b32_e64 v16, v16, v17, s[12:13]
	v_cndmask_b32_e64 v17, v14, 2, s[12:13]
	v_mov_b32_e32 v14, 0
.LBB159_209:
	s_or_b64 exec, exec, s[14:15]
	v_cmp_lt_i32_e64 s[12:13], 0, v17
	s_and_saveexec_b64 s[14:15], s[12:13]
	s_xor_b64 s[14:15], exec, s[14:15]
	s_cbranch_execz .LBB159_217
; %bb.210:
	v_cmp_lt_i32_e64 s[12:13], 1, v17
	s_and_saveexec_b64 s[22:23], s[12:13]
	s_xor_b64 s[22:23], exec, s[22:23]
	s_cbranch_execz .LBB159_214
; %bb.211:
	v_cmp_eq_u32_e64 s[12:13], 2, v17
	s_and_saveexec_b64 s[30:31], s[12:13]
	s_cbranch_execz .LBB159_213
; %bb.212:
	v_mov_b32_e32 v17, 0x3e6a7578
	v_fmac_f32_e32 v17, 0x3c5b3c5e, v16
	v_mov_b32_e32 v18, 0x3f7a4bb2
	v_fmac_f32_e32 v18, v16, v17
	;; [unrolled: 2-line block ×8, first 2 shown]
	v_fma_f32 v17, v16, v19, 1.0
	v_rcp_f32_e32 v17, v17
	v_mov_b32_e32 v19, 0xbd9e233f
	v_fmac_f32_e32 v19, v16, v18
	v_mul_f32_e32 v18, v16, v19
	v_mul_f32_e32 v17, v18, v17
	v_fmac_f32_e32 v17, -0.5, v16
	v_add_f32_e32 v14, v14, v17
.LBB159_213:
	s_or_b64 exec, exec, s[30:31]
                                        ; implicit-def: $vgpr16
.LBB159_214:
	s_andn2_saveexec_b64 s[12:13], s[22:23]
	s_cbranch_execz .LBB159_216
; %bb.215:
	v_mul_f32_e32 v17, v16, v16
	v_mul_f32_e32 v18, v16, v17
	v_mov_b32_e32 v19, 0xbab7f476
	v_fmac_f32_e32 v19, 0x39a57b6b, v18
	v_mov_b32_e32 v20, 0x3bc7e707
	v_fmac_f32_e32 v20, v18, v19
	v_mov_b32_e32 v19, 0xbd064d47
	v_fmac_f32_e32 v19, v18, v20
	v_mov_b32_e32 v20, 0x3ef7b95e
	v_fmac_f32_e32 v20, v18, v19
	v_mov_b32_e32 v19, 0x3a66f867
	v_fmac_f32_e32 v19, 0xb9a3f927, v18
	v_mov_b32_e32 v21, 0xbb7177fe
	v_fmac_f32_e32 v21, v18, v19
	v_mov_b32_e32 v19, 0x3c93373d
	v_fmac_f32_e32 v19, v18, v21
	v_mov_b32_e32 v21, 0xbe17213c
	v_fmac_f32_e32 v21, v18, v19
	v_mov_b32_e32 v19, 0xba0d3085
	v_fmac_f32_e32 v19, 0x39afe9f7, v18
	v_mov_b32_e32 v22, 0x3b141699
	v_fmac_f32_e32 v22, v18, v19
	v_mov_b32_e32 v19, 0xbc28fcfe
	v_fmac_f32_e32 v19, v18, v22
	v_mov_b32_e32 v22, 0x3d845a15
	v_fmac_f32_e32 v22, v18, v19
	v_fmac_f32_e32 v21, v16, v22
	s_mov_b32 s22, 0xa2863e55
	v_fma_f32 v16, v18, -v21, s22
	v_fma_f32 v16, v17, v20, -v16
	v_add_f32_e32 v16, 0xbdf8cdce, v16
	v_add_f32_e32 v14, v14, v16
.LBB159_216:
	s_or_b64 exec, exec, s[12:13]
                                        ; implicit-def: $vgpr17
                                        ; implicit-def: $vgpr16
.LBB159_217:
	s_andn2_saveexec_b64 s[14:15], s[14:15]
	s_cbranch_execz .LBB159_221
; %bb.218:
	v_cmp_eq_u32_e64 s[12:13], 0, v17
	s_and_saveexec_b64 s[22:23], s[12:13]
	s_cbranch_execz .LBB159_220
; %bb.219:
	v_mul_f32_e32 v17, v16, v16
	v_mov_b32_e32 v18, 0x39679767
	v_fmac_f32_e32 v18, 0x37d383a2, v17
	v_mov_b32_e32 v19, 0x3a9c54a1
	v_fmac_f32_e32 v19, v17, v18
	v_mov_b32_e32 v18, 0x3bf2027e
	v_fmac_f32_e32 v18, v17, v19
	v_mov_b32_e32 v19, 0x3d89f001
	v_fmac_f32_e32 v19, v17, v18
	v_mov_b32_e32 v18, 0x3d9e233f
	v_fmac_f32_e32 v18, v17, v19
	v_mov_b32_e32 v19, 0x38e28445
	v_fmac_f32_e32 v19, 0x383c2c75, v17
	v_mov_b32_e32 v20, 0x3a05b634
	v_fmac_f32_e32 v20, v17, v19
	v_mov_b32_e32 v19, 0x3b3d6ec6
	v_fmac_f32_e32 v19, v17, v20
	v_mov_b32_e32 v20, 0x3ca89915
	v_fmac_f32_e32 v20, v17, v19
	v_mov_b32_e32 v19, 0x3ea51a66
	v_fmac_f32_e32 v19, v17, v20
	v_mul_f32_e32 v17, v17, v19
	v_fmac_f32_e32 v17, v16, v18
	v_fmac_f32_e32 v17, -0.5, v16
	v_add_f32_e32 v14, v14, v17
.LBB159_220:
	s_or_b64 exec, exec, s[22:23]
.LBB159_221:
	s_or_b64 exec, exec, s[14:15]
.LBB159_222:
	s_or_b64 exec, exec, s[20:21]
.LBB159_223:
	s_andn2_saveexec_b64 s[16:17], s[16:17]
	s_cbranch_execz .LBB159_225
; %bb.224:
	s_mov_b32 s12, 0x3e8a8991
	v_mov_b32_e32 v14, 0xbecd26ab
	v_fma_f32 v14, |v1|, s12, v14
	s_mov_b32 s12, 0x3f528d33
	v_fma_f32 v14, |v1|, v14, s12
	s_mov_b32 s12, 0x800000
	v_cmp_lt_f32_e64 s[12:13], |v1|, s12
	v_cndmask_b32_e64 v16, 0, 32, s[12:13]
	v_ldexp_f32 v16, |v1|, v16
	v_log_f32_e32 v16, v16
	s_mov_b32 s14, 0xbf13c468
	v_fma_f32 v14, |v1|, v14, s14
	s_mov_b32 s14, 0x3f317217
	v_mul_f32_e32 v17, 0x3f317217, v16
	v_fma_f32 v18, v16, s14, -v17
	v_fmac_f32_e32 v18, 0x3377d1cf, v16
	s_mov_b32 s14, 0x7f800000
	v_add_f32_e32 v17, v17, v18
	v_cmp_lt_f32_e64 s[14:15], |v16|, s14
	v_cndmask_b32_e64 v16, v16, v17, s[14:15]
	v_mov_b32_e32 v17, 0x41b17218
	v_cndmask_b32_e64 v17, 0, v17, s[12:13]
	v_sub_f32_e32 v16, v16, v17
	v_fma_f32 v14, |v1|, v14, -v16
.LBB159_225:
	s_or_b64 exec, exec, s[16:17]
	v_cmp_le_f32_e64 s[12:13], 0, v1
	v_cmp_nle_f32_e64 s[14:15], 0, v1
	s_and_saveexec_b64 s[16:17], s[14:15]
	s_xor_b64 s[20:21], exec, s[16:17]
	s_cbranch_execz .LBB159_229
; %bb.226:
	s_mov_b32 s14, 0x4b000000
	s_mov_b32 s16, 0x35000000
	v_cmp_lt_f32_e64 s[14:15], |v1|, s14
	v_cmp_gt_f32_e64 s[16:17], |v1|, s16
	s_and_b64 s[14:15], s[14:15], s[16:17]
	s_and_saveexec_b64 s[22:23], s[14:15]
	s_cbranch_execz .LBB159_228
; %bb.227:
	v_mul_f32_e64 v16, |v1|, 0.5
	v_floor_f32_e32 v17, v16
	v_sub_f32_e32 v17, v16, v17
	v_min_f32_e32 v17, 0x3f7fffff, v17
	s_mov_b32 s16, 0x7f800000
	v_add_f32_e32 v17, v17, v17
	v_cmp_neq_f32_e64 s[14:15], s16, v16
	v_cndmask_b32_e64 v16, 0, v17, s[14:15]
	v_cmp_gt_f32_e64 s[14:15], |v1|, 1.0
	v_cndmask_b32_e64 v16, |v1|, v16, s[14:15]
	v_add_f32_e32 v17, v16, v16
	v_rndne_f32_e32 v17, v17
	v_fmac_f32_e32 v16, -0.5, v17
	v_mul_f32_e32 v18, v16, v16
	v_mov_b32_e32 v19, 0xbf1f24be
	v_fmac_f32_e32 v19, 0x3e75aa41, v18
	v_mov_b32_e32 v20, 0x40234736
	v_fmac_f32_e32 v20, v18, v19
	;; [unrolled: 2-line block ×3, first 2 shown]
	v_mul_f32_e32 v20, v16, v18
	v_mul_f32_e32 v19, v20, v19
	v_fmac_f32_e32 v19, 0x40490fdb, v16
	v_mov_b32_e32 v16, 0x3e642e9d
	v_cvt_i32_f32_e32 v17, v17
	v_fmac_f32_e32 v16, 0x3d4be544, v18
	v_mov_b32_e32 v20, 0xbfaad1da
	v_fmac_f32_e32 v20, v18, v16
	v_mov_b32_e32 v16, 0x4081e0d3
	;; [unrolled: 2-line block ×3, first 2 shown]
	v_fmac_f32_e32 v20, v18, v16
	v_fma_f32 v16, v18, v20, 1.0
	v_and_b32_e32 v18, 1, v17
	v_cmp_eq_u32_e64 s[14:15], 0, v18
	v_cndmask_b32_e64 v16, v16, v19, s[14:15]
	v_lshlrev_b32_e32 v17, 30, v17
	s_brev_b32 s14, 1
	v_and_or_b32 v15, v17, s14, v15
	v_xor_b32_e32 v15, v15, v16
	v_xor_b32_e32 v15, v15, v1
	v_mul_f32_e32 v15, v1, v15
	v_frexp_mant_f32_e64 v16, |v15|
	v_rcp_f32_e32 v16, v16
	v_frexp_exp_i32_f32_e32 v15, v15
	v_sub_u32_e32 v15, 2, v15
	s_mov_b32 s14, 0x800000
	v_mul_f32_e32 v16, 0x3f490fdb, v16
	v_ldexp_f32 v15, v16, v15
	v_cmp_gt_f32_e64 s[14:15], s14, v15
	v_cndmask_b32_e64 v16, 0, 32, s[14:15]
	v_ldexp_f32 v15, v15, v16
	v_log_f32_e32 v15, v15
	s_mov_b32 s17, 0x3f317217
	v_mul_f32_e32 v16, 0x3f317217, v15
	v_fma_f32 v17, v15, s17, -v16
	v_fmac_f32_e32 v17, 0x3377d1cf, v15
	v_add_f32_e32 v16, v16, v17
	v_cmp_lt_f32_e64 s[16:17], |v15|, s16
	v_cndmask_b32_e64 v15, v15, v16, s[16:17]
	v_mov_b32_e32 v16, 0x41b17218
	v_cndmask_b32_e64 v16, 0, v16, s[14:15]
	v_sub_f32_e32 v15, v15, v16
	v_sub_f32_e32 v14, v15, v14
	v_floor_f32_e32 v15, v1
	v_sub_f32_e32 v15, v1, v15
	v_min_f32_e32 v15, 0x3f7fffff, v15
	v_mov_b32_e32 v16, 0x7f800000
	v_cmp_neq_f32_e64 s[14:15], 0, v15
	v_cndmask_b32_e64 v14, v16, v14, s[14:15]
.LBB159_228:
	s_or_b64 exec, exec, s[22:23]
.LBB159_229:
	s_andn2_saveexec_b64 s[20:21], s[20:21]
; %bb.230:
	v_cmp_eq_f32_e64 s[14:15], 1.0, v1
	v_cmp_eq_f32_e64 s[16:17], 2.0, v1
	s_or_b64 s[14:15], s[14:15], s[16:17]
	v_cndmask_b32_e64 v14, v14, 0, s[14:15]
; %bb.231:
	s_or_b64 exec, exec, s[20:21]
	v_lshlrev_b32_e32 v15, 16, v2
	s_mov_b32 s14, 0x3c800000
	v_and_b32_e32 v17, 0x7fffffff, v15
	v_cmp_nlt_f32_e64 s[14:15], |v15|, s14
                                        ; implicit-def: $vgpr16
	s_and_saveexec_b64 s[16:17], s[14:15]
	s_xor_b64 s[20:21], exec, s[16:17]
	s_cbranch_execz .LBB159_261
; %bb.232:
	v_cmp_nlt_f32_e64 s[14:15], |v15|, 2.0
                                        ; implicit-def: $vgpr16
	s_and_saveexec_b64 s[16:17], s[14:15]
	s_xor_b64 s[22:23], exec, s[16:17]
	s_cbranch_execz .LBB159_242
; %bb.233:
	s_mov_b32 s14, 0x41000000
	v_cmp_nlt_f32_e64 s[14:15], |v15|, s14
                                        ; implicit-def: $vgpr16
	s_and_saveexec_b64 s[16:17], s[14:15]
	s_xor_b64 s[30:31], exec, s[16:17]
	s_cbranch_execz .LBB159_239
; %bb.234:
	s_mov_b32 s14, 0x5c800000
	v_cmp_nlt_f32_e64 s[14:15], |v15|, s14
                                        ; implicit-def: $vgpr16
	s_and_saveexec_b64 s[16:17], s[14:15]
	s_xor_b64 s[34:35], exec, s[16:17]
	s_cbranch_execz .LBB159_236
; %bb.235:
	s_mov_b32 s14, 0x800000
	v_cmp_lt_f32_e64 s[14:15], |v15|, s14
	v_cndmask_b32_e64 v16, 0, 32, s[14:15]
	v_ldexp_f32 v16, |v15|, v16
	v_log_f32_e32 v16, v16
	s_mov_b32 s16, 0x3f317217
	s_mov_b32 s17, 0x7f800000
	v_mul_f32_e32 v18, 0x3f317217, v16
	v_fma_f32 v19, v16, s16, -v18
	v_fmac_f32_e32 v19, 0x3377d1cf, v16
	v_add_f32_e32 v18, v18, v19
	v_cmp_lt_f32_e64 s[16:17], |v16|, s17
	v_cndmask_b32_e64 v16, v16, v18, s[16:17]
	v_mov_b32_e32 v18, 0x41b17218
	v_cndmask_b32_e64 v18, 0, v18, s[14:15]
	v_sub_f32_e32 v16, v16, v18
	v_fma_f32 v16, |v15|, v16, -|v15|
.LBB159_236:
	s_andn2_saveexec_b64 s[34:35], s[34:35]
	s_cbranch_execz .LBB159_238
; %bb.237:
	v_rcp_f32_e64 v18, |v15|
	v_mov_b32_e32 v16, 0x3a5b3dd2
	v_mov_b32_e32 v19, 0xba1c065c
	;; [unrolled: 1-line block ×3, first 2 shown]
	v_mul_f32_e32 v21, v18, v18
	v_fmac_f32_e32 v16, 0xbad5c4e8, v21
	v_fmac_f32_e32 v19, v21, v16
	s_mov_b32 s14, 0x800000
	v_fmac_f32_e32 v20, v21, v19
	v_mov_b32_e32 v16, 0xbb360b61
	v_cmp_lt_f32_e64 s[14:15], |v15|, s14
	v_fmac_f32_e32 v16, v21, v20
	v_cndmask_b32_e64 v20, 0, 32, s[14:15]
	v_ldexp_f32 v20, |v15|, v20
	v_log_f32_e32 v20, v20
	v_mov_b32_e32 v19, 0x3daaaaab
	v_fmac_f32_e32 v19, v21, v16
	v_mov_b32_e32 v16, 0x3ed67f1d
	v_fmac_f32_e32 v16, v18, v19
	s_mov_b32 s16, 0x3f317217
	v_mul_f32_e32 v19, 0x3f317217, v20
	v_fma_f32 v21, v20, s16, -v19
	v_fmac_f32_e32 v21, 0x3377d1cf, v20
	s_mov_b32 s16, 0x7f800000
	v_add_f32_e32 v19, v19, v21
	v_cmp_lt_f32_e64 s[16:17], |v20|, s16
	v_cndmask_b32_e64 v19, v20, v19, s[16:17]
	v_mov_b32_e32 v20, 0x41b17218
	v_cndmask_b32_e64 v20, 0, v20, s[14:15]
	v_sub_f32_e32 v19, v19, v20
	v_add_f32_e64 v18, |v15|, -0.5
	v_add_f32_e32 v19, -1.0, v19
	v_fmac_f32_e32 v16, v18, v19
.LBB159_238:
	s_or_b64 exec, exec, s[34:35]
.LBB159_239:
	s_andn2_saveexec_b64 s[30:31], s[30:31]
	s_cbranch_execz .LBB159_241
; %bb.240:
	v_cvt_i32_f32_e32 v16, v17
	v_mov_b32_e32 v18, 0x3af135b4
	v_mov_b32_e32 v19, 0x3cda40e4
	;; [unrolled: 1-line block ×3, first 2 shown]
	v_cvt_f32_i32_e32 v21, v16
	v_mov_b32_e32 v22, 0x3ea6cc7a
	v_mov_b32_e32 v23, 0x3e5c245a
	v_cmp_lt_i32_e64 s[14:15], 2, v16
	v_sub_f32_e64 v21, |v15|, v21
	v_fmac_f32_e32 v18, 0x3805ff67, v21
	v_fmac_f32_e32 v19, v21, v18
	;; [unrolled: 1-line block ×3, first 2 shown]
	v_mov_b32_e32 v19, 0x3a4beed6
	v_fmac_f32_e32 v22, v21, v20
	v_fmac_f32_e32 v19, 0x36f5d7bd, v21
	v_mov_b32_e32 v20, 0x3c98bf54
	v_fmac_f32_e32 v20, v21, v19
	v_mov_b32_e32 v19, 0x3e300f6e
	v_fmac_f32_e32 v19, v21, v20
	v_mov_b32_e32 v20, 0x3f38d0c5
	v_fmac_f32_e32 v20, v21, v19
	v_mov_b32_e32 v19, 0x3fb22d3b
	v_fmac_f32_e32 v19, v21, v20
	v_add_f32_e32 v20, 2.0, v21
	v_mov_b32_e32 v24, 0xbd9e233f
	v_fmac_f32_e32 v23, v21, v22
	v_add_f32_e32 v22, 0x40400000, v21
	v_cndmask_b32_e64 v20, 1.0, v20, s[14:15]
	v_cmp_lt_i32_e64 s[14:15], 3, v16
	v_fmac_f32_e32 v24, v21, v23
	v_add_f32_e32 v23, 4.0, v21
	v_cndmask_b32_e64 v22, 1.0, v22, s[14:15]
	v_cmp_lt_i32_e64 s[14:15], 4, v16
	v_mul_f32_e32 v18, v21, v24
	v_add_f32_e32 v24, 0x40a00000, v21
	v_mul_f32_e32 v20, v20, v22
	v_cndmask_b32_e64 v22, 1.0, v23, s[14:15]
	v_cmp_lt_i32_e64 s[14:15], 5, v16
	v_add_f32_e32 v25, 0x40c00000, v21
	v_mul_f32_e32 v20, v22, v20
	v_cndmask_b32_e64 v22, 1.0, v24, s[14:15]
	v_cmp_lt_i32_e64 s[14:15], 6, v16
	v_mul_f32_e32 v20, v22, v20
	v_cndmask_b32_e64 v16, 1.0, v25, s[14:15]
	v_mul_f32_e32 v16, v16, v20
	s_mov_b32 s14, 0x800000
	v_cmp_gt_f32_e64 s[14:15], s14, v16
	v_cndmask_b32_e64 v20, 0, 32, s[14:15]
	v_fma_f32 v19, v21, v19, 1.0
	v_ldexp_f32 v16, v16, v20
	v_rcp_f32_e32 v19, v19
	v_log_f32_e32 v16, v16
	s_mov_b32 s16, 0x3f317217
	v_mul_f32_e32 v18, v18, v19
	v_mul_f32_e32 v19, 0x3f317217, v16
	v_fma_f32 v20, v16, s16, -v19
	v_fmac_f32_e32 v20, 0x3377d1cf, v16
	s_mov_b32 s16, 0x7f800000
	v_add_f32_e32 v19, v19, v20
	v_cmp_lt_f32_e64 s[16:17], |v16|, s16
	v_cndmask_b32_e64 v16, v16, v19, s[16:17]
	v_mov_b32_e32 v19, 0x41b17218
	v_cndmask_b32_e64 v19, 0, v19, s[14:15]
	v_fmac_f32_e32 v18, 0.5, v21
	v_sub_f32_e32 v16, v16, v19
	v_add_f32_e32 v16, v16, v18
.LBB159_241:
	s_or_b64 exec, exec, s[30:31]
.LBB159_242:
	s_andn2_saveexec_b64 s[22:23], s[22:23]
	s_cbranch_execz .LBB159_260
; %bb.243:
	s_mov_b32 s14, 0x3f666666
	v_cmp_le_f32_e64 s[14:15], |v15|, s14
                                        ; implicit-def: $vgpr16
                                        ; implicit-def: $vgpr19
                                        ; implicit-def: $vgpr18
	s_and_saveexec_b64 s[16:17], s[14:15]
	s_xor_b64 s[30:31], exec, s[16:17]
	s_cbranch_execz .LBB159_245
; %bb.244:
	s_mov_b32 s14, 0x800000
	v_cmp_lt_f32_e64 s[14:15], |v15|, s14
	v_cndmask_b32_e64 v16, 0, 32, s[14:15]
	v_ldexp_f32 v16, |v15|, v16
	v_log_f32_e32 v16, v16
	s_mov_b32 s16, 0x3f317217
	s_mov_b32 s17, 0x7f800000
	v_mul_f32_e32 v18, 0x3f317217, v16
	v_fma_f32 v19, v16, s16, -v18
	v_fmac_f32_e32 v19, 0x3377d1cf, v16
	v_add_f32_e32 v18, v18, v19
	v_cmp_lt_f32_e64 s[16:17], |v16|, s17
	v_cndmask_b32_e64 v16, v16, v18, s[16:17]
	v_mov_b32_e32 v18, 0x41b17218
	v_cndmask_b32_e64 v18, 0, v18, s[14:15]
	s_mov_b32 s14, 0x3f3b4a23
	s_mov_b32 s15, 0xbeec5b0c
	v_sub_f32_e32 v16, v16, v18
	v_sub_f32_e64 v18, 1.0, |v15|
	v_add_f32_e64 v19, |v15|, s15
	v_cmp_lt_f32_e64 s[14:15], |v15|, s14
	v_cndmask_b32_e64 v18, v18, v19, s[14:15]
	v_cndmask_b32_e64 v19, 0, 1, s[14:15]
	s_mov_b32 s14, 0x3e6d3309
	v_cmp_lt_f32_e64 s[14:15], |v15|, s14
	v_xor_b32_e32 v16, 0x80000000, v16
	v_cndmask_b32_e64 v18, v18, |v15|, s[14:15]
	v_cndmask_b32_e64 v19, v19, 2, s[14:15]
.LBB159_245:
	s_andn2_saveexec_b64 s[16:17], s[30:31]
	s_cbranch_execz .LBB159_247
; %bb.246:
	s_mov_b32 s14, 0x3fdda512
	s_mov_b32 s15, 0xbfbb16c3
	v_sub_f32_e64 v16, 2.0, |v15|
	v_add_f32_e64 v18, |v15|, s15
	v_cmp_lt_f32_e64 s[14:15], |v15|, s14
	v_cndmask_b32_e64 v18, v16, v18, s[14:15]
	v_cndmask_b32_e64 v16, v16, 1.0, s[14:15]
	v_cvt_i32_f32_e32 v16, v16
	s_mov_b32 s14, 0x3f9d70a4
	v_add_f32_e64 v19, |v15|, -1.0
	v_cmp_lt_f32_e64 s[14:15], |v15|, s14
	v_cndmask_b32_e64 v18, v18, v19, s[14:15]
	v_cndmask_b32_e64 v19, v16, 2, s[14:15]
	v_mov_b32_e32 v16, 0
.LBB159_247:
	s_or_b64 exec, exec, s[16:17]
	v_cmp_lt_i32_e64 s[14:15], 0, v19
	s_and_saveexec_b64 s[16:17], s[14:15]
	s_xor_b64 s[16:17], exec, s[16:17]
	s_cbranch_execz .LBB159_255
; %bb.248:
	v_cmp_lt_i32_e64 s[14:15], 1, v19
	s_and_saveexec_b64 s[30:31], s[14:15]
	s_xor_b64 s[30:31], exec, s[30:31]
	s_cbranch_execz .LBB159_252
; %bb.249:
	v_cmp_eq_u32_e64 s[14:15], 2, v19
	s_and_saveexec_b64 s[34:35], s[14:15]
	s_cbranch_execz .LBB159_251
; %bb.250:
	v_mov_b32_e32 v19, 0x3e6a7578
	v_fmac_f32_e32 v19, 0x3c5b3c5e, v18
	v_mov_b32_e32 v20, 0x3f7a4bb2
	v_fmac_f32_e32 v20, v18, v19
	;; [unrolled: 2-line block ×8, first 2 shown]
	v_fma_f32 v19, v18, v21, 1.0
	v_rcp_f32_e32 v19, v19
	v_mov_b32_e32 v21, 0xbd9e233f
	v_fmac_f32_e32 v21, v18, v20
	v_mul_f32_e32 v20, v18, v21
	v_mul_f32_e32 v19, v20, v19
	v_fmac_f32_e32 v19, -0.5, v18
	v_add_f32_e32 v16, v16, v19
.LBB159_251:
	s_or_b64 exec, exec, s[34:35]
                                        ; implicit-def: $vgpr18
.LBB159_252:
	s_andn2_saveexec_b64 s[14:15], s[30:31]
	s_cbranch_execz .LBB159_254
; %bb.253:
	v_mul_f32_e32 v19, v18, v18
	v_mul_f32_e32 v20, v18, v19
	v_mov_b32_e32 v21, 0xbab7f476
	v_fmac_f32_e32 v21, 0x39a57b6b, v20
	v_mov_b32_e32 v22, 0x3bc7e707
	v_fmac_f32_e32 v22, v20, v21
	;; [unrolled: 2-line block ×12, first 2 shown]
	v_fmac_f32_e32 v23, v18, v24
	s_mov_b32 s30, 0xa2863e55
	v_fma_f32 v18, v20, -v23, s30
	v_fma_f32 v18, v19, v22, -v18
	v_add_f32_e32 v18, 0xbdf8cdce, v18
	v_add_f32_e32 v16, v16, v18
.LBB159_254:
	s_or_b64 exec, exec, s[14:15]
                                        ; implicit-def: $vgpr19
                                        ; implicit-def: $vgpr18
.LBB159_255:
	s_andn2_saveexec_b64 s[16:17], s[16:17]
	s_cbranch_execz .LBB159_259
; %bb.256:
	v_cmp_eq_u32_e64 s[14:15], 0, v19
	s_and_saveexec_b64 s[30:31], s[14:15]
	s_cbranch_execz .LBB159_258
; %bb.257:
	v_mul_f32_e32 v19, v18, v18
	v_mov_b32_e32 v20, 0x39679767
	v_fmac_f32_e32 v20, 0x37d383a2, v19
	v_mov_b32_e32 v21, 0x3a9c54a1
	v_fmac_f32_e32 v21, v19, v20
	v_mov_b32_e32 v20, 0x3bf2027e
	v_fmac_f32_e32 v20, v19, v21
	v_mov_b32_e32 v21, 0x3d89f001
	v_fmac_f32_e32 v21, v19, v20
	v_mov_b32_e32 v20, 0x3d9e233f
	v_fmac_f32_e32 v20, v19, v21
	v_mov_b32_e32 v21, 0x38e28445
	v_fmac_f32_e32 v21, 0x383c2c75, v19
	v_mov_b32_e32 v22, 0x3a05b634
	v_fmac_f32_e32 v22, v19, v21
	v_mov_b32_e32 v21, 0x3b3d6ec6
	v_fmac_f32_e32 v21, v19, v22
	v_mov_b32_e32 v22, 0x3ca89915
	v_fmac_f32_e32 v22, v19, v21
	v_mov_b32_e32 v21, 0x3ea51a66
	v_fmac_f32_e32 v21, v19, v22
	v_mul_f32_e32 v19, v19, v21
	v_fmac_f32_e32 v19, v18, v20
	v_fmac_f32_e32 v19, -0.5, v18
	v_add_f32_e32 v16, v16, v19
.LBB159_258:
	s_or_b64 exec, exec, s[30:31]
.LBB159_259:
	s_or_b64 exec, exec, s[16:17]
.LBB159_260:
	s_or_b64 exec, exec, s[22:23]
.LBB159_261:
	s_andn2_saveexec_b64 s[20:21], s[20:21]
	s_cbranch_execz .LBB159_263
; %bb.262:
	s_mov_b32 s14, 0x3e8a8991
	v_mov_b32_e32 v16, 0xbecd26ab
	v_fma_f32 v16, |v15|, s14, v16
	s_mov_b32 s14, 0x3f528d33
	v_fma_f32 v16, |v15|, v16, s14
	s_mov_b32 s14, 0x800000
	v_cmp_lt_f32_e64 s[14:15], |v15|, s14
	v_cndmask_b32_e64 v18, 0, 32, s[14:15]
	v_ldexp_f32 v18, |v15|, v18
	v_log_f32_e32 v18, v18
	s_mov_b32 s16, 0xbf13c468
	v_fma_f32 v16, |v15|, v16, s16
	s_mov_b32 s16, 0x3f317217
	v_mul_f32_e32 v19, 0x3f317217, v18
	v_fma_f32 v20, v18, s16, -v19
	v_fmac_f32_e32 v20, 0x3377d1cf, v18
	s_mov_b32 s16, 0x7f800000
	v_add_f32_e32 v19, v19, v20
	v_cmp_lt_f32_e64 s[16:17], |v18|, s16
	v_cndmask_b32_e64 v18, v18, v19, s[16:17]
	v_mov_b32_e32 v19, 0x41b17218
	v_cndmask_b32_e64 v19, 0, v19, s[14:15]
	v_sub_f32_e32 v18, v18, v19
	v_fma_f32 v16, |v15|, v16, -v18
.LBB159_263:
	s_or_b64 exec, exec, s[20:21]
	v_cmp_le_f32_e64 s[14:15], 0, v15
	v_cmp_nle_f32_e64 s[16:17], 0, v15
	s_and_saveexec_b64 s[20:21], s[16:17]
	s_xor_b64 s[22:23], exec, s[20:21]
	s_cbranch_execz .LBB159_267
; %bb.264:
	s_mov_b32 s16, 0x4b000000
	s_mov_b32 s20, 0x35000000
	v_cmp_lt_f32_e64 s[16:17], |v15|, s16
	v_cmp_gt_f32_e64 s[20:21], |v15|, s20
	s_and_b64 s[16:17], s[16:17], s[20:21]
	s_and_saveexec_b64 s[30:31], s[16:17]
	s_cbranch_execz .LBB159_266
; %bb.265:
	v_mul_f32_e64 v18, |v15|, 0.5
	v_floor_f32_e32 v19, v18
	v_sub_f32_e32 v19, v18, v19
	v_min_f32_e32 v19, 0x3f7fffff, v19
	s_mov_b32 s20, 0x7f800000
	v_add_f32_e32 v19, v19, v19
	v_cmp_neq_f32_e64 s[16:17], s20, v18
	v_cndmask_b32_e64 v18, 0, v19, s[16:17]
	v_cmp_gt_f32_e64 s[16:17], |v15|, 1.0
	v_cndmask_b32_e64 v18, |v15|, v18, s[16:17]
	v_add_f32_e32 v19, v18, v18
	v_rndne_f32_e32 v19, v19
	v_fmac_f32_e32 v18, -0.5, v19
	v_mul_f32_e32 v20, v18, v18
	v_mov_b32_e32 v21, 0xbf1f24be
	v_fmac_f32_e32 v21, 0x3e75aa41, v20
	v_mov_b32_e32 v22, 0x40234736
	v_fmac_f32_e32 v22, v20, v21
	;; [unrolled: 2-line block ×3, first 2 shown]
	v_mul_f32_e32 v22, v18, v20
	v_mul_f32_e32 v21, v22, v21
	v_fmac_f32_e32 v21, 0x40490fdb, v18
	v_mov_b32_e32 v18, 0x3e642e9d
	v_cvt_i32_f32_e32 v19, v19
	v_fmac_f32_e32 v18, 0x3d4be544, v20
	v_mov_b32_e32 v22, 0xbfaad1da
	v_fmac_f32_e32 v22, v20, v18
	v_mov_b32_e32 v18, 0x4081e0d3
	;; [unrolled: 2-line block ×3, first 2 shown]
	v_fmac_f32_e32 v22, v20, v18
	v_fma_f32 v18, v20, v22, 1.0
	v_and_b32_e32 v20, 1, v19
	v_cmp_eq_u32_e64 s[16:17], 0, v20
	v_cndmask_b32_e64 v18, v18, v21, s[16:17]
	v_lshlrev_b32_e32 v19, 30, v19
	s_brev_b32 s16, 1
	v_and_or_b32 v17, v19, s16, v17
	v_xor_b32_e32 v17, v17, v18
	v_xor_b32_e32 v17, v17, v15
	v_mul_f32_e32 v17, v15, v17
	v_frexp_mant_f32_e64 v18, |v17|
	v_rcp_f32_e32 v18, v18
	v_frexp_exp_i32_f32_e32 v17, v17
	v_sub_u32_e32 v17, 2, v17
	s_mov_b32 s16, 0x800000
	v_mul_f32_e32 v18, 0x3f490fdb, v18
	v_ldexp_f32 v17, v18, v17
	v_cmp_gt_f32_e64 s[16:17], s16, v17
	v_cndmask_b32_e64 v18, 0, 32, s[16:17]
	v_ldexp_f32 v17, v17, v18
	v_log_f32_e32 v17, v17
	s_mov_b32 s21, 0x3f317217
	v_mul_f32_e32 v18, 0x3f317217, v17
	v_fma_f32 v19, v17, s21, -v18
	v_fmac_f32_e32 v19, 0x3377d1cf, v17
	v_add_f32_e32 v18, v18, v19
	v_cmp_lt_f32_e64 s[20:21], |v17|, s20
	v_cndmask_b32_e64 v17, v17, v18, s[20:21]
	v_mov_b32_e32 v18, 0x41b17218
	v_cndmask_b32_e64 v18, 0, v18, s[16:17]
	v_sub_f32_e32 v17, v17, v18
	v_sub_f32_e32 v16, v17, v16
	v_floor_f32_e32 v17, v15
	v_sub_f32_e32 v17, v15, v17
	v_min_f32_e32 v17, 0x3f7fffff, v17
	v_mov_b32_e32 v18, 0x7f800000
	v_cmp_neq_f32_e64 s[16:17], 0, v17
	v_cndmask_b32_e64 v16, v18, v16, s[16:17]
.LBB159_266:
	s_or_b64 exec, exec, s[30:31]
.LBB159_267:
	s_andn2_saveexec_b64 s[22:23], s[22:23]
; %bb.268:
	v_cmp_eq_f32_e64 s[16:17], 1.0, v15
	v_cmp_eq_f32_e64 s[20:21], 2.0, v15
	s_or_b64 s[16:17], s[16:17], s[20:21]
	v_cndmask_b32_e64 v16, v16, 0, s[16:17]
; %bb.269:
	s_or_b64 exec, exec, s[22:23]
	v_and_b32_e32 v2, 0xffff0000, v2
	s_mov_b32 s16, 0x3c800000
	v_and_b32_e32 v17, 0x7fffffff, v2
	v_cmp_nlt_f32_e64 s[16:17], |v2|, s16
                                        ; implicit-def: $vgpr18
	s_and_saveexec_b64 s[20:21], s[16:17]
	s_xor_b64 s[22:23], exec, s[20:21]
	s_cbranch_execz .LBB159_299
; %bb.270:
	v_cmp_nlt_f32_e64 s[16:17], |v2|, 2.0
                                        ; implicit-def: $vgpr18
	s_and_saveexec_b64 s[20:21], s[16:17]
	s_xor_b64 s[30:31], exec, s[20:21]
	s_cbranch_execz .LBB159_280
; %bb.271:
	s_mov_b32 s16, 0x41000000
	v_cmp_nlt_f32_e64 s[16:17], |v2|, s16
                                        ; implicit-def: $vgpr18
	s_and_saveexec_b64 s[20:21], s[16:17]
	s_xor_b64 s[34:35], exec, s[20:21]
	s_cbranch_execz .LBB159_277
; %bb.272:
	s_mov_b32 s16, 0x5c800000
	v_cmp_nlt_f32_e64 s[16:17], |v2|, s16
                                        ; implicit-def: $vgpr18
	s_and_saveexec_b64 s[20:21], s[16:17]
	s_xor_b64 s[36:37], exec, s[20:21]
	s_cbranch_execz .LBB159_274
; %bb.273:
	s_mov_b32 s16, 0x800000
	v_cmp_lt_f32_e64 s[16:17], |v2|, s16
	v_cndmask_b32_e64 v18, 0, 32, s[16:17]
	v_ldexp_f32 v18, |v2|, v18
	v_log_f32_e32 v18, v18
	s_mov_b32 s20, 0x3f317217
	s_mov_b32 s21, 0x7f800000
	v_mul_f32_e32 v19, 0x3f317217, v18
	v_fma_f32 v20, v18, s20, -v19
	v_fmac_f32_e32 v20, 0x3377d1cf, v18
	v_add_f32_e32 v19, v19, v20
	v_cmp_lt_f32_e64 s[20:21], |v18|, s21
	v_cndmask_b32_e64 v18, v18, v19, s[20:21]
	v_mov_b32_e32 v19, 0x41b17218
	v_cndmask_b32_e64 v19, 0, v19, s[16:17]
	v_sub_f32_e32 v18, v18, v19
	v_fma_f32 v18, |v2|, v18, -|v2|
.LBB159_274:
	s_andn2_saveexec_b64 s[36:37], s[36:37]
	s_cbranch_execz .LBB159_276
; %bb.275:
	v_rcp_f32_e64 v19, |v2|
	v_mov_b32_e32 v18, 0x3a5b3dd2
	v_mov_b32_e32 v20, 0xba1c065c
	;; [unrolled: 1-line block ×3, first 2 shown]
	v_mul_f32_e32 v22, v19, v19
	v_fmac_f32_e32 v18, 0xbad5c4e8, v22
	v_fmac_f32_e32 v20, v22, v18
	s_mov_b32 s16, 0x800000
	v_fmac_f32_e32 v21, v22, v20
	v_mov_b32_e32 v18, 0xbb360b61
	v_cmp_lt_f32_e64 s[16:17], |v2|, s16
	v_fmac_f32_e32 v18, v22, v21
	v_cndmask_b32_e64 v21, 0, 32, s[16:17]
	v_ldexp_f32 v21, |v2|, v21
	v_log_f32_e32 v21, v21
	v_mov_b32_e32 v20, 0x3daaaaab
	v_fmac_f32_e32 v20, v22, v18
	v_mov_b32_e32 v18, 0x3ed67f1d
	v_fmac_f32_e32 v18, v19, v20
	s_mov_b32 s20, 0x3f317217
	v_mul_f32_e32 v20, 0x3f317217, v21
	v_fma_f32 v22, v21, s20, -v20
	v_fmac_f32_e32 v22, 0x3377d1cf, v21
	s_mov_b32 s20, 0x7f800000
	v_add_f32_e32 v20, v20, v22
	v_cmp_lt_f32_e64 s[20:21], |v21|, s20
	v_cndmask_b32_e64 v20, v21, v20, s[20:21]
	v_mov_b32_e32 v21, 0x41b17218
	v_cndmask_b32_e64 v21, 0, v21, s[16:17]
	v_sub_f32_e32 v20, v20, v21
	v_add_f32_e64 v19, |v2|, -0.5
	v_add_f32_e32 v20, -1.0, v20
	v_fmac_f32_e32 v18, v19, v20
.LBB159_276:
	s_or_b64 exec, exec, s[36:37]
.LBB159_277:
	s_andn2_saveexec_b64 s[34:35], s[34:35]
	s_cbranch_execz .LBB159_279
; %bb.278:
	v_cvt_i32_f32_e32 v18, v17
	v_mov_b32_e32 v19, 0x3af135b4
	v_mov_b32_e32 v20, 0x3cda40e4
	;; [unrolled: 1-line block ×3, first 2 shown]
	v_cvt_f32_i32_e32 v22, v18
	v_mov_b32_e32 v23, 0x3ea6cc7a
	v_mov_b32_e32 v24, 0x3e5c245a
	v_cmp_lt_i32_e64 s[16:17], 2, v18
	v_sub_f32_e64 v22, |v2|, v22
	v_fmac_f32_e32 v19, 0x3805ff67, v22
	v_fmac_f32_e32 v20, v22, v19
	;; [unrolled: 1-line block ×3, first 2 shown]
	v_mov_b32_e32 v20, 0x3a4beed6
	v_fmac_f32_e32 v23, v22, v21
	v_fmac_f32_e32 v20, 0x36f5d7bd, v22
	v_mov_b32_e32 v21, 0x3c98bf54
	v_fmac_f32_e32 v21, v22, v20
	v_mov_b32_e32 v20, 0x3e300f6e
	;; [unrolled: 2-line block ×4, first 2 shown]
	v_fmac_f32_e32 v20, v22, v21
	v_add_f32_e32 v21, 2.0, v22
	v_mov_b32_e32 v25, 0xbd9e233f
	v_fmac_f32_e32 v24, v22, v23
	v_add_f32_e32 v23, 0x40400000, v22
	v_cndmask_b32_e64 v21, 1.0, v21, s[16:17]
	v_cmp_lt_i32_e64 s[16:17], 3, v18
	v_fmac_f32_e32 v25, v22, v24
	v_add_f32_e32 v24, 4.0, v22
	v_cndmask_b32_e64 v23, 1.0, v23, s[16:17]
	v_cmp_lt_i32_e64 s[16:17], 4, v18
	v_mul_f32_e32 v19, v22, v25
	v_add_f32_e32 v25, 0x40a00000, v22
	v_mul_f32_e32 v21, v21, v23
	v_cndmask_b32_e64 v23, 1.0, v24, s[16:17]
	v_cmp_lt_i32_e64 s[16:17], 5, v18
	v_add_f32_e32 v26, 0x40c00000, v22
	v_mul_f32_e32 v21, v23, v21
	v_cndmask_b32_e64 v23, 1.0, v25, s[16:17]
	v_cmp_lt_i32_e64 s[16:17], 6, v18
	v_mul_f32_e32 v21, v23, v21
	v_cndmask_b32_e64 v18, 1.0, v26, s[16:17]
	v_mul_f32_e32 v18, v18, v21
	s_mov_b32 s16, 0x800000
	v_cmp_gt_f32_e64 s[16:17], s16, v18
	v_cndmask_b32_e64 v21, 0, 32, s[16:17]
	v_fma_f32 v20, v22, v20, 1.0
	v_ldexp_f32 v18, v18, v21
	v_rcp_f32_e32 v20, v20
	v_log_f32_e32 v18, v18
	s_mov_b32 s20, 0x3f317217
	v_mul_f32_e32 v19, v19, v20
	v_mul_f32_e32 v20, 0x3f317217, v18
	v_fma_f32 v21, v18, s20, -v20
	v_fmac_f32_e32 v21, 0x3377d1cf, v18
	s_mov_b32 s20, 0x7f800000
	v_add_f32_e32 v20, v20, v21
	v_cmp_lt_f32_e64 s[20:21], |v18|, s20
	v_cndmask_b32_e64 v18, v18, v20, s[20:21]
	v_mov_b32_e32 v20, 0x41b17218
	v_cndmask_b32_e64 v20, 0, v20, s[16:17]
	v_fmac_f32_e32 v19, 0.5, v22
	v_sub_f32_e32 v18, v18, v20
	v_add_f32_e32 v18, v18, v19
.LBB159_279:
	s_or_b64 exec, exec, s[34:35]
.LBB159_280:
	s_andn2_saveexec_b64 s[30:31], s[30:31]
	s_cbranch_execz .LBB159_298
; %bb.281:
	s_mov_b32 s16, 0x3f666666
	v_cmp_le_f32_e64 s[16:17], |v2|, s16
                                        ; implicit-def: $vgpr18
                                        ; implicit-def: $vgpr20
                                        ; implicit-def: $vgpr19
	s_and_saveexec_b64 s[20:21], s[16:17]
	s_xor_b64 s[34:35], exec, s[20:21]
	s_cbranch_execz .LBB159_283
; %bb.282:
	s_mov_b32 s16, 0x800000
	v_cmp_lt_f32_e64 s[16:17], |v2|, s16
	v_cndmask_b32_e64 v18, 0, 32, s[16:17]
	v_ldexp_f32 v18, |v2|, v18
	v_log_f32_e32 v18, v18
	s_mov_b32 s20, 0x3f317217
	s_mov_b32 s21, 0x7f800000
	v_mul_f32_e32 v19, 0x3f317217, v18
	v_fma_f32 v20, v18, s20, -v19
	v_fmac_f32_e32 v20, 0x3377d1cf, v18
	v_add_f32_e32 v19, v19, v20
	v_cmp_lt_f32_e64 s[20:21], |v18|, s21
	v_cndmask_b32_e64 v18, v18, v19, s[20:21]
	v_mov_b32_e32 v19, 0x41b17218
	v_cndmask_b32_e64 v19, 0, v19, s[16:17]
	s_mov_b32 s16, 0x3f3b4a23
	s_mov_b32 s17, 0xbeec5b0c
	v_sub_f32_e32 v18, v18, v19
	v_sub_f32_e64 v19, 1.0, |v2|
	v_add_f32_e64 v20, |v2|, s17
	v_cmp_lt_f32_e64 s[16:17], |v2|, s16
	v_cndmask_b32_e64 v19, v19, v20, s[16:17]
	v_cndmask_b32_e64 v20, 0, 1, s[16:17]
	s_mov_b32 s16, 0x3e6d3309
	v_cmp_lt_f32_e64 s[16:17], |v2|, s16
	v_xor_b32_e32 v18, 0x80000000, v18
	v_cndmask_b32_e64 v19, v19, |v2|, s[16:17]
	v_cndmask_b32_e64 v20, v20, 2, s[16:17]
.LBB159_283:
	s_andn2_saveexec_b64 s[20:21], s[34:35]
	s_cbranch_execz .LBB159_285
; %bb.284:
	s_mov_b32 s16, 0x3fdda512
	s_mov_b32 s17, 0xbfbb16c3
	v_sub_f32_e64 v18, 2.0, |v2|
	v_add_f32_e64 v19, |v2|, s17
	v_cmp_lt_f32_e64 s[16:17], |v2|, s16
	v_cndmask_b32_e64 v19, v18, v19, s[16:17]
	v_cndmask_b32_e64 v18, v18, 1.0, s[16:17]
	v_cvt_i32_f32_e32 v18, v18
	s_mov_b32 s16, 0x3f9d70a4
	v_add_f32_e64 v20, |v2|, -1.0
	v_cmp_lt_f32_e64 s[16:17], |v2|, s16
	v_cndmask_b32_e64 v19, v19, v20, s[16:17]
	v_cndmask_b32_e64 v20, v18, 2, s[16:17]
	v_mov_b32_e32 v18, 0
.LBB159_285:
	s_or_b64 exec, exec, s[20:21]
	v_cmp_lt_i32_e64 s[16:17], 0, v20
	s_and_saveexec_b64 s[20:21], s[16:17]
	s_xor_b64 s[20:21], exec, s[20:21]
	s_cbranch_execz .LBB159_293
; %bb.286:
	v_cmp_lt_i32_e64 s[16:17], 1, v20
	s_and_saveexec_b64 s[34:35], s[16:17]
	s_xor_b64 s[34:35], exec, s[34:35]
	s_cbranch_execz .LBB159_290
; %bb.287:
	v_cmp_eq_u32_e64 s[16:17], 2, v20
	s_and_saveexec_b64 s[36:37], s[16:17]
	s_cbranch_execz .LBB159_289
; %bb.288:
	v_mov_b32_e32 v20, 0x3e6a7578
	v_fmac_f32_e32 v20, 0x3c5b3c5e, v19
	v_mov_b32_e32 v21, 0x3f7a4bb2
	v_fmac_f32_e32 v21, v19, v20
	;; [unrolled: 2-line block ×8, first 2 shown]
	v_fma_f32 v20, v19, v22, 1.0
	v_rcp_f32_e32 v20, v20
	v_mov_b32_e32 v22, 0xbd9e233f
	v_fmac_f32_e32 v22, v19, v21
	v_mul_f32_e32 v21, v19, v22
	v_mul_f32_e32 v20, v21, v20
	v_fmac_f32_e32 v20, -0.5, v19
	v_add_f32_e32 v18, v18, v20
.LBB159_289:
	s_or_b64 exec, exec, s[36:37]
                                        ; implicit-def: $vgpr19
.LBB159_290:
	s_andn2_saveexec_b64 s[16:17], s[34:35]
	s_cbranch_execz .LBB159_292
; %bb.291:
	v_mul_f32_e32 v20, v19, v19
	v_mul_f32_e32 v21, v19, v20
	v_mov_b32_e32 v22, 0xbab7f476
	v_fmac_f32_e32 v22, 0x39a57b6b, v21
	v_mov_b32_e32 v23, 0x3bc7e707
	v_fmac_f32_e32 v23, v21, v22
	;; [unrolled: 2-line block ×12, first 2 shown]
	v_fmac_f32_e32 v24, v19, v25
	s_mov_b32 s33, 0xa2863e55
	v_fma_f32 v19, v21, -v24, s33
	v_fma_f32 v19, v20, v23, -v19
	v_add_f32_e32 v19, 0xbdf8cdce, v19
	v_add_f32_e32 v18, v18, v19
.LBB159_292:
	s_or_b64 exec, exec, s[16:17]
                                        ; implicit-def: $vgpr20
                                        ; implicit-def: $vgpr19
.LBB159_293:
	s_andn2_saveexec_b64 s[20:21], s[20:21]
	s_cbranch_execz .LBB159_297
; %bb.294:
	v_cmp_eq_u32_e64 s[16:17], 0, v20
	s_and_saveexec_b64 s[34:35], s[16:17]
	s_cbranch_execz .LBB159_296
; %bb.295:
	v_mul_f32_e32 v20, v19, v19
	v_mov_b32_e32 v21, 0x39679767
	v_fmac_f32_e32 v21, 0x37d383a2, v20
	v_mov_b32_e32 v22, 0x3a9c54a1
	v_fmac_f32_e32 v22, v20, v21
	;; [unrolled: 2-line block ×10, first 2 shown]
	v_mul_f32_e32 v20, v20, v22
	v_fmac_f32_e32 v20, v19, v21
	v_fmac_f32_e32 v20, -0.5, v19
	v_add_f32_e32 v18, v18, v20
.LBB159_296:
	s_or_b64 exec, exec, s[34:35]
.LBB159_297:
	s_or_b64 exec, exec, s[20:21]
.LBB159_298:
	s_or_b64 exec, exec, s[30:31]
.LBB159_299:
	s_andn2_saveexec_b64 s[22:23], s[22:23]
	s_cbranch_execz .LBB159_301
; %bb.300:
	s_mov_b32 s16, 0x3e8a8991
	v_mov_b32_e32 v18, 0xbecd26ab
	v_fma_f32 v18, |v2|, s16, v18
	s_mov_b32 s16, 0x3f528d33
	v_fma_f32 v18, |v2|, v18, s16
	s_mov_b32 s16, 0x800000
	v_cmp_lt_f32_e64 s[16:17], |v2|, s16
	v_cndmask_b32_e64 v19, 0, 32, s[16:17]
	v_ldexp_f32 v19, |v2|, v19
	v_log_f32_e32 v19, v19
	s_mov_b32 s20, 0xbf13c468
	v_fma_f32 v18, |v2|, v18, s20
	s_mov_b32 s20, 0x3f317217
	v_mul_f32_e32 v20, 0x3f317217, v19
	v_fma_f32 v21, v19, s20, -v20
	v_fmac_f32_e32 v21, 0x3377d1cf, v19
	s_mov_b32 s20, 0x7f800000
	v_add_f32_e32 v20, v20, v21
	v_cmp_lt_f32_e64 s[20:21], |v19|, s20
	v_cndmask_b32_e64 v19, v19, v20, s[20:21]
	v_mov_b32_e32 v20, 0x41b17218
	v_cndmask_b32_e64 v20, 0, v20, s[16:17]
	v_sub_f32_e32 v19, v19, v20
	v_fma_f32 v18, |v2|, v18, -v19
.LBB159_301:
	s_or_b64 exec, exec, s[22:23]
	v_cmp_le_f32_e64 s[16:17], 0, v2
	v_cmp_nle_f32_e64 s[20:21], 0, v2
	s_and_saveexec_b64 s[22:23], s[20:21]
	s_xor_b64 s[30:31], exec, s[22:23]
	s_cbranch_execz .LBB159_305
; %bb.302:
	s_mov_b32 s20, 0x4b000000
	s_mov_b32 s22, 0x35000000
	v_cmp_lt_f32_e64 s[20:21], |v2|, s20
	v_cmp_gt_f32_e64 s[22:23], |v2|, s22
	s_and_b64 s[20:21], s[20:21], s[22:23]
	s_and_saveexec_b64 s[34:35], s[20:21]
	s_cbranch_execz .LBB159_304
; %bb.303:
	v_mul_f32_e64 v19, |v2|, 0.5
	v_floor_f32_e32 v20, v19
	v_sub_f32_e32 v20, v19, v20
	v_min_f32_e32 v20, 0x3f7fffff, v20
	s_mov_b32 s22, 0x7f800000
	v_add_f32_e32 v20, v20, v20
	v_cmp_neq_f32_e64 s[20:21], s22, v19
	v_cndmask_b32_e64 v19, 0, v20, s[20:21]
	v_cmp_gt_f32_e64 s[20:21], |v2|, 1.0
	v_cndmask_b32_e64 v19, |v2|, v19, s[20:21]
	v_add_f32_e32 v20, v19, v19
	v_rndne_f32_e32 v20, v20
	v_fmac_f32_e32 v19, -0.5, v20
	v_mul_f32_e32 v21, v19, v19
	v_mov_b32_e32 v22, 0xbf1f24be
	v_fmac_f32_e32 v22, 0x3e75aa41, v21
	v_mov_b32_e32 v23, 0x40234736
	v_fmac_f32_e32 v23, v21, v22
	;; [unrolled: 2-line block ×3, first 2 shown]
	v_mul_f32_e32 v23, v19, v21
	v_mul_f32_e32 v22, v23, v22
	v_fmac_f32_e32 v22, 0x40490fdb, v19
	v_mov_b32_e32 v19, 0x3e642e9d
	v_cvt_i32_f32_e32 v20, v20
	v_fmac_f32_e32 v19, 0x3d4be544, v21
	v_mov_b32_e32 v23, 0xbfaad1da
	v_fmac_f32_e32 v23, v21, v19
	v_mov_b32_e32 v19, 0x4081e0d3
	;; [unrolled: 2-line block ×3, first 2 shown]
	v_fmac_f32_e32 v23, v21, v19
	v_fma_f32 v19, v21, v23, 1.0
	v_and_b32_e32 v21, 1, v20
	v_cmp_eq_u32_e64 s[20:21], 0, v21
	v_cndmask_b32_e64 v19, v19, v22, s[20:21]
	v_lshlrev_b32_e32 v20, 30, v20
	s_brev_b32 s20, 1
	v_and_or_b32 v17, v20, s20, v17
	v_xor_b32_e32 v17, v17, v19
	v_xor_b32_e32 v17, v17, v2
	v_mul_f32_e32 v17, v2, v17
	v_frexp_mant_f32_e64 v19, |v17|
	v_rcp_f32_e32 v19, v19
	v_frexp_exp_i32_f32_e32 v17, v17
	v_sub_u32_e32 v17, 2, v17
	s_mov_b32 s20, 0x800000
	v_mul_f32_e32 v19, 0x3f490fdb, v19
	v_ldexp_f32 v17, v19, v17
	v_cmp_gt_f32_e64 s[20:21], s20, v17
	v_cndmask_b32_e64 v19, 0, 32, s[20:21]
	v_ldexp_f32 v17, v17, v19
	v_log_f32_e32 v17, v17
	s_mov_b32 s23, 0x3f317217
	v_mul_f32_e32 v19, 0x3f317217, v17
	v_fma_f32 v20, v17, s23, -v19
	v_fmac_f32_e32 v20, 0x3377d1cf, v17
	v_add_f32_e32 v19, v19, v20
	v_cmp_lt_f32_e64 s[22:23], |v17|, s22
	v_cndmask_b32_e64 v17, v17, v19, s[22:23]
	v_mov_b32_e32 v19, 0x41b17218
	v_cndmask_b32_e64 v19, 0, v19, s[20:21]
	v_sub_f32_e32 v17, v17, v19
	v_sub_f32_e32 v17, v17, v18
	v_floor_f32_e32 v18, v2
	v_sub_f32_e32 v18, v2, v18
	v_min_f32_e32 v18, 0x3f7fffff, v18
	v_mov_b32_e32 v19, 0x7f800000
	v_cmp_neq_f32_e64 s[20:21], 0, v18
	v_cndmask_b32_e64 v18, v19, v17, s[20:21]
.LBB159_304:
	s_or_b64 exec, exec, s[34:35]
.LBB159_305:
	s_andn2_saveexec_b64 s[30:31], s[30:31]
; %bb.306:
	v_cmp_eq_f32_e64 s[20:21], 1.0, v2
	v_cmp_eq_f32_e64 s[22:23], 2.0, v2
	s_or_b64 s[20:21], s[20:21], s[22:23]
	v_cndmask_b32_e64 v18, v18, 0, s[20:21]
; %bb.307:
	s_or_b64 exec, exec, s[30:31]
	s_mov_b32 s22, 0x4b000000
	v_cmp_lt_f32_e64 s[20:21], |v12|, s22
	v_mov_b32_e32 v17, 0x264
	v_mov_b32_e32 v19, 0x7f800000
	s_or_b64 s[10:11], s[10:11], s[20:21]
	v_cndmask_b32_e64 v13, v19, v13, s[10:11]
	v_cmp_class_f32_e64 s[10:11], v12, v17
	v_cndmask_b32_e64 v13, v13, v19, s[10:11]
	v_cmp_u_f32_e64 s[10:11], v12, v12
	v_cndmask_b32_e64 v12, v13, v12, s[10:11]
	v_bfe_u32 v13, v12, 16, 1
	s_movk_i32 s20, 0x7fff
	v_add3_u32 v13, v12, v13, s20
	v_lshrrev_b32_e32 v13, 16, v13
	v_mov_b32_e32 v20, 0x7fc0
	v_cmp_o_f32_e64 s[10:11], v12, v12
	v_cndmask_b32_e64 v12, v20, v13, s[10:11]
	v_cmp_lt_f32_e64 s[10:11], |v1|, s22
	s_or_b64 s[10:11], s[12:13], s[10:11]
	v_cndmask_b32_e64 v13, v19, v14, s[10:11]
	v_cmp_class_f32_e64 s[10:11], v1, v17
	v_cndmask_b32_e64 v13, v13, v19, s[10:11]
	v_cmp_u_f32_e64 s[10:11], v1, v1
	v_cndmask_b32_e64 v1, v13, v1, s[10:11]
	v_bfe_u32 v13, v1, 16, 1
	v_add3_u32 v13, v1, v13, s20
	v_and_b32_e32 v13, 0xffff0000, v13
	v_mov_b32_e32 v14, 0x7fc00000
	v_cmp_o_f32_e64 s[10:11], v1, v1
	v_cndmask_b32_e64 v1, v14, v13, s[10:11]
	v_cmp_lt_f32_e64 s[10:11], |v15|, s22
	s_or_b64 s[10:11], s[14:15], s[10:11]
	v_or_b32_e32 v1, v1, v12
	v_cndmask_b32_e64 v12, v19, v16, s[10:11]
	v_cmp_class_f32_e64 s[10:11], v15, v17
	v_cndmask_b32_e64 v12, v12, v19, s[10:11]
	v_cmp_u_f32_e64 s[10:11], v15, v15
	v_cndmask_b32_e64 v12, v12, v15, s[10:11]
	v_bfe_u32 v13, v12, 16, 1
	v_add3_u32 v13, v12, v13, s20
	v_lshrrev_b32_e32 v13, 16, v13
	v_cmp_o_f32_e64 s[10:11], v12, v12
	v_cndmask_b32_e64 v12, v20, v13, s[10:11]
	v_cmp_lt_f32_e64 s[10:11], |v6|, s22
	s_or_b64 vcc, vcc, s[10:11]
	v_cndmask_b32_e32 v7, v19, v7, vcc
	v_cmp_class_f32_e32 vcc, v6, v17
	v_cndmask_b32_e32 v7, v7, v19, vcc
	v_cmp_u_f32_e32 vcc, v6, v6
	v_cndmask_b32_e32 v6, v7, v6, vcc
	v_bfe_u32 v7, v6, 16, 1
	v_add3_u32 v7, v6, v7, s20
	v_lshrrev_b32_e32 v7, 16, v7
	v_cmp_o_f32_e32 vcc, v6, v6
	v_cmp_lt_f32_e64 s[10:11], |v3|, s22
	v_cndmask_b32_e32 v6, v20, v7, vcc
	s_or_b64 vcc, s[4:5], s[10:11]
	v_cndmask_b32_e32 v7, v19, v8, vcc
	v_cmp_class_f32_e32 vcc, v3, v17
	v_cndmask_b32_e32 v7, v7, v19, vcc
	v_cmp_u_f32_e32 vcc, v3, v3
	v_cndmask_b32_e32 v3, v7, v3, vcc
	v_bfe_u32 v7, v3, 16, 1
	v_add3_u32 v7, v3, v7, s20
	v_and_b32_e32 v7, 0xffff0000, v7
	v_cmp_o_f32_e32 vcc, v3, v3
	v_cmp_lt_f32_e64 s[4:5], |v9|, s22
	v_cndmask_b32_e32 v3, v14, v7, vcc
	s_or_b64 vcc, s[18:19], s[4:5]
	v_or_b32_e32 v3, v3, v6
	v_cndmask_b32_e32 v6, v19, v10, vcc
	v_cmp_class_f32_e32 vcc, v9, v17
	v_cndmask_b32_e32 v6, v6, v19, vcc
	v_cmp_u_f32_e32 vcc, v9, v9
	v_cndmask_b32_e32 v6, v6, v9, vcc
	v_bfe_u32 v7, v6, 16, 1
	v_add3_u32 v7, v6, v7, s20
	v_lshrrev_b32_e32 v7, 16, v7
	v_cmp_o_f32_e32 vcc, v6, v6
	v_cmp_lt_f32_e64 s[4:5], |v4|, s22
	v_cndmask_b32_e32 v6, v20, v7, vcc
	s_or_b64 vcc, s[8:9], s[4:5]
	v_cndmask_b32_e32 v7, v19, v11, vcc
	v_cmp_class_f32_e32 vcc, v4, v17
	v_cndmask_b32_e32 v7, v7, v19, vcc
	v_cmp_u_f32_e32 vcc, v4, v4
	v_cndmask_b32_e32 v4, v7, v4, vcc
	v_bfe_u32 v7, v4, 16, 1
	v_add3_u32 v7, v4, v7, s20
	v_and_b32_e32 v7, 0xffff0000, v7
	v_cmp_o_f32_e32 vcc, v4, v4
	v_cmp_lt_f32_e64 s[4:5], |v2|, s22
	v_cndmask_b32_e32 v4, v14, v7, vcc
	s_or_b64 vcc, s[16:17], s[4:5]
	v_or3_b32 v4, 0, v6, v4
	v_cndmask_b32_e32 v6, v19, v18, vcc
	v_cmp_class_f32_e32 vcc, v2, v17
	v_cndmask_b32_e32 v6, v6, v19, vcc
	v_cmp_u_f32_e32 vcc, v2, v2
	v_cndmask_b32_e32 v2, v6, v2, vcc
	v_bfe_u32 v6, v2, 16, 1
	v_add3_u32 v6, v2, v6, s20
	v_and_b32_e32 v6, 0xffff0000, v6
	v_cmp_o_f32_e32 vcc, v2, v2
	s_add_u32 s4, s24, s28
	v_or3_b32 v3, v3, 0, 0
	v_cndmask_b32_e32 v2, v14, v6, vcc
	s_addc_u32 s5, s25, s29
	v_or3_b32 v2, 0, v12, v2
	v_or3_b32 v1, v1, 0, 0
	global_store_dwordx2 v5, v[3:4], s[4:5]
	global_store_dwordx2 v5, v[1:2], s[4:5] offset:2048
	s_branch .LBB159_2
.LBB159_308:
	s_getpc_b64 s[4:5]
	s_add_u32 s4, s4, _ZN2at6native25elementwise_kernel_helperILb0EZZZNS0_18lgamma_kernel_cudaERNS_18TensorIteratorBaseEENKUlvE_clEvENKUlvE2_clEvEUlN3c108BFloat16EE_NS0_6memory8policies11unroll_baseILi256ESt5arrayIPcLm2EE23TrivialOffsetCalculatorILi1EjESG_NS9_15LoadWithoutCastENS9_16StoreWithoutCastELi8ELi1EEEEEvT0_T1_@rel32@lo+4
	s_addc_u32 s5, s5, _ZN2at6native25elementwise_kernel_helperILb0EZZZNS0_18lgamma_kernel_cudaERNS_18TensorIteratorBaseEENKUlvE_clEvENKUlvE2_clEvEUlN3c108BFloat16EE_NS0_6memory8policies11unroll_baseILi256ESt5arrayIPcLm2EE23TrivialOffsetCalculatorILi1EjESG_NS9_15LoadWithoutCastENS9_16StoreWithoutCastELi8ELi1EEEEEvT0_T1_@rel32@hi+12
	s_mov_b32 s12, s6
	v_mov_b32_e32 v31, v0
	v_mov_b32_e32 v0, s24
	;; [unrolled: 1-line block ×6, first 2 shown]
	s_swappc_b64 s[30:31], s[4:5]
	s_endpgm
	.section	.rodata,"a",@progbits
	.p2align	6, 0x0
	.amdhsa_kernel _ZN2at6native29vectorized_elementwise_kernelILi4EZZZNS0_18lgamma_kernel_cudaERNS_18TensorIteratorBaseEENKUlvE_clEvENKUlvE2_clEvEUlN3c108BFloat16EE_St5arrayIPcLm2EEEEviT0_T1_
		.amdhsa_group_segment_fixed_size 0
		.amdhsa_private_segment_fixed_size 0
		.amdhsa_kernarg_size 24
		.amdhsa_user_sgpr_count 6
		.amdhsa_user_sgpr_private_segment_buffer 1
		.amdhsa_user_sgpr_dispatch_ptr 0
		.amdhsa_user_sgpr_queue_ptr 0
		.amdhsa_user_sgpr_kernarg_segment_ptr 1
		.amdhsa_user_sgpr_dispatch_id 0
		.amdhsa_user_sgpr_flat_scratch_init 0
		.amdhsa_user_sgpr_private_segment_size 0
		.amdhsa_uses_dynamic_stack 0
		.amdhsa_system_sgpr_private_segment_wavefront_offset 0
		.amdhsa_system_sgpr_workgroup_id_x 1
		.amdhsa_system_sgpr_workgroup_id_y 0
		.amdhsa_system_sgpr_workgroup_id_z 0
		.amdhsa_system_sgpr_workgroup_info 0
		.amdhsa_system_vgpr_workitem_id 0
		.amdhsa_next_free_vgpr 32
		.amdhsa_next_free_sgpr 38
		.amdhsa_reserve_vcc 1
		.amdhsa_reserve_flat_scratch 0
		.amdhsa_float_round_mode_32 0
		.amdhsa_float_round_mode_16_64 0
		.amdhsa_float_denorm_mode_32 3
		.amdhsa_float_denorm_mode_16_64 3
		.amdhsa_dx10_clamp 1
		.amdhsa_ieee_mode 1
		.amdhsa_fp16_overflow 0
		.amdhsa_exception_fp_ieee_invalid_op 0
		.amdhsa_exception_fp_denorm_src 0
		.amdhsa_exception_fp_ieee_div_zero 0
		.amdhsa_exception_fp_ieee_overflow 0
		.amdhsa_exception_fp_ieee_underflow 0
		.amdhsa_exception_fp_ieee_inexact 0
		.amdhsa_exception_int_div_zero 0
	.end_amdhsa_kernel
	.section	.text._ZN2at6native29vectorized_elementwise_kernelILi4EZZZNS0_18lgamma_kernel_cudaERNS_18TensorIteratorBaseEENKUlvE_clEvENKUlvE2_clEvEUlN3c108BFloat16EE_St5arrayIPcLm2EEEEviT0_T1_,"axG",@progbits,_ZN2at6native29vectorized_elementwise_kernelILi4EZZZNS0_18lgamma_kernel_cudaERNS_18TensorIteratorBaseEENKUlvE_clEvENKUlvE2_clEvEUlN3c108BFloat16EE_St5arrayIPcLm2EEEEviT0_T1_,comdat
.Lfunc_end159:
	.size	_ZN2at6native29vectorized_elementwise_kernelILi4EZZZNS0_18lgamma_kernel_cudaERNS_18TensorIteratorBaseEENKUlvE_clEvENKUlvE2_clEvEUlN3c108BFloat16EE_St5arrayIPcLm2EEEEviT0_T1_, .Lfunc_end159-_ZN2at6native29vectorized_elementwise_kernelILi4EZZZNS0_18lgamma_kernel_cudaERNS_18TensorIteratorBaseEENKUlvE_clEvENKUlvE2_clEvEUlN3c108BFloat16EE_St5arrayIPcLm2EEEEviT0_T1_
                                        ; -- End function
	.set _ZN2at6native29vectorized_elementwise_kernelILi4EZZZNS0_18lgamma_kernel_cudaERNS_18TensorIteratorBaseEENKUlvE_clEvENKUlvE2_clEvEUlN3c108BFloat16EE_St5arrayIPcLm2EEEEviT0_T1_.num_vgpr, max(32, .L_ZN2at6native25elementwise_kernel_helperILb0EZZZNS0_18lgamma_kernel_cudaERNS_18TensorIteratorBaseEENKUlvE_clEvENKUlvE2_clEvEUlN3c108BFloat16EE_NS0_6memory8policies11unroll_baseILi256ESt5arrayIPcLm2EE23TrivialOffsetCalculatorILi1EjESG_NS9_15LoadWithoutCastENS9_16StoreWithoutCastELi8ELi1EEEEEvT0_T1_.num_vgpr)
	.set _ZN2at6native29vectorized_elementwise_kernelILi4EZZZNS0_18lgamma_kernel_cudaERNS_18TensorIteratorBaseEENKUlvE_clEvENKUlvE2_clEvEUlN3c108BFloat16EE_St5arrayIPcLm2EEEEviT0_T1_.num_agpr, max(0, .L_ZN2at6native25elementwise_kernel_helperILb0EZZZNS0_18lgamma_kernel_cudaERNS_18TensorIteratorBaseEENKUlvE_clEvENKUlvE2_clEvEUlN3c108BFloat16EE_NS0_6memory8policies11unroll_baseILi256ESt5arrayIPcLm2EE23TrivialOffsetCalculatorILi1EjESG_NS9_15LoadWithoutCastENS9_16StoreWithoutCastELi8ELi1EEEEEvT0_T1_.num_agpr)
	.set _ZN2at6native29vectorized_elementwise_kernelILi4EZZZNS0_18lgamma_kernel_cudaERNS_18TensorIteratorBaseEENKUlvE_clEvENKUlvE2_clEvEUlN3c108BFloat16EE_St5arrayIPcLm2EEEEviT0_T1_.numbered_sgpr, max(38, .L_ZN2at6native25elementwise_kernel_helperILb0EZZZNS0_18lgamma_kernel_cudaERNS_18TensorIteratorBaseEENKUlvE_clEvENKUlvE2_clEvEUlN3c108BFloat16EE_NS0_6memory8policies11unroll_baseILi256ESt5arrayIPcLm2EE23TrivialOffsetCalculatorILi1EjESG_NS9_15LoadWithoutCastENS9_16StoreWithoutCastELi8ELi1EEEEEvT0_T1_.numbered_sgpr)
	.set _ZN2at6native29vectorized_elementwise_kernelILi4EZZZNS0_18lgamma_kernel_cudaERNS_18TensorIteratorBaseEENKUlvE_clEvENKUlvE2_clEvEUlN3c108BFloat16EE_St5arrayIPcLm2EEEEviT0_T1_.num_named_barrier, max(0, .L_ZN2at6native25elementwise_kernel_helperILb0EZZZNS0_18lgamma_kernel_cudaERNS_18TensorIteratorBaseEENKUlvE_clEvENKUlvE2_clEvEUlN3c108BFloat16EE_NS0_6memory8policies11unroll_baseILi256ESt5arrayIPcLm2EE23TrivialOffsetCalculatorILi1EjESG_NS9_15LoadWithoutCastENS9_16StoreWithoutCastELi8ELi1EEEEEvT0_T1_.num_named_barrier)
	.set _ZN2at6native29vectorized_elementwise_kernelILi4EZZZNS0_18lgamma_kernel_cudaERNS_18TensorIteratorBaseEENKUlvE_clEvENKUlvE2_clEvEUlN3c108BFloat16EE_St5arrayIPcLm2EEEEviT0_T1_.private_seg_size, 0+max(.L_ZN2at6native25elementwise_kernel_helperILb0EZZZNS0_18lgamma_kernel_cudaERNS_18TensorIteratorBaseEENKUlvE_clEvENKUlvE2_clEvEUlN3c108BFloat16EE_NS0_6memory8policies11unroll_baseILi256ESt5arrayIPcLm2EE23TrivialOffsetCalculatorILi1EjESG_NS9_15LoadWithoutCastENS9_16StoreWithoutCastELi8ELi1EEEEEvT0_T1_.private_seg_size)
	.set _ZN2at6native29vectorized_elementwise_kernelILi4EZZZNS0_18lgamma_kernel_cudaERNS_18TensorIteratorBaseEENKUlvE_clEvENKUlvE2_clEvEUlN3c108BFloat16EE_St5arrayIPcLm2EEEEviT0_T1_.uses_vcc, or(1, .L_ZN2at6native25elementwise_kernel_helperILb0EZZZNS0_18lgamma_kernel_cudaERNS_18TensorIteratorBaseEENKUlvE_clEvENKUlvE2_clEvEUlN3c108BFloat16EE_NS0_6memory8policies11unroll_baseILi256ESt5arrayIPcLm2EE23TrivialOffsetCalculatorILi1EjESG_NS9_15LoadWithoutCastENS9_16StoreWithoutCastELi8ELi1EEEEEvT0_T1_.uses_vcc)
	.set _ZN2at6native29vectorized_elementwise_kernelILi4EZZZNS0_18lgamma_kernel_cudaERNS_18TensorIteratorBaseEENKUlvE_clEvENKUlvE2_clEvEUlN3c108BFloat16EE_St5arrayIPcLm2EEEEviT0_T1_.uses_flat_scratch, or(0, .L_ZN2at6native25elementwise_kernel_helperILb0EZZZNS0_18lgamma_kernel_cudaERNS_18TensorIteratorBaseEENKUlvE_clEvENKUlvE2_clEvEUlN3c108BFloat16EE_NS0_6memory8policies11unroll_baseILi256ESt5arrayIPcLm2EE23TrivialOffsetCalculatorILi1EjESG_NS9_15LoadWithoutCastENS9_16StoreWithoutCastELi8ELi1EEEEEvT0_T1_.uses_flat_scratch)
	.set _ZN2at6native29vectorized_elementwise_kernelILi4EZZZNS0_18lgamma_kernel_cudaERNS_18TensorIteratorBaseEENKUlvE_clEvENKUlvE2_clEvEUlN3c108BFloat16EE_St5arrayIPcLm2EEEEviT0_T1_.has_dyn_sized_stack, or(0, .L_ZN2at6native25elementwise_kernel_helperILb0EZZZNS0_18lgamma_kernel_cudaERNS_18TensorIteratorBaseEENKUlvE_clEvENKUlvE2_clEvEUlN3c108BFloat16EE_NS0_6memory8policies11unroll_baseILi256ESt5arrayIPcLm2EE23TrivialOffsetCalculatorILi1EjESG_NS9_15LoadWithoutCastENS9_16StoreWithoutCastELi8ELi1EEEEEvT0_T1_.has_dyn_sized_stack)
	.set _ZN2at6native29vectorized_elementwise_kernelILi4EZZZNS0_18lgamma_kernel_cudaERNS_18TensorIteratorBaseEENKUlvE_clEvENKUlvE2_clEvEUlN3c108BFloat16EE_St5arrayIPcLm2EEEEviT0_T1_.has_recursion, or(0, .L_ZN2at6native25elementwise_kernel_helperILb0EZZZNS0_18lgamma_kernel_cudaERNS_18TensorIteratorBaseEENKUlvE_clEvENKUlvE2_clEvEUlN3c108BFloat16EE_NS0_6memory8policies11unroll_baseILi256ESt5arrayIPcLm2EE23TrivialOffsetCalculatorILi1EjESG_NS9_15LoadWithoutCastENS9_16StoreWithoutCastELi8ELi1EEEEEvT0_T1_.has_recursion)
	.set _ZN2at6native29vectorized_elementwise_kernelILi4EZZZNS0_18lgamma_kernel_cudaERNS_18TensorIteratorBaseEENKUlvE_clEvENKUlvE2_clEvEUlN3c108BFloat16EE_St5arrayIPcLm2EEEEviT0_T1_.has_indirect_call, or(0, .L_ZN2at6native25elementwise_kernel_helperILb0EZZZNS0_18lgamma_kernel_cudaERNS_18TensorIteratorBaseEENKUlvE_clEvENKUlvE2_clEvEUlN3c108BFloat16EE_NS0_6memory8policies11unroll_baseILi256ESt5arrayIPcLm2EE23TrivialOffsetCalculatorILi1EjESG_NS9_15LoadWithoutCastENS9_16StoreWithoutCastELi8ELi1EEEEEvT0_T1_.has_indirect_call)
	.section	.AMDGPU.csdata,"",@progbits
; Kernel info:
; codeLenInByte = 21768
; TotalNumSgprs: 42
; NumVgprs: 32
; ScratchSize: 0
; MemoryBound: 0
; FloatMode: 240
; IeeeMode: 1
; LDSByteSize: 0 bytes/workgroup (compile time only)
; SGPRBlocks: 5
; VGPRBlocks: 7
; NumSGPRsForWavesPerEU: 42
; NumVGPRsForWavesPerEU: 32
; Occupancy: 8
; WaveLimiterHint : 1
; COMPUTE_PGM_RSRC2:SCRATCH_EN: 0
; COMPUTE_PGM_RSRC2:USER_SGPR: 6
; COMPUTE_PGM_RSRC2:TRAP_HANDLER: 0
; COMPUTE_PGM_RSRC2:TGID_X_EN: 1
; COMPUTE_PGM_RSRC2:TGID_Y_EN: 0
; COMPUTE_PGM_RSRC2:TGID_Z_EN: 0
; COMPUTE_PGM_RSRC2:TIDIG_COMP_CNT: 0
	.section	.text._ZN2at6native29vectorized_elementwise_kernelILi2EZZZNS0_18lgamma_kernel_cudaERNS_18TensorIteratorBaseEENKUlvE_clEvENKUlvE2_clEvEUlN3c108BFloat16EE_St5arrayIPcLm2EEEEviT0_T1_,"axG",@progbits,_ZN2at6native29vectorized_elementwise_kernelILi2EZZZNS0_18lgamma_kernel_cudaERNS_18TensorIteratorBaseEENKUlvE_clEvENKUlvE2_clEvEUlN3c108BFloat16EE_St5arrayIPcLm2EEEEviT0_T1_,comdat
	.globl	_ZN2at6native29vectorized_elementwise_kernelILi2EZZZNS0_18lgamma_kernel_cudaERNS_18TensorIteratorBaseEENKUlvE_clEvENKUlvE2_clEvEUlN3c108BFloat16EE_St5arrayIPcLm2EEEEviT0_T1_ ; -- Begin function _ZN2at6native29vectorized_elementwise_kernelILi2EZZZNS0_18lgamma_kernel_cudaERNS_18TensorIteratorBaseEENKUlvE_clEvENKUlvE2_clEvEUlN3c108BFloat16EE_St5arrayIPcLm2EEEEviT0_T1_
	.p2align	8
	.type	_ZN2at6native29vectorized_elementwise_kernelILi2EZZZNS0_18lgamma_kernel_cudaERNS_18TensorIteratorBaseEENKUlvE_clEvENKUlvE2_clEvEUlN3c108BFloat16EE_St5arrayIPcLm2EEEEviT0_T1_,@function
_ZN2at6native29vectorized_elementwise_kernelILi2EZZZNS0_18lgamma_kernel_cudaERNS_18TensorIteratorBaseEENKUlvE_clEvENKUlvE2_clEvEUlN3c108BFloat16EE_St5arrayIPcLm2EEEEviT0_T1_: ; @_ZN2at6native29vectorized_elementwise_kernelILi2EZZZNS0_18lgamma_kernel_cudaERNS_18TensorIteratorBaseEENKUlvE_clEvENKUlvE2_clEvEUlN3c108BFloat16EE_St5arrayIPcLm2EEEEviT0_T1_
; %bb.0:
	s_add_u32 s0, s0, s7
	s_load_dword s7, s[4:5], 0x0
	s_load_dwordx4 s[24:27], s[4:5], 0x8
	s_addc_u32 s1, s1, 0
	s_lshl_b32 s4, s6, 11
	s_mov_b64 s[8:9], -1
	s_waitcnt lgkmcnt(0)
	s_sub_i32 s7, s7, s4
	s_cmpk_gt_i32 s7, 0x7ff
	s_mov_b32 s32, 0
	s_cbranch_scc1 .LBB160_3
; %bb.1:
	s_and_b64 vcc, exec, s[8:9]
	s_cbranch_vccnz .LBB160_308
.LBB160_2:
	s_endpgm
.LBB160_3:
	s_ashr_i32 s5, s4, 31
	s_lshl_b64 s[28:29], s[4:5], 1
	s_add_u32 s4, s26, s28
	s_addc_u32 s5, s27, s29
	v_lshlrev_b32_e32 v1, 2, v0
	global_load_dword v4, v1, s[4:5]
	global_load_dword v9, v1, s[4:5] offset:1024
	global_load_dword v10, v1, s[4:5] offset:2048
	;; [unrolled: 1-line block ×3, first 2 shown]
	s_mov_b32 s4, 0x3c800000
                                        ; implicit-def: $vgpr3
	s_waitcnt vmcnt(3)
	v_lshlrev_b32_e32 v2, 16, v4
	v_and_b32_e32 v6, 0x7fffffff, v2
	v_cmp_nlt_f32_e64 s[4:5], |v2|, s4
	s_and_saveexec_b64 s[8:9], s[4:5]
	s_xor_b64 s[8:9], exec, s[8:9]
	s_cbranch_execz .LBB160_33
; %bb.4:
	v_cmp_nlt_f32_e64 s[4:5], |v2|, 2.0
                                        ; implicit-def: $vgpr3
	s_and_saveexec_b64 s[10:11], s[4:5]
	s_xor_b64 s[10:11], exec, s[10:11]
	s_cbranch_execz .LBB160_14
; %bb.5:
	s_mov_b32 s4, 0x41000000
	v_cmp_nlt_f32_e64 s[4:5], |v2|, s4
                                        ; implicit-def: $vgpr3
	s_and_saveexec_b64 s[12:13], s[4:5]
	s_xor_b64 s[12:13], exec, s[12:13]
	s_cbranch_execz .LBB160_11
; %bb.6:
	s_mov_b32 s4, 0x5c800000
	v_cmp_nlt_f32_e64 s[4:5], |v2|, s4
                                        ; implicit-def: $vgpr3
	s_and_saveexec_b64 s[14:15], s[4:5]
	s_xor_b64 s[14:15], exec, s[14:15]
	s_cbranch_execz .LBB160_8
; %bb.7:
	s_mov_b32 s4, 0x800000
	v_cmp_lt_f32_e64 vcc, |v2|, s4
	v_cndmask_b32_e64 v3, 0, 32, vcc
	v_ldexp_f32 v3, |v2|, v3
	v_log_f32_e32 v3, v3
	s_mov_b32 s4, 0x3f317217
	s_mov_b32 s5, 0x7f800000
	v_mul_f32_e32 v7, 0x3f317217, v3
	v_fma_f32 v8, v3, s4, -v7
	v_fmac_f32_e32 v8, 0x3377d1cf, v3
	v_add_f32_e32 v7, v7, v8
	v_cmp_lt_f32_e64 s[4:5], |v3|, s5
	v_cndmask_b32_e64 v3, v3, v7, s[4:5]
	v_mov_b32_e32 v7, 0x41b17218
	v_cndmask_b32_e32 v7, 0, v7, vcc
	v_sub_f32_e32 v3, v3, v7
	v_fma_f32 v3, |v2|, v3, -|v2|
.LBB160_8:
	s_andn2_saveexec_b64 s[14:15], s[14:15]
	s_cbranch_execz .LBB160_10
; %bb.9:
	v_rcp_f32_e64 v7, |v2|
	v_mov_b32_e32 v3, 0x3a5b3dd2
	v_mov_b32_e32 v8, 0xba1c065c
	;; [unrolled: 1-line block ×3, first 2 shown]
	v_mul_f32_e32 v12, v7, v7
	v_fmac_f32_e32 v3, 0xbad5c4e8, v12
	v_fmac_f32_e32 v8, v12, v3
	s_mov_b32 s4, 0x800000
	v_fmac_f32_e32 v11, v12, v8
	v_mov_b32_e32 v3, 0xbb360b61
	v_cmp_lt_f32_e64 vcc, |v2|, s4
	v_fmac_f32_e32 v3, v12, v11
	v_cndmask_b32_e64 v11, 0, 32, vcc
	v_ldexp_f32 v11, |v2|, v11
	v_log_f32_e32 v11, v11
	v_mov_b32_e32 v8, 0x3daaaaab
	v_fmac_f32_e32 v8, v12, v3
	v_mov_b32_e32 v3, 0x3ed67f1d
	v_fmac_f32_e32 v3, v7, v8
	s_mov_b32 s4, 0x3f317217
	v_mul_f32_e32 v8, 0x3f317217, v11
	v_fma_f32 v12, v11, s4, -v8
	v_fmac_f32_e32 v12, 0x3377d1cf, v11
	s_mov_b32 s4, 0x7f800000
	v_add_f32_e32 v8, v8, v12
	v_cmp_lt_f32_e64 s[4:5], |v11|, s4
	v_cndmask_b32_e64 v8, v11, v8, s[4:5]
	v_mov_b32_e32 v11, 0x41b17218
	v_cndmask_b32_e32 v11, 0, v11, vcc
	v_sub_f32_e32 v8, v8, v11
	v_add_f32_e64 v7, |v2|, -0.5
	v_add_f32_e32 v8, -1.0, v8
	v_fmac_f32_e32 v3, v7, v8
.LBB160_10:
	s_or_b64 exec, exec, s[14:15]
.LBB160_11:
	s_andn2_saveexec_b64 s[12:13], s[12:13]
	s_cbranch_execz .LBB160_13
; %bb.12:
	v_cvt_i32_f32_e32 v3, v6
	v_mov_b32_e32 v7, 0x3af135b4
	v_mov_b32_e32 v8, 0x3cda40e4
	;; [unrolled: 1-line block ×3, first 2 shown]
	v_cvt_f32_i32_e32 v12, v3
	v_mov_b32_e32 v13, 0x3ea6cc7a
	v_mov_b32_e32 v14, 0x3e5c245a
	v_cmp_lt_i32_e32 vcc, 2, v3
	v_sub_f32_e64 v12, |v2|, v12
	v_fmac_f32_e32 v7, 0x3805ff67, v12
	v_fmac_f32_e32 v8, v12, v7
	;; [unrolled: 1-line block ×3, first 2 shown]
	v_mov_b32_e32 v8, 0x3a4beed6
	v_fmac_f32_e32 v13, v12, v11
	v_fmac_f32_e32 v8, 0x36f5d7bd, v12
	v_mov_b32_e32 v11, 0x3c98bf54
	v_fmac_f32_e32 v11, v12, v8
	v_mov_b32_e32 v8, 0x3e300f6e
	v_fmac_f32_e32 v8, v12, v11
	v_mov_b32_e32 v11, 0x3f38d0c5
	v_fmac_f32_e32 v11, v12, v8
	v_mov_b32_e32 v8, 0x3fb22d3b
	v_fmac_f32_e32 v8, v12, v11
	v_add_f32_e32 v11, 2.0, v12
	v_mov_b32_e32 v15, 0xbd9e233f
	v_fmac_f32_e32 v14, v12, v13
	v_add_f32_e32 v13, 0x40400000, v12
	v_cndmask_b32_e32 v11, 1.0, v11, vcc
	v_cmp_lt_i32_e32 vcc, 3, v3
	v_fmac_f32_e32 v15, v12, v14
	v_add_f32_e32 v14, 4.0, v12
	v_cndmask_b32_e32 v13, 1.0, v13, vcc
	v_cmp_lt_i32_e32 vcc, 4, v3
	v_mul_f32_e32 v7, v12, v15
	v_add_f32_e32 v15, 0x40a00000, v12
	v_mul_f32_e32 v11, v11, v13
	v_cndmask_b32_e32 v13, 1.0, v14, vcc
	v_cmp_lt_i32_e32 vcc, 5, v3
	v_add_f32_e32 v16, 0x40c00000, v12
	v_mul_f32_e32 v11, v13, v11
	v_cndmask_b32_e32 v13, 1.0, v15, vcc
	v_cmp_lt_i32_e32 vcc, 6, v3
	v_mul_f32_e32 v11, v13, v11
	v_cndmask_b32_e32 v3, 1.0, v16, vcc
	v_mul_f32_e32 v3, v3, v11
	s_mov_b32 s4, 0x800000
	v_cmp_gt_f32_e32 vcc, s4, v3
	v_cndmask_b32_e64 v11, 0, 32, vcc
	v_fma_f32 v8, v12, v8, 1.0
	v_ldexp_f32 v3, v3, v11
	v_rcp_f32_e32 v8, v8
	v_log_f32_e32 v3, v3
	s_mov_b32 s4, 0x3f317217
	v_mul_f32_e32 v7, v7, v8
	v_mul_f32_e32 v8, 0x3f317217, v3
	v_fma_f32 v11, v3, s4, -v8
	v_fmac_f32_e32 v11, 0x3377d1cf, v3
	s_mov_b32 s4, 0x7f800000
	v_add_f32_e32 v8, v8, v11
	v_cmp_lt_f32_e64 s[4:5], |v3|, s4
	v_cndmask_b32_e64 v3, v3, v8, s[4:5]
	v_mov_b32_e32 v8, 0x41b17218
	v_cndmask_b32_e32 v8, 0, v8, vcc
	v_fmac_f32_e32 v7, 0.5, v12
	v_sub_f32_e32 v3, v3, v8
	v_add_f32_e32 v3, v3, v7
.LBB160_13:
	s_or_b64 exec, exec, s[12:13]
.LBB160_14:
	s_andn2_saveexec_b64 s[10:11], s[10:11]
	s_cbranch_execz .LBB160_32
; %bb.15:
	s_mov_b32 s4, 0x3f666666
	v_cmp_le_f32_e64 s[4:5], |v2|, s4
                                        ; implicit-def: $vgpr3
                                        ; implicit-def: $vgpr8
                                        ; implicit-def: $vgpr7
	s_and_saveexec_b64 s[12:13], s[4:5]
	s_xor_b64 s[12:13], exec, s[12:13]
	s_cbranch_execz .LBB160_17
; %bb.16:
	s_mov_b32 s4, 0x800000
	v_cmp_lt_f32_e64 vcc, |v2|, s4
	v_cndmask_b32_e64 v3, 0, 32, vcc
	v_ldexp_f32 v3, |v2|, v3
	v_log_f32_e32 v3, v3
	s_mov_b32 s4, 0x3f317217
	s_mov_b32 s5, 0x7f800000
	v_mul_f32_e32 v7, 0x3f317217, v3
	v_fma_f32 v8, v3, s4, -v7
	v_fmac_f32_e32 v8, 0x3377d1cf, v3
	v_add_f32_e32 v7, v7, v8
	v_cmp_lt_f32_e64 s[4:5], |v3|, s5
	v_cndmask_b32_e64 v3, v3, v7, s[4:5]
	v_mov_b32_e32 v7, 0x41b17218
	v_cndmask_b32_e32 v7, 0, v7, vcc
	s_mov_b32 s4, 0x3f3b4a23
	s_mov_b32 s5, 0xbeec5b0c
	v_sub_f32_e32 v3, v3, v7
	v_sub_f32_e64 v7, 1.0, |v2|
	v_add_f32_e64 v8, |v2|, s5
	v_cmp_lt_f32_e64 vcc, |v2|, s4
	s_mov_b32 s4, 0x3e6d3309
	v_cndmask_b32_e32 v7, v7, v8, vcc
	v_cndmask_b32_e64 v8, 0, 1, vcc
	v_cmp_lt_f32_e64 s[4:5], |v2|, s4
	v_xor_b32_e32 v3, 0x80000000, v3
	v_cndmask_b32_e64 v7, v7, |v2|, s[4:5]
	v_cndmask_b32_e64 v8, v8, 2, s[4:5]
.LBB160_17:
	s_andn2_saveexec_b64 s[4:5], s[12:13]
	s_cbranch_execz .LBB160_19
; %bb.18:
	s_mov_b32 s12, 0x3fdda512
	s_mov_b32 s13, 0xbfbb16c3
	v_sub_f32_e64 v3, 2.0, |v2|
	v_add_f32_e64 v7, |v2|, s13
	v_cmp_lt_f32_e64 vcc, |v2|, s12
	v_cndmask_b32_e32 v7, v3, v7, vcc
	v_cndmask_b32_e64 v3, v3, 1.0, vcc
	v_cvt_i32_f32_e32 v3, v3
	s_mov_b32 s12, 0x3f9d70a4
	v_add_f32_e64 v8, |v2|, -1.0
	v_cmp_lt_f32_e64 vcc, |v2|, s12
	v_cndmask_b32_e32 v7, v7, v8, vcc
	v_cndmask_b32_e64 v8, v3, 2, vcc
	v_mov_b32_e32 v3, 0
.LBB160_19:
	s_or_b64 exec, exec, s[4:5]
	v_cmp_lt_i32_e32 vcc, 0, v8
	s_and_saveexec_b64 s[4:5], vcc
	s_xor_b64 s[4:5], exec, s[4:5]
	s_cbranch_execz .LBB160_27
; %bb.20:
	v_cmp_lt_i32_e32 vcc, 1, v8
	s_and_saveexec_b64 s[12:13], vcc
	s_xor_b64 s[12:13], exec, s[12:13]
	s_cbranch_execz .LBB160_24
; %bb.21:
	v_cmp_eq_u32_e32 vcc, 2, v8
	s_and_saveexec_b64 s[14:15], vcc
	s_cbranch_execz .LBB160_23
; %bb.22:
	v_mov_b32_e32 v8, 0x3e6a7578
	v_fmac_f32_e32 v8, 0x3c5b3c5e, v7
	v_mov_b32_e32 v11, 0x3f7a4bb2
	v_fmac_f32_e32 v11, v7, v8
	;; [unrolled: 2-line block ×8, first 2 shown]
	v_fma_f32 v8, v7, v12, 1.0
	v_rcp_f32_e32 v8, v8
	v_mov_b32_e32 v12, 0xbd9e233f
	v_fmac_f32_e32 v12, v7, v11
	v_mul_f32_e32 v11, v7, v12
	v_mul_f32_e32 v8, v11, v8
	v_fmac_f32_e32 v8, -0.5, v7
	v_add_f32_e32 v3, v3, v8
.LBB160_23:
	s_or_b64 exec, exec, s[14:15]
                                        ; implicit-def: $vgpr7
.LBB160_24:
	s_andn2_saveexec_b64 s[12:13], s[12:13]
	s_cbranch_execz .LBB160_26
; %bb.25:
	v_mul_f32_e32 v8, v7, v7
	v_mul_f32_e32 v11, v7, v8
	v_mov_b32_e32 v12, 0xbab7f476
	v_fmac_f32_e32 v12, 0x39a57b6b, v11
	v_mov_b32_e32 v13, 0x3bc7e707
	v_fmac_f32_e32 v13, v11, v12
	;; [unrolled: 2-line block ×12, first 2 shown]
	v_fmac_f32_e32 v14, v7, v15
	s_mov_b32 s14, 0xa2863e55
	v_fma_f32 v7, v11, -v14, s14
	v_fma_f32 v7, v8, v13, -v7
	v_add_f32_e32 v7, 0xbdf8cdce, v7
	v_add_f32_e32 v3, v3, v7
.LBB160_26:
	s_or_b64 exec, exec, s[12:13]
                                        ; implicit-def: $vgpr8
                                        ; implicit-def: $vgpr7
.LBB160_27:
	s_andn2_saveexec_b64 s[4:5], s[4:5]
	s_cbranch_execz .LBB160_31
; %bb.28:
	v_cmp_eq_u32_e32 vcc, 0, v8
	s_and_saveexec_b64 s[12:13], vcc
	s_cbranch_execz .LBB160_30
; %bb.29:
	v_mul_f32_e32 v8, v7, v7
	v_mov_b32_e32 v11, 0x39679767
	v_fmac_f32_e32 v11, 0x37d383a2, v8
	v_mov_b32_e32 v12, 0x3a9c54a1
	v_fmac_f32_e32 v12, v8, v11
	;; [unrolled: 2-line block ×10, first 2 shown]
	v_mul_f32_e32 v8, v8, v12
	v_fmac_f32_e32 v8, v7, v11
	v_fmac_f32_e32 v8, -0.5, v7
	v_add_f32_e32 v3, v3, v8
.LBB160_30:
	s_or_b64 exec, exec, s[12:13]
.LBB160_31:
	s_or_b64 exec, exec, s[4:5]
.LBB160_32:
	s_or_b64 exec, exec, s[10:11]
.LBB160_33:
	s_andn2_saveexec_b64 s[8:9], s[8:9]
	s_cbranch_execz .LBB160_35
; %bb.34:
	s_mov_b32 s4, 0x3e8a8991
	v_mov_b32_e32 v3, 0xbecd26ab
	v_fma_f32 v3, |v2|, s4, v3
	s_mov_b32 s4, 0x3f528d33
	v_fma_f32 v3, |v2|, v3, s4
	s_mov_b32 s4, 0x800000
	v_cmp_lt_f32_e64 vcc, |v2|, s4
	v_cndmask_b32_e64 v7, 0, 32, vcc
	v_ldexp_f32 v7, |v2|, v7
	v_log_f32_e32 v7, v7
	s_mov_b32 s4, 0xbf13c468
	v_fma_f32 v3, |v2|, v3, s4
	s_mov_b32 s4, 0x3f317217
	v_mul_f32_e32 v8, 0x3f317217, v7
	v_fma_f32 v11, v7, s4, -v8
	v_fmac_f32_e32 v11, 0x3377d1cf, v7
	s_mov_b32 s4, 0x7f800000
	v_add_f32_e32 v8, v8, v11
	v_cmp_lt_f32_e64 s[4:5], |v7|, s4
	v_cndmask_b32_e64 v7, v7, v8, s[4:5]
	v_mov_b32_e32 v8, 0x41b17218
	v_cndmask_b32_e32 v8, 0, v8, vcc
	v_sub_f32_e32 v7, v7, v8
	v_fma_f32 v3, |v2|, v3, -v7
.LBB160_35:
	s_or_b64 exec, exec, s[8:9]
	v_cmp_le_f32_e32 vcc, 0, v2
	v_cmp_nle_f32_e64 s[4:5], 0, v2
	s_and_saveexec_b64 s[8:9], s[4:5]
	s_xor_b64 s[10:11], exec, s[8:9]
	s_cbranch_execz .LBB160_39
; %bb.36:
	s_mov_b32 s4, 0x4b000000
	s_mov_b32 s8, 0x35000000
	v_cmp_lt_f32_e64 s[4:5], |v2|, s4
	v_cmp_gt_f32_e64 s[8:9], |v2|, s8
	s_and_b64 s[4:5], s[4:5], s[8:9]
	s_and_saveexec_b64 s[12:13], s[4:5]
	s_cbranch_execz .LBB160_38
; %bb.37:
	v_mul_f32_e64 v7, |v2|, 0.5
	v_floor_f32_e32 v8, v7
	v_sub_f32_e32 v8, v7, v8
	v_min_f32_e32 v8, 0x3f7fffff, v8
	s_mov_b32 s8, 0x7f800000
	v_add_f32_e32 v8, v8, v8
	v_cmp_neq_f32_e64 s[4:5], s8, v7
	v_cndmask_b32_e64 v7, 0, v8, s[4:5]
	v_cmp_gt_f32_e64 s[4:5], |v2|, 1.0
	v_cndmask_b32_e64 v7, |v2|, v7, s[4:5]
	v_add_f32_e32 v8, v7, v7
	v_rndne_f32_e32 v8, v8
	v_fmac_f32_e32 v7, -0.5, v8
	v_mul_f32_e32 v11, v7, v7
	v_mov_b32_e32 v12, 0xbf1f24be
	v_fmac_f32_e32 v12, 0x3e75aa41, v11
	v_mov_b32_e32 v13, 0x40234736
	v_fmac_f32_e32 v13, v11, v12
	;; [unrolled: 2-line block ×3, first 2 shown]
	v_mul_f32_e32 v13, v7, v11
	v_mul_f32_e32 v12, v13, v12
	v_fmac_f32_e32 v12, 0x40490fdb, v7
	v_mov_b32_e32 v7, 0x3e642e9d
	v_cvt_i32_f32_e32 v8, v8
	v_fmac_f32_e32 v7, 0x3d4be544, v11
	v_mov_b32_e32 v13, 0xbfaad1da
	v_fmac_f32_e32 v13, v11, v7
	v_mov_b32_e32 v7, 0x4081e0d3
	;; [unrolled: 2-line block ×3, first 2 shown]
	v_fmac_f32_e32 v13, v11, v7
	v_fma_f32 v7, v11, v13, 1.0
	v_and_b32_e32 v11, 1, v8
	v_cmp_eq_u32_e64 s[4:5], 0, v11
	v_cndmask_b32_e64 v7, v7, v12, s[4:5]
	v_lshlrev_b32_e32 v8, 30, v8
	s_brev_b32 s4, 1
	v_and_or_b32 v6, v8, s4, v6
	v_xor_b32_e32 v6, v6, v7
	v_xor_b32_e32 v6, v6, v2
	v_mul_f32_e32 v6, v2, v6
	v_frexp_mant_f32_e64 v7, |v6|
	v_rcp_f32_e32 v7, v7
	v_frexp_exp_i32_f32_e32 v6, v6
	v_sub_u32_e32 v6, 2, v6
	s_mov_b32 s4, 0x800000
	v_mul_f32_e32 v7, 0x3f490fdb, v7
	v_ldexp_f32 v6, v7, v6
	v_cmp_gt_f32_e64 s[4:5], s4, v6
	v_cndmask_b32_e64 v7, 0, 32, s[4:5]
	v_ldexp_f32 v6, v6, v7
	v_log_f32_e32 v6, v6
	s_mov_b32 s9, 0x3f317217
	v_mul_f32_e32 v7, 0x3f317217, v6
	v_fma_f32 v8, v6, s9, -v7
	v_fmac_f32_e32 v8, 0x3377d1cf, v6
	v_add_f32_e32 v7, v7, v8
	v_cmp_lt_f32_e64 s[8:9], |v6|, s8
	v_cndmask_b32_e64 v6, v6, v7, s[8:9]
	v_mov_b32_e32 v7, 0x41b17218
	v_cndmask_b32_e64 v7, 0, v7, s[4:5]
	v_sub_f32_e32 v6, v6, v7
	v_sub_f32_e32 v3, v6, v3
	v_floor_f32_e32 v6, v2
	v_sub_f32_e32 v6, v2, v6
	v_min_f32_e32 v6, 0x3f7fffff, v6
	v_mov_b32_e32 v7, 0x7f800000
	v_cmp_neq_f32_e64 s[4:5], 0, v6
	v_cndmask_b32_e64 v3, v7, v3, s[4:5]
.LBB160_38:
	s_or_b64 exec, exec, s[12:13]
.LBB160_39:
	s_andn2_saveexec_b64 s[10:11], s[10:11]
; %bb.40:
	v_cmp_eq_f32_e64 s[4:5], 1.0, v2
	v_cmp_eq_f32_e64 s[8:9], 2.0, v2
	s_or_b64 s[4:5], s[4:5], s[8:9]
	v_cndmask_b32_e64 v3, v3, 0, s[4:5]
; %bb.41:
	s_or_b64 exec, exec, s[10:11]
	v_and_b32_e32 v4, 0xffff0000, v4
	s_mov_b32 s4, 0x3c800000
	v_and_b32_e32 v7, 0x7fffffff, v4
	v_cmp_nlt_f32_e64 s[4:5], |v4|, s4
                                        ; implicit-def: $vgpr6
	s_and_saveexec_b64 s[8:9], s[4:5]
	s_xor_b64 s[10:11], exec, s[8:9]
	s_cbranch_execz .LBB160_71
; %bb.42:
	v_cmp_nlt_f32_e64 s[4:5], |v4|, 2.0
                                        ; implicit-def: $vgpr6
	s_and_saveexec_b64 s[8:9], s[4:5]
	s_xor_b64 s[12:13], exec, s[8:9]
	s_cbranch_execz .LBB160_52
; %bb.43:
	s_mov_b32 s4, 0x41000000
	v_cmp_nlt_f32_e64 s[4:5], |v4|, s4
                                        ; implicit-def: $vgpr6
	s_and_saveexec_b64 s[8:9], s[4:5]
	s_xor_b64 s[14:15], exec, s[8:9]
	s_cbranch_execz .LBB160_49
; %bb.44:
	s_mov_b32 s4, 0x5c800000
	v_cmp_nlt_f32_e64 s[4:5], |v4|, s4
                                        ; implicit-def: $vgpr6
	s_and_saveexec_b64 s[8:9], s[4:5]
	s_xor_b64 s[16:17], exec, s[8:9]
	s_cbranch_execz .LBB160_46
; %bb.45:
	s_mov_b32 s4, 0x800000
	v_cmp_lt_f32_e64 s[4:5], |v4|, s4
	v_cndmask_b32_e64 v6, 0, 32, s[4:5]
	v_ldexp_f32 v6, |v4|, v6
	v_log_f32_e32 v6, v6
	s_mov_b32 s8, 0x3f317217
	s_mov_b32 s9, 0x7f800000
	v_mul_f32_e32 v8, 0x3f317217, v6
	v_fma_f32 v11, v6, s8, -v8
	v_fmac_f32_e32 v11, 0x3377d1cf, v6
	v_add_f32_e32 v8, v8, v11
	v_cmp_lt_f32_e64 s[8:9], |v6|, s9
	v_cndmask_b32_e64 v6, v6, v8, s[8:9]
	v_mov_b32_e32 v8, 0x41b17218
	v_cndmask_b32_e64 v8, 0, v8, s[4:5]
	v_sub_f32_e32 v6, v6, v8
	v_fma_f32 v6, |v4|, v6, -|v4|
.LBB160_46:
	s_andn2_saveexec_b64 s[16:17], s[16:17]
	s_cbranch_execz .LBB160_48
; %bb.47:
	v_rcp_f32_e64 v8, |v4|
	v_mov_b32_e32 v6, 0x3a5b3dd2
	v_mov_b32_e32 v11, 0xba1c065c
	;; [unrolled: 1-line block ×3, first 2 shown]
	v_mul_f32_e32 v13, v8, v8
	v_fmac_f32_e32 v6, 0xbad5c4e8, v13
	v_fmac_f32_e32 v11, v13, v6
	s_mov_b32 s4, 0x800000
	v_fmac_f32_e32 v12, v13, v11
	v_mov_b32_e32 v6, 0xbb360b61
	v_cmp_lt_f32_e64 s[4:5], |v4|, s4
	v_fmac_f32_e32 v6, v13, v12
	v_cndmask_b32_e64 v12, 0, 32, s[4:5]
	v_ldexp_f32 v12, |v4|, v12
	v_log_f32_e32 v12, v12
	v_mov_b32_e32 v11, 0x3daaaaab
	v_fmac_f32_e32 v11, v13, v6
	v_mov_b32_e32 v6, 0x3ed67f1d
	v_fmac_f32_e32 v6, v8, v11
	s_mov_b32 s8, 0x3f317217
	v_mul_f32_e32 v11, 0x3f317217, v12
	v_fma_f32 v13, v12, s8, -v11
	v_fmac_f32_e32 v13, 0x3377d1cf, v12
	s_mov_b32 s8, 0x7f800000
	v_add_f32_e32 v11, v11, v13
	v_cmp_lt_f32_e64 s[8:9], |v12|, s8
	v_cndmask_b32_e64 v11, v12, v11, s[8:9]
	v_mov_b32_e32 v12, 0x41b17218
	v_cndmask_b32_e64 v12, 0, v12, s[4:5]
	v_sub_f32_e32 v11, v11, v12
	v_add_f32_e64 v8, |v4|, -0.5
	v_add_f32_e32 v11, -1.0, v11
	v_fmac_f32_e32 v6, v8, v11
.LBB160_48:
	s_or_b64 exec, exec, s[16:17]
.LBB160_49:
	s_andn2_saveexec_b64 s[14:15], s[14:15]
	s_cbranch_execz .LBB160_51
; %bb.50:
	v_cvt_i32_f32_e32 v6, v7
	v_mov_b32_e32 v8, 0x3af135b4
	v_mov_b32_e32 v11, 0x3cda40e4
	;; [unrolled: 1-line block ×3, first 2 shown]
	v_cvt_f32_i32_e32 v13, v6
	v_mov_b32_e32 v14, 0x3ea6cc7a
	v_mov_b32_e32 v15, 0x3e5c245a
	v_cmp_lt_i32_e64 s[4:5], 2, v6
	v_sub_f32_e64 v13, |v4|, v13
	v_fmac_f32_e32 v8, 0x3805ff67, v13
	v_fmac_f32_e32 v11, v13, v8
	;; [unrolled: 1-line block ×3, first 2 shown]
	v_mov_b32_e32 v11, 0x3a4beed6
	v_fmac_f32_e32 v14, v13, v12
	v_fmac_f32_e32 v11, 0x36f5d7bd, v13
	v_mov_b32_e32 v12, 0x3c98bf54
	v_fmac_f32_e32 v12, v13, v11
	v_mov_b32_e32 v11, 0x3e300f6e
	;; [unrolled: 2-line block ×4, first 2 shown]
	v_fmac_f32_e32 v11, v13, v12
	v_add_f32_e32 v12, 2.0, v13
	v_mov_b32_e32 v16, 0xbd9e233f
	v_fmac_f32_e32 v15, v13, v14
	v_add_f32_e32 v14, 0x40400000, v13
	v_cndmask_b32_e64 v12, 1.0, v12, s[4:5]
	v_cmp_lt_i32_e64 s[4:5], 3, v6
	v_fmac_f32_e32 v16, v13, v15
	v_add_f32_e32 v15, 4.0, v13
	v_cndmask_b32_e64 v14, 1.0, v14, s[4:5]
	v_cmp_lt_i32_e64 s[4:5], 4, v6
	v_mul_f32_e32 v8, v13, v16
	v_add_f32_e32 v16, 0x40a00000, v13
	v_mul_f32_e32 v12, v12, v14
	v_cndmask_b32_e64 v14, 1.0, v15, s[4:5]
	v_cmp_lt_i32_e64 s[4:5], 5, v6
	v_add_f32_e32 v17, 0x40c00000, v13
	v_mul_f32_e32 v12, v14, v12
	v_cndmask_b32_e64 v14, 1.0, v16, s[4:5]
	v_cmp_lt_i32_e64 s[4:5], 6, v6
	v_mul_f32_e32 v12, v14, v12
	v_cndmask_b32_e64 v6, 1.0, v17, s[4:5]
	v_mul_f32_e32 v6, v6, v12
	s_mov_b32 s4, 0x800000
	v_cmp_gt_f32_e64 s[4:5], s4, v6
	v_cndmask_b32_e64 v12, 0, 32, s[4:5]
	v_fma_f32 v11, v13, v11, 1.0
	v_ldexp_f32 v6, v6, v12
	v_rcp_f32_e32 v11, v11
	v_log_f32_e32 v6, v6
	s_mov_b32 s8, 0x3f317217
	v_mul_f32_e32 v8, v8, v11
	v_mul_f32_e32 v11, 0x3f317217, v6
	v_fma_f32 v12, v6, s8, -v11
	v_fmac_f32_e32 v12, 0x3377d1cf, v6
	s_mov_b32 s8, 0x7f800000
	v_add_f32_e32 v11, v11, v12
	v_cmp_lt_f32_e64 s[8:9], |v6|, s8
	v_cndmask_b32_e64 v6, v6, v11, s[8:9]
	v_mov_b32_e32 v11, 0x41b17218
	v_cndmask_b32_e64 v11, 0, v11, s[4:5]
	v_fmac_f32_e32 v8, 0.5, v13
	v_sub_f32_e32 v6, v6, v11
	v_add_f32_e32 v6, v6, v8
.LBB160_51:
	s_or_b64 exec, exec, s[14:15]
.LBB160_52:
	s_andn2_saveexec_b64 s[12:13], s[12:13]
	s_cbranch_execz .LBB160_70
; %bb.53:
	s_mov_b32 s4, 0x3f666666
	v_cmp_le_f32_e64 s[4:5], |v4|, s4
                                        ; implicit-def: $vgpr6
                                        ; implicit-def: $vgpr11
                                        ; implicit-def: $vgpr8
	s_and_saveexec_b64 s[8:9], s[4:5]
	s_xor_b64 s[14:15], exec, s[8:9]
	s_cbranch_execz .LBB160_55
; %bb.54:
	s_mov_b32 s4, 0x800000
	v_cmp_lt_f32_e64 s[4:5], |v4|, s4
	v_cndmask_b32_e64 v6, 0, 32, s[4:5]
	v_ldexp_f32 v6, |v4|, v6
	v_log_f32_e32 v6, v6
	s_mov_b32 s8, 0x3f317217
	s_mov_b32 s9, 0x7f800000
	v_mul_f32_e32 v8, 0x3f317217, v6
	v_fma_f32 v11, v6, s8, -v8
	v_fmac_f32_e32 v11, 0x3377d1cf, v6
	v_add_f32_e32 v8, v8, v11
	v_cmp_lt_f32_e64 s[8:9], |v6|, s9
	v_cndmask_b32_e64 v6, v6, v8, s[8:9]
	v_mov_b32_e32 v8, 0x41b17218
	v_cndmask_b32_e64 v8, 0, v8, s[4:5]
	s_mov_b32 s4, 0x3f3b4a23
	s_mov_b32 s5, 0xbeec5b0c
	v_sub_f32_e32 v6, v6, v8
	v_sub_f32_e64 v8, 1.0, |v4|
	v_add_f32_e64 v11, |v4|, s5
	v_cmp_lt_f32_e64 s[4:5], |v4|, s4
	v_cndmask_b32_e64 v8, v8, v11, s[4:5]
	v_cndmask_b32_e64 v11, 0, 1, s[4:5]
	s_mov_b32 s4, 0x3e6d3309
	v_cmp_lt_f32_e64 s[4:5], |v4|, s4
	v_xor_b32_e32 v6, 0x80000000, v6
	v_cndmask_b32_e64 v8, v8, |v4|, s[4:5]
	v_cndmask_b32_e64 v11, v11, 2, s[4:5]
.LBB160_55:
	s_andn2_saveexec_b64 s[8:9], s[14:15]
	s_cbranch_execz .LBB160_57
; %bb.56:
	s_mov_b32 s4, 0x3fdda512
	s_mov_b32 s5, 0xbfbb16c3
	v_sub_f32_e64 v6, 2.0, |v4|
	v_add_f32_e64 v8, |v4|, s5
	v_cmp_lt_f32_e64 s[4:5], |v4|, s4
	v_cndmask_b32_e64 v8, v6, v8, s[4:5]
	v_cndmask_b32_e64 v6, v6, 1.0, s[4:5]
	v_cvt_i32_f32_e32 v6, v6
	s_mov_b32 s4, 0x3f9d70a4
	v_add_f32_e64 v11, |v4|, -1.0
	v_cmp_lt_f32_e64 s[4:5], |v4|, s4
	v_cndmask_b32_e64 v8, v8, v11, s[4:5]
	v_cndmask_b32_e64 v11, v6, 2, s[4:5]
	v_mov_b32_e32 v6, 0
.LBB160_57:
	s_or_b64 exec, exec, s[8:9]
	v_cmp_lt_i32_e64 s[4:5], 0, v11
	s_and_saveexec_b64 s[8:9], s[4:5]
	s_xor_b64 s[8:9], exec, s[8:9]
	s_cbranch_execz .LBB160_65
; %bb.58:
	v_cmp_lt_i32_e64 s[4:5], 1, v11
	s_and_saveexec_b64 s[14:15], s[4:5]
	s_xor_b64 s[14:15], exec, s[14:15]
	s_cbranch_execz .LBB160_62
; %bb.59:
	v_cmp_eq_u32_e64 s[4:5], 2, v11
	s_and_saveexec_b64 s[16:17], s[4:5]
	s_cbranch_execz .LBB160_61
; %bb.60:
	v_mov_b32_e32 v11, 0x3e6a7578
	v_fmac_f32_e32 v11, 0x3c5b3c5e, v8
	v_mov_b32_e32 v12, 0x3f7a4bb2
	v_fmac_f32_e32 v12, v8, v11
	;; [unrolled: 2-line block ×8, first 2 shown]
	v_fma_f32 v11, v8, v13, 1.0
	v_rcp_f32_e32 v11, v11
	v_mov_b32_e32 v13, 0xbd9e233f
	v_fmac_f32_e32 v13, v8, v12
	v_mul_f32_e32 v12, v8, v13
	v_mul_f32_e32 v11, v12, v11
	v_fmac_f32_e32 v11, -0.5, v8
	v_add_f32_e32 v6, v6, v11
.LBB160_61:
	s_or_b64 exec, exec, s[16:17]
                                        ; implicit-def: $vgpr8
.LBB160_62:
	s_andn2_saveexec_b64 s[4:5], s[14:15]
	s_cbranch_execz .LBB160_64
; %bb.63:
	v_mul_f32_e32 v11, v8, v8
	v_mul_f32_e32 v12, v8, v11
	v_mov_b32_e32 v13, 0xbab7f476
	v_fmac_f32_e32 v13, 0x39a57b6b, v12
	v_mov_b32_e32 v14, 0x3bc7e707
	v_fmac_f32_e32 v14, v12, v13
	;; [unrolled: 2-line block ×12, first 2 shown]
	v_fmac_f32_e32 v15, v8, v16
	s_mov_b32 s14, 0xa2863e55
	v_fma_f32 v8, v12, -v15, s14
	v_fma_f32 v8, v11, v14, -v8
	v_add_f32_e32 v8, 0xbdf8cdce, v8
	v_add_f32_e32 v6, v6, v8
.LBB160_64:
	s_or_b64 exec, exec, s[4:5]
                                        ; implicit-def: $vgpr11
                                        ; implicit-def: $vgpr8
.LBB160_65:
	s_andn2_saveexec_b64 s[8:9], s[8:9]
	s_cbranch_execz .LBB160_69
; %bb.66:
	v_cmp_eq_u32_e64 s[4:5], 0, v11
	s_and_saveexec_b64 s[14:15], s[4:5]
	s_cbranch_execz .LBB160_68
; %bb.67:
	v_mul_f32_e32 v11, v8, v8
	v_mov_b32_e32 v12, 0x39679767
	v_fmac_f32_e32 v12, 0x37d383a2, v11
	v_mov_b32_e32 v13, 0x3a9c54a1
	v_fmac_f32_e32 v13, v11, v12
	;; [unrolled: 2-line block ×10, first 2 shown]
	v_mul_f32_e32 v11, v11, v13
	v_fmac_f32_e32 v11, v8, v12
	v_fmac_f32_e32 v11, -0.5, v8
	v_add_f32_e32 v6, v6, v11
.LBB160_68:
	s_or_b64 exec, exec, s[14:15]
.LBB160_69:
	s_or_b64 exec, exec, s[8:9]
.LBB160_70:
	s_or_b64 exec, exec, s[12:13]
.LBB160_71:
	s_andn2_saveexec_b64 s[10:11], s[10:11]
	s_cbranch_execz .LBB160_73
; %bb.72:
	s_mov_b32 s4, 0x3e8a8991
	v_mov_b32_e32 v6, 0xbecd26ab
	v_fma_f32 v6, |v4|, s4, v6
	s_mov_b32 s4, 0x3f528d33
	v_fma_f32 v6, |v4|, v6, s4
	s_mov_b32 s4, 0x800000
	v_cmp_lt_f32_e64 s[4:5], |v4|, s4
	v_cndmask_b32_e64 v8, 0, 32, s[4:5]
	v_ldexp_f32 v8, |v4|, v8
	v_log_f32_e32 v8, v8
	s_mov_b32 s8, 0xbf13c468
	v_fma_f32 v6, |v4|, v6, s8
	s_mov_b32 s8, 0x3f317217
	v_mul_f32_e32 v11, 0x3f317217, v8
	v_fma_f32 v12, v8, s8, -v11
	v_fmac_f32_e32 v12, 0x3377d1cf, v8
	s_mov_b32 s8, 0x7f800000
	v_add_f32_e32 v11, v11, v12
	v_cmp_lt_f32_e64 s[8:9], |v8|, s8
	v_cndmask_b32_e64 v8, v8, v11, s[8:9]
	v_mov_b32_e32 v11, 0x41b17218
	v_cndmask_b32_e64 v11, 0, v11, s[4:5]
	v_sub_f32_e32 v8, v8, v11
	v_fma_f32 v6, |v4|, v6, -v8
.LBB160_73:
	s_or_b64 exec, exec, s[10:11]
	v_cmp_le_f32_e64 s[4:5], 0, v4
	v_cmp_nle_f32_e64 s[8:9], 0, v4
	s_and_saveexec_b64 s[10:11], s[8:9]
	s_xor_b64 s[12:13], exec, s[10:11]
	s_cbranch_execz .LBB160_77
; %bb.74:
	s_mov_b32 s8, 0x4b000000
	s_mov_b32 s10, 0x35000000
	v_cmp_lt_f32_e64 s[8:9], |v4|, s8
	v_cmp_gt_f32_e64 s[10:11], |v4|, s10
	s_and_b64 s[8:9], s[8:9], s[10:11]
	s_and_saveexec_b64 s[14:15], s[8:9]
	s_cbranch_execz .LBB160_76
; %bb.75:
	v_mul_f32_e64 v8, |v4|, 0.5
	v_floor_f32_e32 v11, v8
	v_sub_f32_e32 v11, v8, v11
	v_min_f32_e32 v11, 0x3f7fffff, v11
	s_mov_b32 s10, 0x7f800000
	v_add_f32_e32 v11, v11, v11
	v_cmp_neq_f32_e64 s[8:9], s10, v8
	v_cndmask_b32_e64 v8, 0, v11, s[8:9]
	v_cmp_gt_f32_e64 s[8:9], |v4|, 1.0
	v_cndmask_b32_e64 v8, |v4|, v8, s[8:9]
	v_add_f32_e32 v11, v8, v8
	v_rndne_f32_e32 v11, v11
	v_fmac_f32_e32 v8, -0.5, v11
	v_mul_f32_e32 v12, v8, v8
	v_mov_b32_e32 v13, 0xbf1f24be
	v_fmac_f32_e32 v13, 0x3e75aa41, v12
	v_mov_b32_e32 v14, 0x40234736
	v_fmac_f32_e32 v14, v12, v13
	;; [unrolled: 2-line block ×3, first 2 shown]
	v_mul_f32_e32 v14, v8, v12
	v_mul_f32_e32 v13, v14, v13
	v_fmac_f32_e32 v13, 0x40490fdb, v8
	v_mov_b32_e32 v8, 0x3e642e9d
	v_cvt_i32_f32_e32 v11, v11
	v_fmac_f32_e32 v8, 0x3d4be544, v12
	v_mov_b32_e32 v14, 0xbfaad1da
	v_fmac_f32_e32 v14, v12, v8
	v_mov_b32_e32 v8, 0x4081e0d3
	;; [unrolled: 2-line block ×3, first 2 shown]
	v_fmac_f32_e32 v14, v12, v8
	v_fma_f32 v8, v12, v14, 1.0
	v_and_b32_e32 v12, 1, v11
	v_cmp_eq_u32_e64 s[8:9], 0, v12
	v_cndmask_b32_e64 v8, v8, v13, s[8:9]
	v_lshlrev_b32_e32 v11, 30, v11
	s_brev_b32 s8, 1
	v_and_or_b32 v7, v11, s8, v7
	v_xor_b32_e32 v7, v7, v8
	v_xor_b32_e32 v7, v7, v4
	v_mul_f32_e32 v7, v4, v7
	v_frexp_mant_f32_e64 v8, |v7|
	v_rcp_f32_e32 v8, v8
	v_frexp_exp_i32_f32_e32 v7, v7
	v_sub_u32_e32 v7, 2, v7
	s_mov_b32 s8, 0x800000
	v_mul_f32_e32 v8, 0x3f490fdb, v8
	v_ldexp_f32 v7, v8, v7
	v_cmp_gt_f32_e64 s[8:9], s8, v7
	v_cndmask_b32_e64 v8, 0, 32, s[8:9]
	v_ldexp_f32 v7, v7, v8
	v_log_f32_e32 v7, v7
	s_mov_b32 s11, 0x3f317217
	v_mul_f32_e32 v8, 0x3f317217, v7
	v_fma_f32 v11, v7, s11, -v8
	v_fmac_f32_e32 v11, 0x3377d1cf, v7
	v_add_f32_e32 v8, v8, v11
	v_cmp_lt_f32_e64 s[10:11], |v7|, s10
	v_cndmask_b32_e64 v7, v7, v8, s[10:11]
	v_mov_b32_e32 v8, 0x41b17218
	v_cndmask_b32_e64 v8, 0, v8, s[8:9]
	v_sub_f32_e32 v7, v7, v8
	v_sub_f32_e32 v6, v7, v6
	v_floor_f32_e32 v7, v4
	v_sub_f32_e32 v7, v4, v7
	v_min_f32_e32 v7, 0x3f7fffff, v7
	v_mov_b32_e32 v8, 0x7f800000
	v_cmp_neq_f32_e64 s[8:9], 0, v7
	v_cndmask_b32_e64 v6, v8, v6, s[8:9]
.LBB160_76:
	s_or_b64 exec, exec, s[14:15]
.LBB160_77:
	s_andn2_saveexec_b64 s[12:13], s[12:13]
; %bb.78:
	v_cmp_eq_f32_e64 s[8:9], 1.0, v4
	v_cmp_eq_f32_e64 s[10:11], 2.0, v4
	s_or_b64 s[8:9], s[8:9], s[10:11]
	v_cndmask_b32_e64 v6, v6, 0, s[8:9]
; %bb.79:
	s_or_b64 exec, exec, s[12:13]
	s_waitcnt vmcnt(2)
	v_lshlrev_b32_e32 v7, 16, v9
	s_mov_b32 s8, 0x3c800000
	v_and_b32_e32 v11, 0x7fffffff, v7
	v_cmp_nlt_f32_e64 s[8:9], |v7|, s8
                                        ; implicit-def: $vgpr8
	s_and_saveexec_b64 s[10:11], s[8:9]
	s_xor_b64 s[12:13], exec, s[10:11]
	s_cbranch_execz .LBB160_109
; %bb.80:
	v_cmp_nlt_f32_e64 s[8:9], |v7|, 2.0
                                        ; implicit-def: $vgpr8
	s_and_saveexec_b64 s[10:11], s[8:9]
	s_xor_b64 s[14:15], exec, s[10:11]
	s_cbranch_execz .LBB160_90
; %bb.81:
	s_mov_b32 s8, 0x41000000
	v_cmp_nlt_f32_e64 s[8:9], |v7|, s8
                                        ; implicit-def: $vgpr8
	s_and_saveexec_b64 s[10:11], s[8:9]
	s_xor_b64 s[16:17], exec, s[10:11]
	s_cbranch_execz .LBB160_87
; %bb.82:
	s_mov_b32 s8, 0x5c800000
	v_cmp_nlt_f32_e64 s[8:9], |v7|, s8
                                        ; implicit-def: $vgpr8
	s_and_saveexec_b64 s[10:11], s[8:9]
	s_xor_b64 s[18:19], exec, s[10:11]
	s_cbranch_execz .LBB160_84
; %bb.83:
	s_mov_b32 s8, 0x800000
	v_cmp_lt_f32_e64 s[8:9], |v7|, s8
	v_cndmask_b32_e64 v8, 0, 32, s[8:9]
	v_ldexp_f32 v8, |v7|, v8
	v_log_f32_e32 v8, v8
	s_mov_b32 s10, 0x3f317217
	s_mov_b32 s11, 0x7f800000
	v_mul_f32_e32 v12, 0x3f317217, v8
	v_fma_f32 v13, v8, s10, -v12
	v_fmac_f32_e32 v13, 0x3377d1cf, v8
	v_add_f32_e32 v12, v12, v13
	v_cmp_lt_f32_e64 s[10:11], |v8|, s11
	v_cndmask_b32_e64 v8, v8, v12, s[10:11]
	v_mov_b32_e32 v12, 0x41b17218
	v_cndmask_b32_e64 v12, 0, v12, s[8:9]
	v_sub_f32_e32 v8, v8, v12
	v_fma_f32 v8, |v7|, v8, -|v7|
.LBB160_84:
	s_andn2_saveexec_b64 s[18:19], s[18:19]
	s_cbranch_execz .LBB160_86
; %bb.85:
	v_rcp_f32_e64 v12, |v7|
	v_mov_b32_e32 v8, 0x3a5b3dd2
	v_mov_b32_e32 v13, 0xba1c065c
	;; [unrolled: 1-line block ×3, first 2 shown]
	v_mul_f32_e32 v15, v12, v12
	v_fmac_f32_e32 v8, 0xbad5c4e8, v15
	v_fmac_f32_e32 v13, v15, v8
	s_mov_b32 s8, 0x800000
	v_fmac_f32_e32 v14, v15, v13
	v_mov_b32_e32 v8, 0xbb360b61
	v_cmp_lt_f32_e64 s[8:9], |v7|, s8
	v_fmac_f32_e32 v8, v15, v14
	v_cndmask_b32_e64 v14, 0, 32, s[8:9]
	v_ldexp_f32 v14, |v7|, v14
	v_log_f32_e32 v14, v14
	v_mov_b32_e32 v13, 0x3daaaaab
	v_fmac_f32_e32 v13, v15, v8
	v_mov_b32_e32 v8, 0x3ed67f1d
	v_fmac_f32_e32 v8, v12, v13
	s_mov_b32 s10, 0x3f317217
	v_mul_f32_e32 v13, 0x3f317217, v14
	v_fma_f32 v15, v14, s10, -v13
	v_fmac_f32_e32 v15, 0x3377d1cf, v14
	s_mov_b32 s10, 0x7f800000
	v_add_f32_e32 v13, v13, v15
	v_cmp_lt_f32_e64 s[10:11], |v14|, s10
	v_cndmask_b32_e64 v13, v14, v13, s[10:11]
	v_mov_b32_e32 v14, 0x41b17218
	v_cndmask_b32_e64 v14, 0, v14, s[8:9]
	v_sub_f32_e32 v13, v13, v14
	v_add_f32_e64 v12, |v7|, -0.5
	v_add_f32_e32 v13, -1.0, v13
	v_fmac_f32_e32 v8, v12, v13
.LBB160_86:
	s_or_b64 exec, exec, s[18:19]
.LBB160_87:
	s_andn2_saveexec_b64 s[16:17], s[16:17]
	s_cbranch_execz .LBB160_89
; %bb.88:
	v_cvt_i32_f32_e32 v8, v11
	v_mov_b32_e32 v12, 0x3af135b4
	v_mov_b32_e32 v13, 0x3cda40e4
	;; [unrolled: 1-line block ×3, first 2 shown]
	v_cvt_f32_i32_e32 v15, v8
	v_mov_b32_e32 v16, 0x3ea6cc7a
	v_mov_b32_e32 v17, 0x3e5c245a
	v_cmp_lt_i32_e64 s[8:9], 2, v8
	v_sub_f32_e64 v15, |v7|, v15
	v_fmac_f32_e32 v12, 0x3805ff67, v15
	v_fmac_f32_e32 v13, v15, v12
	;; [unrolled: 1-line block ×3, first 2 shown]
	v_mov_b32_e32 v13, 0x3a4beed6
	v_fmac_f32_e32 v16, v15, v14
	v_fmac_f32_e32 v13, 0x36f5d7bd, v15
	v_mov_b32_e32 v14, 0x3c98bf54
	v_fmac_f32_e32 v14, v15, v13
	v_mov_b32_e32 v13, 0x3e300f6e
	;; [unrolled: 2-line block ×4, first 2 shown]
	v_fmac_f32_e32 v13, v15, v14
	v_add_f32_e32 v14, 2.0, v15
	v_mov_b32_e32 v18, 0xbd9e233f
	v_fmac_f32_e32 v17, v15, v16
	v_add_f32_e32 v16, 0x40400000, v15
	v_cndmask_b32_e64 v14, 1.0, v14, s[8:9]
	v_cmp_lt_i32_e64 s[8:9], 3, v8
	v_fmac_f32_e32 v18, v15, v17
	v_add_f32_e32 v17, 4.0, v15
	v_cndmask_b32_e64 v16, 1.0, v16, s[8:9]
	v_cmp_lt_i32_e64 s[8:9], 4, v8
	v_mul_f32_e32 v12, v15, v18
	v_add_f32_e32 v18, 0x40a00000, v15
	v_mul_f32_e32 v14, v14, v16
	v_cndmask_b32_e64 v16, 1.0, v17, s[8:9]
	v_cmp_lt_i32_e64 s[8:9], 5, v8
	v_add_f32_e32 v19, 0x40c00000, v15
	v_mul_f32_e32 v14, v16, v14
	v_cndmask_b32_e64 v16, 1.0, v18, s[8:9]
	v_cmp_lt_i32_e64 s[8:9], 6, v8
	v_mul_f32_e32 v14, v16, v14
	v_cndmask_b32_e64 v8, 1.0, v19, s[8:9]
	v_mul_f32_e32 v8, v8, v14
	s_mov_b32 s8, 0x800000
	v_cmp_gt_f32_e64 s[8:9], s8, v8
	v_cndmask_b32_e64 v14, 0, 32, s[8:9]
	v_fma_f32 v13, v15, v13, 1.0
	v_ldexp_f32 v8, v8, v14
	v_rcp_f32_e32 v13, v13
	v_log_f32_e32 v8, v8
	s_mov_b32 s10, 0x3f317217
	v_mul_f32_e32 v12, v12, v13
	v_mul_f32_e32 v13, 0x3f317217, v8
	v_fma_f32 v14, v8, s10, -v13
	v_fmac_f32_e32 v14, 0x3377d1cf, v8
	s_mov_b32 s10, 0x7f800000
	v_add_f32_e32 v13, v13, v14
	v_cmp_lt_f32_e64 s[10:11], |v8|, s10
	v_cndmask_b32_e64 v8, v8, v13, s[10:11]
	v_mov_b32_e32 v13, 0x41b17218
	v_cndmask_b32_e64 v13, 0, v13, s[8:9]
	v_fmac_f32_e32 v12, 0.5, v15
	v_sub_f32_e32 v8, v8, v13
	v_add_f32_e32 v8, v8, v12
.LBB160_89:
	s_or_b64 exec, exec, s[16:17]
.LBB160_90:
	s_andn2_saveexec_b64 s[14:15], s[14:15]
	s_cbranch_execz .LBB160_108
; %bb.91:
	s_mov_b32 s8, 0x3f666666
	v_cmp_le_f32_e64 s[8:9], |v7|, s8
                                        ; implicit-def: $vgpr8
                                        ; implicit-def: $vgpr13
                                        ; implicit-def: $vgpr12
	s_and_saveexec_b64 s[10:11], s[8:9]
	s_xor_b64 s[16:17], exec, s[10:11]
	s_cbranch_execz .LBB160_93
; %bb.92:
	s_mov_b32 s8, 0x800000
	v_cmp_lt_f32_e64 s[8:9], |v7|, s8
	v_cndmask_b32_e64 v8, 0, 32, s[8:9]
	v_ldexp_f32 v8, |v7|, v8
	v_log_f32_e32 v8, v8
	s_mov_b32 s10, 0x3f317217
	s_mov_b32 s11, 0x7f800000
	v_mul_f32_e32 v12, 0x3f317217, v8
	v_fma_f32 v13, v8, s10, -v12
	v_fmac_f32_e32 v13, 0x3377d1cf, v8
	v_add_f32_e32 v12, v12, v13
	v_cmp_lt_f32_e64 s[10:11], |v8|, s11
	v_cndmask_b32_e64 v8, v8, v12, s[10:11]
	v_mov_b32_e32 v12, 0x41b17218
	v_cndmask_b32_e64 v12, 0, v12, s[8:9]
	s_mov_b32 s8, 0x3f3b4a23
	s_mov_b32 s9, 0xbeec5b0c
	v_sub_f32_e32 v8, v8, v12
	v_sub_f32_e64 v12, 1.0, |v7|
	v_add_f32_e64 v13, |v7|, s9
	v_cmp_lt_f32_e64 s[8:9], |v7|, s8
	v_cndmask_b32_e64 v12, v12, v13, s[8:9]
	v_cndmask_b32_e64 v13, 0, 1, s[8:9]
	s_mov_b32 s8, 0x3e6d3309
	v_cmp_lt_f32_e64 s[8:9], |v7|, s8
	v_xor_b32_e32 v8, 0x80000000, v8
	v_cndmask_b32_e64 v12, v12, |v7|, s[8:9]
	v_cndmask_b32_e64 v13, v13, 2, s[8:9]
.LBB160_93:
	s_andn2_saveexec_b64 s[10:11], s[16:17]
	s_cbranch_execz .LBB160_95
; %bb.94:
	s_mov_b32 s8, 0x3fdda512
	s_mov_b32 s9, 0xbfbb16c3
	v_sub_f32_e64 v8, 2.0, |v7|
	v_add_f32_e64 v12, |v7|, s9
	v_cmp_lt_f32_e64 s[8:9], |v7|, s8
	v_cndmask_b32_e64 v12, v8, v12, s[8:9]
	v_cndmask_b32_e64 v8, v8, 1.0, s[8:9]
	v_cvt_i32_f32_e32 v8, v8
	s_mov_b32 s8, 0x3f9d70a4
	v_add_f32_e64 v13, |v7|, -1.0
	v_cmp_lt_f32_e64 s[8:9], |v7|, s8
	v_cndmask_b32_e64 v12, v12, v13, s[8:9]
	v_cndmask_b32_e64 v13, v8, 2, s[8:9]
	v_mov_b32_e32 v8, 0
.LBB160_95:
	s_or_b64 exec, exec, s[10:11]
	v_cmp_lt_i32_e64 s[8:9], 0, v13
	s_and_saveexec_b64 s[10:11], s[8:9]
	s_xor_b64 s[10:11], exec, s[10:11]
	s_cbranch_execz .LBB160_103
; %bb.96:
	v_cmp_lt_i32_e64 s[8:9], 1, v13
	s_and_saveexec_b64 s[16:17], s[8:9]
	s_xor_b64 s[16:17], exec, s[16:17]
	s_cbranch_execz .LBB160_100
; %bb.97:
	v_cmp_eq_u32_e64 s[8:9], 2, v13
	s_and_saveexec_b64 s[18:19], s[8:9]
	s_cbranch_execz .LBB160_99
; %bb.98:
	v_mov_b32_e32 v13, 0x3e6a7578
	v_fmac_f32_e32 v13, 0x3c5b3c5e, v12
	v_mov_b32_e32 v14, 0x3f7a4bb2
	v_fmac_f32_e32 v14, v12, v13
	;; [unrolled: 2-line block ×8, first 2 shown]
	v_fma_f32 v13, v12, v15, 1.0
	v_rcp_f32_e32 v13, v13
	v_mov_b32_e32 v15, 0xbd9e233f
	v_fmac_f32_e32 v15, v12, v14
	v_mul_f32_e32 v14, v12, v15
	v_mul_f32_e32 v13, v14, v13
	v_fmac_f32_e32 v13, -0.5, v12
	v_add_f32_e32 v8, v8, v13
.LBB160_99:
	s_or_b64 exec, exec, s[18:19]
                                        ; implicit-def: $vgpr12
.LBB160_100:
	s_andn2_saveexec_b64 s[8:9], s[16:17]
	s_cbranch_execz .LBB160_102
; %bb.101:
	v_mul_f32_e32 v13, v12, v12
	v_mul_f32_e32 v14, v12, v13
	v_mov_b32_e32 v15, 0xbab7f476
	v_fmac_f32_e32 v15, 0x39a57b6b, v14
	v_mov_b32_e32 v16, 0x3bc7e707
	v_fmac_f32_e32 v16, v14, v15
	;; [unrolled: 2-line block ×12, first 2 shown]
	v_fmac_f32_e32 v17, v12, v18
	s_mov_b32 s16, 0xa2863e55
	v_fma_f32 v12, v14, -v17, s16
	v_fma_f32 v12, v13, v16, -v12
	v_add_f32_e32 v12, 0xbdf8cdce, v12
	v_add_f32_e32 v8, v8, v12
.LBB160_102:
	s_or_b64 exec, exec, s[8:9]
                                        ; implicit-def: $vgpr13
                                        ; implicit-def: $vgpr12
.LBB160_103:
	s_andn2_saveexec_b64 s[10:11], s[10:11]
	s_cbranch_execz .LBB160_107
; %bb.104:
	v_cmp_eq_u32_e64 s[8:9], 0, v13
	s_and_saveexec_b64 s[16:17], s[8:9]
	s_cbranch_execz .LBB160_106
; %bb.105:
	v_mul_f32_e32 v13, v12, v12
	v_mov_b32_e32 v14, 0x39679767
	v_fmac_f32_e32 v14, 0x37d383a2, v13
	v_mov_b32_e32 v15, 0x3a9c54a1
	v_fmac_f32_e32 v15, v13, v14
	;; [unrolled: 2-line block ×10, first 2 shown]
	v_mul_f32_e32 v13, v13, v15
	v_fmac_f32_e32 v13, v12, v14
	v_fmac_f32_e32 v13, -0.5, v12
	v_add_f32_e32 v8, v8, v13
.LBB160_106:
	s_or_b64 exec, exec, s[16:17]
.LBB160_107:
	s_or_b64 exec, exec, s[10:11]
.LBB160_108:
	s_or_b64 exec, exec, s[14:15]
.LBB160_109:
	s_andn2_saveexec_b64 s[12:13], s[12:13]
	s_cbranch_execz .LBB160_111
; %bb.110:
	s_mov_b32 s8, 0x3e8a8991
	v_mov_b32_e32 v8, 0xbecd26ab
	v_fma_f32 v8, |v7|, s8, v8
	s_mov_b32 s8, 0x3f528d33
	v_fma_f32 v8, |v7|, v8, s8
	s_mov_b32 s8, 0x800000
	v_cmp_lt_f32_e64 s[8:9], |v7|, s8
	v_cndmask_b32_e64 v12, 0, 32, s[8:9]
	v_ldexp_f32 v12, |v7|, v12
	v_log_f32_e32 v12, v12
	s_mov_b32 s10, 0xbf13c468
	v_fma_f32 v8, |v7|, v8, s10
	s_mov_b32 s10, 0x3f317217
	v_mul_f32_e32 v13, 0x3f317217, v12
	v_fma_f32 v14, v12, s10, -v13
	v_fmac_f32_e32 v14, 0x3377d1cf, v12
	s_mov_b32 s10, 0x7f800000
	v_add_f32_e32 v13, v13, v14
	v_cmp_lt_f32_e64 s[10:11], |v12|, s10
	v_cndmask_b32_e64 v12, v12, v13, s[10:11]
	v_mov_b32_e32 v13, 0x41b17218
	v_cndmask_b32_e64 v13, 0, v13, s[8:9]
	v_sub_f32_e32 v12, v12, v13
	v_fma_f32 v8, |v7|, v8, -v12
.LBB160_111:
	s_or_b64 exec, exec, s[12:13]
	v_cmp_le_f32_e64 s[18:19], 0, v7
	v_cmp_nle_f32_e64 s[8:9], 0, v7
	s_and_saveexec_b64 s[10:11], s[8:9]
	s_xor_b64 s[12:13], exec, s[10:11]
	s_cbranch_execz .LBB160_115
; %bb.112:
	s_mov_b32 s8, 0x4b000000
	s_mov_b32 s10, 0x35000000
	v_cmp_lt_f32_e64 s[8:9], |v7|, s8
	v_cmp_gt_f32_e64 s[10:11], |v7|, s10
	s_and_b64 s[8:9], s[8:9], s[10:11]
	s_and_saveexec_b64 s[14:15], s[8:9]
	s_cbranch_execz .LBB160_114
; %bb.113:
	v_mul_f32_e64 v12, |v7|, 0.5
	v_floor_f32_e32 v13, v12
	v_sub_f32_e32 v13, v12, v13
	v_min_f32_e32 v13, 0x3f7fffff, v13
	s_mov_b32 s10, 0x7f800000
	v_add_f32_e32 v13, v13, v13
	v_cmp_neq_f32_e64 s[8:9], s10, v12
	v_cndmask_b32_e64 v12, 0, v13, s[8:9]
	v_cmp_gt_f32_e64 s[8:9], |v7|, 1.0
	v_cndmask_b32_e64 v12, |v7|, v12, s[8:9]
	v_add_f32_e32 v13, v12, v12
	v_rndne_f32_e32 v13, v13
	v_fmac_f32_e32 v12, -0.5, v13
	v_mul_f32_e32 v14, v12, v12
	v_mov_b32_e32 v15, 0xbf1f24be
	v_fmac_f32_e32 v15, 0x3e75aa41, v14
	v_mov_b32_e32 v16, 0x40234736
	v_fmac_f32_e32 v16, v14, v15
	;; [unrolled: 2-line block ×3, first 2 shown]
	v_mul_f32_e32 v16, v12, v14
	v_mul_f32_e32 v15, v16, v15
	v_fmac_f32_e32 v15, 0x40490fdb, v12
	v_mov_b32_e32 v12, 0x3e642e9d
	v_cvt_i32_f32_e32 v13, v13
	v_fmac_f32_e32 v12, 0x3d4be544, v14
	v_mov_b32_e32 v16, 0xbfaad1da
	v_fmac_f32_e32 v16, v14, v12
	v_mov_b32_e32 v12, 0x4081e0d3
	;; [unrolled: 2-line block ×3, first 2 shown]
	v_fmac_f32_e32 v16, v14, v12
	v_fma_f32 v12, v14, v16, 1.0
	v_and_b32_e32 v14, 1, v13
	v_cmp_eq_u32_e64 s[8:9], 0, v14
	v_cndmask_b32_e64 v12, v12, v15, s[8:9]
	v_lshlrev_b32_e32 v13, 30, v13
	s_brev_b32 s8, 1
	v_and_or_b32 v11, v13, s8, v11
	v_xor_b32_e32 v11, v11, v12
	v_xor_b32_e32 v11, v11, v7
	v_mul_f32_e32 v11, v7, v11
	v_frexp_mant_f32_e64 v12, |v11|
	v_rcp_f32_e32 v12, v12
	v_frexp_exp_i32_f32_e32 v11, v11
	v_sub_u32_e32 v11, 2, v11
	s_mov_b32 s8, 0x800000
	v_mul_f32_e32 v12, 0x3f490fdb, v12
	v_ldexp_f32 v11, v12, v11
	v_cmp_gt_f32_e64 s[8:9], s8, v11
	v_cndmask_b32_e64 v12, 0, 32, s[8:9]
	v_ldexp_f32 v11, v11, v12
	v_log_f32_e32 v11, v11
	s_mov_b32 s11, 0x3f317217
	v_mul_f32_e32 v12, 0x3f317217, v11
	v_fma_f32 v13, v11, s11, -v12
	v_fmac_f32_e32 v13, 0x3377d1cf, v11
	v_add_f32_e32 v12, v12, v13
	v_cmp_lt_f32_e64 s[10:11], |v11|, s10
	v_cndmask_b32_e64 v11, v11, v12, s[10:11]
	v_mov_b32_e32 v12, 0x41b17218
	v_cndmask_b32_e64 v12, 0, v12, s[8:9]
	v_sub_f32_e32 v11, v11, v12
	v_sub_f32_e32 v8, v11, v8
	v_floor_f32_e32 v11, v7
	v_sub_f32_e32 v11, v7, v11
	v_min_f32_e32 v11, 0x3f7fffff, v11
	v_mov_b32_e32 v12, 0x7f800000
	v_cmp_neq_f32_e64 s[8:9], 0, v11
	v_cndmask_b32_e64 v8, v12, v8, s[8:9]
.LBB160_114:
	s_or_b64 exec, exec, s[14:15]
.LBB160_115:
	s_andn2_saveexec_b64 s[12:13], s[12:13]
; %bb.116:
	v_cmp_eq_f32_e64 s[8:9], 1.0, v7
	v_cmp_eq_f32_e64 s[10:11], 2.0, v7
	s_or_b64 s[8:9], s[8:9], s[10:11]
	v_cndmask_b32_e64 v8, v8, 0, s[8:9]
; %bb.117:
	s_or_b64 exec, exec, s[12:13]
	v_and_b32_e32 v9, 0xffff0000, v9
	s_mov_b32 s8, 0x3c800000
	v_and_b32_e32 v12, 0x7fffffff, v9
	v_cmp_nlt_f32_e64 s[8:9], |v9|, s8
                                        ; implicit-def: $vgpr11
	s_and_saveexec_b64 s[10:11], s[8:9]
	s_xor_b64 s[12:13], exec, s[10:11]
	s_cbranch_execz .LBB160_147
; %bb.118:
	v_cmp_nlt_f32_e64 s[8:9], |v9|, 2.0
                                        ; implicit-def: $vgpr11
	s_and_saveexec_b64 s[10:11], s[8:9]
	s_xor_b64 s[14:15], exec, s[10:11]
	s_cbranch_execz .LBB160_128
; %bb.119:
	s_mov_b32 s8, 0x41000000
	v_cmp_nlt_f32_e64 s[8:9], |v9|, s8
                                        ; implicit-def: $vgpr11
	s_and_saveexec_b64 s[10:11], s[8:9]
	s_xor_b64 s[16:17], exec, s[10:11]
	s_cbranch_execz .LBB160_125
; %bb.120:
	s_mov_b32 s8, 0x5c800000
	v_cmp_nlt_f32_e64 s[8:9], |v9|, s8
                                        ; implicit-def: $vgpr11
	s_and_saveexec_b64 s[10:11], s[8:9]
	s_xor_b64 s[20:21], exec, s[10:11]
	s_cbranch_execz .LBB160_122
; %bb.121:
	s_mov_b32 s8, 0x800000
	v_cmp_lt_f32_e64 s[8:9], |v9|, s8
	v_cndmask_b32_e64 v11, 0, 32, s[8:9]
	v_ldexp_f32 v11, |v9|, v11
	v_log_f32_e32 v11, v11
	s_mov_b32 s10, 0x3f317217
	s_mov_b32 s11, 0x7f800000
	v_mul_f32_e32 v13, 0x3f317217, v11
	v_fma_f32 v14, v11, s10, -v13
	v_fmac_f32_e32 v14, 0x3377d1cf, v11
	v_add_f32_e32 v13, v13, v14
	v_cmp_lt_f32_e64 s[10:11], |v11|, s11
	v_cndmask_b32_e64 v11, v11, v13, s[10:11]
	v_mov_b32_e32 v13, 0x41b17218
	v_cndmask_b32_e64 v13, 0, v13, s[8:9]
	v_sub_f32_e32 v11, v11, v13
	v_fma_f32 v11, |v9|, v11, -|v9|
.LBB160_122:
	s_andn2_saveexec_b64 s[20:21], s[20:21]
	s_cbranch_execz .LBB160_124
; %bb.123:
	v_rcp_f32_e64 v13, |v9|
	v_mov_b32_e32 v11, 0x3a5b3dd2
	v_mov_b32_e32 v14, 0xba1c065c
	;; [unrolled: 1-line block ×3, first 2 shown]
	v_mul_f32_e32 v16, v13, v13
	v_fmac_f32_e32 v11, 0xbad5c4e8, v16
	v_fmac_f32_e32 v14, v16, v11
	s_mov_b32 s8, 0x800000
	v_fmac_f32_e32 v15, v16, v14
	v_mov_b32_e32 v11, 0xbb360b61
	v_cmp_lt_f32_e64 s[8:9], |v9|, s8
	v_fmac_f32_e32 v11, v16, v15
	v_cndmask_b32_e64 v15, 0, 32, s[8:9]
	v_ldexp_f32 v15, |v9|, v15
	v_log_f32_e32 v15, v15
	v_mov_b32_e32 v14, 0x3daaaaab
	v_fmac_f32_e32 v14, v16, v11
	v_mov_b32_e32 v11, 0x3ed67f1d
	v_fmac_f32_e32 v11, v13, v14
	s_mov_b32 s10, 0x3f317217
	v_mul_f32_e32 v14, 0x3f317217, v15
	v_fma_f32 v16, v15, s10, -v14
	v_fmac_f32_e32 v16, 0x3377d1cf, v15
	s_mov_b32 s10, 0x7f800000
	v_add_f32_e32 v14, v14, v16
	v_cmp_lt_f32_e64 s[10:11], |v15|, s10
	v_cndmask_b32_e64 v14, v15, v14, s[10:11]
	v_mov_b32_e32 v15, 0x41b17218
	v_cndmask_b32_e64 v15, 0, v15, s[8:9]
	v_sub_f32_e32 v14, v14, v15
	v_add_f32_e64 v13, |v9|, -0.5
	v_add_f32_e32 v14, -1.0, v14
	v_fmac_f32_e32 v11, v13, v14
.LBB160_124:
	s_or_b64 exec, exec, s[20:21]
.LBB160_125:
	s_andn2_saveexec_b64 s[16:17], s[16:17]
	s_cbranch_execz .LBB160_127
; %bb.126:
	v_cvt_i32_f32_e32 v11, v12
	v_mov_b32_e32 v13, 0x3af135b4
	v_mov_b32_e32 v14, 0x3cda40e4
	;; [unrolled: 1-line block ×3, first 2 shown]
	v_cvt_f32_i32_e32 v16, v11
	v_mov_b32_e32 v17, 0x3ea6cc7a
	v_mov_b32_e32 v18, 0x3e5c245a
	v_cmp_lt_i32_e64 s[8:9], 2, v11
	v_sub_f32_e64 v16, |v9|, v16
	v_fmac_f32_e32 v13, 0x3805ff67, v16
	v_fmac_f32_e32 v14, v16, v13
	;; [unrolled: 1-line block ×3, first 2 shown]
	v_mov_b32_e32 v14, 0x3a4beed6
	v_fmac_f32_e32 v17, v16, v15
	v_fmac_f32_e32 v14, 0x36f5d7bd, v16
	v_mov_b32_e32 v15, 0x3c98bf54
	v_fmac_f32_e32 v15, v16, v14
	v_mov_b32_e32 v14, 0x3e300f6e
	;; [unrolled: 2-line block ×4, first 2 shown]
	v_fmac_f32_e32 v14, v16, v15
	v_add_f32_e32 v15, 2.0, v16
	v_mov_b32_e32 v19, 0xbd9e233f
	v_fmac_f32_e32 v18, v16, v17
	v_add_f32_e32 v17, 0x40400000, v16
	v_cndmask_b32_e64 v15, 1.0, v15, s[8:9]
	v_cmp_lt_i32_e64 s[8:9], 3, v11
	v_fmac_f32_e32 v19, v16, v18
	v_add_f32_e32 v18, 4.0, v16
	v_cndmask_b32_e64 v17, 1.0, v17, s[8:9]
	v_cmp_lt_i32_e64 s[8:9], 4, v11
	v_mul_f32_e32 v13, v16, v19
	v_add_f32_e32 v19, 0x40a00000, v16
	v_mul_f32_e32 v15, v15, v17
	v_cndmask_b32_e64 v17, 1.0, v18, s[8:9]
	v_cmp_lt_i32_e64 s[8:9], 5, v11
	v_add_f32_e32 v20, 0x40c00000, v16
	v_mul_f32_e32 v15, v17, v15
	v_cndmask_b32_e64 v17, 1.0, v19, s[8:9]
	v_cmp_lt_i32_e64 s[8:9], 6, v11
	v_mul_f32_e32 v15, v17, v15
	v_cndmask_b32_e64 v11, 1.0, v20, s[8:9]
	v_mul_f32_e32 v11, v11, v15
	s_mov_b32 s8, 0x800000
	v_cmp_gt_f32_e64 s[8:9], s8, v11
	v_cndmask_b32_e64 v15, 0, 32, s[8:9]
	v_fma_f32 v14, v16, v14, 1.0
	v_ldexp_f32 v11, v11, v15
	v_rcp_f32_e32 v14, v14
	v_log_f32_e32 v11, v11
	s_mov_b32 s10, 0x3f317217
	v_mul_f32_e32 v13, v13, v14
	v_mul_f32_e32 v14, 0x3f317217, v11
	v_fma_f32 v15, v11, s10, -v14
	v_fmac_f32_e32 v15, 0x3377d1cf, v11
	s_mov_b32 s10, 0x7f800000
	v_add_f32_e32 v14, v14, v15
	v_cmp_lt_f32_e64 s[10:11], |v11|, s10
	v_cndmask_b32_e64 v11, v11, v14, s[10:11]
	v_mov_b32_e32 v14, 0x41b17218
	v_cndmask_b32_e64 v14, 0, v14, s[8:9]
	v_fmac_f32_e32 v13, 0.5, v16
	v_sub_f32_e32 v11, v11, v14
	v_add_f32_e32 v11, v11, v13
.LBB160_127:
	s_or_b64 exec, exec, s[16:17]
.LBB160_128:
	s_andn2_saveexec_b64 s[14:15], s[14:15]
	s_cbranch_execz .LBB160_146
; %bb.129:
	s_mov_b32 s8, 0x3f666666
	v_cmp_le_f32_e64 s[8:9], |v9|, s8
                                        ; implicit-def: $vgpr11
                                        ; implicit-def: $vgpr14
                                        ; implicit-def: $vgpr13
	s_and_saveexec_b64 s[10:11], s[8:9]
	s_xor_b64 s[16:17], exec, s[10:11]
	s_cbranch_execz .LBB160_131
; %bb.130:
	s_mov_b32 s8, 0x800000
	v_cmp_lt_f32_e64 s[8:9], |v9|, s8
	v_cndmask_b32_e64 v11, 0, 32, s[8:9]
	v_ldexp_f32 v11, |v9|, v11
	v_log_f32_e32 v11, v11
	s_mov_b32 s10, 0x3f317217
	s_mov_b32 s11, 0x7f800000
	v_mul_f32_e32 v13, 0x3f317217, v11
	v_fma_f32 v14, v11, s10, -v13
	v_fmac_f32_e32 v14, 0x3377d1cf, v11
	v_add_f32_e32 v13, v13, v14
	v_cmp_lt_f32_e64 s[10:11], |v11|, s11
	v_cndmask_b32_e64 v11, v11, v13, s[10:11]
	v_mov_b32_e32 v13, 0x41b17218
	v_cndmask_b32_e64 v13, 0, v13, s[8:9]
	s_mov_b32 s8, 0x3f3b4a23
	s_mov_b32 s9, 0xbeec5b0c
	v_sub_f32_e32 v11, v11, v13
	v_sub_f32_e64 v13, 1.0, |v9|
	v_add_f32_e64 v14, |v9|, s9
	v_cmp_lt_f32_e64 s[8:9], |v9|, s8
	v_cndmask_b32_e64 v13, v13, v14, s[8:9]
	v_cndmask_b32_e64 v14, 0, 1, s[8:9]
	s_mov_b32 s8, 0x3e6d3309
	v_cmp_lt_f32_e64 s[8:9], |v9|, s8
	v_xor_b32_e32 v11, 0x80000000, v11
	v_cndmask_b32_e64 v13, v13, |v9|, s[8:9]
	v_cndmask_b32_e64 v14, v14, 2, s[8:9]
.LBB160_131:
	s_andn2_saveexec_b64 s[10:11], s[16:17]
	s_cbranch_execz .LBB160_133
; %bb.132:
	s_mov_b32 s8, 0x3fdda512
	s_mov_b32 s9, 0xbfbb16c3
	v_sub_f32_e64 v11, 2.0, |v9|
	v_add_f32_e64 v13, |v9|, s9
	v_cmp_lt_f32_e64 s[8:9], |v9|, s8
	v_cndmask_b32_e64 v13, v11, v13, s[8:9]
	v_cndmask_b32_e64 v11, v11, 1.0, s[8:9]
	v_cvt_i32_f32_e32 v11, v11
	s_mov_b32 s8, 0x3f9d70a4
	v_add_f32_e64 v14, |v9|, -1.0
	v_cmp_lt_f32_e64 s[8:9], |v9|, s8
	v_cndmask_b32_e64 v13, v13, v14, s[8:9]
	v_cndmask_b32_e64 v14, v11, 2, s[8:9]
	v_mov_b32_e32 v11, 0
.LBB160_133:
	s_or_b64 exec, exec, s[10:11]
	v_cmp_lt_i32_e64 s[8:9], 0, v14
	s_and_saveexec_b64 s[10:11], s[8:9]
	s_xor_b64 s[10:11], exec, s[10:11]
	s_cbranch_execz .LBB160_141
; %bb.134:
	v_cmp_lt_i32_e64 s[8:9], 1, v14
	s_and_saveexec_b64 s[16:17], s[8:9]
	s_xor_b64 s[16:17], exec, s[16:17]
	s_cbranch_execz .LBB160_138
; %bb.135:
	v_cmp_eq_u32_e64 s[8:9], 2, v14
	s_and_saveexec_b64 s[20:21], s[8:9]
	s_cbranch_execz .LBB160_137
; %bb.136:
	v_mov_b32_e32 v14, 0x3e6a7578
	v_fmac_f32_e32 v14, 0x3c5b3c5e, v13
	v_mov_b32_e32 v15, 0x3f7a4bb2
	v_fmac_f32_e32 v15, v13, v14
	;; [unrolled: 2-line block ×8, first 2 shown]
	v_fma_f32 v14, v13, v16, 1.0
	v_rcp_f32_e32 v14, v14
	v_mov_b32_e32 v16, 0xbd9e233f
	v_fmac_f32_e32 v16, v13, v15
	v_mul_f32_e32 v15, v13, v16
	v_mul_f32_e32 v14, v15, v14
	v_fmac_f32_e32 v14, -0.5, v13
	v_add_f32_e32 v11, v11, v14
.LBB160_137:
	s_or_b64 exec, exec, s[20:21]
                                        ; implicit-def: $vgpr13
.LBB160_138:
	s_andn2_saveexec_b64 s[8:9], s[16:17]
	s_cbranch_execz .LBB160_140
; %bb.139:
	v_mul_f32_e32 v14, v13, v13
	v_mul_f32_e32 v15, v13, v14
	v_mov_b32_e32 v16, 0xbab7f476
	v_fmac_f32_e32 v16, 0x39a57b6b, v15
	v_mov_b32_e32 v17, 0x3bc7e707
	v_fmac_f32_e32 v17, v15, v16
	v_mov_b32_e32 v16, 0xbd064d47
	v_fmac_f32_e32 v16, v15, v17
	v_mov_b32_e32 v17, 0x3ef7b95e
	v_fmac_f32_e32 v17, v15, v16
	v_mov_b32_e32 v16, 0x3a66f867
	v_fmac_f32_e32 v16, 0xb9a3f927, v15
	v_mov_b32_e32 v18, 0xbb7177fe
	v_fmac_f32_e32 v18, v15, v16
	v_mov_b32_e32 v16, 0x3c93373d
	v_fmac_f32_e32 v16, v15, v18
	v_mov_b32_e32 v18, 0xbe17213c
	v_fmac_f32_e32 v18, v15, v16
	v_mov_b32_e32 v16, 0xba0d3085
	v_fmac_f32_e32 v16, 0x39afe9f7, v15
	v_mov_b32_e32 v19, 0x3b141699
	v_fmac_f32_e32 v19, v15, v16
	v_mov_b32_e32 v16, 0xbc28fcfe
	v_fmac_f32_e32 v16, v15, v19
	v_mov_b32_e32 v19, 0x3d845a15
	v_fmac_f32_e32 v19, v15, v16
	v_fmac_f32_e32 v18, v13, v19
	s_mov_b32 s16, 0xa2863e55
	v_fma_f32 v13, v15, -v18, s16
	v_fma_f32 v13, v14, v17, -v13
	v_add_f32_e32 v13, 0xbdf8cdce, v13
	v_add_f32_e32 v11, v11, v13
.LBB160_140:
	s_or_b64 exec, exec, s[8:9]
                                        ; implicit-def: $vgpr14
                                        ; implicit-def: $vgpr13
.LBB160_141:
	s_andn2_saveexec_b64 s[10:11], s[10:11]
	s_cbranch_execz .LBB160_145
; %bb.142:
	v_cmp_eq_u32_e64 s[8:9], 0, v14
	s_and_saveexec_b64 s[16:17], s[8:9]
	s_cbranch_execz .LBB160_144
; %bb.143:
	v_mul_f32_e32 v14, v13, v13
	v_mov_b32_e32 v15, 0x39679767
	v_fmac_f32_e32 v15, 0x37d383a2, v14
	v_mov_b32_e32 v16, 0x3a9c54a1
	v_fmac_f32_e32 v16, v14, v15
	;; [unrolled: 2-line block ×10, first 2 shown]
	v_mul_f32_e32 v14, v14, v16
	v_fmac_f32_e32 v14, v13, v15
	v_fmac_f32_e32 v14, -0.5, v13
	v_add_f32_e32 v11, v11, v14
.LBB160_144:
	s_or_b64 exec, exec, s[16:17]
.LBB160_145:
	s_or_b64 exec, exec, s[10:11]
.LBB160_146:
	s_or_b64 exec, exec, s[14:15]
.LBB160_147:
	s_andn2_saveexec_b64 s[12:13], s[12:13]
	s_cbranch_execz .LBB160_149
; %bb.148:
	s_mov_b32 s8, 0x3e8a8991
	v_mov_b32_e32 v11, 0xbecd26ab
	v_fma_f32 v11, |v9|, s8, v11
	s_mov_b32 s8, 0x3f528d33
	v_fma_f32 v11, |v9|, v11, s8
	s_mov_b32 s8, 0x800000
	v_cmp_lt_f32_e64 s[8:9], |v9|, s8
	v_cndmask_b32_e64 v13, 0, 32, s[8:9]
	v_ldexp_f32 v13, |v9|, v13
	v_log_f32_e32 v13, v13
	s_mov_b32 s10, 0xbf13c468
	v_fma_f32 v11, |v9|, v11, s10
	s_mov_b32 s10, 0x3f317217
	v_mul_f32_e32 v14, 0x3f317217, v13
	v_fma_f32 v15, v13, s10, -v14
	v_fmac_f32_e32 v15, 0x3377d1cf, v13
	s_mov_b32 s10, 0x7f800000
	v_add_f32_e32 v14, v14, v15
	v_cmp_lt_f32_e64 s[10:11], |v13|, s10
	v_cndmask_b32_e64 v13, v13, v14, s[10:11]
	v_mov_b32_e32 v14, 0x41b17218
	v_cndmask_b32_e64 v14, 0, v14, s[8:9]
	v_sub_f32_e32 v13, v13, v14
	v_fma_f32 v11, |v9|, v11, -v13
.LBB160_149:
	s_or_b64 exec, exec, s[12:13]
	v_cmp_le_f32_e64 s[8:9], 0, v9
	v_cmp_nle_f32_e64 s[10:11], 0, v9
	s_and_saveexec_b64 s[12:13], s[10:11]
	s_xor_b64 s[14:15], exec, s[12:13]
	s_cbranch_execz .LBB160_153
; %bb.150:
	s_mov_b32 s10, 0x4b000000
	s_mov_b32 s12, 0x35000000
	v_cmp_lt_f32_e64 s[10:11], |v9|, s10
	v_cmp_gt_f32_e64 s[12:13], |v9|, s12
	s_and_b64 s[10:11], s[10:11], s[12:13]
	s_and_saveexec_b64 s[16:17], s[10:11]
	s_cbranch_execz .LBB160_152
; %bb.151:
	v_mul_f32_e64 v13, |v9|, 0.5
	v_floor_f32_e32 v14, v13
	v_sub_f32_e32 v14, v13, v14
	v_min_f32_e32 v14, 0x3f7fffff, v14
	s_mov_b32 s12, 0x7f800000
	v_add_f32_e32 v14, v14, v14
	v_cmp_neq_f32_e64 s[10:11], s12, v13
	v_cndmask_b32_e64 v13, 0, v14, s[10:11]
	v_cmp_gt_f32_e64 s[10:11], |v9|, 1.0
	v_cndmask_b32_e64 v13, |v9|, v13, s[10:11]
	v_add_f32_e32 v14, v13, v13
	v_rndne_f32_e32 v14, v14
	v_fmac_f32_e32 v13, -0.5, v14
	v_mul_f32_e32 v15, v13, v13
	v_mov_b32_e32 v16, 0xbf1f24be
	v_fmac_f32_e32 v16, 0x3e75aa41, v15
	v_mov_b32_e32 v17, 0x40234736
	v_fmac_f32_e32 v17, v15, v16
	;; [unrolled: 2-line block ×3, first 2 shown]
	v_mul_f32_e32 v17, v13, v15
	v_mul_f32_e32 v16, v17, v16
	v_fmac_f32_e32 v16, 0x40490fdb, v13
	v_mov_b32_e32 v13, 0x3e642e9d
	v_cvt_i32_f32_e32 v14, v14
	v_fmac_f32_e32 v13, 0x3d4be544, v15
	v_mov_b32_e32 v17, 0xbfaad1da
	v_fmac_f32_e32 v17, v15, v13
	v_mov_b32_e32 v13, 0x4081e0d3
	;; [unrolled: 2-line block ×3, first 2 shown]
	v_fmac_f32_e32 v17, v15, v13
	v_fma_f32 v13, v15, v17, 1.0
	v_and_b32_e32 v15, 1, v14
	v_cmp_eq_u32_e64 s[10:11], 0, v15
	v_cndmask_b32_e64 v13, v13, v16, s[10:11]
	v_lshlrev_b32_e32 v14, 30, v14
	s_brev_b32 s10, 1
	v_and_or_b32 v12, v14, s10, v12
	v_xor_b32_e32 v12, v12, v13
	v_xor_b32_e32 v12, v12, v9
	v_mul_f32_e32 v12, v9, v12
	v_frexp_mant_f32_e64 v13, |v12|
	v_rcp_f32_e32 v13, v13
	v_frexp_exp_i32_f32_e32 v12, v12
	v_sub_u32_e32 v12, 2, v12
	s_mov_b32 s10, 0x800000
	v_mul_f32_e32 v13, 0x3f490fdb, v13
	v_ldexp_f32 v12, v13, v12
	v_cmp_gt_f32_e64 s[10:11], s10, v12
	v_cndmask_b32_e64 v13, 0, 32, s[10:11]
	v_ldexp_f32 v12, v12, v13
	v_log_f32_e32 v12, v12
	s_mov_b32 s13, 0x3f317217
	v_mul_f32_e32 v13, 0x3f317217, v12
	v_fma_f32 v14, v12, s13, -v13
	v_fmac_f32_e32 v14, 0x3377d1cf, v12
	v_add_f32_e32 v13, v13, v14
	v_cmp_lt_f32_e64 s[12:13], |v12|, s12
	v_cndmask_b32_e64 v12, v12, v13, s[12:13]
	v_mov_b32_e32 v13, 0x41b17218
	v_cndmask_b32_e64 v13, 0, v13, s[10:11]
	v_sub_f32_e32 v12, v12, v13
	v_sub_f32_e32 v11, v12, v11
	v_floor_f32_e32 v12, v9
	v_sub_f32_e32 v12, v9, v12
	v_min_f32_e32 v12, 0x3f7fffff, v12
	v_mov_b32_e32 v13, 0x7f800000
	v_cmp_neq_f32_e64 s[10:11], 0, v12
	v_cndmask_b32_e64 v11, v13, v11, s[10:11]
.LBB160_152:
	s_or_b64 exec, exec, s[16:17]
.LBB160_153:
	s_andn2_saveexec_b64 s[14:15], s[14:15]
; %bb.154:
	v_cmp_eq_f32_e64 s[10:11], 1.0, v9
	v_cmp_eq_f32_e64 s[12:13], 2.0, v9
	s_or_b64 s[10:11], s[10:11], s[12:13]
	v_cndmask_b32_e64 v11, v11, 0, s[10:11]
; %bb.155:
	s_or_b64 exec, exec, s[14:15]
	s_waitcnt vmcnt(1)
	v_lshlrev_b32_e32 v12, 16, v10
	s_mov_b32 s10, 0x3c800000
	v_and_b32_e32 v14, 0x7fffffff, v12
	v_cmp_nlt_f32_e64 s[10:11], |v12|, s10
                                        ; implicit-def: $vgpr13
	s_and_saveexec_b64 s[12:13], s[10:11]
	s_xor_b64 s[14:15], exec, s[12:13]
	s_cbranch_execz .LBB160_185
; %bb.156:
	v_cmp_nlt_f32_e64 s[10:11], |v12|, 2.0
                                        ; implicit-def: $vgpr13
	s_and_saveexec_b64 s[12:13], s[10:11]
	s_xor_b64 s[16:17], exec, s[12:13]
	s_cbranch_execz .LBB160_166
; %bb.157:
	s_mov_b32 s10, 0x41000000
	v_cmp_nlt_f32_e64 s[10:11], |v12|, s10
                                        ; implicit-def: $vgpr13
	s_and_saveexec_b64 s[12:13], s[10:11]
	s_xor_b64 s[20:21], exec, s[12:13]
	s_cbranch_execz .LBB160_163
; %bb.158:
	s_mov_b32 s10, 0x5c800000
	v_cmp_nlt_f32_e64 s[10:11], |v12|, s10
                                        ; implicit-def: $vgpr13
	s_and_saveexec_b64 s[12:13], s[10:11]
	s_xor_b64 s[22:23], exec, s[12:13]
	s_cbranch_execz .LBB160_160
; %bb.159:
	s_mov_b32 s10, 0x800000
	v_cmp_lt_f32_e64 s[10:11], |v12|, s10
	v_cndmask_b32_e64 v13, 0, 32, s[10:11]
	v_ldexp_f32 v13, |v12|, v13
	v_log_f32_e32 v13, v13
	s_mov_b32 s12, 0x3f317217
	s_mov_b32 s13, 0x7f800000
	v_mul_f32_e32 v15, 0x3f317217, v13
	v_fma_f32 v16, v13, s12, -v15
	v_fmac_f32_e32 v16, 0x3377d1cf, v13
	v_add_f32_e32 v15, v15, v16
	v_cmp_lt_f32_e64 s[12:13], |v13|, s13
	v_cndmask_b32_e64 v13, v13, v15, s[12:13]
	v_mov_b32_e32 v15, 0x41b17218
	v_cndmask_b32_e64 v15, 0, v15, s[10:11]
	v_sub_f32_e32 v13, v13, v15
	v_fma_f32 v13, |v12|, v13, -|v12|
.LBB160_160:
	s_andn2_saveexec_b64 s[22:23], s[22:23]
	s_cbranch_execz .LBB160_162
; %bb.161:
	v_rcp_f32_e64 v15, |v12|
	v_mov_b32_e32 v13, 0x3a5b3dd2
	v_mov_b32_e32 v16, 0xba1c065c
	;; [unrolled: 1-line block ×3, first 2 shown]
	v_mul_f32_e32 v18, v15, v15
	v_fmac_f32_e32 v13, 0xbad5c4e8, v18
	v_fmac_f32_e32 v16, v18, v13
	s_mov_b32 s10, 0x800000
	v_fmac_f32_e32 v17, v18, v16
	v_mov_b32_e32 v13, 0xbb360b61
	v_cmp_lt_f32_e64 s[10:11], |v12|, s10
	v_fmac_f32_e32 v13, v18, v17
	v_cndmask_b32_e64 v17, 0, 32, s[10:11]
	v_ldexp_f32 v17, |v12|, v17
	v_log_f32_e32 v17, v17
	v_mov_b32_e32 v16, 0x3daaaaab
	v_fmac_f32_e32 v16, v18, v13
	v_mov_b32_e32 v13, 0x3ed67f1d
	v_fmac_f32_e32 v13, v15, v16
	s_mov_b32 s12, 0x3f317217
	v_mul_f32_e32 v16, 0x3f317217, v17
	v_fma_f32 v18, v17, s12, -v16
	v_fmac_f32_e32 v18, 0x3377d1cf, v17
	s_mov_b32 s12, 0x7f800000
	v_add_f32_e32 v16, v16, v18
	v_cmp_lt_f32_e64 s[12:13], |v17|, s12
	v_cndmask_b32_e64 v16, v17, v16, s[12:13]
	v_mov_b32_e32 v17, 0x41b17218
	v_cndmask_b32_e64 v17, 0, v17, s[10:11]
	v_sub_f32_e32 v16, v16, v17
	v_add_f32_e64 v15, |v12|, -0.5
	v_add_f32_e32 v16, -1.0, v16
	v_fmac_f32_e32 v13, v15, v16
.LBB160_162:
	s_or_b64 exec, exec, s[22:23]
.LBB160_163:
	s_andn2_saveexec_b64 s[20:21], s[20:21]
	s_cbranch_execz .LBB160_165
; %bb.164:
	v_cvt_i32_f32_e32 v13, v14
	v_mov_b32_e32 v15, 0x3af135b4
	v_mov_b32_e32 v16, 0x3cda40e4
	;; [unrolled: 1-line block ×3, first 2 shown]
	v_cvt_f32_i32_e32 v18, v13
	v_mov_b32_e32 v19, 0x3ea6cc7a
	v_mov_b32_e32 v20, 0x3e5c245a
	v_cmp_lt_i32_e64 s[10:11], 2, v13
	v_sub_f32_e64 v18, |v12|, v18
	v_fmac_f32_e32 v15, 0x3805ff67, v18
	v_fmac_f32_e32 v16, v18, v15
	;; [unrolled: 1-line block ×3, first 2 shown]
	v_mov_b32_e32 v16, 0x3a4beed6
	v_fmac_f32_e32 v19, v18, v17
	v_fmac_f32_e32 v16, 0x36f5d7bd, v18
	v_mov_b32_e32 v17, 0x3c98bf54
	v_fmac_f32_e32 v17, v18, v16
	v_mov_b32_e32 v16, 0x3e300f6e
	;; [unrolled: 2-line block ×4, first 2 shown]
	v_fmac_f32_e32 v16, v18, v17
	v_add_f32_e32 v17, 2.0, v18
	v_mov_b32_e32 v21, 0xbd9e233f
	v_fmac_f32_e32 v20, v18, v19
	v_add_f32_e32 v19, 0x40400000, v18
	v_cndmask_b32_e64 v17, 1.0, v17, s[10:11]
	v_cmp_lt_i32_e64 s[10:11], 3, v13
	v_fmac_f32_e32 v21, v18, v20
	v_add_f32_e32 v20, 4.0, v18
	v_cndmask_b32_e64 v19, 1.0, v19, s[10:11]
	v_cmp_lt_i32_e64 s[10:11], 4, v13
	v_mul_f32_e32 v15, v18, v21
	v_add_f32_e32 v21, 0x40a00000, v18
	v_mul_f32_e32 v17, v17, v19
	v_cndmask_b32_e64 v19, 1.0, v20, s[10:11]
	v_cmp_lt_i32_e64 s[10:11], 5, v13
	v_add_f32_e32 v22, 0x40c00000, v18
	v_mul_f32_e32 v17, v19, v17
	v_cndmask_b32_e64 v19, 1.0, v21, s[10:11]
	v_cmp_lt_i32_e64 s[10:11], 6, v13
	v_mul_f32_e32 v17, v19, v17
	v_cndmask_b32_e64 v13, 1.0, v22, s[10:11]
	v_mul_f32_e32 v13, v13, v17
	s_mov_b32 s10, 0x800000
	v_cmp_gt_f32_e64 s[10:11], s10, v13
	v_cndmask_b32_e64 v17, 0, 32, s[10:11]
	v_fma_f32 v16, v18, v16, 1.0
	v_ldexp_f32 v13, v13, v17
	v_rcp_f32_e32 v16, v16
	v_log_f32_e32 v13, v13
	s_mov_b32 s12, 0x3f317217
	v_mul_f32_e32 v15, v15, v16
	v_mul_f32_e32 v16, 0x3f317217, v13
	v_fma_f32 v17, v13, s12, -v16
	v_fmac_f32_e32 v17, 0x3377d1cf, v13
	s_mov_b32 s12, 0x7f800000
	v_add_f32_e32 v16, v16, v17
	v_cmp_lt_f32_e64 s[12:13], |v13|, s12
	v_cndmask_b32_e64 v13, v13, v16, s[12:13]
	v_mov_b32_e32 v16, 0x41b17218
	v_cndmask_b32_e64 v16, 0, v16, s[10:11]
	v_fmac_f32_e32 v15, 0.5, v18
	v_sub_f32_e32 v13, v13, v16
	v_add_f32_e32 v13, v13, v15
.LBB160_165:
	s_or_b64 exec, exec, s[20:21]
.LBB160_166:
	s_andn2_saveexec_b64 s[16:17], s[16:17]
	s_cbranch_execz .LBB160_184
; %bb.167:
	s_mov_b32 s10, 0x3f666666
	v_cmp_le_f32_e64 s[10:11], |v12|, s10
                                        ; implicit-def: $vgpr13
                                        ; implicit-def: $vgpr16
                                        ; implicit-def: $vgpr15
	s_and_saveexec_b64 s[12:13], s[10:11]
	s_xor_b64 s[20:21], exec, s[12:13]
	s_cbranch_execz .LBB160_169
; %bb.168:
	s_mov_b32 s10, 0x800000
	v_cmp_lt_f32_e64 s[10:11], |v12|, s10
	v_cndmask_b32_e64 v13, 0, 32, s[10:11]
	v_ldexp_f32 v13, |v12|, v13
	v_log_f32_e32 v13, v13
	s_mov_b32 s12, 0x3f317217
	s_mov_b32 s13, 0x7f800000
	v_mul_f32_e32 v15, 0x3f317217, v13
	v_fma_f32 v16, v13, s12, -v15
	v_fmac_f32_e32 v16, 0x3377d1cf, v13
	v_add_f32_e32 v15, v15, v16
	v_cmp_lt_f32_e64 s[12:13], |v13|, s13
	v_cndmask_b32_e64 v13, v13, v15, s[12:13]
	v_mov_b32_e32 v15, 0x41b17218
	v_cndmask_b32_e64 v15, 0, v15, s[10:11]
	s_mov_b32 s10, 0x3f3b4a23
	s_mov_b32 s11, 0xbeec5b0c
	v_sub_f32_e32 v13, v13, v15
	v_sub_f32_e64 v15, 1.0, |v12|
	v_add_f32_e64 v16, |v12|, s11
	v_cmp_lt_f32_e64 s[10:11], |v12|, s10
	v_cndmask_b32_e64 v15, v15, v16, s[10:11]
	v_cndmask_b32_e64 v16, 0, 1, s[10:11]
	s_mov_b32 s10, 0x3e6d3309
	v_cmp_lt_f32_e64 s[10:11], |v12|, s10
	v_xor_b32_e32 v13, 0x80000000, v13
	v_cndmask_b32_e64 v15, v15, |v12|, s[10:11]
	v_cndmask_b32_e64 v16, v16, 2, s[10:11]
.LBB160_169:
	s_andn2_saveexec_b64 s[12:13], s[20:21]
	s_cbranch_execz .LBB160_171
; %bb.170:
	s_mov_b32 s10, 0x3fdda512
	s_mov_b32 s11, 0xbfbb16c3
	v_sub_f32_e64 v13, 2.0, |v12|
	v_add_f32_e64 v15, |v12|, s11
	v_cmp_lt_f32_e64 s[10:11], |v12|, s10
	v_cndmask_b32_e64 v15, v13, v15, s[10:11]
	v_cndmask_b32_e64 v13, v13, 1.0, s[10:11]
	v_cvt_i32_f32_e32 v13, v13
	s_mov_b32 s10, 0x3f9d70a4
	v_add_f32_e64 v16, |v12|, -1.0
	v_cmp_lt_f32_e64 s[10:11], |v12|, s10
	v_cndmask_b32_e64 v15, v15, v16, s[10:11]
	v_cndmask_b32_e64 v16, v13, 2, s[10:11]
	v_mov_b32_e32 v13, 0
.LBB160_171:
	s_or_b64 exec, exec, s[12:13]
	v_cmp_lt_i32_e64 s[10:11], 0, v16
	s_and_saveexec_b64 s[12:13], s[10:11]
	s_xor_b64 s[12:13], exec, s[12:13]
	s_cbranch_execz .LBB160_179
; %bb.172:
	v_cmp_lt_i32_e64 s[10:11], 1, v16
	s_and_saveexec_b64 s[20:21], s[10:11]
	s_xor_b64 s[20:21], exec, s[20:21]
	s_cbranch_execz .LBB160_176
; %bb.173:
	v_cmp_eq_u32_e64 s[10:11], 2, v16
	s_and_saveexec_b64 s[22:23], s[10:11]
	s_cbranch_execz .LBB160_175
; %bb.174:
	v_mov_b32_e32 v16, 0x3e6a7578
	v_fmac_f32_e32 v16, 0x3c5b3c5e, v15
	v_mov_b32_e32 v17, 0x3f7a4bb2
	v_fmac_f32_e32 v17, v15, v16
	;; [unrolled: 2-line block ×8, first 2 shown]
	v_fma_f32 v16, v15, v18, 1.0
	v_rcp_f32_e32 v16, v16
	v_mov_b32_e32 v18, 0xbd9e233f
	v_fmac_f32_e32 v18, v15, v17
	v_mul_f32_e32 v17, v15, v18
	v_mul_f32_e32 v16, v17, v16
	v_fmac_f32_e32 v16, -0.5, v15
	v_add_f32_e32 v13, v13, v16
.LBB160_175:
	s_or_b64 exec, exec, s[22:23]
                                        ; implicit-def: $vgpr15
.LBB160_176:
	s_andn2_saveexec_b64 s[10:11], s[20:21]
	s_cbranch_execz .LBB160_178
; %bb.177:
	v_mul_f32_e32 v16, v15, v15
	v_mul_f32_e32 v17, v15, v16
	v_mov_b32_e32 v18, 0xbab7f476
	v_fmac_f32_e32 v18, 0x39a57b6b, v17
	v_mov_b32_e32 v19, 0x3bc7e707
	v_fmac_f32_e32 v19, v17, v18
	v_mov_b32_e32 v18, 0xbd064d47
	v_fmac_f32_e32 v18, v17, v19
	v_mov_b32_e32 v19, 0x3ef7b95e
	v_fmac_f32_e32 v19, v17, v18
	v_mov_b32_e32 v18, 0x3a66f867
	v_fmac_f32_e32 v18, 0xb9a3f927, v17
	v_mov_b32_e32 v20, 0xbb7177fe
	v_fmac_f32_e32 v20, v17, v18
	v_mov_b32_e32 v18, 0x3c93373d
	v_fmac_f32_e32 v18, v17, v20
	v_mov_b32_e32 v20, 0xbe17213c
	v_fmac_f32_e32 v20, v17, v18
	v_mov_b32_e32 v18, 0xba0d3085
	v_fmac_f32_e32 v18, 0x39afe9f7, v17
	v_mov_b32_e32 v21, 0x3b141699
	v_fmac_f32_e32 v21, v17, v18
	v_mov_b32_e32 v18, 0xbc28fcfe
	v_fmac_f32_e32 v18, v17, v21
	v_mov_b32_e32 v21, 0x3d845a15
	v_fmac_f32_e32 v21, v17, v18
	v_fmac_f32_e32 v20, v15, v21
	s_mov_b32 s20, 0xa2863e55
	v_fma_f32 v15, v17, -v20, s20
	v_fma_f32 v15, v16, v19, -v15
	v_add_f32_e32 v15, 0xbdf8cdce, v15
	v_add_f32_e32 v13, v13, v15
.LBB160_178:
	s_or_b64 exec, exec, s[10:11]
                                        ; implicit-def: $vgpr16
                                        ; implicit-def: $vgpr15
.LBB160_179:
	s_andn2_saveexec_b64 s[12:13], s[12:13]
	s_cbranch_execz .LBB160_183
; %bb.180:
	v_cmp_eq_u32_e64 s[10:11], 0, v16
	s_and_saveexec_b64 s[20:21], s[10:11]
	s_cbranch_execz .LBB160_182
; %bb.181:
	v_mul_f32_e32 v16, v15, v15
	v_mov_b32_e32 v17, 0x39679767
	v_fmac_f32_e32 v17, 0x37d383a2, v16
	v_mov_b32_e32 v18, 0x3a9c54a1
	v_fmac_f32_e32 v18, v16, v17
	;; [unrolled: 2-line block ×10, first 2 shown]
	v_mul_f32_e32 v16, v16, v18
	v_fmac_f32_e32 v16, v15, v17
	v_fmac_f32_e32 v16, -0.5, v15
	v_add_f32_e32 v13, v13, v16
.LBB160_182:
	s_or_b64 exec, exec, s[20:21]
.LBB160_183:
	s_or_b64 exec, exec, s[12:13]
.LBB160_184:
	s_or_b64 exec, exec, s[16:17]
.LBB160_185:
	s_andn2_saveexec_b64 s[14:15], s[14:15]
	s_cbranch_execz .LBB160_187
; %bb.186:
	s_mov_b32 s10, 0x3e8a8991
	v_mov_b32_e32 v13, 0xbecd26ab
	v_fma_f32 v13, |v12|, s10, v13
	s_mov_b32 s10, 0x3f528d33
	v_fma_f32 v13, |v12|, v13, s10
	s_mov_b32 s10, 0x800000
	v_cmp_lt_f32_e64 s[10:11], |v12|, s10
	v_cndmask_b32_e64 v15, 0, 32, s[10:11]
	v_ldexp_f32 v15, |v12|, v15
	v_log_f32_e32 v15, v15
	s_mov_b32 s12, 0xbf13c468
	v_fma_f32 v13, |v12|, v13, s12
	s_mov_b32 s12, 0x3f317217
	v_mul_f32_e32 v16, 0x3f317217, v15
	v_fma_f32 v17, v15, s12, -v16
	v_fmac_f32_e32 v17, 0x3377d1cf, v15
	s_mov_b32 s12, 0x7f800000
	v_add_f32_e32 v16, v16, v17
	v_cmp_lt_f32_e64 s[12:13], |v15|, s12
	v_cndmask_b32_e64 v15, v15, v16, s[12:13]
	v_mov_b32_e32 v16, 0x41b17218
	v_cndmask_b32_e64 v16, 0, v16, s[10:11]
	v_sub_f32_e32 v15, v15, v16
	v_fma_f32 v13, |v12|, v13, -v15
.LBB160_187:
	s_or_b64 exec, exec, s[14:15]
	v_cmp_le_f32_e64 s[10:11], 0, v12
	v_cmp_nle_f32_e64 s[12:13], 0, v12
	s_and_saveexec_b64 s[14:15], s[12:13]
	s_xor_b64 s[16:17], exec, s[14:15]
	s_cbranch_execz .LBB160_191
; %bb.188:
	s_mov_b32 s12, 0x4b000000
	s_mov_b32 s14, 0x35000000
	v_cmp_lt_f32_e64 s[12:13], |v12|, s12
	v_cmp_gt_f32_e64 s[14:15], |v12|, s14
	s_and_b64 s[12:13], s[12:13], s[14:15]
	s_and_saveexec_b64 s[20:21], s[12:13]
	s_cbranch_execz .LBB160_190
; %bb.189:
	v_mul_f32_e64 v15, |v12|, 0.5
	v_floor_f32_e32 v16, v15
	v_sub_f32_e32 v16, v15, v16
	v_min_f32_e32 v16, 0x3f7fffff, v16
	s_mov_b32 s14, 0x7f800000
	v_add_f32_e32 v16, v16, v16
	v_cmp_neq_f32_e64 s[12:13], s14, v15
	v_cndmask_b32_e64 v15, 0, v16, s[12:13]
	v_cmp_gt_f32_e64 s[12:13], |v12|, 1.0
	v_cndmask_b32_e64 v15, |v12|, v15, s[12:13]
	v_add_f32_e32 v16, v15, v15
	v_rndne_f32_e32 v16, v16
	v_fmac_f32_e32 v15, -0.5, v16
	v_mul_f32_e32 v17, v15, v15
	v_mov_b32_e32 v18, 0xbf1f24be
	v_fmac_f32_e32 v18, 0x3e75aa41, v17
	v_mov_b32_e32 v19, 0x40234736
	v_fmac_f32_e32 v19, v17, v18
	v_mov_b32_e32 v18, 0xc0a55e0e
	v_fmac_f32_e32 v18, v17, v19
	v_mul_f32_e32 v19, v15, v17
	v_mul_f32_e32 v18, v19, v18
	v_fmac_f32_e32 v18, 0x40490fdb, v15
	v_mov_b32_e32 v15, 0x3e642e9d
	v_cvt_i32_f32_e32 v16, v16
	v_fmac_f32_e32 v15, 0x3d4be544, v17
	v_mov_b32_e32 v19, 0xbfaad1da
	v_fmac_f32_e32 v19, v17, v15
	v_mov_b32_e32 v15, 0x4081e0d3
	;; [unrolled: 2-line block ×3, first 2 shown]
	v_fmac_f32_e32 v19, v17, v15
	v_fma_f32 v15, v17, v19, 1.0
	v_and_b32_e32 v17, 1, v16
	v_cmp_eq_u32_e64 s[12:13], 0, v17
	v_cndmask_b32_e64 v15, v15, v18, s[12:13]
	v_lshlrev_b32_e32 v16, 30, v16
	s_brev_b32 s12, 1
	v_and_or_b32 v14, v16, s12, v14
	v_xor_b32_e32 v14, v14, v15
	v_xor_b32_e32 v14, v14, v12
	v_mul_f32_e32 v14, v12, v14
	v_frexp_mant_f32_e64 v15, |v14|
	v_rcp_f32_e32 v15, v15
	v_frexp_exp_i32_f32_e32 v14, v14
	v_sub_u32_e32 v14, 2, v14
	s_mov_b32 s12, 0x800000
	v_mul_f32_e32 v15, 0x3f490fdb, v15
	v_ldexp_f32 v14, v15, v14
	v_cmp_gt_f32_e64 s[12:13], s12, v14
	v_cndmask_b32_e64 v15, 0, 32, s[12:13]
	v_ldexp_f32 v14, v14, v15
	v_log_f32_e32 v14, v14
	s_mov_b32 s15, 0x3f317217
	v_mul_f32_e32 v15, 0x3f317217, v14
	v_fma_f32 v16, v14, s15, -v15
	v_fmac_f32_e32 v16, 0x3377d1cf, v14
	v_add_f32_e32 v15, v15, v16
	v_cmp_lt_f32_e64 s[14:15], |v14|, s14
	v_cndmask_b32_e64 v14, v14, v15, s[14:15]
	v_mov_b32_e32 v15, 0x41b17218
	v_cndmask_b32_e64 v15, 0, v15, s[12:13]
	v_sub_f32_e32 v14, v14, v15
	v_sub_f32_e32 v13, v14, v13
	v_floor_f32_e32 v14, v12
	v_sub_f32_e32 v14, v12, v14
	v_min_f32_e32 v14, 0x3f7fffff, v14
	v_mov_b32_e32 v15, 0x7f800000
	v_cmp_neq_f32_e64 s[12:13], 0, v14
	v_cndmask_b32_e64 v13, v15, v13, s[12:13]
.LBB160_190:
	s_or_b64 exec, exec, s[20:21]
.LBB160_191:
	s_andn2_saveexec_b64 s[16:17], s[16:17]
; %bb.192:
	v_cmp_eq_f32_e64 s[12:13], 1.0, v12
	v_cmp_eq_f32_e64 s[14:15], 2.0, v12
	s_or_b64 s[12:13], s[12:13], s[14:15]
	v_cndmask_b32_e64 v13, v13, 0, s[12:13]
; %bb.193:
	s_or_b64 exec, exec, s[16:17]
	v_and_b32_e32 v10, 0xffff0000, v10
	s_mov_b32 s12, 0x3c800000
	v_and_b32_e32 v15, 0x7fffffff, v10
	v_cmp_nlt_f32_e64 s[12:13], |v10|, s12
                                        ; implicit-def: $vgpr14
	s_and_saveexec_b64 s[14:15], s[12:13]
	s_xor_b64 s[16:17], exec, s[14:15]
	s_cbranch_execz .LBB160_223
; %bb.194:
	v_cmp_nlt_f32_e64 s[12:13], |v10|, 2.0
                                        ; implicit-def: $vgpr14
	s_and_saveexec_b64 s[14:15], s[12:13]
	s_xor_b64 s[20:21], exec, s[14:15]
	s_cbranch_execz .LBB160_204
; %bb.195:
	s_mov_b32 s12, 0x41000000
	v_cmp_nlt_f32_e64 s[12:13], |v10|, s12
                                        ; implicit-def: $vgpr14
	s_and_saveexec_b64 s[14:15], s[12:13]
	s_xor_b64 s[22:23], exec, s[14:15]
	s_cbranch_execz .LBB160_201
; %bb.196:
	s_mov_b32 s12, 0x5c800000
	v_cmp_nlt_f32_e64 s[12:13], |v10|, s12
                                        ; implicit-def: $vgpr14
	s_and_saveexec_b64 s[14:15], s[12:13]
	s_xor_b64 s[30:31], exec, s[14:15]
	s_cbranch_execz .LBB160_198
; %bb.197:
	s_mov_b32 s12, 0x800000
	v_cmp_lt_f32_e64 s[12:13], |v10|, s12
	v_cndmask_b32_e64 v14, 0, 32, s[12:13]
	v_ldexp_f32 v14, |v10|, v14
	v_log_f32_e32 v14, v14
	s_mov_b32 s14, 0x3f317217
	s_mov_b32 s15, 0x7f800000
	v_mul_f32_e32 v16, 0x3f317217, v14
	v_fma_f32 v17, v14, s14, -v16
	v_fmac_f32_e32 v17, 0x3377d1cf, v14
	v_add_f32_e32 v16, v16, v17
	v_cmp_lt_f32_e64 s[14:15], |v14|, s15
	v_cndmask_b32_e64 v14, v14, v16, s[14:15]
	v_mov_b32_e32 v16, 0x41b17218
	v_cndmask_b32_e64 v16, 0, v16, s[12:13]
	v_sub_f32_e32 v14, v14, v16
	v_fma_f32 v14, |v10|, v14, -|v10|
.LBB160_198:
	s_andn2_saveexec_b64 s[30:31], s[30:31]
	s_cbranch_execz .LBB160_200
; %bb.199:
	v_rcp_f32_e64 v16, |v10|
	v_mov_b32_e32 v14, 0x3a5b3dd2
	v_mov_b32_e32 v17, 0xba1c065c
	;; [unrolled: 1-line block ×3, first 2 shown]
	v_mul_f32_e32 v19, v16, v16
	v_fmac_f32_e32 v14, 0xbad5c4e8, v19
	v_fmac_f32_e32 v17, v19, v14
	s_mov_b32 s12, 0x800000
	v_fmac_f32_e32 v18, v19, v17
	v_mov_b32_e32 v14, 0xbb360b61
	v_cmp_lt_f32_e64 s[12:13], |v10|, s12
	v_fmac_f32_e32 v14, v19, v18
	v_cndmask_b32_e64 v18, 0, 32, s[12:13]
	v_ldexp_f32 v18, |v10|, v18
	v_log_f32_e32 v18, v18
	v_mov_b32_e32 v17, 0x3daaaaab
	v_fmac_f32_e32 v17, v19, v14
	v_mov_b32_e32 v14, 0x3ed67f1d
	v_fmac_f32_e32 v14, v16, v17
	s_mov_b32 s14, 0x3f317217
	v_mul_f32_e32 v17, 0x3f317217, v18
	v_fma_f32 v19, v18, s14, -v17
	v_fmac_f32_e32 v19, 0x3377d1cf, v18
	s_mov_b32 s14, 0x7f800000
	v_add_f32_e32 v17, v17, v19
	v_cmp_lt_f32_e64 s[14:15], |v18|, s14
	v_cndmask_b32_e64 v17, v18, v17, s[14:15]
	v_mov_b32_e32 v18, 0x41b17218
	v_cndmask_b32_e64 v18, 0, v18, s[12:13]
	v_sub_f32_e32 v17, v17, v18
	v_add_f32_e64 v16, |v10|, -0.5
	v_add_f32_e32 v17, -1.0, v17
	v_fmac_f32_e32 v14, v16, v17
.LBB160_200:
	s_or_b64 exec, exec, s[30:31]
.LBB160_201:
	s_andn2_saveexec_b64 s[22:23], s[22:23]
	s_cbranch_execz .LBB160_203
; %bb.202:
	v_cvt_i32_f32_e32 v14, v15
	v_mov_b32_e32 v16, 0x3af135b4
	v_mov_b32_e32 v17, 0x3cda40e4
	v_mov_b32_e32 v18, 0x3e15dce6
	v_cvt_f32_i32_e32 v19, v14
	v_mov_b32_e32 v20, 0x3ea6cc7a
	v_mov_b32_e32 v21, 0x3e5c245a
	v_cmp_lt_i32_e64 s[12:13], 2, v14
	v_sub_f32_e64 v19, |v10|, v19
	v_fmac_f32_e32 v16, 0x3805ff67, v19
	v_fmac_f32_e32 v17, v19, v16
	;; [unrolled: 1-line block ×3, first 2 shown]
	v_mov_b32_e32 v17, 0x3a4beed6
	v_fmac_f32_e32 v20, v19, v18
	v_fmac_f32_e32 v17, 0x36f5d7bd, v19
	v_mov_b32_e32 v18, 0x3c98bf54
	v_fmac_f32_e32 v18, v19, v17
	v_mov_b32_e32 v17, 0x3e300f6e
	;; [unrolled: 2-line block ×4, first 2 shown]
	v_fmac_f32_e32 v17, v19, v18
	v_add_f32_e32 v18, 2.0, v19
	v_mov_b32_e32 v22, 0xbd9e233f
	v_fmac_f32_e32 v21, v19, v20
	v_add_f32_e32 v20, 0x40400000, v19
	v_cndmask_b32_e64 v18, 1.0, v18, s[12:13]
	v_cmp_lt_i32_e64 s[12:13], 3, v14
	v_fmac_f32_e32 v22, v19, v21
	v_add_f32_e32 v21, 4.0, v19
	v_cndmask_b32_e64 v20, 1.0, v20, s[12:13]
	v_cmp_lt_i32_e64 s[12:13], 4, v14
	v_mul_f32_e32 v16, v19, v22
	v_add_f32_e32 v22, 0x40a00000, v19
	v_mul_f32_e32 v18, v18, v20
	v_cndmask_b32_e64 v20, 1.0, v21, s[12:13]
	v_cmp_lt_i32_e64 s[12:13], 5, v14
	v_add_f32_e32 v23, 0x40c00000, v19
	v_mul_f32_e32 v18, v20, v18
	v_cndmask_b32_e64 v20, 1.0, v22, s[12:13]
	v_cmp_lt_i32_e64 s[12:13], 6, v14
	v_mul_f32_e32 v18, v20, v18
	v_cndmask_b32_e64 v14, 1.0, v23, s[12:13]
	v_mul_f32_e32 v14, v14, v18
	s_mov_b32 s12, 0x800000
	v_cmp_gt_f32_e64 s[12:13], s12, v14
	v_cndmask_b32_e64 v18, 0, 32, s[12:13]
	v_fma_f32 v17, v19, v17, 1.0
	v_ldexp_f32 v14, v14, v18
	v_rcp_f32_e32 v17, v17
	v_log_f32_e32 v14, v14
	s_mov_b32 s14, 0x3f317217
	v_mul_f32_e32 v16, v16, v17
	v_mul_f32_e32 v17, 0x3f317217, v14
	v_fma_f32 v18, v14, s14, -v17
	v_fmac_f32_e32 v18, 0x3377d1cf, v14
	s_mov_b32 s14, 0x7f800000
	v_add_f32_e32 v17, v17, v18
	v_cmp_lt_f32_e64 s[14:15], |v14|, s14
	v_cndmask_b32_e64 v14, v14, v17, s[14:15]
	v_mov_b32_e32 v17, 0x41b17218
	v_cndmask_b32_e64 v17, 0, v17, s[12:13]
	v_fmac_f32_e32 v16, 0.5, v19
	v_sub_f32_e32 v14, v14, v17
	v_add_f32_e32 v14, v14, v16
.LBB160_203:
	s_or_b64 exec, exec, s[22:23]
.LBB160_204:
	s_andn2_saveexec_b64 s[20:21], s[20:21]
	s_cbranch_execz .LBB160_222
; %bb.205:
	s_mov_b32 s12, 0x3f666666
	v_cmp_le_f32_e64 s[12:13], |v10|, s12
                                        ; implicit-def: $vgpr14
                                        ; implicit-def: $vgpr17
                                        ; implicit-def: $vgpr16
	s_and_saveexec_b64 s[14:15], s[12:13]
	s_xor_b64 s[22:23], exec, s[14:15]
	s_cbranch_execz .LBB160_207
; %bb.206:
	s_mov_b32 s12, 0x800000
	v_cmp_lt_f32_e64 s[12:13], |v10|, s12
	v_cndmask_b32_e64 v14, 0, 32, s[12:13]
	v_ldexp_f32 v14, |v10|, v14
	v_log_f32_e32 v14, v14
	s_mov_b32 s14, 0x3f317217
	s_mov_b32 s15, 0x7f800000
	v_mul_f32_e32 v16, 0x3f317217, v14
	v_fma_f32 v17, v14, s14, -v16
	v_fmac_f32_e32 v17, 0x3377d1cf, v14
	v_add_f32_e32 v16, v16, v17
	v_cmp_lt_f32_e64 s[14:15], |v14|, s15
	v_cndmask_b32_e64 v14, v14, v16, s[14:15]
	v_mov_b32_e32 v16, 0x41b17218
	v_cndmask_b32_e64 v16, 0, v16, s[12:13]
	s_mov_b32 s12, 0x3f3b4a23
	s_mov_b32 s13, 0xbeec5b0c
	v_sub_f32_e32 v14, v14, v16
	v_sub_f32_e64 v16, 1.0, |v10|
	v_add_f32_e64 v17, |v10|, s13
	v_cmp_lt_f32_e64 s[12:13], |v10|, s12
	v_cndmask_b32_e64 v16, v16, v17, s[12:13]
	v_cndmask_b32_e64 v17, 0, 1, s[12:13]
	s_mov_b32 s12, 0x3e6d3309
	v_cmp_lt_f32_e64 s[12:13], |v10|, s12
	v_xor_b32_e32 v14, 0x80000000, v14
	v_cndmask_b32_e64 v16, v16, |v10|, s[12:13]
	v_cndmask_b32_e64 v17, v17, 2, s[12:13]
.LBB160_207:
	s_andn2_saveexec_b64 s[14:15], s[22:23]
	s_cbranch_execz .LBB160_209
; %bb.208:
	s_mov_b32 s12, 0x3fdda512
	s_mov_b32 s13, 0xbfbb16c3
	v_sub_f32_e64 v14, 2.0, |v10|
	v_add_f32_e64 v16, |v10|, s13
	v_cmp_lt_f32_e64 s[12:13], |v10|, s12
	v_cndmask_b32_e64 v16, v14, v16, s[12:13]
	v_cndmask_b32_e64 v14, v14, 1.0, s[12:13]
	v_cvt_i32_f32_e32 v14, v14
	s_mov_b32 s12, 0x3f9d70a4
	v_add_f32_e64 v17, |v10|, -1.0
	v_cmp_lt_f32_e64 s[12:13], |v10|, s12
	v_cndmask_b32_e64 v16, v16, v17, s[12:13]
	v_cndmask_b32_e64 v17, v14, 2, s[12:13]
	v_mov_b32_e32 v14, 0
.LBB160_209:
	s_or_b64 exec, exec, s[14:15]
	v_cmp_lt_i32_e64 s[12:13], 0, v17
	s_and_saveexec_b64 s[14:15], s[12:13]
	s_xor_b64 s[14:15], exec, s[14:15]
	s_cbranch_execz .LBB160_217
; %bb.210:
	v_cmp_lt_i32_e64 s[12:13], 1, v17
	s_and_saveexec_b64 s[22:23], s[12:13]
	s_xor_b64 s[22:23], exec, s[22:23]
	s_cbranch_execz .LBB160_214
; %bb.211:
	v_cmp_eq_u32_e64 s[12:13], 2, v17
	s_and_saveexec_b64 s[30:31], s[12:13]
	s_cbranch_execz .LBB160_213
; %bb.212:
	v_mov_b32_e32 v17, 0x3e6a7578
	v_fmac_f32_e32 v17, 0x3c5b3c5e, v16
	v_mov_b32_e32 v18, 0x3f7a4bb2
	v_fmac_f32_e32 v18, v16, v17
	;; [unrolled: 2-line block ×8, first 2 shown]
	v_fma_f32 v17, v16, v19, 1.0
	v_rcp_f32_e32 v17, v17
	v_mov_b32_e32 v19, 0xbd9e233f
	v_fmac_f32_e32 v19, v16, v18
	v_mul_f32_e32 v18, v16, v19
	v_mul_f32_e32 v17, v18, v17
	v_fmac_f32_e32 v17, -0.5, v16
	v_add_f32_e32 v14, v14, v17
.LBB160_213:
	s_or_b64 exec, exec, s[30:31]
                                        ; implicit-def: $vgpr16
.LBB160_214:
	s_andn2_saveexec_b64 s[12:13], s[22:23]
	s_cbranch_execz .LBB160_216
; %bb.215:
	v_mul_f32_e32 v17, v16, v16
	v_mul_f32_e32 v18, v16, v17
	v_mov_b32_e32 v19, 0xbab7f476
	v_fmac_f32_e32 v19, 0x39a57b6b, v18
	v_mov_b32_e32 v20, 0x3bc7e707
	v_fmac_f32_e32 v20, v18, v19
	;; [unrolled: 2-line block ×12, first 2 shown]
	v_fmac_f32_e32 v21, v16, v22
	s_mov_b32 s22, 0xa2863e55
	v_fma_f32 v16, v18, -v21, s22
	v_fma_f32 v16, v17, v20, -v16
	v_add_f32_e32 v16, 0xbdf8cdce, v16
	v_add_f32_e32 v14, v14, v16
.LBB160_216:
	s_or_b64 exec, exec, s[12:13]
                                        ; implicit-def: $vgpr17
                                        ; implicit-def: $vgpr16
.LBB160_217:
	s_andn2_saveexec_b64 s[14:15], s[14:15]
	s_cbranch_execz .LBB160_221
; %bb.218:
	v_cmp_eq_u32_e64 s[12:13], 0, v17
	s_and_saveexec_b64 s[22:23], s[12:13]
	s_cbranch_execz .LBB160_220
; %bb.219:
	v_mul_f32_e32 v17, v16, v16
	v_mov_b32_e32 v18, 0x39679767
	v_fmac_f32_e32 v18, 0x37d383a2, v17
	v_mov_b32_e32 v19, 0x3a9c54a1
	v_fmac_f32_e32 v19, v17, v18
	;; [unrolled: 2-line block ×10, first 2 shown]
	v_mul_f32_e32 v17, v17, v19
	v_fmac_f32_e32 v17, v16, v18
	v_fmac_f32_e32 v17, -0.5, v16
	v_add_f32_e32 v14, v14, v17
.LBB160_220:
	s_or_b64 exec, exec, s[22:23]
.LBB160_221:
	s_or_b64 exec, exec, s[14:15]
.LBB160_222:
	s_or_b64 exec, exec, s[20:21]
.LBB160_223:
	s_andn2_saveexec_b64 s[16:17], s[16:17]
	s_cbranch_execz .LBB160_225
; %bb.224:
	s_mov_b32 s12, 0x3e8a8991
	v_mov_b32_e32 v14, 0xbecd26ab
	v_fma_f32 v14, |v10|, s12, v14
	s_mov_b32 s12, 0x3f528d33
	v_fma_f32 v14, |v10|, v14, s12
	s_mov_b32 s12, 0x800000
	v_cmp_lt_f32_e64 s[12:13], |v10|, s12
	v_cndmask_b32_e64 v16, 0, 32, s[12:13]
	v_ldexp_f32 v16, |v10|, v16
	v_log_f32_e32 v16, v16
	s_mov_b32 s14, 0xbf13c468
	v_fma_f32 v14, |v10|, v14, s14
	s_mov_b32 s14, 0x3f317217
	v_mul_f32_e32 v17, 0x3f317217, v16
	v_fma_f32 v18, v16, s14, -v17
	v_fmac_f32_e32 v18, 0x3377d1cf, v16
	s_mov_b32 s14, 0x7f800000
	v_add_f32_e32 v17, v17, v18
	v_cmp_lt_f32_e64 s[14:15], |v16|, s14
	v_cndmask_b32_e64 v16, v16, v17, s[14:15]
	v_mov_b32_e32 v17, 0x41b17218
	v_cndmask_b32_e64 v17, 0, v17, s[12:13]
	v_sub_f32_e32 v16, v16, v17
	v_fma_f32 v14, |v10|, v14, -v16
.LBB160_225:
	s_or_b64 exec, exec, s[16:17]
	v_cmp_le_f32_e64 s[12:13], 0, v10
	v_cmp_nle_f32_e64 s[14:15], 0, v10
	s_and_saveexec_b64 s[16:17], s[14:15]
	s_xor_b64 s[20:21], exec, s[16:17]
	s_cbranch_execz .LBB160_229
; %bb.226:
	s_mov_b32 s14, 0x4b000000
	s_mov_b32 s16, 0x35000000
	v_cmp_lt_f32_e64 s[14:15], |v10|, s14
	v_cmp_gt_f32_e64 s[16:17], |v10|, s16
	s_and_b64 s[14:15], s[14:15], s[16:17]
	s_and_saveexec_b64 s[22:23], s[14:15]
	s_cbranch_execz .LBB160_228
; %bb.227:
	v_mul_f32_e64 v16, |v10|, 0.5
	v_floor_f32_e32 v17, v16
	v_sub_f32_e32 v17, v16, v17
	v_min_f32_e32 v17, 0x3f7fffff, v17
	s_mov_b32 s16, 0x7f800000
	v_add_f32_e32 v17, v17, v17
	v_cmp_neq_f32_e64 s[14:15], s16, v16
	v_cndmask_b32_e64 v16, 0, v17, s[14:15]
	v_cmp_gt_f32_e64 s[14:15], |v10|, 1.0
	v_cndmask_b32_e64 v16, |v10|, v16, s[14:15]
	v_add_f32_e32 v17, v16, v16
	v_rndne_f32_e32 v17, v17
	v_fmac_f32_e32 v16, -0.5, v17
	v_mul_f32_e32 v18, v16, v16
	v_mov_b32_e32 v19, 0xbf1f24be
	v_fmac_f32_e32 v19, 0x3e75aa41, v18
	v_mov_b32_e32 v20, 0x40234736
	v_fmac_f32_e32 v20, v18, v19
	;; [unrolled: 2-line block ×3, first 2 shown]
	v_mul_f32_e32 v20, v16, v18
	v_mul_f32_e32 v19, v20, v19
	v_fmac_f32_e32 v19, 0x40490fdb, v16
	v_mov_b32_e32 v16, 0x3e642e9d
	v_cvt_i32_f32_e32 v17, v17
	v_fmac_f32_e32 v16, 0x3d4be544, v18
	v_mov_b32_e32 v20, 0xbfaad1da
	v_fmac_f32_e32 v20, v18, v16
	v_mov_b32_e32 v16, 0x4081e0d3
	;; [unrolled: 2-line block ×3, first 2 shown]
	v_fmac_f32_e32 v20, v18, v16
	v_fma_f32 v16, v18, v20, 1.0
	v_and_b32_e32 v18, 1, v17
	v_cmp_eq_u32_e64 s[14:15], 0, v18
	v_cndmask_b32_e64 v16, v16, v19, s[14:15]
	v_lshlrev_b32_e32 v17, 30, v17
	s_brev_b32 s14, 1
	v_and_or_b32 v15, v17, s14, v15
	v_xor_b32_e32 v15, v15, v16
	v_xor_b32_e32 v15, v15, v10
	v_mul_f32_e32 v15, v10, v15
	v_frexp_mant_f32_e64 v16, |v15|
	v_rcp_f32_e32 v16, v16
	v_frexp_exp_i32_f32_e32 v15, v15
	v_sub_u32_e32 v15, 2, v15
	s_mov_b32 s14, 0x800000
	v_mul_f32_e32 v16, 0x3f490fdb, v16
	v_ldexp_f32 v15, v16, v15
	v_cmp_gt_f32_e64 s[14:15], s14, v15
	v_cndmask_b32_e64 v16, 0, 32, s[14:15]
	v_ldexp_f32 v15, v15, v16
	v_log_f32_e32 v15, v15
	s_mov_b32 s17, 0x3f317217
	v_mul_f32_e32 v16, 0x3f317217, v15
	v_fma_f32 v17, v15, s17, -v16
	v_fmac_f32_e32 v17, 0x3377d1cf, v15
	v_add_f32_e32 v16, v16, v17
	v_cmp_lt_f32_e64 s[16:17], |v15|, s16
	v_cndmask_b32_e64 v15, v15, v16, s[16:17]
	v_mov_b32_e32 v16, 0x41b17218
	v_cndmask_b32_e64 v16, 0, v16, s[14:15]
	v_sub_f32_e32 v15, v15, v16
	v_sub_f32_e32 v14, v15, v14
	v_floor_f32_e32 v15, v10
	v_sub_f32_e32 v15, v10, v15
	v_min_f32_e32 v15, 0x3f7fffff, v15
	v_mov_b32_e32 v16, 0x7f800000
	v_cmp_neq_f32_e64 s[14:15], 0, v15
	v_cndmask_b32_e64 v14, v16, v14, s[14:15]
.LBB160_228:
	s_or_b64 exec, exec, s[22:23]
.LBB160_229:
	s_andn2_saveexec_b64 s[20:21], s[20:21]
; %bb.230:
	v_cmp_eq_f32_e64 s[14:15], 1.0, v10
	v_cmp_eq_f32_e64 s[16:17], 2.0, v10
	s_or_b64 s[14:15], s[14:15], s[16:17]
	v_cndmask_b32_e64 v14, v14, 0, s[14:15]
; %bb.231:
	s_or_b64 exec, exec, s[20:21]
	s_waitcnt vmcnt(0)
	v_lshlrev_b32_e32 v15, 16, v5
	s_mov_b32 s14, 0x3c800000
	v_and_b32_e32 v17, 0x7fffffff, v15
	v_cmp_nlt_f32_e64 s[14:15], |v15|, s14
                                        ; implicit-def: $vgpr16
	s_and_saveexec_b64 s[16:17], s[14:15]
	s_xor_b64 s[20:21], exec, s[16:17]
	s_cbranch_execz .LBB160_261
; %bb.232:
	v_cmp_nlt_f32_e64 s[14:15], |v15|, 2.0
                                        ; implicit-def: $vgpr16
	s_and_saveexec_b64 s[16:17], s[14:15]
	s_xor_b64 s[22:23], exec, s[16:17]
	s_cbranch_execz .LBB160_242
; %bb.233:
	s_mov_b32 s14, 0x41000000
	v_cmp_nlt_f32_e64 s[14:15], |v15|, s14
                                        ; implicit-def: $vgpr16
	s_and_saveexec_b64 s[16:17], s[14:15]
	s_xor_b64 s[30:31], exec, s[16:17]
	s_cbranch_execz .LBB160_239
; %bb.234:
	s_mov_b32 s14, 0x5c800000
	v_cmp_nlt_f32_e64 s[14:15], |v15|, s14
                                        ; implicit-def: $vgpr16
	s_and_saveexec_b64 s[16:17], s[14:15]
	s_xor_b64 s[34:35], exec, s[16:17]
	s_cbranch_execz .LBB160_236
; %bb.235:
	s_mov_b32 s14, 0x800000
	v_cmp_lt_f32_e64 s[14:15], |v15|, s14
	v_cndmask_b32_e64 v16, 0, 32, s[14:15]
	v_ldexp_f32 v16, |v15|, v16
	v_log_f32_e32 v16, v16
	s_mov_b32 s16, 0x3f317217
	s_mov_b32 s17, 0x7f800000
	v_mul_f32_e32 v18, 0x3f317217, v16
	v_fma_f32 v19, v16, s16, -v18
	v_fmac_f32_e32 v19, 0x3377d1cf, v16
	v_add_f32_e32 v18, v18, v19
	v_cmp_lt_f32_e64 s[16:17], |v16|, s17
	v_cndmask_b32_e64 v16, v16, v18, s[16:17]
	v_mov_b32_e32 v18, 0x41b17218
	v_cndmask_b32_e64 v18, 0, v18, s[14:15]
	v_sub_f32_e32 v16, v16, v18
	v_fma_f32 v16, |v15|, v16, -|v15|
.LBB160_236:
	s_andn2_saveexec_b64 s[34:35], s[34:35]
	s_cbranch_execz .LBB160_238
; %bb.237:
	v_rcp_f32_e64 v18, |v15|
	v_mov_b32_e32 v16, 0x3a5b3dd2
	v_mov_b32_e32 v19, 0xba1c065c
	;; [unrolled: 1-line block ×3, first 2 shown]
	v_mul_f32_e32 v21, v18, v18
	v_fmac_f32_e32 v16, 0xbad5c4e8, v21
	v_fmac_f32_e32 v19, v21, v16
	s_mov_b32 s14, 0x800000
	v_fmac_f32_e32 v20, v21, v19
	v_mov_b32_e32 v16, 0xbb360b61
	v_cmp_lt_f32_e64 s[14:15], |v15|, s14
	v_fmac_f32_e32 v16, v21, v20
	v_cndmask_b32_e64 v20, 0, 32, s[14:15]
	v_ldexp_f32 v20, |v15|, v20
	v_log_f32_e32 v20, v20
	v_mov_b32_e32 v19, 0x3daaaaab
	v_fmac_f32_e32 v19, v21, v16
	v_mov_b32_e32 v16, 0x3ed67f1d
	v_fmac_f32_e32 v16, v18, v19
	s_mov_b32 s16, 0x3f317217
	v_mul_f32_e32 v19, 0x3f317217, v20
	v_fma_f32 v21, v20, s16, -v19
	v_fmac_f32_e32 v21, 0x3377d1cf, v20
	s_mov_b32 s16, 0x7f800000
	v_add_f32_e32 v19, v19, v21
	v_cmp_lt_f32_e64 s[16:17], |v20|, s16
	v_cndmask_b32_e64 v19, v20, v19, s[16:17]
	v_mov_b32_e32 v20, 0x41b17218
	v_cndmask_b32_e64 v20, 0, v20, s[14:15]
	v_sub_f32_e32 v19, v19, v20
	v_add_f32_e64 v18, |v15|, -0.5
	v_add_f32_e32 v19, -1.0, v19
	v_fmac_f32_e32 v16, v18, v19
.LBB160_238:
	s_or_b64 exec, exec, s[34:35]
.LBB160_239:
	s_andn2_saveexec_b64 s[30:31], s[30:31]
	s_cbranch_execz .LBB160_241
; %bb.240:
	v_cvt_i32_f32_e32 v16, v17
	v_mov_b32_e32 v18, 0x3af135b4
	v_mov_b32_e32 v19, 0x3cda40e4
	;; [unrolled: 1-line block ×3, first 2 shown]
	v_cvt_f32_i32_e32 v21, v16
	v_mov_b32_e32 v22, 0x3ea6cc7a
	v_mov_b32_e32 v23, 0x3e5c245a
	v_cmp_lt_i32_e64 s[14:15], 2, v16
	v_sub_f32_e64 v21, |v15|, v21
	v_fmac_f32_e32 v18, 0x3805ff67, v21
	v_fmac_f32_e32 v19, v21, v18
	;; [unrolled: 1-line block ×3, first 2 shown]
	v_mov_b32_e32 v19, 0x3a4beed6
	v_fmac_f32_e32 v22, v21, v20
	v_fmac_f32_e32 v19, 0x36f5d7bd, v21
	v_mov_b32_e32 v20, 0x3c98bf54
	v_fmac_f32_e32 v20, v21, v19
	v_mov_b32_e32 v19, 0x3e300f6e
	;; [unrolled: 2-line block ×4, first 2 shown]
	v_fmac_f32_e32 v19, v21, v20
	v_add_f32_e32 v20, 2.0, v21
	v_mov_b32_e32 v24, 0xbd9e233f
	v_fmac_f32_e32 v23, v21, v22
	v_add_f32_e32 v22, 0x40400000, v21
	v_cndmask_b32_e64 v20, 1.0, v20, s[14:15]
	v_cmp_lt_i32_e64 s[14:15], 3, v16
	v_fmac_f32_e32 v24, v21, v23
	v_add_f32_e32 v23, 4.0, v21
	v_cndmask_b32_e64 v22, 1.0, v22, s[14:15]
	v_cmp_lt_i32_e64 s[14:15], 4, v16
	v_mul_f32_e32 v18, v21, v24
	v_add_f32_e32 v24, 0x40a00000, v21
	v_mul_f32_e32 v20, v20, v22
	v_cndmask_b32_e64 v22, 1.0, v23, s[14:15]
	v_cmp_lt_i32_e64 s[14:15], 5, v16
	v_add_f32_e32 v25, 0x40c00000, v21
	v_mul_f32_e32 v20, v22, v20
	v_cndmask_b32_e64 v22, 1.0, v24, s[14:15]
	v_cmp_lt_i32_e64 s[14:15], 6, v16
	v_mul_f32_e32 v20, v22, v20
	v_cndmask_b32_e64 v16, 1.0, v25, s[14:15]
	v_mul_f32_e32 v16, v16, v20
	s_mov_b32 s14, 0x800000
	v_cmp_gt_f32_e64 s[14:15], s14, v16
	v_cndmask_b32_e64 v20, 0, 32, s[14:15]
	v_fma_f32 v19, v21, v19, 1.0
	v_ldexp_f32 v16, v16, v20
	v_rcp_f32_e32 v19, v19
	v_log_f32_e32 v16, v16
	s_mov_b32 s16, 0x3f317217
	v_mul_f32_e32 v18, v18, v19
	v_mul_f32_e32 v19, 0x3f317217, v16
	v_fma_f32 v20, v16, s16, -v19
	v_fmac_f32_e32 v20, 0x3377d1cf, v16
	s_mov_b32 s16, 0x7f800000
	v_add_f32_e32 v19, v19, v20
	v_cmp_lt_f32_e64 s[16:17], |v16|, s16
	v_cndmask_b32_e64 v16, v16, v19, s[16:17]
	v_mov_b32_e32 v19, 0x41b17218
	v_cndmask_b32_e64 v19, 0, v19, s[14:15]
	v_fmac_f32_e32 v18, 0.5, v21
	v_sub_f32_e32 v16, v16, v19
	v_add_f32_e32 v16, v16, v18
.LBB160_241:
	s_or_b64 exec, exec, s[30:31]
.LBB160_242:
	s_andn2_saveexec_b64 s[22:23], s[22:23]
	s_cbranch_execz .LBB160_260
; %bb.243:
	s_mov_b32 s14, 0x3f666666
	v_cmp_le_f32_e64 s[14:15], |v15|, s14
                                        ; implicit-def: $vgpr16
                                        ; implicit-def: $vgpr19
                                        ; implicit-def: $vgpr18
	s_and_saveexec_b64 s[16:17], s[14:15]
	s_xor_b64 s[30:31], exec, s[16:17]
	s_cbranch_execz .LBB160_245
; %bb.244:
	s_mov_b32 s14, 0x800000
	v_cmp_lt_f32_e64 s[14:15], |v15|, s14
	v_cndmask_b32_e64 v16, 0, 32, s[14:15]
	v_ldexp_f32 v16, |v15|, v16
	v_log_f32_e32 v16, v16
	s_mov_b32 s16, 0x3f317217
	s_mov_b32 s17, 0x7f800000
	v_mul_f32_e32 v18, 0x3f317217, v16
	v_fma_f32 v19, v16, s16, -v18
	v_fmac_f32_e32 v19, 0x3377d1cf, v16
	v_add_f32_e32 v18, v18, v19
	v_cmp_lt_f32_e64 s[16:17], |v16|, s17
	v_cndmask_b32_e64 v16, v16, v18, s[16:17]
	v_mov_b32_e32 v18, 0x41b17218
	v_cndmask_b32_e64 v18, 0, v18, s[14:15]
	s_mov_b32 s14, 0x3f3b4a23
	s_mov_b32 s15, 0xbeec5b0c
	v_sub_f32_e32 v16, v16, v18
	v_sub_f32_e64 v18, 1.0, |v15|
	v_add_f32_e64 v19, |v15|, s15
	v_cmp_lt_f32_e64 s[14:15], |v15|, s14
	v_cndmask_b32_e64 v18, v18, v19, s[14:15]
	v_cndmask_b32_e64 v19, 0, 1, s[14:15]
	s_mov_b32 s14, 0x3e6d3309
	v_cmp_lt_f32_e64 s[14:15], |v15|, s14
	v_xor_b32_e32 v16, 0x80000000, v16
	v_cndmask_b32_e64 v18, v18, |v15|, s[14:15]
	v_cndmask_b32_e64 v19, v19, 2, s[14:15]
.LBB160_245:
	s_andn2_saveexec_b64 s[16:17], s[30:31]
	s_cbranch_execz .LBB160_247
; %bb.246:
	s_mov_b32 s14, 0x3fdda512
	s_mov_b32 s15, 0xbfbb16c3
	v_sub_f32_e64 v16, 2.0, |v15|
	v_add_f32_e64 v18, |v15|, s15
	v_cmp_lt_f32_e64 s[14:15], |v15|, s14
	v_cndmask_b32_e64 v18, v16, v18, s[14:15]
	v_cndmask_b32_e64 v16, v16, 1.0, s[14:15]
	v_cvt_i32_f32_e32 v16, v16
	s_mov_b32 s14, 0x3f9d70a4
	v_add_f32_e64 v19, |v15|, -1.0
	v_cmp_lt_f32_e64 s[14:15], |v15|, s14
	v_cndmask_b32_e64 v18, v18, v19, s[14:15]
	v_cndmask_b32_e64 v19, v16, 2, s[14:15]
	v_mov_b32_e32 v16, 0
.LBB160_247:
	s_or_b64 exec, exec, s[16:17]
	v_cmp_lt_i32_e64 s[14:15], 0, v19
	s_and_saveexec_b64 s[16:17], s[14:15]
	s_xor_b64 s[16:17], exec, s[16:17]
	s_cbranch_execz .LBB160_255
; %bb.248:
	v_cmp_lt_i32_e64 s[14:15], 1, v19
	s_and_saveexec_b64 s[30:31], s[14:15]
	s_xor_b64 s[30:31], exec, s[30:31]
	s_cbranch_execz .LBB160_252
; %bb.249:
	v_cmp_eq_u32_e64 s[14:15], 2, v19
	s_and_saveexec_b64 s[34:35], s[14:15]
	s_cbranch_execz .LBB160_251
; %bb.250:
	v_mov_b32_e32 v19, 0x3e6a7578
	v_fmac_f32_e32 v19, 0x3c5b3c5e, v18
	v_mov_b32_e32 v20, 0x3f7a4bb2
	v_fmac_f32_e32 v20, v18, v19
	;; [unrolled: 2-line block ×8, first 2 shown]
	v_fma_f32 v19, v18, v21, 1.0
	v_rcp_f32_e32 v19, v19
	v_mov_b32_e32 v21, 0xbd9e233f
	v_fmac_f32_e32 v21, v18, v20
	v_mul_f32_e32 v20, v18, v21
	v_mul_f32_e32 v19, v20, v19
	v_fmac_f32_e32 v19, -0.5, v18
	v_add_f32_e32 v16, v16, v19
.LBB160_251:
	s_or_b64 exec, exec, s[34:35]
                                        ; implicit-def: $vgpr18
.LBB160_252:
	s_andn2_saveexec_b64 s[14:15], s[30:31]
	s_cbranch_execz .LBB160_254
; %bb.253:
	v_mul_f32_e32 v19, v18, v18
	v_mul_f32_e32 v20, v18, v19
	v_mov_b32_e32 v21, 0xbab7f476
	v_fmac_f32_e32 v21, 0x39a57b6b, v20
	v_mov_b32_e32 v22, 0x3bc7e707
	v_fmac_f32_e32 v22, v20, v21
	v_mov_b32_e32 v21, 0xbd064d47
	v_fmac_f32_e32 v21, v20, v22
	v_mov_b32_e32 v22, 0x3ef7b95e
	v_fmac_f32_e32 v22, v20, v21
	v_mov_b32_e32 v21, 0x3a66f867
	v_fmac_f32_e32 v21, 0xb9a3f927, v20
	v_mov_b32_e32 v23, 0xbb7177fe
	v_fmac_f32_e32 v23, v20, v21
	v_mov_b32_e32 v21, 0x3c93373d
	v_fmac_f32_e32 v21, v20, v23
	v_mov_b32_e32 v23, 0xbe17213c
	v_fmac_f32_e32 v23, v20, v21
	v_mov_b32_e32 v21, 0xba0d3085
	v_fmac_f32_e32 v21, 0x39afe9f7, v20
	v_mov_b32_e32 v24, 0x3b141699
	v_fmac_f32_e32 v24, v20, v21
	v_mov_b32_e32 v21, 0xbc28fcfe
	v_fmac_f32_e32 v21, v20, v24
	v_mov_b32_e32 v24, 0x3d845a15
	v_fmac_f32_e32 v24, v20, v21
	v_fmac_f32_e32 v23, v18, v24
	s_mov_b32 s30, 0xa2863e55
	v_fma_f32 v18, v20, -v23, s30
	v_fma_f32 v18, v19, v22, -v18
	v_add_f32_e32 v18, 0xbdf8cdce, v18
	v_add_f32_e32 v16, v16, v18
.LBB160_254:
	s_or_b64 exec, exec, s[14:15]
                                        ; implicit-def: $vgpr19
                                        ; implicit-def: $vgpr18
.LBB160_255:
	s_andn2_saveexec_b64 s[16:17], s[16:17]
	s_cbranch_execz .LBB160_259
; %bb.256:
	v_cmp_eq_u32_e64 s[14:15], 0, v19
	s_and_saveexec_b64 s[30:31], s[14:15]
	s_cbranch_execz .LBB160_258
; %bb.257:
	v_mul_f32_e32 v19, v18, v18
	v_mov_b32_e32 v20, 0x39679767
	v_fmac_f32_e32 v20, 0x37d383a2, v19
	v_mov_b32_e32 v21, 0x3a9c54a1
	v_fmac_f32_e32 v21, v19, v20
	v_mov_b32_e32 v20, 0x3bf2027e
	v_fmac_f32_e32 v20, v19, v21
	v_mov_b32_e32 v21, 0x3d89f001
	v_fmac_f32_e32 v21, v19, v20
	v_mov_b32_e32 v20, 0x3d9e233f
	v_fmac_f32_e32 v20, v19, v21
	v_mov_b32_e32 v21, 0x38e28445
	v_fmac_f32_e32 v21, 0x383c2c75, v19
	v_mov_b32_e32 v22, 0x3a05b634
	v_fmac_f32_e32 v22, v19, v21
	v_mov_b32_e32 v21, 0x3b3d6ec6
	v_fmac_f32_e32 v21, v19, v22
	v_mov_b32_e32 v22, 0x3ca89915
	v_fmac_f32_e32 v22, v19, v21
	v_mov_b32_e32 v21, 0x3ea51a66
	v_fmac_f32_e32 v21, v19, v22
	v_mul_f32_e32 v19, v19, v21
	v_fmac_f32_e32 v19, v18, v20
	v_fmac_f32_e32 v19, -0.5, v18
	v_add_f32_e32 v16, v16, v19
.LBB160_258:
	s_or_b64 exec, exec, s[30:31]
.LBB160_259:
	s_or_b64 exec, exec, s[16:17]
.LBB160_260:
	s_or_b64 exec, exec, s[22:23]
.LBB160_261:
	s_andn2_saveexec_b64 s[20:21], s[20:21]
	s_cbranch_execz .LBB160_263
; %bb.262:
	s_mov_b32 s14, 0x3e8a8991
	v_mov_b32_e32 v16, 0xbecd26ab
	v_fma_f32 v16, |v15|, s14, v16
	s_mov_b32 s14, 0x3f528d33
	v_fma_f32 v16, |v15|, v16, s14
	s_mov_b32 s14, 0x800000
	v_cmp_lt_f32_e64 s[14:15], |v15|, s14
	v_cndmask_b32_e64 v18, 0, 32, s[14:15]
	v_ldexp_f32 v18, |v15|, v18
	v_log_f32_e32 v18, v18
	s_mov_b32 s16, 0xbf13c468
	v_fma_f32 v16, |v15|, v16, s16
	s_mov_b32 s16, 0x3f317217
	v_mul_f32_e32 v19, 0x3f317217, v18
	v_fma_f32 v20, v18, s16, -v19
	v_fmac_f32_e32 v20, 0x3377d1cf, v18
	s_mov_b32 s16, 0x7f800000
	v_add_f32_e32 v19, v19, v20
	v_cmp_lt_f32_e64 s[16:17], |v18|, s16
	v_cndmask_b32_e64 v18, v18, v19, s[16:17]
	v_mov_b32_e32 v19, 0x41b17218
	v_cndmask_b32_e64 v19, 0, v19, s[14:15]
	v_sub_f32_e32 v18, v18, v19
	v_fma_f32 v16, |v15|, v16, -v18
.LBB160_263:
	s_or_b64 exec, exec, s[20:21]
	v_cmp_le_f32_e64 s[14:15], 0, v15
	v_cmp_nle_f32_e64 s[16:17], 0, v15
	s_and_saveexec_b64 s[20:21], s[16:17]
	s_xor_b64 s[22:23], exec, s[20:21]
	s_cbranch_execz .LBB160_267
; %bb.264:
	s_mov_b32 s16, 0x4b000000
	s_mov_b32 s20, 0x35000000
	v_cmp_lt_f32_e64 s[16:17], |v15|, s16
	v_cmp_gt_f32_e64 s[20:21], |v15|, s20
	s_and_b64 s[16:17], s[16:17], s[20:21]
	s_and_saveexec_b64 s[30:31], s[16:17]
	s_cbranch_execz .LBB160_266
; %bb.265:
	v_mul_f32_e64 v18, |v15|, 0.5
	v_floor_f32_e32 v19, v18
	v_sub_f32_e32 v19, v18, v19
	v_min_f32_e32 v19, 0x3f7fffff, v19
	s_mov_b32 s20, 0x7f800000
	v_add_f32_e32 v19, v19, v19
	v_cmp_neq_f32_e64 s[16:17], s20, v18
	v_cndmask_b32_e64 v18, 0, v19, s[16:17]
	v_cmp_gt_f32_e64 s[16:17], |v15|, 1.0
	v_cndmask_b32_e64 v18, |v15|, v18, s[16:17]
	v_add_f32_e32 v19, v18, v18
	v_rndne_f32_e32 v19, v19
	v_fmac_f32_e32 v18, -0.5, v19
	v_mul_f32_e32 v20, v18, v18
	v_mov_b32_e32 v21, 0xbf1f24be
	v_fmac_f32_e32 v21, 0x3e75aa41, v20
	v_mov_b32_e32 v22, 0x40234736
	v_fmac_f32_e32 v22, v20, v21
	;; [unrolled: 2-line block ×3, first 2 shown]
	v_mul_f32_e32 v22, v18, v20
	v_mul_f32_e32 v21, v22, v21
	v_fmac_f32_e32 v21, 0x40490fdb, v18
	v_mov_b32_e32 v18, 0x3e642e9d
	v_cvt_i32_f32_e32 v19, v19
	v_fmac_f32_e32 v18, 0x3d4be544, v20
	v_mov_b32_e32 v22, 0xbfaad1da
	v_fmac_f32_e32 v22, v20, v18
	v_mov_b32_e32 v18, 0x4081e0d3
	;; [unrolled: 2-line block ×3, first 2 shown]
	v_fmac_f32_e32 v22, v20, v18
	v_fma_f32 v18, v20, v22, 1.0
	v_and_b32_e32 v20, 1, v19
	v_cmp_eq_u32_e64 s[16:17], 0, v20
	v_cndmask_b32_e64 v18, v18, v21, s[16:17]
	v_lshlrev_b32_e32 v19, 30, v19
	s_brev_b32 s16, 1
	v_and_or_b32 v17, v19, s16, v17
	v_xor_b32_e32 v17, v17, v18
	v_xor_b32_e32 v17, v17, v15
	v_mul_f32_e32 v17, v15, v17
	v_frexp_mant_f32_e64 v18, |v17|
	v_rcp_f32_e32 v18, v18
	v_frexp_exp_i32_f32_e32 v17, v17
	v_sub_u32_e32 v17, 2, v17
	s_mov_b32 s16, 0x800000
	v_mul_f32_e32 v18, 0x3f490fdb, v18
	v_ldexp_f32 v17, v18, v17
	v_cmp_gt_f32_e64 s[16:17], s16, v17
	v_cndmask_b32_e64 v18, 0, 32, s[16:17]
	v_ldexp_f32 v17, v17, v18
	v_log_f32_e32 v17, v17
	s_mov_b32 s21, 0x3f317217
	v_mul_f32_e32 v18, 0x3f317217, v17
	v_fma_f32 v19, v17, s21, -v18
	v_fmac_f32_e32 v19, 0x3377d1cf, v17
	v_add_f32_e32 v18, v18, v19
	v_cmp_lt_f32_e64 s[20:21], |v17|, s20
	v_cndmask_b32_e64 v17, v17, v18, s[20:21]
	v_mov_b32_e32 v18, 0x41b17218
	v_cndmask_b32_e64 v18, 0, v18, s[16:17]
	v_sub_f32_e32 v17, v17, v18
	v_sub_f32_e32 v16, v17, v16
	v_floor_f32_e32 v17, v15
	v_sub_f32_e32 v17, v15, v17
	v_min_f32_e32 v17, 0x3f7fffff, v17
	v_mov_b32_e32 v18, 0x7f800000
	v_cmp_neq_f32_e64 s[16:17], 0, v17
	v_cndmask_b32_e64 v16, v18, v16, s[16:17]
.LBB160_266:
	s_or_b64 exec, exec, s[30:31]
.LBB160_267:
	s_andn2_saveexec_b64 s[22:23], s[22:23]
; %bb.268:
	v_cmp_eq_f32_e64 s[16:17], 1.0, v15
	v_cmp_eq_f32_e64 s[20:21], 2.0, v15
	s_or_b64 s[16:17], s[16:17], s[20:21]
	v_cndmask_b32_e64 v16, v16, 0, s[16:17]
; %bb.269:
	s_or_b64 exec, exec, s[22:23]
	v_and_b32_e32 v5, 0xffff0000, v5
	s_mov_b32 s16, 0x3c800000
	v_and_b32_e32 v17, 0x7fffffff, v5
	v_cmp_nlt_f32_e64 s[16:17], |v5|, s16
                                        ; implicit-def: $vgpr18
	s_and_saveexec_b64 s[20:21], s[16:17]
	s_xor_b64 s[22:23], exec, s[20:21]
	s_cbranch_execz .LBB160_299
; %bb.270:
	v_cmp_nlt_f32_e64 s[16:17], |v5|, 2.0
                                        ; implicit-def: $vgpr18
	s_and_saveexec_b64 s[20:21], s[16:17]
	s_xor_b64 s[30:31], exec, s[20:21]
	s_cbranch_execz .LBB160_280
; %bb.271:
	s_mov_b32 s16, 0x41000000
	v_cmp_nlt_f32_e64 s[16:17], |v5|, s16
                                        ; implicit-def: $vgpr18
	s_and_saveexec_b64 s[20:21], s[16:17]
	s_xor_b64 s[34:35], exec, s[20:21]
	s_cbranch_execz .LBB160_277
; %bb.272:
	s_mov_b32 s16, 0x5c800000
	v_cmp_nlt_f32_e64 s[16:17], |v5|, s16
                                        ; implicit-def: $vgpr18
	s_and_saveexec_b64 s[20:21], s[16:17]
	s_xor_b64 s[36:37], exec, s[20:21]
	s_cbranch_execz .LBB160_274
; %bb.273:
	s_mov_b32 s16, 0x800000
	v_cmp_lt_f32_e64 s[16:17], |v5|, s16
	v_cndmask_b32_e64 v18, 0, 32, s[16:17]
	v_ldexp_f32 v18, |v5|, v18
	v_log_f32_e32 v18, v18
	s_mov_b32 s20, 0x3f317217
	s_mov_b32 s21, 0x7f800000
	v_mul_f32_e32 v19, 0x3f317217, v18
	v_fma_f32 v20, v18, s20, -v19
	v_fmac_f32_e32 v20, 0x3377d1cf, v18
	v_add_f32_e32 v19, v19, v20
	v_cmp_lt_f32_e64 s[20:21], |v18|, s21
	v_cndmask_b32_e64 v18, v18, v19, s[20:21]
	v_mov_b32_e32 v19, 0x41b17218
	v_cndmask_b32_e64 v19, 0, v19, s[16:17]
	v_sub_f32_e32 v18, v18, v19
	v_fma_f32 v18, |v5|, v18, -|v5|
.LBB160_274:
	s_andn2_saveexec_b64 s[36:37], s[36:37]
	s_cbranch_execz .LBB160_276
; %bb.275:
	v_rcp_f32_e64 v19, |v5|
	v_mov_b32_e32 v18, 0x3a5b3dd2
	v_mov_b32_e32 v20, 0xba1c065c
	;; [unrolled: 1-line block ×3, first 2 shown]
	v_mul_f32_e32 v22, v19, v19
	v_fmac_f32_e32 v18, 0xbad5c4e8, v22
	v_fmac_f32_e32 v20, v22, v18
	s_mov_b32 s16, 0x800000
	v_fmac_f32_e32 v21, v22, v20
	v_mov_b32_e32 v18, 0xbb360b61
	v_cmp_lt_f32_e64 s[16:17], |v5|, s16
	v_fmac_f32_e32 v18, v22, v21
	v_cndmask_b32_e64 v21, 0, 32, s[16:17]
	v_ldexp_f32 v21, |v5|, v21
	v_log_f32_e32 v21, v21
	v_mov_b32_e32 v20, 0x3daaaaab
	v_fmac_f32_e32 v20, v22, v18
	v_mov_b32_e32 v18, 0x3ed67f1d
	v_fmac_f32_e32 v18, v19, v20
	s_mov_b32 s20, 0x3f317217
	v_mul_f32_e32 v20, 0x3f317217, v21
	v_fma_f32 v22, v21, s20, -v20
	v_fmac_f32_e32 v22, 0x3377d1cf, v21
	s_mov_b32 s20, 0x7f800000
	v_add_f32_e32 v20, v20, v22
	v_cmp_lt_f32_e64 s[20:21], |v21|, s20
	v_cndmask_b32_e64 v20, v21, v20, s[20:21]
	v_mov_b32_e32 v21, 0x41b17218
	v_cndmask_b32_e64 v21, 0, v21, s[16:17]
	v_sub_f32_e32 v20, v20, v21
	v_add_f32_e64 v19, |v5|, -0.5
	v_add_f32_e32 v20, -1.0, v20
	v_fmac_f32_e32 v18, v19, v20
.LBB160_276:
	s_or_b64 exec, exec, s[36:37]
.LBB160_277:
	s_andn2_saveexec_b64 s[34:35], s[34:35]
	s_cbranch_execz .LBB160_279
; %bb.278:
	v_cvt_i32_f32_e32 v18, v17
	v_mov_b32_e32 v19, 0x3af135b4
	v_mov_b32_e32 v20, 0x3cda40e4
	;; [unrolled: 1-line block ×3, first 2 shown]
	v_cvt_f32_i32_e32 v22, v18
	v_mov_b32_e32 v23, 0x3ea6cc7a
	v_mov_b32_e32 v24, 0x3e5c245a
	v_cmp_lt_i32_e64 s[16:17], 2, v18
	v_sub_f32_e64 v22, |v5|, v22
	v_fmac_f32_e32 v19, 0x3805ff67, v22
	v_fmac_f32_e32 v20, v22, v19
	;; [unrolled: 1-line block ×3, first 2 shown]
	v_mov_b32_e32 v20, 0x3a4beed6
	v_fmac_f32_e32 v23, v22, v21
	v_fmac_f32_e32 v20, 0x36f5d7bd, v22
	v_mov_b32_e32 v21, 0x3c98bf54
	v_fmac_f32_e32 v21, v22, v20
	v_mov_b32_e32 v20, 0x3e300f6e
	;; [unrolled: 2-line block ×4, first 2 shown]
	v_fmac_f32_e32 v20, v22, v21
	v_add_f32_e32 v21, 2.0, v22
	v_mov_b32_e32 v25, 0xbd9e233f
	v_fmac_f32_e32 v24, v22, v23
	v_add_f32_e32 v23, 0x40400000, v22
	v_cndmask_b32_e64 v21, 1.0, v21, s[16:17]
	v_cmp_lt_i32_e64 s[16:17], 3, v18
	v_fmac_f32_e32 v25, v22, v24
	v_add_f32_e32 v24, 4.0, v22
	v_cndmask_b32_e64 v23, 1.0, v23, s[16:17]
	v_cmp_lt_i32_e64 s[16:17], 4, v18
	v_mul_f32_e32 v19, v22, v25
	v_add_f32_e32 v25, 0x40a00000, v22
	v_mul_f32_e32 v21, v21, v23
	v_cndmask_b32_e64 v23, 1.0, v24, s[16:17]
	v_cmp_lt_i32_e64 s[16:17], 5, v18
	v_add_f32_e32 v26, 0x40c00000, v22
	v_mul_f32_e32 v21, v23, v21
	v_cndmask_b32_e64 v23, 1.0, v25, s[16:17]
	v_cmp_lt_i32_e64 s[16:17], 6, v18
	v_mul_f32_e32 v21, v23, v21
	v_cndmask_b32_e64 v18, 1.0, v26, s[16:17]
	v_mul_f32_e32 v18, v18, v21
	s_mov_b32 s16, 0x800000
	v_cmp_gt_f32_e64 s[16:17], s16, v18
	v_cndmask_b32_e64 v21, 0, 32, s[16:17]
	v_fma_f32 v20, v22, v20, 1.0
	v_ldexp_f32 v18, v18, v21
	v_rcp_f32_e32 v20, v20
	v_log_f32_e32 v18, v18
	s_mov_b32 s20, 0x3f317217
	v_mul_f32_e32 v19, v19, v20
	v_mul_f32_e32 v20, 0x3f317217, v18
	v_fma_f32 v21, v18, s20, -v20
	v_fmac_f32_e32 v21, 0x3377d1cf, v18
	s_mov_b32 s20, 0x7f800000
	v_add_f32_e32 v20, v20, v21
	v_cmp_lt_f32_e64 s[20:21], |v18|, s20
	v_cndmask_b32_e64 v18, v18, v20, s[20:21]
	v_mov_b32_e32 v20, 0x41b17218
	v_cndmask_b32_e64 v20, 0, v20, s[16:17]
	v_fmac_f32_e32 v19, 0.5, v22
	v_sub_f32_e32 v18, v18, v20
	v_add_f32_e32 v18, v18, v19
.LBB160_279:
	s_or_b64 exec, exec, s[34:35]
.LBB160_280:
	s_andn2_saveexec_b64 s[30:31], s[30:31]
	s_cbranch_execz .LBB160_298
; %bb.281:
	s_mov_b32 s16, 0x3f666666
	v_cmp_le_f32_e64 s[16:17], |v5|, s16
                                        ; implicit-def: $vgpr18
                                        ; implicit-def: $vgpr20
                                        ; implicit-def: $vgpr19
	s_and_saveexec_b64 s[20:21], s[16:17]
	s_xor_b64 s[34:35], exec, s[20:21]
	s_cbranch_execz .LBB160_283
; %bb.282:
	s_mov_b32 s16, 0x800000
	v_cmp_lt_f32_e64 s[16:17], |v5|, s16
	v_cndmask_b32_e64 v18, 0, 32, s[16:17]
	v_ldexp_f32 v18, |v5|, v18
	v_log_f32_e32 v18, v18
	s_mov_b32 s20, 0x3f317217
	s_mov_b32 s21, 0x7f800000
	v_mul_f32_e32 v19, 0x3f317217, v18
	v_fma_f32 v20, v18, s20, -v19
	v_fmac_f32_e32 v20, 0x3377d1cf, v18
	v_add_f32_e32 v19, v19, v20
	v_cmp_lt_f32_e64 s[20:21], |v18|, s21
	v_cndmask_b32_e64 v18, v18, v19, s[20:21]
	v_mov_b32_e32 v19, 0x41b17218
	v_cndmask_b32_e64 v19, 0, v19, s[16:17]
	s_mov_b32 s16, 0x3f3b4a23
	s_mov_b32 s17, 0xbeec5b0c
	v_sub_f32_e32 v18, v18, v19
	v_sub_f32_e64 v19, 1.0, |v5|
	v_add_f32_e64 v20, |v5|, s17
	v_cmp_lt_f32_e64 s[16:17], |v5|, s16
	v_cndmask_b32_e64 v19, v19, v20, s[16:17]
	v_cndmask_b32_e64 v20, 0, 1, s[16:17]
	s_mov_b32 s16, 0x3e6d3309
	v_cmp_lt_f32_e64 s[16:17], |v5|, s16
	v_xor_b32_e32 v18, 0x80000000, v18
	v_cndmask_b32_e64 v19, v19, |v5|, s[16:17]
	v_cndmask_b32_e64 v20, v20, 2, s[16:17]
.LBB160_283:
	s_andn2_saveexec_b64 s[20:21], s[34:35]
	s_cbranch_execz .LBB160_285
; %bb.284:
	s_mov_b32 s16, 0x3fdda512
	s_mov_b32 s17, 0xbfbb16c3
	v_sub_f32_e64 v18, 2.0, |v5|
	v_add_f32_e64 v19, |v5|, s17
	v_cmp_lt_f32_e64 s[16:17], |v5|, s16
	v_cndmask_b32_e64 v19, v18, v19, s[16:17]
	v_cndmask_b32_e64 v18, v18, 1.0, s[16:17]
	v_cvt_i32_f32_e32 v18, v18
	s_mov_b32 s16, 0x3f9d70a4
	v_add_f32_e64 v20, |v5|, -1.0
	v_cmp_lt_f32_e64 s[16:17], |v5|, s16
	v_cndmask_b32_e64 v19, v19, v20, s[16:17]
	v_cndmask_b32_e64 v20, v18, 2, s[16:17]
	v_mov_b32_e32 v18, 0
.LBB160_285:
	s_or_b64 exec, exec, s[20:21]
	v_cmp_lt_i32_e64 s[16:17], 0, v20
	s_and_saveexec_b64 s[20:21], s[16:17]
	s_xor_b64 s[20:21], exec, s[20:21]
	s_cbranch_execz .LBB160_293
; %bb.286:
	v_cmp_lt_i32_e64 s[16:17], 1, v20
	s_and_saveexec_b64 s[34:35], s[16:17]
	s_xor_b64 s[34:35], exec, s[34:35]
	s_cbranch_execz .LBB160_290
; %bb.287:
	v_cmp_eq_u32_e64 s[16:17], 2, v20
	s_and_saveexec_b64 s[36:37], s[16:17]
	s_cbranch_execz .LBB160_289
; %bb.288:
	v_mov_b32_e32 v20, 0x3e6a7578
	v_fmac_f32_e32 v20, 0x3c5b3c5e, v19
	v_mov_b32_e32 v21, 0x3f7a4bb2
	v_fmac_f32_e32 v21, v19, v20
	v_mov_b32_e32 v20, 0x3fba3ae7
	v_fmac_f32_e32 v20, v19, v21
	v_mov_b32_e32 v21, 0x3f2200f4
	v_fmac_f32_e32 v21, v19, v20
	v_mov_b32_e32 v20, 0x3dd572af
	v_fmac_f32_e32 v20, 0x3b52d5db, v19
	v_mov_b32_e32 v22, 0x3f44efdf
	v_fmac_f32_e32 v22, v19, v20
	v_mov_b32_e32 v20, 0x4008392d
	v_fmac_f32_e32 v20, v19, v22
	v_mov_b32_e32 v22, 0x401d2ebe
	v_fmac_f32_e32 v22, v19, v20
	v_fma_f32 v20, v19, v22, 1.0
	v_rcp_f32_e32 v20, v20
	v_mov_b32_e32 v22, 0xbd9e233f
	v_fmac_f32_e32 v22, v19, v21
	v_mul_f32_e32 v21, v19, v22
	v_mul_f32_e32 v20, v21, v20
	v_fmac_f32_e32 v20, -0.5, v19
	v_add_f32_e32 v18, v18, v20
.LBB160_289:
	s_or_b64 exec, exec, s[36:37]
                                        ; implicit-def: $vgpr19
.LBB160_290:
	s_andn2_saveexec_b64 s[16:17], s[34:35]
	s_cbranch_execz .LBB160_292
; %bb.291:
	v_mul_f32_e32 v20, v19, v19
	v_mul_f32_e32 v21, v19, v20
	v_mov_b32_e32 v22, 0xbab7f476
	v_fmac_f32_e32 v22, 0x39a57b6b, v21
	v_mov_b32_e32 v23, 0x3bc7e707
	v_fmac_f32_e32 v23, v21, v22
	;; [unrolled: 2-line block ×12, first 2 shown]
	v_fmac_f32_e32 v24, v19, v25
	s_mov_b32 s33, 0xa2863e55
	v_fma_f32 v19, v21, -v24, s33
	v_fma_f32 v19, v20, v23, -v19
	v_add_f32_e32 v19, 0xbdf8cdce, v19
	v_add_f32_e32 v18, v18, v19
.LBB160_292:
	s_or_b64 exec, exec, s[16:17]
                                        ; implicit-def: $vgpr20
                                        ; implicit-def: $vgpr19
.LBB160_293:
	s_andn2_saveexec_b64 s[20:21], s[20:21]
	s_cbranch_execz .LBB160_297
; %bb.294:
	v_cmp_eq_u32_e64 s[16:17], 0, v20
	s_and_saveexec_b64 s[34:35], s[16:17]
	s_cbranch_execz .LBB160_296
; %bb.295:
	v_mul_f32_e32 v20, v19, v19
	v_mov_b32_e32 v21, 0x39679767
	v_fmac_f32_e32 v21, 0x37d383a2, v20
	v_mov_b32_e32 v22, 0x3a9c54a1
	v_fmac_f32_e32 v22, v20, v21
	;; [unrolled: 2-line block ×10, first 2 shown]
	v_mul_f32_e32 v20, v20, v22
	v_fmac_f32_e32 v20, v19, v21
	v_fmac_f32_e32 v20, -0.5, v19
	v_add_f32_e32 v18, v18, v20
.LBB160_296:
	s_or_b64 exec, exec, s[34:35]
.LBB160_297:
	s_or_b64 exec, exec, s[20:21]
.LBB160_298:
	s_or_b64 exec, exec, s[30:31]
.LBB160_299:
	s_andn2_saveexec_b64 s[22:23], s[22:23]
	s_cbranch_execz .LBB160_301
; %bb.300:
	s_mov_b32 s16, 0x3e8a8991
	v_mov_b32_e32 v18, 0xbecd26ab
	v_fma_f32 v18, |v5|, s16, v18
	s_mov_b32 s16, 0x3f528d33
	v_fma_f32 v18, |v5|, v18, s16
	s_mov_b32 s16, 0x800000
	v_cmp_lt_f32_e64 s[16:17], |v5|, s16
	v_cndmask_b32_e64 v19, 0, 32, s[16:17]
	v_ldexp_f32 v19, |v5|, v19
	v_log_f32_e32 v19, v19
	s_mov_b32 s20, 0xbf13c468
	v_fma_f32 v18, |v5|, v18, s20
	s_mov_b32 s20, 0x3f317217
	v_mul_f32_e32 v20, 0x3f317217, v19
	v_fma_f32 v21, v19, s20, -v20
	v_fmac_f32_e32 v21, 0x3377d1cf, v19
	s_mov_b32 s20, 0x7f800000
	v_add_f32_e32 v20, v20, v21
	v_cmp_lt_f32_e64 s[20:21], |v19|, s20
	v_cndmask_b32_e64 v19, v19, v20, s[20:21]
	v_mov_b32_e32 v20, 0x41b17218
	v_cndmask_b32_e64 v20, 0, v20, s[16:17]
	v_sub_f32_e32 v19, v19, v20
	v_fma_f32 v18, |v5|, v18, -v19
.LBB160_301:
	s_or_b64 exec, exec, s[22:23]
	v_cmp_le_f32_e64 s[16:17], 0, v5
	v_cmp_nle_f32_e64 s[20:21], 0, v5
	s_and_saveexec_b64 s[22:23], s[20:21]
	s_xor_b64 s[30:31], exec, s[22:23]
	s_cbranch_execz .LBB160_305
; %bb.302:
	s_mov_b32 s20, 0x4b000000
	s_mov_b32 s22, 0x35000000
	v_cmp_lt_f32_e64 s[20:21], |v5|, s20
	v_cmp_gt_f32_e64 s[22:23], |v5|, s22
	s_and_b64 s[20:21], s[20:21], s[22:23]
	s_and_saveexec_b64 s[34:35], s[20:21]
	s_cbranch_execz .LBB160_304
; %bb.303:
	v_mul_f32_e64 v19, |v5|, 0.5
	v_floor_f32_e32 v20, v19
	v_sub_f32_e32 v20, v19, v20
	v_min_f32_e32 v20, 0x3f7fffff, v20
	s_mov_b32 s22, 0x7f800000
	v_add_f32_e32 v20, v20, v20
	v_cmp_neq_f32_e64 s[20:21], s22, v19
	v_cndmask_b32_e64 v19, 0, v20, s[20:21]
	v_cmp_gt_f32_e64 s[20:21], |v5|, 1.0
	v_cndmask_b32_e64 v19, |v5|, v19, s[20:21]
	v_add_f32_e32 v20, v19, v19
	v_rndne_f32_e32 v20, v20
	v_fmac_f32_e32 v19, -0.5, v20
	v_mul_f32_e32 v21, v19, v19
	v_mov_b32_e32 v22, 0xbf1f24be
	v_fmac_f32_e32 v22, 0x3e75aa41, v21
	v_mov_b32_e32 v23, 0x40234736
	v_fmac_f32_e32 v23, v21, v22
	;; [unrolled: 2-line block ×3, first 2 shown]
	v_mul_f32_e32 v23, v19, v21
	v_mul_f32_e32 v22, v23, v22
	v_fmac_f32_e32 v22, 0x40490fdb, v19
	v_mov_b32_e32 v19, 0x3e642e9d
	v_cvt_i32_f32_e32 v20, v20
	v_fmac_f32_e32 v19, 0x3d4be544, v21
	v_mov_b32_e32 v23, 0xbfaad1da
	v_fmac_f32_e32 v23, v21, v19
	v_mov_b32_e32 v19, 0x4081e0d3
	v_fmac_f32_e32 v19, v21, v23
	v_mov_b32_e32 v23, 0xc09de9e6
	v_fmac_f32_e32 v23, v21, v19
	v_fma_f32 v19, v21, v23, 1.0
	v_and_b32_e32 v21, 1, v20
	v_cmp_eq_u32_e64 s[20:21], 0, v21
	v_cndmask_b32_e64 v19, v19, v22, s[20:21]
	v_lshlrev_b32_e32 v20, 30, v20
	s_brev_b32 s20, 1
	v_and_or_b32 v17, v20, s20, v17
	v_xor_b32_e32 v17, v17, v19
	v_xor_b32_e32 v17, v17, v5
	v_mul_f32_e32 v17, v5, v17
	v_frexp_mant_f32_e64 v19, |v17|
	v_rcp_f32_e32 v19, v19
	v_frexp_exp_i32_f32_e32 v17, v17
	v_sub_u32_e32 v17, 2, v17
	s_mov_b32 s20, 0x800000
	v_mul_f32_e32 v19, 0x3f490fdb, v19
	v_ldexp_f32 v17, v19, v17
	v_cmp_gt_f32_e64 s[20:21], s20, v17
	v_cndmask_b32_e64 v19, 0, 32, s[20:21]
	v_ldexp_f32 v17, v17, v19
	v_log_f32_e32 v17, v17
	s_mov_b32 s23, 0x3f317217
	v_mul_f32_e32 v19, 0x3f317217, v17
	v_fma_f32 v20, v17, s23, -v19
	v_fmac_f32_e32 v20, 0x3377d1cf, v17
	v_add_f32_e32 v19, v19, v20
	v_cmp_lt_f32_e64 s[22:23], |v17|, s22
	v_cndmask_b32_e64 v17, v17, v19, s[22:23]
	v_mov_b32_e32 v19, 0x41b17218
	v_cndmask_b32_e64 v19, 0, v19, s[20:21]
	v_sub_f32_e32 v17, v17, v19
	v_sub_f32_e32 v17, v17, v18
	v_floor_f32_e32 v18, v5
	v_sub_f32_e32 v18, v5, v18
	v_min_f32_e32 v18, 0x3f7fffff, v18
	v_mov_b32_e32 v19, 0x7f800000
	v_cmp_neq_f32_e64 s[20:21], 0, v18
	v_cndmask_b32_e64 v18, v19, v17, s[20:21]
.LBB160_304:
	s_or_b64 exec, exec, s[34:35]
.LBB160_305:
	s_andn2_saveexec_b64 s[30:31], s[30:31]
; %bb.306:
	v_cmp_eq_f32_e64 s[20:21], 1.0, v5
	v_cmp_eq_f32_e64 s[22:23], 2.0, v5
	s_or_b64 s[20:21], s[20:21], s[22:23]
	v_cndmask_b32_e64 v18, v18, 0, s[20:21]
; %bb.307:
	s_or_b64 exec, exec, s[30:31]
	s_mov_b32 s22, 0x4b000000
	v_cmp_lt_f32_e64 s[20:21], |v15|, s22
	v_mov_b32_e32 v17, 0x264
	v_mov_b32_e32 v19, 0x7f800000
	s_or_b64 s[14:15], s[14:15], s[20:21]
	v_cndmask_b32_e64 v16, v19, v16, s[14:15]
	v_cmp_class_f32_e64 s[14:15], v15, v17
	v_cndmask_b32_e64 v16, v16, v19, s[14:15]
	v_cmp_u_f32_e64 s[14:15], v15, v15
	v_cndmask_b32_e64 v15, v16, v15, s[14:15]
	v_bfe_u32 v16, v15, 16, 1
	s_movk_i32 s20, 0x7fff
	v_add3_u32 v16, v15, v16, s20
	v_lshrrev_b32_e32 v16, 16, v16
	v_mov_b32_e32 v20, 0x7fc0
	v_cmp_o_f32_e64 s[14:15], v15, v15
	v_cndmask_b32_e64 v15, v20, v16, s[14:15]
	v_cmp_lt_f32_e64 s[14:15], |v12|, s22
	s_or_b64 s[10:11], s[10:11], s[14:15]
	v_cndmask_b32_e64 v13, v19, v13, s[10:11]
	v_cmp_class_f32_e64 s[10:11], v12, v17
	v_cndmask_b32_e64 v13, v13, v19, s[10:11]
	v_cmp_u_f32_e64 s[10:11], v12, v12
	v_cndmask_b32_e64 v12, v13, v12, s[10:11]
	v_bfe_u32 v13, v12, 16, 1
	v_add3_u32 v13, v12, v13, s20
	v_lshrrev_b32_e32 v13, 16, v13
	v_cmp_o_f32_e64 s[10:11], v12, v12
	v_cndmask_b32_e64 v12, v20, v13, s[10:11]
	v_cmp_lt_f32_e64 s[10:11], |v10|, s22
	s_or_b64 s[10:11], s[12:13], s[10:11]
	v_cndmask_b32_e64 v13, v19, v14, s[10:11]
	v_cmp_class_f32_e64 s[10:11], v10, v17
	v_cndmask_b32_e64 v13, v13, v19, s[10:11]
	v_cmp_u_f32_e64 s[10:11], v10, v10
	v_cndmask_b32_e64 v10, v13, v10, s[10:11]
	v_bfe_u32 v13, v10, 16, 1
	v_add3_u32 v13, v10, v13, s20
	v_and_b32_e32 v13, 0xffff0000, v13
	v_mov_b32_e32 v14, 0x7fc00000
	v_cmp_o_f32_e64 s[10:11], v10, v10
	v_cndmask_b32_e64 v10, v14, v13, s[10:11]
	v_cmp_lt_f32_e64 s[10:11], |v7|, s22
	s_or_b64 s[10:11], s[18:19], s[10:11]
	v_cndmask_b32_e64 v8, v19, v8, s[10:11]
	v_cmp_class_f32_e64 s[10:11], v7, v17
	v_cndmask_b32_e64 v8, v8, v19, s[10:11]
	v_cmp_u_f32_e64 s[10:11], v7, v7
	v_cndmask_b32_e64 v7, v8, v7, s[10:11]
	v_bfe_u32 v8, v7, 16, 1
	v_add3_u32 v8, v7, v8, s20
	v_lshrrev_b32_e32 v8, 16, v8
	v_cmp_o_f32_e64 s[10:11], v7, v7
	v_cndmask_b32_e64 v7, v20, v8, s[10:11]
	v_cmp_lt_f32_e64 s[10:11], |v9|, s22
	s_or_b64 s[8:9], s[8:9], s[10:11]
	v_cndmask_b32_e64 v8, v19, v11, s[8:9]
	v_cmp_class_f32_e64 s[8:9], v9, v17
	v_cndmask_b32_e64 v8, v8, v19, s[8:9]
	v_cmp_u_f32_e64 s[8:9], v9, v9
	v_cndmask_b32_e64 v8, v8, v9, s[8:9]
	v_bfe_u32 v9, v8, 16, 1
	v_add3_u32 v9, v8, v9, s20
	v_and_b32_e32 v9, 0xffff0000, v9
	v_cmp_o_f32_e64 s[8:9], v8, v8
	v_cndmask_b32_e64 v8, v14, v9, s[8:9]
	v_cmp_lt_f32_e64 s[8:9], |v2|, s22
	s_or_b64 vcc, vcc, s[8:9]
	v_cndmask_b32_e32 v3, v19, v3, vcc
	v_cmp_class_f32_e32 vcc, v2, v17
	v_cndmask_b32_e32 v3, v3, v19, vcc
	v_cmp_u_f32_e32 vcc, v2, v2
	v_cndmask_b32_e32 v2, v3, v2, vcc
	v_bfe_u32 v3, v2, 16, 1
	v_add3_u32 v3, v2, v3, s20
	v_lshrrev_b32_e32 v3, 16, v3
	v_cmp_o_f32_e32 vcc, v2, v2
	v_cmp_lt_f32_e64 s[8:9], |v4|, s22
	v_cndmask_b32_e32 v2, v20, v3, vcc
	s_or_b64 vcc, s[4:5], s[8:9]
	v_cndmask_b32_e32 v3, v19, v6, vcc
	v_cmp_class_f32_e32 vcc, v4, v17
	v_cndmask_b32_e32 v3, v3, v19, vcc
	v_cmp_u_f32_e32 vcc, v4, v4
	v_cndmask_b32_e32 v3, v3, v4, vcc
	v_bfe_u32 v4, v3, 16, 1
	v_add3_u32 v4, v3, v4, s20
	v_and_b32_e32 v4, 0xffff0000, v4
	v_cmp_o_f32_e32 vcc, v3, v3
	v_cmp_lt_f32_e64 s[4:5], |v5|, s22
	v_cndmask_b32_e32 v3, v14, v4, vcc
	s_or_b64 vcc, s[16:17], s[4:5]
	v_or_b32_e32 v2, v3, v2
	v_cndmask_b32_e32 v3, v19, v18, vcc
	v_cmp_class_f32_e32 vcc, v5, v17
	v_cndmask_b32_e32 v3, v3, v19, vcc
	v_cmp_u_f32_e32 vcc, v5, v5
	v_cndmask_b32_e32 v3, v3, v5, vcc
	v_bfe_u32 v4, v3, 16, 1
	v_add3_u32 v4, v3, v4, s20
	v_and_b32_e32 v4, 0xffff0000, v4
	v_cmp_o_f32_e32 vcc, v3, v3
	s_add_u32 s4, s24, s28
	v_cndmask_b32_e32 v3, v14, v4, vcc
	s_addc_u32 s5, s25, s29
	v_or_b32_e32 v10, v10, v12
	v_or_b32_e32 v7, v8, v7
	;; [unrolled: 1-line block ×3, first 2 shown]
	global_store_dword v1, v2, s[4:5]
	global_store_dword v1, v7, s[4:5] offset:1024
	global_store_dword v1, v10, s[4:5] offset:2048
	;; [unrolled: 1-line block ×3, first 2 shown]
	s_branch .LBB160_2
.LBB160_308:
	s_getpc_b64 s[4:5]
	s_add_u32 s4, s4, _ZN2at6native25elementwise_kernel_helperILb0EZZZNS0_18lgamma_kernel_cudaERNS_18TensorIteratorBaseEENKUlvE_clEvENKUlvE2_clEvEUlN3c108BFloat16EE_NS0_6memory8policies11unroll_baseILi256ESt5arrayIPcLm2EE23TrivialOffsetCalculatorILi1EjESG_NS9_15LoadWithoutCastENS9_16StoreWithoutCastELi8ELi1EEEEEvT0_T1_@rel32@lo+4
	s_addc_u32 s5, s5, _ZN2at6native25elementwise_kernel_helperILb0EZZZNS0_18lgamma_kernel_cudaERNS_18TensorIteratorBaseEENKUlvE_clEvENKUlvE2_clEvEUlN3c108BFloat16EE_NS0_6memory8policies11unroll_baseILi256ESt5arrayIPcLm2EE23TrivialOffsetCalculatorILi1EjESG_NS9_15LoadWithoutCastENS9_16StoreWithoutCastELi8ELi1EEEEEvT0_T1_@rel32@hi+12
	s_mov_b32 s12, s6
	v_mov_b32_e32 v31, v0
	v_mov_b32_e32 v0, s24
	;; [unrolled: 1-line block ×6, first 2 shown]
	s_swappc_b64 s[30:31], s[4:5]
	s_endpgm
	.section	.rodata,"a",@progbits
	.p2align	6, 0x0
	.amdhsa_kernel _ZN2at6native29vectorized_elementwise_kernelILi2EZZZNS0_18lgamma_kernel_cudaERNS_18TensorIteratorBaseEENKUlvE_clEvENKUlvE2_clEvEUlN3c108BFloat16EE_St5arrayIPcLm2EEEEviT0_T1_
		.amdhsa_group_segment_fixed_size 0
		.amdhsa_private_segment_fixed_size 0
		.amdhsa_kernarg_size 24
		.amdhsa_user_sgpr_count 6
		.amdhsa_user_sgpr_private_segment_buffer 1
		.amdhsa_user_sgpr_dispatch_ptr 0
		.amdhsa_user_sgpr_queue_ptr 0
		.amdhsa_user_sgpr_kernarg_segment_ptr 1
		.amdhsa_user_sgpr_dispatch_id 0
		.amdhsa_user_sgpr_flat_scratch_init 0
		.amdhsa_user_sgpr_private_segment_size 0
		.amdhsa_uses_dynamic_stack 0
		.amdhsa_system_sgpr_private_segment_wavefront_offset 0
		.amdhsa_system_sgpr_workgroup_id_x 1
		.amdhsa_system_sgpr_workgroup_id_y 0
		.amdhsa_system_sgpr_workgroup_id_z 0
		.amdhsa_system_sgpr_workgroup_info 0
		.amdhsa_system_vgpr_workitem_id 0
		.amdhsa_next_free_vgpr 32
		.amdhsa_next_free_sgpr 38
		.amdhsa_reserve_vcc 1
		.amdhsa_reserve_flat_scratch 0
		.amdhsa_float_round_mode_32 0
		.amdhsa_float_round_mode_16_64 0
		.amdhsa_float_denorm_mode_32 3
		.amdhsa_float_denorm_mode_16_64 3
		.amdhsa_dx10_clamp 1
		.amdhsa_ieee_mode 1
		.amdhsa_fp16_overflow 0
		.amdhsa_exception_fp_ieee_invalid_op 0
		.amdhsa_exception_fp_denorm_src 0
		.amdhsa_exception_fp_ieee_div_zero 0
		.amdhsa_exception_fp_ieee_overflow 0
		.amdhsa_exception_fp_ieee_underflow 0
		.amdhsa_exception_fp_ieee_inexact 0
		.amdhsa_exception_int_div_zero 0
	.end_amdhsa_kernel
	.section	.text._ZN2at6native29vectorized_elementwise_kernelILi2EZZZNS0_18lgamma_kernel_cudaERNS_18TensorIteratorBaseEENKUlvE_clEvENKUlvE2_clEvEUlN3c108BFloat16EE_St5arrayIPcLm2EEEEviT0_T1_,"axG",@progbits,_ZN2at6native29vectorized_elementwise_kernelILi2EZZZNS0_18lgamma_kernel_cudaERNS_18TensorIteratorBaseEENKUlvE_clEvENKUlvE2_clEvEUlN3c108BFloat16EE_St5arrayIPcLm2EEEEviT0_T1_,comdat
.Lfunc_end160:
	.size	_ZN2at6native29vectorized_elementwise_kernelILi2EZZZNS0_18lgamma_kernel_cudaERNS_18TensorIteratorBaseEENKUlvE_clEvENKUlvE2_clEvEUlN3c108BFloat16EE_St5arrayIPcLm2EEEEviT0_T1_, .Lfunc_end160-_ZN2at6native29vectorized_elementwise_kernelILi2EZZZNS0_18lgamma_kernel_cudaERNS_18TensorIteratorBaseEENKUlvE_clEvENKUlvE2_clEvEUlN3c108BFloat16EE_St5arrayIPcLm2EEEEviT0_T1_
                                        ; -- End function
	.set _ZN2at6native29vectorized_elementwise_kernelILi2EZZZNS0_18lgamma_kernel_cudaERNS_18TensorIteratorBaseEENKUlvE_clEvENKUlvE2_clEvEUlN3c108BFloat16EE_St5arrayIPcLm2EEEEviT0_T1_.num_vgpr, max(32, .L_ZN2at6native25elementwise_kernel_helperILb0EZZZNS0_18lgamma_kernel_cudaERNS_18TensorIteratorBaseEENKUlvE_clEvENKUlvE2_clEvEUlN3c108BFloat16EE_NS0_6memory8policies11unroll_baseILi256ESt5arrayIPcLm2EE23TrivialOffsetCalculatorILi1EjESG_NS9_15LoadWithoutCastENS9_16StoreWithoutCastELi8ELi1EEEEEvT0_T1_.num_vgpr)
	.set _ZN2at6native29vectorized_elementwise_kernelILi2EZZZNS0_18lgamma_kernel_cudaERNS_18TensorIteratorBaseEENKUlvE_clEvENKUlvE2_clEvEUlN3c108BFloat16EE_St5arrayIPcLm2EEEEviT0_T1_.num_agpr, max(0, .L_ZN2at6native25elementwise_kernel_helperILb0EZZZNS0_18lgamma_kernel_cudaERNS_18TensorIteratorBaseEENKUlvE_clEvENKUlvE2_clEvEUlN3c108BFloat16EE_NS0_6memory8policies11unroll_baseILi256ESt5arrayIPcLm2EE23TrivialOffsetCalculatorILi1EjESG_NS9_15LoadWithoutCastENS9_16StoreWithoutCastELi8ELi1EEEEEvT0_T1_.num_agpr)
	.set _ZN2at6native29vectorized_elementwise_kernelILi2EZZZNS0_18lgamma_kernel_cudaERNS_18TensorIteratorBaseEENKUlvE_clEvENKUlvE2_clEvEUlN3c108BFloat16EE_St5arrayIPcLm2EEEEviT0_T1_.numbered_sgpr, max(38, .L_ZN2at6native25elementwise_kernel_helperILb0EZZZNS0_18lgamma_kernel_cudaERNS_18TensorIteratorBaseEENKUlvE_clEvENKUlvE2_clEvEUlN3c108BFloat16EE_NS0_6memory8policies11unroll_baseILi256ESt5arrayIPcLm2EE23TrivialOffsetCalculatorILi1EjESG_NS9_15LoadWithoutCastENS9_16StoreWithoutCastELi8ELi1EEEEEvT0_T1_.numbered_sgpr)
	.set _ZN2at6native29vectorized_elementwise_kernelILi2EZZZNS0_18lgamma_kernel_cudaERNS_18TensorIteratorBaseEENKUlvE_clEvENKUlvE2_clEvEUlN3c108BFloat16EE_St5arrayIPcLm2EEEEviT0_T1_.num_named_barrier, max(0, .L_ZN2at6native25elementwise_kernel_helperILb0EZZZNS0_18lgamma_kernel_cudaERNS_18TensorIteratorBaseEENKUlvE_clEvENKUlvE2_clEvEUlN3c108BFloat16EE_NS0_6memory8policies11unroll_baseILi256ESt5arrayIPcLm2EE23TrivialOffsetCalculatorILi1EjESG_NS9_15LoadWithoutCastENS9_16StoreWithoutCastELi8ELi1EEEEEvT0_T1_.num_named_barrier)
	.set _ZN2at6native29vectorized_elementwise_kernelILi2EZZZNS0_18lgamma_kernel_cudaERNS_18TensorIteratorBaseEENKUlvE_clEvENKUlvE2_clEvEUlN3c108BFloat16EE_St5arrayIPcLm2EEEEviT0_T1_.private_seg_size, 0+max(.L_ZN2at6native25elementwise_kernel_helperILb0EZZZNS0_18lgamma_kernel_cudaERNS_18TensorIteratorBaseEENKUlvE_clEvENKUlvE2_clEvEUlN3c108BFloat16EE_NS0_6memory8policies11unroll_baseILi256ESt5arrayIPcLm2EE23TrivialOffsetCalculatorILi1EjESG_NS9_15LoadWithoutCastENS9_16StoreWithoutCastELi8ELi1EEEEEvT0_T1_.private_seg_size)
	.set _ZN2at6native29vectorized_elementwise_kernelILi2EZZZNS0_18lgamma_kernel_cudaERNS_18TensorIteratorBaseEENKUlvE_clEvENKUlvE2_clEvEUlN3c108BFloat16EE_St5arrayIPcLm2EEEEviT0_T1_.uses_vcc, or(1, .L_ZN2at6native25elementwise_kernel_helperILb0EZZZNS0_18lgamma_kernel_cudaERNS_18TensorIteratorBaseEENKUlvE_clEvENKUlvE2_clEvEUlN3c108BFloat16EE_NS0_6memory8policies11unroll_baseILi256ESt5arrayIPcLm2EE23TrivialOffsetCalculatorILi1EjESG_NS9_15LoadWithoutCastENS9_16StoreWithoutCastELi8ELi1EEEEEvT0_T1_.uses_vcc)
	.set _ZN2at6native29vectorized_elementwise_kernelILi2EZZZNS0_18lgamma_kernel_cudaERNS_18TensorIteratorBaseEENKUlvE_clEvENKUlvE2_clEvEUlN3c108BFloat16EE_St5arrayIPcLm2EEEEviT0_T1_.uses_flat_scratch, or(0, .L_ZN2at6native25elementwise_kernel_helperILb0EZZZNS0_18lgamma_kernel_cudaERNS_18TensorIteratorBaseEENKUlvE_clEvENKUlvE2_clEvEUlN3c108BFloat16EE_NS0_6memory8policies11unroll_baseILi256ESt5arrayIPcLm2EE23TrivialOffsetCalculatorILi1EjESG_NS9_15LoadWithoutCastENS9_16StoreWithoutCastELi8ELi1EEEEEvT0_T1_.uses_flat_scratch)
	.set _ZN2at6native29vectorized_elementwise_kernelILi2EZZZNS0_18lgamma_kernel_cudaERNS_18TensorIteratorBaseEENKUlvE_clEvENKUlvE2_clEvEUlN3c108BFloat16EE_St5arrayIPcLm2EEEEviT0_T1_.has_dyn_sized_stack, or(0, .L_ZN2at6native25elementwise_kernel_helperILb0EZZZNS0_18lgamma_kernel_cudaERNS_18TensorIteratorBaseEENKUlvE_clEvENKUlvE2_clEvEUlN3c108BFloat16EE_NS0_6memory8policies11unroll_baseILi256ESt5arrayIPcLm2EE23TrivialOffsetCalculatorILi1EjESG_NS9_15LoadWithoutCastENS9_16StoreWithoutCastELi8ELi1EEEEEvT0_T1_.has_dyn_sized_stack)
	.set _ZN2at6native29vectorized_elementwise_kernelILi2EZZZNS0_18lgamma_kernel_cudaERNS_18TensorIteratorBaseEENKUlvE_clEvENKUlvE2_clEvEUlN3c108BFloat16EE_St5arrayIPcLm2EEEEviT0_T1_.has_recursion, or(0, .L_ZN2at6native25elementwise_kernel_helperILb0EZZZNS0_18lgamma_kernel_cudaERNS_18TensorIteratorBaseEENKUlvE_clEvENKUlvE2_clEvEUlN3c108BFloat16EE_NS0_6memory8policies11unroll_baseILi256ESt5arrayIPcLm2EE23TrivialOffsetCalculatorILi1EjESG_NS9_15LoadWithoutCastENS9_16StoreWithoutCastELi8ELi1EEEEEvT0_T1_.has_recursion)
	.set _ZN2at6native29vectorized_elementwise_kernelILi2EZZZNS0_18lgamma_kernel_cudaERNS_18TensorIteratorBaseEENKUlvE_clEvENKUlvE2_clEvEUlN3c108BFloat16EE_St5arrayIPcLm2EEEEviT0_T1_.has_indirect_call, or(0, .L_ZN2at6native25elementwise_kernel_helperILb0EZZZNS0_18lgamma_kernel_cudaERNS_18TensorIteratorBaseEENKUlvE_clEvENKUlvE2_clEvEUlN3c108BFloat16EE_NS0_6memory8policies11unroll_baseILi256ESt5arrayIPcLm2EE23TrivialOffsetCalculatorILi1EjESG_NS9_15LoadWithoutCastENS9_16StoreWithoutCastELi8ELi1EEEEEvT0_T1_.has_indirect_call)
	.section	.AMDGPU.csdata,"",@progbits
; Kernel info:
; codeLenInByte = 21840
; TotalNumSgprs: 42
; NumVgprs: 32
; ScratchSize: 0
; MemoryBound: 0
; FloatMode: 240
; IeeeMode: 1
; LDSByteSize: 0 bytes/workgroup (compile time only)
; SGPRBlocks: 5
; VGPRBlocks: 7
; NumSGPRsForWavesPerEU: 42
; NumVGPRsForWavesPerEU: 32
; Occupancy: 8
; WaveLimiterHint : 1
; COMPUTE_PGM_RSRC2:SCRATCH_EN: 0
; COMPUTE_PGM_RSRC2:USER_SGPR: 6
; COMPUTE_PGM_RSRC2:TRAP_HANDLER: 0
; COMPUTE_PGM_RSRC2:TGID_X_EN: 1
; COMPUTE_PGM_RSRC2:TGID_Y_EN: 0
; COMPUTE_PGM_RSRC2:TGID_Z_EN: 0
; COMPUTE_PGM_RSRC2:TIDIG_COMP_CNT: 0
	.section	.text._ZN2at6native27unrolled_elementwise_kernelIZZZNS0_18lgamma_kernel_cudaERNS_18TensorIteratorBaseEENKUlvE_clEvENKUlvE2_clEvEUlN3c108BFloat16EE_St5arrayIPcLm2EELi4E23TrivialOffsetCalculatorILi1EjESD_NS0_6memory15LoadWithoutCastENSE_16StoreWithoutCastEEEviT_T0_T2_T3_T4_T5_,"axG",@progbits,_ZN2at6native27unrolled_elementwise_kernelIZZZNS0_18lgamma_kernel_cudaERNS_18TensorIteratorBaseEENKUlvE_clEvENKUlvE2_clEvEUlN3c108BFloat16EE_St5arrayIPcLm2EELi4E23TrivialOffsetCalculatorILi1EjESD_NS0_6memory15LoadWithoutCastENSE_16StoreWithoutCastEEEviT_T0_T2_T3_T4_T5_,comdat
	.globl	_ZN2at6native27unrolled_elementwise_kernelIZZZNS0_18lgamma_kernel_cudaERNS_18TensorIteratorBaseEENKUlvE_clEvENKUlvE2_clEvEUlN3c108BFloat16EE_St5arrayIPcLm2EELi4E23TrivialOffsetCalculatorILi1EjESD_NS0_6memory15LoadWithoutCastENSE_16StoreWithoutCastEEEviT_T0_T2_T3_T4_T5_ ; -- Begin function _ZN2at6native27unrolled_elementwise_kernelIZZZNS0_18lgamma_kernel_cudaERNS_18TensorIteratorBaseEENKUlvE_clEvENKUlvE2_clEvEUlN3c108BFloat16EE_St5arrayIPcLm2EELi4E23TrivialOffsetCalculatorILi1EjESD_NS0_6memory15LoadWithoutCastENSE_16StoreWithoutCastEEEviT_T0_T2_T3_T4_T5_
	.p2align	8
	.type	_ZN2at6native27unrolled_elementwise_kernelIZZZNS0_18lgamma_kernel_cudaERNS_18TensorIteratorBaseEENKUlvE_clEvENKUlvE2_clEvEUlN3c108BFloat16EE_St5arrayIPcLm2EELi4E23TrivialOffsetCalculatorILi1EjESD_NS0_6memory15LoadWithoutCastENSE_16StoreWithoutCastEEEviT_T0_T2_T3_T4_T5_,@function
_ZN2at6native27unrolled_elementwise_kernelIZZZNS0_18lgamma_kernel_cudaERNS_18TensorIteratorBaseEENKUlvE_clEvENKUlvE2_clEvEUlN3c108BFloat16EE_St5arrayIPcLm2EELi4E23TrivialOffsetCalculatorILi1EjESD_NS0_6memory15LoadWithoutCastENSE_16StoreWithoutCastEEEviT_T0_T2_T3_T4_T5_: ; @_ZN2at6native27unrolled_elementwise_kernelIZZZNS0_18lgamma_kernel_cudaERNS_18TensorIteratorBaseEENKUlvE_clEvENKUlvE2_clEvEUlN3c108BFloat16EE_St5arrayIPcLm2EELi4E23TrivialOffsetCalculatorILi1EjESD_NS0_6memory15LoadWithoutCastENSE_16StoreWithoutCastEEEviT_T0_T2_T3_T4_T5_
; %bb.0:
	s_load_dword s0, s[4:5], 0x0
	s_load_dwordx4 s[8:11], s[4:5], 0x8
	s_lshl_b32 s16, s6, 10
	v_mov_b32_e32 v6, 0
	v_or_b32_e32 v1, s16, v0
	s_waitcnt lgkmcnt(0)
	s_sub_i32 s17, s0, s16
	v_cmp_gt_i32_e64 s[0:1], s17, v0
	v_mov_b32_e32 v5, 0
	v_mov_b32_e32 v3, v0
	s_and_saveexec_b64 s[2:3], s[0:1]
	s_cbranch_execz .LBB161_2
; %bb.1:
	v_mov_b32_e32 v2, 0
	v_lshlrev_b64 v[2:3], 1, v[1:2]
	v_mov_b32_e32 v4, s11
	v_add_co_u32_e32 v2, vcc, s10, v2
	v_addc_co_u32_e32 v3, vcc, v4, v3, vcc
	global_load_ushort v2, v[2:3], off
	v_or_b32_e32 v3, 0x100, v0
	s_waitcnt vmcnt(0)
	v_lshlrev_b32_e32 v5, 16, v2
.LBB161_2:
	s_or_b64 exec, exec, s[2:3]
	v_cmp_gt_i32_e32 vcc, s17, v3
	s_and_saveexec_b64 s[2:3], vcc
	s_cbranch_execz .LBB161_4
; %bb.3:
	v_add_u32_e32 v6, s16, v3
	v_mov_b32_e32 v7, 0
	v_lshlrev_b64 v[6:7], 1, v[6:7]
	v_mov_b32_e32 v2, s11
	v_add_co_u32_e32 v6, vcc, s10, v6
	v_addc_co_u32_e32 v7, vcc, v2, v7, vcc
	global_load_ushort v2, v[6:7], off
	v_add_u32_e32 v3, 0x100, v3
	s_waitcnt vmcnt(0)
	v_lshlrev_b32_e32 v6, 16, v2
.LBB161_4:
	s_or_b64 exec, exec, s[2:3]
	v_cmp_gt_i32_e32 vcc, s17, v3
	v_mov_b32_e32 v2, 0
	v_mov_b32_e32 v4, 0
	s_and_saveexec_b64 s[2:3], vcc
	s_cbranch_execnz .LBB161_7
; %bb.5:
	s_or_b64 exec, exec, s[2:3]
	v_cmp_gt_i32_e32 vcc, s17, v3
	s_and_saveexec_b64 s[2:3], vcc
	s_cbranch_execnz .LBB161_8
.LBB161_6:
	s_or_b64 exec, exec, s[2:3]
                                        ; implicit-def: $vgpr3
	s_and_saveexec_b64 s[6:7], s[0:1]
	s_cbranch_execnz .LBB161_9
	s_branch .LBB161_48
.LBB161_7:
	v_add_u32_e32 v7, s16, v3
	v_mov_b32_e32 v8, 0
	v_lshlrev_b64 v[7:8], 1, v[7:8]
	v_mov_b32_e32 v4, s11
	v_add_co_u32_e32 v7, vcc, s10, v7
	v_addc_co_u32_e32 v8, vcc, v4, v8, vcc
	global_load_ushort v4, v[7:8], off
	v_add_u32_e32 v3, 0x100, v3
	s_waitcnt vmcnt(0)
	v_lshlrev_b32_e32 v4, 16, v4
	s_or_b64 exec, exec, s[2:3]
	v_cmp_gt_i32_e32 vcc, s17, v3
	s_and_saveexec_b64 s[2:3], vcc
	s_cbranch_execz .LBB161_6
.LBB161_8:
	v_add_u32_e32 v2, s16, v3
	v_mov_b32_e32 v3, 0
	v_lshlrev_b64 v[2:3], 1, v[2:3]
	v_mov_b32_e32 v7, s11
	v_add_co_u32_e32 v2, vcc, s10, v2
	v_addc_co_u32_e32 v3, vcc, v7, v3, vcc
	global_load_ushort v2, v[2:3], off
	s_waitcnt vmcnt(0)
	v_lshlrev_b32_e32 v2, 16, v2
	s_or_b64 exec, exec, s[2:3]
                                        ; implicit-def: $vgpr3
	s_and_saveexec_b64 s[6:7], s[0:1]
	s_cbranch_execz .LBB161_48
.LBB161_9:
	s_mov_b32 s2, 0x3c800000
	v_and_b32_e32 v3, 0x7fffffff, v5
	v_cmp_nlt_f32_e64 s[2:3], |v5|, s2
                                        ; implicit-def: $vgpr7
	s_and_saveexec_b64 s[4:5], s[2:3]
	s_xor_b64 s[4:5], exec, s[4:5]
	s_cbranch_execz .LBB161_39
; %bb.10:
	v_cmp_nlt_f32_e64 s[2:3], |v5|, 2.0
                                        ; implicit-def: $vgpr7
	s_and_saveexec_b64 s[10:11], s[2:3]
	s_xor_b64 s[10:11], exec, s[10:11]
	s_cbranch_execz .LBB161_20
; %bb.11:
	s_mov_b32 s2, 0x41000000
	v_cmp_nlt_f32_e64 s[2:3], |v5|, s2
                                        ; implicit-def: $vgpr7
	s_and_saveexec_b64 s[12:13], s[2:3]
	s_xor_b64 s[12:13], exec, s[12:13]
	s_cbranch_execz .LBB161_17
; %bb.12:
	s_mov_b32 s2, 0x5c800000
	v_cmp_nlt_f32_e64 s[2:3], |v5|, s2
                                        ; implicit-def: $vgpr7
	s_and_saveexec_b64 s[14:15], s[2:3]
	s_xor_b64 s[14:15], exec, s[14:15]
	s_cbranch_execz .LBB161_14
; %bb.13:
	s_mov_b32 s2, 0x800000
	v_cmp_lt_f32_e64 vcc, |v5|, s2
	v_cndmask_b32_e64 v7, 0, 32, vcc
	v_ldexp_f32 v7, |v5|, v7
	v_log_f32_e32 v7, v7
	s_mov_b32 s2, 0x3f317217
	s_mov_b32 s3, 0x7f800000
	v_mul_f32_e32 v8, 0x3f317217, v7
	v_fma_f32 v9, v7, s2, -v8
	v_fmac_f32_e32 v9, 0x3377d1cf, v7
	v_add_f32_e32 v8, v8, v9
	v_cmp_lt_f32_e64 s[2:3], |v7|, s3
	v_cndmask_b32_e64 v7, v7, v8, s[2:3]
	v_mov_b32_e32 v8, 0x41b17218
	v_cndmask_b32_e32 v8, 0, v8, vcc
	v_sub_f32_e32 v7, v7, v8
	v_fma_f32 v7, |v5|, v7, -|v5|
.LBB161_14:
	s_andn2_saveexec_b64 s[14:15], s[14:15]
	s_cbranch_execz .LBB161_16
; %bb.15:
	v_rcp_f32_e64 v8, |v5|
	v_mov_b32_e32 v7, 0x3a5b3dd2
	v_mov_b32_e32 v9, 0xba1c065c
	;; [unrolled: 1-line block ×3, first 2 shown]
	v_mul_f32_e32 v11, v8, v8
	v_fmac_f32_e32 v7, 0xbad5c4e8, v11
	v_fmac_f32_e32 v9, v11, v7
	s_mov_b32 s2, 0x800000
	v_fmac_f32_e32 v10, v11, v9
	v_mov_b32_e32 v7, 0xbb360b61
	v_cmp_lt_f32_e64 vcc, |v5|, s2
	v_fmac_f32_e32 v7, v11, v10
	v_cndmask_b32_e64 v10, 0, 32, vcc
	v_ldexp_f32 v10, |v5|, v10
	v_log_f32_e32 v10, v10
	v_mov_b32_e32 v9, 0x3daaaaab
	v_fmac_f32_e32 v9, v11, v7
	v_mov_b32_e32 v7, 0x3ed67f1d
	v_fmac_f32_e32 v7, v8, v9
	s_mov_b32 s2, 0x3f317217
	v_mul_f32_e32 v9, 0x3f317217, v10
	v_fma_f32 v11, v10, s2, -v9
	v_fmac_f32_e32 v11, 0x3377d1cf, v10
	s_mov_b32 s2, 0x7f800000
	v_add_f32_e32 v9, v9, v11
	v_cmp_lt_f32_e64 s[2:3], |v10|, s2
	v_cndmask_b32_e64 v9, v10, v9, s[2:3]
	v_mov_b32_e32 v10, 0x41b17218
	v_cndmask_b32_e32 v10, 0, v10, vcc
	v_sub_f32_e32 v9, v9, v10
	v_add_f32_e64 v8, |v5|, -0.5
	v_add_f32_e32 v9, -1.0, v9
	v_fmac_f32_e32 v7, v8, v9
.LBB161_16:
	s_or_b64 exec, exec, s[14:15]
.LBB161_17:
	s_andn2_saveexec_b64 s[12:13], s[12:13]
	s_cbranch_execz .LBB161_19
; %bb.18:
	v_cvt_i32_f32_e32 v7, v3
	v_mov_b32_e32 v8, 0x3af135b4
	v_mov_b32_e32 v9, 0x3cda40e4
	;; [unrolled: 1-line block ×3, first 2 shown]
	v_cvt_f32_i32_e32 v11, v7
	v_mov_b32_e32 v12, 0x3ea6cc7a
	v_mov_b32_e32 v13, 0x3e5c245a
	v_cmp_lt_i32_e32 vcc, 2, v7
	v_sub_f32_e64 v11, |v5|, v11
	v_fmac_f32_e32 v8, 0x3805ff67, v11
	v_fmac_f32_e32 v9, v11, v8
	;; [unrolled: 1-line block ×3, first 2 shown]
	v_mov_b32_e32 v9, 0x3a4beed6
	v_fmac_f32_e32 v12, v11, v10
	v_fmac_f32_e32 v9, 0x36f5d7bd, v11
	v_mov_b32_e32 v10, 0x3c98bf54
	v_fmac_f32_e32 v10, v11, v9
	v_mov_b32_e32 v9, 0x3e300f6e
	;; [unrolled: 2-line block ×4, first 2 shown]
	v_fmac_f32_e32 v9, v11, v10
	v_add_f32_e32 v10, 2.0, v11
	v_mov_b32_e32 v14, 0xbd9e233f
	v_fmac_f32_e32 v13, v11, v12
	v_add_f32_e32 v12, 0x40400000, v11
	v_cndmask_b32_e32 v10, 1.0, v10, vcc
	v_cmp_lt_i32_e32 vcc, 3, v7
	v_fmac_f32_e32 v14, v11, v13
	v_add_f32_e32 v13, 4.0, v11
	v_cndmask_b32_e32 v12, 1.0, v12, vcc
	v_cmp_lt_i32_e32 vcc, 4, v7
	v_mul_f32_e32 v8, v11, v14
	v_add_f32_e32 v14, 0x40a00000, v11
	v_mul_f32_e32 v10, v10, v12
	v_cndmask_b32_e32 v12, 1.0, v13, vcc
	v_cmp_lt_i32_e32 vcc, 5, v7
	v_add_f32_e32 v15, 0x40c00000, v11
	v_mul_f32_e32 v10, v12, v10
	v_cndmask_b32_e32 v12, 1.0, v14, vcc
	v_cmp_lt_i32_e32 vcc, 6, v7
	v_mul_f32_e32 v10, v12, v10
	v_cndmask_b32_e32 v7, 1.0, v15, vcc
	v_mul_f32_e32 v7, v7, v10
	s_mov_b32 s2, 0x800000
	v_cmp_gt_f32_e32 vcc, s2, v7
	v_cndmask_b32_e64 v10, 0, 32, vcc
	v_fma_f32 v9, v11, v9, 1.0
	v_ldexp_f32 v7, v7, v10
	v_rcp_f32_e32 v9, v9
	v_log_f32_e32 v7, v7
	s_mov_b32 s2, 0x3f317217
	v_mul_f32_e32 v8, v8, v9
	v_mul_f32_e32 v9, 0x3f317217, v7
	v_fma_f32 v10, v7, s2, -v9
	v_fmac_f32_e32 v10, 0x3377d1cf, v7
	s_mov_b32 s2, 0x7f800000
	v_add_f32_e32 v9, v9, v10
	v_cmp_lt_f32_e64 s[2:3], |v7|, s2
	v_cndmask_b32_e64 v7, v7, v9, s[2:3]
	v_mov_b32_e32 v9, 0x41b17218
	v_cndmask_b32_e32 v9, 0, v9, vcc
	v_fmac_f32_e32 v8, 0.5, v11
	v_sub_f32_e32 v7, v7, v9
	v_add_f32_e32 v7, v7, v8
.LBB161_19:
	s_or_b64 exec, exec, s[12:13]
.LBB161_20:
	s_andn2_saveexec_b64 s[10:11], s[10:11]
	s_cbranch_execz .LBB161_38
; %bb.21:
	s_mov_b32 s2, 0x3f666666
	v_cmp_le_f32_e64 s[2:3], |v5|, s2
                                        ; implicit-def: $vgpr7
                                        ; implicit-def: $vgpr9
                                        ; implicit-def: $vgpr8
	s_and_saveexec_b64 s[12:13], s[2:3]
	s_xor_b64 s[12:13], exec, s[12:13]
	s_cbranch_execz .LBB161_23
; %bb.22:
	s_mov_b32 s2, 0x800000
	v_cmp_lt_f32_e64 vcc, |v5|, s2
	v_cndmask_b32_e64 v7, 0, 32, vcc
	v_ldexp_f32 v7, |v5|, v7
	v_log_f32_e32 v7, v7
	s_mov_b32 s2, 0x3f317217
	s_mov_b32 s3, 0x7f800000
	v_mul_f32_e32 v8, 0x3f317217, v7
	v_fma_f32 v9, v7, s2, -v8
	v_fmac_f32_e32 v9, 0x3377d1cf, v7
	v_add_f32_e32 v8, v8, v9
	v_cmp_lt_f32_e64 s[2:3], |v7|, s3
	v_cndmask_b32_e64 v7, v7, v8, s[2:3]
	v_mov_b32_e32 v8, 0x41b17218
	v_cndmask_b32_e32 v8, 0, v8, vcc
	s_mov_b32 s2, 0x3f3b4a23
	s_mov_b32 s3, 0xbeec5b0c
	v_sub_f32_e32 v7, v7, v8
	v_sub_f32_e64 v8, 1.0, |v5|
	v_add_f32_e64 v9, |v5|, s3
	v_cmp_lt_f32_e64 vcc, |v5|, s2
	s_mov_b32 s2, 0x3e6d3309
	v_cndmask_b32_e32 v8, v8, v9, vcc
	v_cndmask_b32_e64 v9, 0, 1, vcc
	v_cmp_lt_f32_e64 s[2:3], |v5|, s2
	v_xor_b32_e32 v7, 0x80000000, v7
	v_cndmask_b32_e64 v8, v8, |v5|, s[2:3]
	v_cndmask_b32_e64 v9, v9, 2, s[2:3]
.LBB161_23:
	s_andn2_saveexec_b64 s[2:3], s[12:13]
	s_cbranch_execz .LBB161_25
; %bb.24:
	s_mov_b32 s12, 0x3fdda512
	s_mov_b32 s13, 0xbfbb16c3
	v_sub_f32_e64 v7, 2.0, |v5|
	v_add_f32_e64 v8, |v5|, s13
	v_cmp_lt_f32_e64 vcc, |v5|, s12
	v_cndmask_b32_e32 v8, v7, v8, vcc
	v_cndmask_b32_e64 v7, v7, 1.0, vcc
	v_cvt_i32_f32_e32 v7, v7
	s_mov_b32 s12, 0x3f9d70a4
	v_add_f32_e64 v9, |v5|, -1.0
	v_cmp_lt_f32_e64 vcc, |v5|, s12
	v_cndmask_b32_e32 v8, v8, v9, vcc
	v_cndmask_b32_e64 v9, v7, 2, vcc
	v_mov_b32_e32 v7, 0
.LBB161_25:
	s_or_b64 exec, exec, s[2:3]
	v_cmp_lt_i32_e32 vcc, 0, v9
	s_and_saveexec_b64 s[2:3], vcc
	s_xor_b64 s[2:3], exec, s[2:3]
	s_cbranch_execz .LBB161_33
; %bb.26:
	v_cmp_lt_i32_e32 vcc, 1, v9
	s_and_saveexec_b64 s[12:13], vcc
	s_xor_b64 s[12:13], exec, s[12:13]
	s_cbranch_execz .LBB161_30
; %bb.27:
	v_cmp_eq_u32_e32 vcc, 2, v9
	s_and_saveexec_b64 s[14:15], vcc
	s_cbranch_execz .LBB161_29
; %bb.28:
	v_mov_b32_e32 v9, 0x3e6a7578
	v_fmac_f32_e32 v9, 0x3c5b3c5e, v8
	v_mov_b32_e32 v10, 0x3f7a4bb2
	v_fmac_f32_e32 v10, v8, v9
	;; [unrolled: 2-line block ×8, first 2 shown]
	v_fma_f32 v9, v8, v11, 1.0
	v_rcp_f32_e32 v9, v9
	v_mov_b32_e32 v11, 0xbd9e233f
	v_fmac_f32_e32 v11, v8, v10
	v_mul_f32_e32 v10, v8, v11
	v_mul_f32_e32 v9, v10, v9
	v_fmac_f32_e32 v9, -0.5, v8
	v_add_f32_e32 v7, v7, v9
.LBB161_29:
	s_or_b64 exec, exec, s[14:15]
                                        ; implicit-def: $vgpr8
.LBB161_30:
	s_andn2_saveexec_b64 s[12:13], s[12:13]
	s_cbranch_execz .LBB161_32
; %bb.31:
	v_mul_f32_e32 v9, v8, v8
	v_mul_f32_e32 v10, v8, v9
	v_mov_b32_e32 v11, 0xbab7f476
	v_fmac_f32_e32 v11, 0x39a57b6b, v10
	v_mov_b32_e32 v12, 0x3bc7e707
	v_fmac_f32_e32 v12, v10, v11
	;; [unrolled: 2-line block ×12, first 2 shown]
	v_fmac_f32_e32 v13, v8, v14
	s_mov_b32 s14, 0xa2863e55
	v_fma_f32 v8, v10, -v13, s14
	v_fma_f32 v8, v9, v12, -v8
	v_add_f32_e32 v8, 0xbdf8cdce, v8
	v_add_f32_e32 v7, v7, v8
.LBB161_32:
	s_or_b64 exec, exec, s[12:13]
                                        ; implicit-def: $vgpr9
                                        ; implicit-def: $vgpr8
.LBB161_33:
	s_andn2_saveexec_b64 s[2:3], s[2:3]
	s_cbranch_execz .LBB161_37
; %bb.34:
	v_cmp_eq_u32_e32 vcc, 0, v9
	s_and_saveexec_b64 s[12:13], vcc
	s_cbranch_execz .LBB161_36
; %bb.35:
	v_mul_f32_e32 v9, v8, v8
	v_mov_b32_e32 v10, 0x39679767
	v_fmac_f32_e32 v10, 0x37d383a2, v9
	v_mov_b32_e32 v11, 0x3a9c54a1
	v_fmac_f32_e32 v11, v9, v10
	;; [unrolled: 2-line block ×10, first 2 shown]
	v_mul_f32_e32 v9, v9, v11
	v_fmac_f32_e32 v9, v8, v10
	v_fmac_f32_e32 v9, -0.5, v8
	v_add_f32_e32 v7, v7, v9
.LBB161_36:
	s_or_b64 exec, exec, s[12:13]
.LBB161_37:
	s_or_b64 exec, exec, s[2:3]
.LBB161_38:
	s_or_b64 exec, exec, s[10:11]
.LBB161_39:
	s_andn2_saveexec_b64 s[4:5], s[4:5]
	s_cbranch_execz .LBB161_41
; %bb.40:
	s_mov_b32 s2, 0x3e8a8991
	v_mov_b32_e32 v7, 0xbecd26ab
	v_fma_f32 v7, |v5|, s2, v7
	s_mov_b32 s2, 0x3f528d33
	v_fma_f32 v7, |v5|, v7, s2
	s_mov_b32 s2, 0x800000
	v_cmp_lt_f32_e64 vcc, |v5|, s2
	v_cndmask_b32_e64 v8, 0, 32, vcc
	v_ldexp_f32 v8, |v5|, v8
	v_log_f32_e32 v8, v8
	s_mov_b32 s2, 0xbf13c468
	v_fma_f32 v7, |v5|, v7, s2
	s_mov_b32 s2, 0x3f317217
	v_mul_f32_e32 v9, 0x3f317217, v8
	v_fma_f32 v10, v8, s2, -v9
	v_fmac_f32_e32 v10, 0x3377d1cf, v8
	s_mov_b32 s2, 0x7f800000
	v_add_f32_e32 v9, v9, v10
	v_cmp_lt_f32_e64 s[2:3], |v8|, s2
	v_cndmask_b32_e64 v8, v8, v9, s[2:3]
	v_mov_b32_e32 v9, 0x41b17218
	v_cndmask_b32_e32 v9, 0, v9, vcc
	v_sub_f32_e32 v8, v8, v9
	v_fma_f32 v7, |v5|, v7, -v8
.LBB161_41:
	s_or_b64 exec, exec, s[4:5]
	v_cmp_le_f32_e32 vcc, 0, v5
	v_cmp_nle_f32_e64 s[2:3], 0, v5
	s_and_saveexec_b64 s[4:5], s[2:3]
	s_xor_b64 s[10:11], exec, s[4:5]
	s_cbranch_execz .LBB161_45
; %bb.42:
	s_mov_b32 s2, 0x4b000000
	s_mov_b32 s4, 0x35000000
	v_cmp_lt_f32_e64 s[2:3], |v5|, s2
	v_cmp_gt_f32_e64 s[4:5], |v5|, s4
	s_and_b64 s[2:3], s[2:3], s[4:5]
	s_and_saveexec_b64 s[12:13], s[2:3]
	s_cbranch_execz .LBB161_44
; %bb.43:
	v_mul_f32_e64 v8, |v5|, 0.5
	v_floor_f32_e32 v9, v8
	v_sub_f32_e32 v9, v8, v9
	v_min_f32_e32 v9, 0x3f7fffff, v9
	s_mov_b32 s4, 0x7f800000
	v_add_f32_e32 v9, v9, v9
	v_cmp_neq_f32_e64 s[2:3], s4, v8
	v_cndmask_b32_e64 v8, 0, v9, s[2:3]
	v_cmp_gt_f32_e64 s[2:3], |v5|, 1.0
	v_cndmask_b32_e64 v8, |v5|, v8, s[2:3]
	v_add_f32_e32 v9, v8, v8
	v_rndne_f32_e32 v9, v9
	v_fmac_f32_e32 v8, -0.5, v9
	v_mul_f32_e32 v10, v8, v8
	v_mov_b32_e32 v11, 0xbf1f24be
	v_fmac_f32_e32 v11, 0x3e75aa41, v10
	v_mov_b32_e32 v12, 0x40234736
	v_fmac_f32_e32 v12, v10, v11
	;; [unrolled: 2-line block ×3, first 2 shown]
	v_mul_f32_e32 v12, v8, v10
	v_mul_f32_e32 v11, v12, v11
	v_fmac_f32_e32 v11, 0x40490fdb, v8
	v_mov_b32_e32 v8, 0x3e642e9d
	v_cvt_i32_f32_e32 v9, v9
	v_fmac_f32_e32 v8, 0x3d4be544, v10
	v_mov_b32_e32 v12, 0xbfaad1da
	v_fmac_f32_e32 v12, v10, v8
	v_mov_b32_e32 v8, 0x4081e0d3
	;; [unrolled: 2-line block ×3, first 2 shown]
	v_fmac_f32_e32 v12, v10, v8
	v_fma_f32 v8, v10, v12, 1.0
	v_and_b32_e32 v10, 1, v9
	v_cmp_eq_u32_e64 s[2:3], 0, v10
	v_cndmask_b32_e64 v8, v8, v11, s[2:3]
	v_lshlrev_b32_e32 v9, 30, v9
	s_brev_b32 s2, 1
	v_and_or_b32 v3, v9, s2, v3
	v_xor_b32_e32 v3, v3, v8
	v_xor_b32_e32 v3, v3, v5
	v_mul_f32_e32 v3, v5, v3
	v_frexp_mant_f32_e64 v8, |v3|
	v_rcp_f32_e32 v8, v8
	v_frexp_exp_i32_f32_e32 v3, v3
	v_sub_u32_e32 v3, 2, v3
	s_mov_b32 s2, 0x800000
	v_mul_f32_e32 v8, 0x3f490fdb, v8
	v_ldexp_f32 v3, v8, v3
	v_cmp_gt_f32_e64 s[2:3], s2, v3
	v_cndmask_b32_e64 v8, 0, 32, s[2:3]
	v_ldexp_f32 v3, v3, v8
	v_log_f32_e32 v3, v3
	s_mov_b32 s5, 0x3f317217
	v_mul_f32_e32 v8, 0x3f317217, v3
	v_fma_f32 v9, v3, s5, -v8
	v_fmac_f32_e32 v9, 0x3377d1cf, v3
	v_add_f32_e32 v8, v8, v9
	v_cmp_lt_f32_e64 s[4:5], |v3|, s4
	v_cndmask_b32_e64 v3, v3, v8, s[4:5]
	v_mov_b32_e32 v8, 0x41b17218
	v_cndmask_b32_e64 v8, 0, v8, s[2:3]
	v_sub_f32_e32 v3, v3, v8
	v_sub_f32_e32 v3, v3, v7
	v_floor_f32_e32 v7, v5
	v_sub_f32_e32 v7, v5, v7
	v_min_f32_e32 v7, 0x3f7fffff, v7
	v_mov_b32_e32 v8, 0x7f800000
	v_cmp_neq_f32_e64 s[2:3], 0, v7
	v_cndmask_b32_e64 v7, v8, v3, s[2:3]
.LBB161_44:
	s_or_b64 exec, exec, s[12:13]
.LBB161_45:
	s_andn2_saveexec_b64 s[10:11], s[10:11]
; %bb.46:
	v_cmp_eq_f32_e64 s[2:3], 1.0, v5
	v_cmp_eq_f32_e64 s[4:5], 2.0, v5
	s_or_b64 s[2:3], s[2:3], s[4:5]
	v_cndmask_b32_e64 v7, v7, 0, s[2:3]
; %bb.47:
	s_or_b64 exec, exec, s[10:11]
	s_mov_b32 s2, 0x4b000000
	v_cmp_lt_f32_e64 s[2:3], |v5|, s2
	v_mov_b32_e32 v3, 0x264
	v_mov_b32_e32 v8, 0x7f800000
	s_or_b64 vcc, vcc, s[2:3]
	v_cndmask_b32_e32 v7, v8, v7, vcc
	v_cmp_class_f32_e32 vcc, v5, v3
	v_cndmask_b32_e32 v3, v7, v8, vcc
	v_cmp_u_f32_e32 vcc, v5, v5
	v_cndmask_b32_e32 v3, v3, v5, vcc
	v_bfe_u32 v5, v3, 16, 1
	s_movk_i32 s2, 0x7fff
	v_add3_u32 v5, v3, v5, s2
	v_cmp_o_f32_e32 vcc, v3, v3
	v_mov_b32_e32 v3, 0x7fc0
	v_cndmask_b32_sdwa v3, v3, v5, vcc dst_sel:DWORD dst_unused:UNUSED_PAD src0_sel:DWORD src1_sel:WORD_1
.LBB161_48:
	s_or_b64 exec, exec, s[6:7]
	v_or_b32_e32 v5, 0x100, v0
	v_cmp_gt_i32_e32 vcc, s17, v5
                                        ; implicit-def: $vgpr7
	s_and_saveexec_b64 s[6:7], vcc
	s_cbranch_execz .LBB161_88
; %bb.49:
	s_mov_b32 s2, 0x3c800000
	v_and_b32_e32 v7, 0x7fffffff, v6
	v_cmp_nlt_f32_e64 s[2:3], |v6|, s2
                                        ; implicit-def: $vgpr8
	s_and_saveexec_b64 s[4:5], s[2:3]
	s_xor_b64 s[4:5], exec, s[4:5]
	s_cbranch_execz .LBB161_79
; %bb.50:
	v_cmp_nlt_f32_e64 s[2:3], |v6|, 2.0
                                        ; implicit-def: $vgpr8
	s_and_saveexec_b64 s[10:11], s[2:3]
	s_xor_b64 s[10:11], exec, s[10:11]
	s_cbranch_execz .LBB161_60
; %bb.51:
	s_mov_b32 s2, 0x41000000
	v_cmp_nlt_f32_e64 s[2:3], |v6|, s2
                                        ; implicit-def: $vgpr8
	s_and_saveexec_b64 s[12:13], s[2:3]
	s_xor_b64 s[12:13], exec, s[12:13]
	s_cbranch_execz .LBB161_57
; %bb.52:
	s_mov_b32 s2, 0x5c800000
	v_cmp_nlt_f32_e64 s[2:3], |v6|, s2
                                        ; implicit-def: $vgpr8
	s_and_saveexec_b64 s[14:15], s[2:3]
	s_xor_b64 s[14:15], exec, s[14:15]
	s_cbranch_execz .LBB161_54
; %bb.53:
	s_mov_b32 s2, 0x800000
	v_cmp_lt_f32_e64 vcc, |v6|, s2
	v_cndmask_b32_e64 v8, 0, 32, vcc
	v_ldexp_f32 v8, |v6|, v8
	v_log_f32_e32 v8, v8
	s_mov_b32 s2, 0x3f317217
	s_mov_b32 s3, 0x7f800000
	v_mul_f32_e32 v9, 0x3f317217, v8
	v_fma_f32 v10, v8, s2, -v9
	v_fmac_f32_e32 v10, 0x3377d1cf, v8
	v_add_f32_e32 v9, v9, v10
	v_cmp_lt_f32_e64 s[2:3], |v8|, s3
	v_cndmask_b32_e64 v8, v8, v9, s[2:3]
	v_mov_b32_e32 v9, 0x41b17218
	v_cndmask_b32_e32 v9, 0, v9, vcc
	v_sub_f32_e32 v8, v8, v9
	v_fma_f32 v8, |v6|, v8, -|v6|
.LBB161_54:
	s_andn2_saveexec_b64 s[14:15], s[14:15]
	s_cbranch_execz .LBB161_56
; %bb.55:
	v_rcp_f32_e64 v9, |v6|
	v_mov_b32_e32 v8, 0x3a5b3dd2
	v_mov_b32_e32 v10, 0xba1c065c
	v_mov_b32_e32 v11, 0x3a500cfd
	v_mul_f32_e32 v12, v9, v9
	v_fmac_f32_e32 v8, 0xbad5c4e8, v12
	v_fmac_f32_e32 v10, v12, v8
	s_mov_b32 s2, 0x800000
	v_fmac_f32_e32 v11, v12, v10
	v_mov_b32_e32 v8, 0xbb360b61
	v_cmp_lt_f32_e64 vcc, |v6|, s2
	v_fmac_f32_e32 v8, v12, v11
	v_cndmask_b32_e64 v11, 0, 32, vcc
	v_ldexp_f32 v11, |v6|, v11
	v_log_f32_e32 v11, v11
	v_mov_b32_e32 v10, 0x3daaaaab
	v_fmac_f32_e32 v10, v12, v8
	v_mov_b32_e32 v8, 0x3ed67f1d
	v_fmac_f32_e32 v8, v9, v10
	s_mov_b32 s2, 0x3f317217
	v_mul_f32_e32 v10, 0x3f317217, v11
	v_fma_f32 v12, v11, s2, -v10
	v_fmac_f32_e32 v12, 0x3377d1cf, v11
	s_mov_b32 s2, 0x7f800000
	v_add_f32_e32 v10, v10, v12
	v_cmp_lt_f32_e64 s[2:3], |v11|, s2
	v_cndmask_b32_e64 v10, v11, v10, s[2:3]
	v_mov_b32_e32 v11, 0x41b17218
	v_cndmask_b32_e32 v11, 0, v11, vcc
	v_sub_f32_e32 v10, v10, v11
	v_add_f32_e64 v9, |v6|, -0.5
	v_add_f32_e32 v10, -1.0, v10
	v_fmac_f32_e32 v8, v9, v10
.LBB161_56:
	s_or_b64 exec, exec, s[14:15]
.LBB161_57:
	s_andn2_saveexec_b64 s[12:13], s[12:13]
	s_cbranch_execz .LBB161_59
; %bb.58:
	v_cvt_i32_f32_e32 v8, v7
	v_mov_b32_e32 v9, 0x3af135b4
	v_mov_b32_e32 v10, 0x3cda40e4
	;; [unrolled: 1-line block ×3, first 2 shown]
	v_cvt_f32_i32_e32 v12, v8
	v_mov_b32_e32 v13, 0x3ea6cc7a
	v_mov_b32_e32 v14, 0x3e5c245a
	v_cmp_lt_i32_e32 vcc, 2, v8
	v_sub_f32_e64 v12, |v6|, v12
	v_fmac_f32_e32 v9, 0x3805ff67, v12
	v_fmac_f32_e32 v10, v12, v9
	;; [unrolled: 1-line block ×3, first 2 shown]
	v_mov_b32_e32 v10, 0x3a4beed6
	v_fmac_f32_e32 v13, v12, v11
	v_fmac_f32_e32 v10, 0x36f5d7bd, v12
	v_mov_b32_e32 v11, 0x3c98bf54
	v_fmac_f32_e32 v11, v12, v10
	v_mov_b32_e32 v10, 0x3e300f6e
	;; [unrolled: 2-line block ×4, first 2 shown]
	v_fmac_f32_e32 v10, v12, v11
	v_add_f32_e32 v11, 2.0, v12
	v_mov_b32_e32 v15, 0xbd9e233f
	v_fmac_f32_e32 v14, v12, v13
	v_add_f32_e32 v13, 0x40400000, v12
	v_cndmask_b32_e32 v11, 1.0, v11, vcc
	v_cmp_lt_i32_e32 vcc, 3, v8
	v_fmac_f32_e32 v15, v12, v14
	v_add_f32_e32 v14, 4.0, v12
	v_cndmask_b32_e32 v13, 1.0, v13, vcc
	v_cmp_lt_i32_e32 vcc, 4, v8
	v_mul_f32_e32 v9, v12, v15
	v_add_f32_e32 v15, 0x40a00000, v12
	v_mul_f32_e32 v11, v11, v13
	v_cndmask_b32_e32 v13, 1.0, v14, vcc
	v_cmp_lt_i32_e32 vcc, 5, v8
	v_add_f32_e32 v16, 0x40c00000, v12
	v_mul_f32_e32 v11, v13, v11
	v_cndmask_b32_e32 v13, 1.0, v15, vcc
	v_cmp_lt_i32_e32 vcc, 6, v8
	v_mul_f32_e32 v11, v13, v11
	v_cndmask_b32_e32 v8, 1.0, v16, vcc
	v_mul_f32_e32 v8, v8, v11
	s_mov_b32 s2, 0x800000
	v_cmp_gt_f32_e32 vcc, s2, v8
	v_cndmask_b32_e64 v11, 0, 32, vcc
	v_fma_f32 v10, v12, v10, 1.0
	v_ldexp_f32 v8, v8, v11
	v_rcp_f32_e32 v10, v10
	v_log_f32_e32 v8, v8
	s_mov_b32 s2, 0x3f317217
	v_mul_f32_e32 v9, v9, v10
	v_mul_f32_e32 v10, 0x3f317217, v8
	v_fma_f32 v11, v8, s2, -v10
	v_fmac_f32_e32 v11, 0x3377d1cf, v8
	s_mov_b32 s2, 0x7f800000
	v_add_f32_e32 v10, v10, v11
	v_cmp_lt_f32_e64 s[2:3], |v8|, s2
	v_cndmask_b32_e64 v8, v8, v10, s[2:3]
	v_mov_b32_e32 v10, 0x41b17218
	v_cndmask_b32_e32 v10, 0, v10, vcc
	v_fmac_f32_e32 v9, 0.5, v12
	v_sub_f32_e32 v8, v8, v10
	v_add_f32_e32 v8, v8, v9
.LBB161_59:
	s_or_b64 exec, exec, s[12:13]
.LBB161_60:
	s_andn2_saveexec_b64 s[10:11], s[10:11]
	s_cbranch_execz .LBB161_78
; %bb.61:
	s_mov_b32 s2, 0x3f666666
	v_cmp_le_f32_e64 s[2:3], |v6|, s2
                                        ; implicit-def: $vgpr8
                                        ; implicit-def: $vgpr10
                                        ; implicit-def: $vgpr9
	s_and_saveexec_b64 s[12:13], s[2:3]
	s_xor_b64 s[12:13], exec, s[12:13]
	s_cbranch_execz .LBB161_63
; %bb.62:
	s_mov_b32 s2, 0x800000
	v_cmp_lt_f32_e64 vcc, |v6|, s2
	v_cndmask_b32_e64 v8, 0, 32, vcc
	v_ldexp_f32 v8, |v6|, v8
	v_log_f32_e32 v8, v8
	s_mov_b32 s2, 0x3f317217
	s_mov_b32 s3, 0x7f800000
	v_mul_f32_e32 v9, 0x3f317217, v8
	v_fma_f32 v10, v8, s2, -v9
	v_fmac_f32_e32 v10, 0x3377d1cf, v8
	v_add_f32_e32 v9, v9, v10
	v_cmp_lt_f32_e64 s[2:3], |v8|, s3
	v_cndmask_b32_e64 v8, v8, v9, s[2:3]
	v_mov_b32_e32 v9, 0x41b17218
	v_cndmask_b32_e32 v9, 0, v9, vcc
	s_mov_b32 s2, 0x3f3b4a23
	s_mov_b32 s3, 0xbeec5b0c
	v_sub_f32_e32 v8, v8, v9
	v_sub_f32_e64 v9, 1.0, |v6|
	v_add_f32_e64 v10, |v6|, s3
	v_cmp_lt_f32_e64 vcc, |v6|, s2
	s_mov_b32 s2, 0x3e6d3309
	v_cndmask_b32_e32 v9, v9, v10, vcc
	v_cndmask_b32_e64 v10, 0, 1, vcc
	v_cmp_lt_f32_e64 s[2:3], |v6|, s2
	v_xor_b32_e32 v8, 0x80000000, v8
	v_cndmask_b32_e64 v9, v9, |v6|, s[2:3]
	v_cndmask_b32_e64 v10, v10, 2, s[2:3]
.LBB161_63:
	s_andn2_saveexec_b64 s[2:3], s[12:13]
	s_cbranch_execz .LBB161_65
; %bb.64:
	s_mov_b32 s12, 0x3fdda512
	s_mov_b32 s13, 0xbfbb16c3
	v_sub_f32_e64 v8, 2.0, |v6|
	v_add_f32_e64 v9, |v6|, s13
	v_cmp_lt_f32_e64 vcc, |v6|, s12
	v_cndmask_b32_e32 v9, v8, v9, vcc
	v_cndmask_b32_e64 v8, v8, 1.0, vcc
	v_cvt_i32_f32_e32 v8, v8
	s_mov_b32 s12, 0x3f9d70a4
	v_add_f32_e64 v10, |v6|, -1.0
	v_cmp_lt_f32_e64 vcc, |v6|, s12
	v_cndmask_b32_e32 v9, v9, v10, vcc
	v_cndmask_b32_e64 v10, v8, 2, vcc
	v_mov_b32_e32 v8, 0
.LBB161_65:
	s_or_b64 exec, exec, s[2:3]
	v_cmp_lt_i32_e32 vcc, 0, v10
	s_and_saveexec_b64 s[2:3], vcc
	s_xor_b64 s[2:3], exec, s[2:3]
	s_cbranch_execz .LBB161_73
; %bb.66:
	v_cmp_lt_i32_e32 vcc, 1, v10
	s_and_saveexec_b64 s[12:13], vcc
	s_xor_b64 s[12:13], exec, s[12:13]
	s_cbranch_execz .LBB161_70
; %bb.67:
	v_cmp_eq_u32_e32 vcc, 2, v10
	s_and_saveexec_b64 s[14:15], vcc
	s_cbranch_execz .LBB161_69
; %bb.68:
	v_mov_b32_e32 v10, 0x3e6a7578
	v_fmac_f32_e32 v10, 0x3c5b3c5e, v9
	v_mov_b32_e32 v11, 0x3f7a4bb2
	v_fmac_f32_e32 v11, v9, v10
	;; [unrolled: 2-line block ×8, first 2 shown]
	v_fma_f32 v10, v9, v12, 1.0
	v_rcp_f32_e32 v10, v10
	v_mov_b32_e32 v12, 0xbd9e233f
	v_fmac_f32_e32 v12, v9, v11
	v_mul_f32_e32 v11, v9, v12
	v_mul_f32_e32 v10, v11, v10
	v_fmac_f32_e32 v10, -0.5, v9
	v_add_f32_e32 v8, v8, v10
.LBB161_69:
	s_or_b64 exec, exec, s[14:15]
                                        ; implicit-def: $vgpr9
.LBB161_70:
	s_andn2_saveexec_b64 s[12:13], s[12:13]
	s_cbranch_execz .LBB161_72
; %bb.71:
	v_mul_f32_e32 v10, v9, v9
	v_mul_f32_e32 v11, v9, v10
	v_mov_b32_e32 v12, 0xbab7f476
	v_fmac_f32_e32 v12, 0x39a57b6b, v11
	v_mov_b32_e32 v13, 0x3bc7e707
	v_fmac_f32_e32 v13, v11, v12
	;; [unrolled: 2-line block ×12, first 2 shown]
	v_fmac_f32_e32 v14, v9, v15
	s_mov_b32 s14, 0xa2863e55
	v_fma_f32 v9, v11, -v14, s14
	v_fma_f32 v9, v10, v13, -v9
	v_add_f32_e32 v9, 0xbdf8cdce, v9
	v_add_f32_e32 v8, v8, v9
.LBB161_72:
	s_or_b64 exec, exec, s[12:13]
                                        ; implicit-def: $vgpr10
                                        ; implicit-def: $vgpr9
.LBB161_73:
	s_andn2_saveexec_b64 s[2:3], s[2:3]
	s_cbranch_execz .LBB161_77
; %bb.74:
	v_cmp_eq_u32_e32 vcc, 0, v10
	s_and_saveexec_b64 s[12:13], vcc
	s_cbranch_execz .LBB161_76
; %bb.75:
	v_mul_f32_e32 v10, v9, v9
	v_mov_b32_e32 v11, 0x39679767
	v_fmac_f32_e32 v11, 0x37d383a2, v10
	v_mov_b32_e32 v12, 0x3a9c54a1
	v_fmac_f32_e32 v12, v10, v11
	;; [unrolled: 2-line block ×10, first 2 shown]
	v_mul_f32_e32 v10, v10, v12
	v_fmac_f32_e32 v10, v9, v11
	v_fmac_f32_e32 v10, -0.5, v9
	v_add_f32_e32 v8, v8, v10
.LBB161_76:
	s_or_b64 exec, exec, s[12:13]
.LBB161_77:
	s_or_b64 exec, exec, s[2:3]
.LBB161_78:
	s_or_b64 exec, exec, s[10:11]
.LBB161_79:
	s_andn2_saveexec_b64 s[4:5], s[4:5]
	s_cbranch_execz .LBB161_81
; %bb.80:
	s_mov_b32 s2, 0x3e8a8991
	v_mov_b32_e32 v8, 0xbecd26ab
	v_fma_f32 v8, |v6|, s2, v8
	s_mov_b32 s2, 0x3f528d33
	v_fma_f32 v8, |v6|, v8, s2
	s_mov_b32 s2, 0x800000
	v_cmp_lt_f32_e64 vcc, |v6|, s2
	v_cndmask_b32_e64 v9, 0, 32, vcc
	v_ldexp_f32 v9, |v6|, v9
	v_log_f32_e32 v9, v9
	s_mov_b32 s2, 0xbf13c468
	v_fma_f32 v8, |v6|, v8, s2
	s_mov_b32 s2, 0x3f317217
	v_mul_f32_e32 v10, 0x3f317217, v9
	v_fma_f32 v11, v9, s2, -v10
	v_fmac_f32_e32 v11, 0x3377d1cf, v9
	s_mov_b32 s2, 0x7f800000
	v_add_f32_e32 v10, v10, v11
	v_cmp_lt_f32_e64 s[2:3], |v9|, s2
	v_cndmask_b32_e64 v9, v9, v10, s[2:3]
	v_mov_b32_e32 v10, 0x41b17218
	v_cndmask_b32_e32 v10, 0, v10, vcc
	v_sub_f32_e32 v9, v9, v10
	v_fma_f32 v8, |v6|, v8, -v9
.LBB161_81:
	s_or_b64 exec, exec, s[4:5]
	v_cmp_le_f32_e32 vcc, 0, v6
	v_cmp_nle_f32_e64 s[2:3], 0, v6
	s_and_saveexec_b64 s[4:5], s[2:3]
	s_xor_b64 s[10:11], exec, s[4:5]
	s_cbranch_execz .LBB161_85
; %bb.82:
	s_mov_b32 s2, 0x4b000000
	s_mov_b32 s4, 0x35000000
	v_cmp_lt_f32_e64 s[2:3], |v6|, s2
	v_cmp_gt_f32_e64 s[4:5], |v6|, s4
	s_and_b64 s[2:3], s[2:3], s[4:5]
	s_and_saveexec_b64 s[12:13], s[2:3]
	s_cbranch_execz .LBB161_84
; %bb.83:
	v_mul_f32_e64 v9, |v6|, 0.5
	v_floor_f32_e32 v10, v9
	v_sub_f32_e32 v10, v9, v10
	v_min_f32_e32 v10, 0x3f7fffff, v10
	s_mov_b32 s4, 0x7f800000
	v_add_f32_e32 v10, v10, v10
	v_cmp_neq_f32_e64 s[2:3], s4, v9
	v_cndmask_b32_e64 v9, 0, v10, s[2:3]
	v_cmp_gt_f32_e64 s[2:3], |v6|, 1.0
	v_cndmask_b32_e64 v9, |v6|, v9, s[2:3]
	v_add_f32_e32 v10, v9, v9
	v_rndne_f32_e32 v10, v10
	v_fmac_f32_e32 v9, -0.5, v10
	v_mul_f32_e32 v11, v9, v9
	v_mov_b32_e32 v12, 0xbf1f24be
	v_fmac_f32_e32 v12, 0x3e75aa41, v11
	v_mov_b32_e32 v13, 0x40234736
	v_fmac_f32_e32 v13, v11, v12
	;; [unrolled: 2-line block ×3, first 2 shown]
	v_mul_f32_e32 v13, v9, v11
	v_mul_f32_e32 v12, v13, v12
	v_fmac_f32_e32 v12, 0x40490fdb, v9
	v_mov_b32_e32 v9, 0x3e642e9d
	v_cvt_i32_f32_e32 v10, v10
	v_fmac_f32_e32 v9, 0x3d4be544, v11
	v_mov_b32_e32 v13, 0xbfaad1da
	v_fmac_f32_e32 v13, v11, v9
	v_mov_b32_e32 v9, 0x4081e0d3
	;; [unrolled: 2-line block ×3, first 2 shown]
	v_fmac_f32_e32 v13, v11, v9
	v_fma_f32 v9, v11, v13, 1.0
	v_and_b32_e32 v11, 1, v10
	v_cmp_eq_u32_e64 s[2:3], 0, v11
	v_cndmask_b32_e64 v9, v9, v12, s[2:3]
	v_lshlrev_b32_e32 v10, 30, v10
	s_brev_b32 s2, 1
	v_and_or_b32 v7, v10, s2, v7
	v_xor_b32_e32 v7, v7, v9
	v_xor_b32_e32 v7, v7, v6
	v_mul_f32_e32 v7, v6, v7
	v_frexp_mant_f32_e64 v9, |v7|
	v_rcp_f32_e32 v9, v9
	v_frexp_exp_i32_f32_e32 v7, v7
	v_sub_u32_e32 v7, 2, v7
	s_mov_b32 s2, 0x800000
	v_mul_f32_e32 v9, 0x3f490fdb, v9
	v_ldexp_f32 v7, v9, v7
	v_cmp_gt_f32_e64 s[2:3], s2, v7
	v_cndmask_b32_e64 v9, 0, 32, s[2:3]
	v_ldexp_f32 v7, v7, v9
	v_log_f32_e32 v7, v7
	s_mov_b32 s5, 0x3f317217
	v_mul_f32_e32 v9, 0x3f317217, v7
	v_fma_f32 v10, v7, s5, -v9
	v_fmac_f32_e32 v10, 0x3377d1cf, v7
	v_add_f32_e32 v9, v9, v10
	v_cmp_lt_f32_e64 s[4:5], |v7|, s4
	v_cndmask_b32_e64 v7, v7, v9, s[4:5]
	v_mov_b32_e32 v9, 0x41b17218
	v_cndmask_b32_e64 v9, 0, v9, s[2:3]
	v_sub_f32_e32 v7, v7, v9
	v_sub_f32_e32 v7, v7, v8
	v_floor_f32_e32 v8, v6
	v_sub_f32_e32 v8, v6, v8
	v_min_f32_e32 v8, 0x3f7fffff, v8
	v_mov_b32_e32 v9, 0x7f800000
	v_cmp_neq_f32_e64 s[2:3], 0, v8
	v_cndmask_b32_e64 v8, v9, v7, s[2:3]
.LBB161_84:
	s_or_b64 exec, exec, s[12:13]
.LBB161_85:
	s_andn2_saveexec_b64 s[10:11], s[10:11]
; %bb.86:
	v_cmp_eq_f32_e64 s[2:3], 1.0, v6
	v_cmp_eq_f32_e64 s[4:5], 2.0, v6
	s_or_b64 s[2:3], s[2:3], s[4:5]
	v_cndmask_b32_e64 v8, v8, 0, s[2:3]
; %bb.87:
	s_or_b64 exec, exec, s[10:11]
	s_mov_b32 s2, 0x4b000000
	v_cmp_lt_f32_e64 s[2:3], |v6|, s2
	v_mov_b32_e32 v7, 0x264
	v_mov_b32_e32 v9, 0x7f800000
	s_or_b64 vcc, vcc, s[2:3]
	v_cndmask_b32_e32 v8, v9, v8, vcc
	v_cmp_class_f32_e32 vcc, v6, v7
	v_cndmask_b32_e32 v7, v8, v9, vcc
	v_cmp_u_f32_e32 vcc, v6, v6
	v_cndmask_b32_e32 v6, v7, v6, vcc
	v_bfe_u32 v7, v6, 16, 1
	s_movk_i32 s2, 0x7fff
	v_add3_u32 v7, v6, v7, s2
	v_cmp_o_f32_e32 vcc, v6, v6
	v_mov_b32_e32 v6, 0x7fc0
	v_cndmask_b32_sdwa v7, v6, v7, vcc dst_sel:DWORD dst_unused:UNUSED_PAD src0_sel:DWORD src1_sel:WORD_1
.LBB161_88:
	s_or_b64 exec, exec, s[6:7]
	v_or_b32_e32 v6, 0x200, v0
	v_cmp_gt_i32_e32 vcc, s17, v6
                                        ; implicit-def: $vgpr6
	s_and_saveexec_b64 s[6:7], vcc
	s_cbranch_execz .LBB161_128
; %bb.89:
	s_mov_b32 s2, 0x3c800000
	v_and_b32_e32 v6, 0x7fffffff, v4
	v_cmp_nlt_f32_e64 s[2:3], |v4|, s2
                                        ; implicit-def: $vgpr8
	s_and_saveexec_b64 s[4:5], s[2:3]
	s_xor_b64 s[4:5], exec, s[4:5]
	s_cbranch_execz .LBB161_119
; %bb.90:
	v_cmp_nlt_f32_e64 s[2:3], |v4|, 2.0
                                        ; implicit-def: $vgpr8
	s_and_saveexec_b64 s[10:11], s[2:3]
	s_xor_b64 s[10:11], exec, s[10:11]
	s_cbranch_execz .LBB161_100
; %bb.91:
	s_mov_b32 s2, 0x41000000
	v_cmp_nlt_f32_e64 s[2:3], |v4|, s2
                                        ; implicit-def: $vgpr8
	s_and_saveexec_b64 s[12:13], s[2:3]
	s_xor_b64 s[12:13], exec, s[12:13]
	s_cbranch_execz .LBB161_97
; %bb.92:
	s_mov_b32 s2, 0x5c800000
	v_cmp_nlt_f32_e64 s[2:3], |v4|, s2
                                        ; implicit-def: $vgpr8
	s_and_saveexec_b64 s[14:15], s[2:3]
	s_xor_b64 s[14:15], exec, s[14:15]
	s_cbranch_execz .LBB161_94
; %bb.93:
	s_mov_b32 s2, 0x800000
	v_cmp_lt_f32_e64 vcc, |v4|, s2
	v_cndmask_b32_e64 v8, 0, 32, vcc
	v_ldexp_f32 v8, |v4|, v8
	v_log_f32_e32 v8, v8
	s_mov_b32 s2, 0x3f317217
	s_mov_b32 s3, 0x7f800000
	v_mul_f32_e32 v9, 0x3f317217, v8
	v_fma_f32 v10, v8, s2, -v9
	v_fmac_f32_e32 v10, 0x3377d1cf, v8
	v_add_f32_e32 v9, v9, v10
	v_cmp_lt_f32_e64 s[2:3], |v8|, s3
	v_cndmask_b32_e64 v8, v8, v9, s[2:3]
	v_mov_b32_e32 v9, 0x41b17218
	v_cndmask_b32_e32 v9, 0, v9, vcc
	v_sub_f32_e32 v8, v8, v9
	v_fma_f32 v8, |v4|, v8, -|v4|
.LBB161_94:
	s_andn2_saveexec_b64 s[14:15], s[14:15]
	s_cbranch_execz .LBB161_96
; %bb.95:
	v_rcp_f32_e64 v9, |v4|
	v_mov_b32_e32 v8, 0x3a5b3dd2
	v_mov_b32_e32 v10, 0xba1c065c
	;; [unrolled: 1-line block ×3, first 2 shown]
	v_mul_f32_e32 v12, v9, v9
	v_fmac_f32_e32 v8, 0xbad5c4e8, v12
	v_fmac_f32_e32 v10, v12, v8
	s_mov_b32 s2, 0x800000
	v_fmac_f32_e32 v11, v12, v10
	v_mov_b32_e32 v8, 0xbb360b61
	v_cmp_lt_f32_e64 vcc, |v4|, s2
	v_fmac_f32_e32 v8, v12, v11
	v_cndmask_b32_e64 v11, 0, 32, vcc
	v_ldexp_f32 v11, |v4|, v11
	v_log_f32_e32 v11, v11
	v_mov_b32_e32 v10, 0x3daaaaab
	v_fmac_f32_e32 v10, v12, v8
	v_mov_b32_e32 v8, 0x3ed67f1d
	v_fmac_f32_e32 v8, v9, v10
	s_mov_b32 s2, 0x3f317217
	v_mul_f32_e32 v10, 0x3f317217, v11
	v_fma_f32 v12, v11, s2, -v10
	v_fmac_f32_e32 v12, 0x3377d1cf, v11
	s_mov_b32 s2, 0x7f800000
	v_add_f32_e32 v10, v10, v12
	v_cmp_lt_f32_e64 s[2:3], |v11|, s2
	v_cndmask_b32_e64 v10, v11, v10, s[2:3]
	v_mov_b32_e32 v11, 0x41b17218
	v_cndmask_b32_e32 v11, 0, v11, vcc
	v_sub_f32_e32 v10, v10, v11
	v_add_f32_e64 v9, |v4|, -0.5
	v_add_f32_e32 v10, -1.0, v10
	v_fmac_f32_e32 v8, v9, v10
.LBB161_96:
	s_or_b64 exec, exec, s[14:15]
.LBB161_97:
	s_andn2_saveexec_b64 s[12:13], s[12:13]
	s_cbranch_execz .LBB161_99
; %bb.98:
	v_cvt_i32_f32_e32 v8, v6
	v_mov_b32_e32 v9, 0x3af135b4
	v_mov_b32_e32 v10, 0x3cda40e4
	;; [unrolled: 1-line block ×3, first 2 shown]
	v_cvt_f32_i32_e32 v12, v8
	v_mov_b32_e32 v13, 0x3ea6cc7a
	v_mov_b32_e32 v14, 0x3e5c245a
	v_cmp_lt_i32_e32 vcc, 2, v8
	v_sub_f32_e64 v12, |v4|, v12
	v_fmac_f32_e32 v9, 0x3805ff67, v12
	v_fmac_f32_e32 v10, v12, v9
	;; [unrolled: 1-line block ×3, first 2 shown]
	v_mov_b32_e32 v10, 0x3a4beed6
	v_fmac_f32_e32 v13, v12, v11
	v_fmac_f32_e32 v10, 0x36f5d7bd, v12
	v_mov_b32_e32 v11, 0x3c98bf54
	v_fmac_f32_e32 v11, v12, v10
	v_mov_b32_e32 v10, 0x3e300f6e
	;; [unrolled: 2-line block ×4, first 2 shown]
	v_fmac_f32_e32 v10, v12, v11
	v_add_f32_e32 v11, 2.0, v12
	v_mov_b32_e32 v15, 0xbd9e233f
	v_fmac_f32_e32 v14, v12, v13
	v_add_f32_e32 v13, 0x40400000, v12
	v_cndmask_b32_e32 v11, 1.0, v11, vcc
	v_cmp_lt_i32_e32 vcc, 3, v8
	v_fmac_f32_e32 v15, v12, v14
	v_add_f32_e32 v14, 4.0, v12
	v_cndmask_b32_e32 v13, 1.0, v13, vcc
	v_cmp_lt_i32_e32 vcc, 4, v8
	v_mul_f32_e32 v9, v12, v15
	v_add_f32_e32 v15, 0x40a00000, v12
	v_mul_f32_e32 v11, v11, v13
	v_cndmask_b32_e32 v13, 1.0, v14, vcc
	v_cmp_lt_i32_e32 vcc, 5, v8
	v_add_f32_e32 v16, 0x40c00000, v12
	v_mul_f32_e32 v11, v13, v11
	v_cndmask_b32_e32 v13, 1.0, v15, vcc
	v_cmp_lt_i32_e32 vcc, 6, v8
	v_mul_f32_e32 v11, v13, v11
	v_cndmask_b32_e32 v8, 1.0, v16, vcc
	v_mul_f32_e32 v8, v8, v11
	s_mov_b32 s2, 0x800000
	v_cmp_gt_f32_e32 vcc, s2, v8
	v_cndmask_b32_e64 v11, 0, 32, vcc
	v_fma_f32 v10, v12, v10, 1.0
	v_ldexp_f32 v8, v8, v11
	v_rcp_f32_e32 v10, v10
	v_log_f32_e32 v8, v8
	s_mov_b32 s2, 0x3f317217
	v_mul_f32_e32 v9, v9, v10
	v_mul_f32_e32 v10, 0x3f317217, v8
	v_fma_f32 v11, v8, s2, -v10
	v_fmac_f32_e32 v11, 0x3377d1cf, v8
	s_mov_b32 s2, 0x7f800000
	v_add_f32_e32 v10, v10, v11
	v_cmp_lt_f32_e64 s[2:3], |v8|, s2
	v_cndmask_b32_e64 v8, v8, v10, s[2:3]
	v_mov_b32_e32 v10, 0x41b17218
	v_cndmask_b32_e32 v10, 0, v10, vcc
	v_fmac_f32_e32 v9, 0.5, v12
	v_sub_f32_e32 v8, v8, v10
	v_add_f32_e32 v8, v8, v9
.LBB161_99:
	s_or_b64 exec, exec, s[12:13]
.LBB161_100:
	s_andn2_saveexec_b64 s[10:11], s[10:11]
	s_cbranch_execz .LBB161_118
; %bb.101:
	s_mov_b32 s2, 0x3f666666
	v_cmp_le_f32_e64 s[2:3], |v4|, s2
                                        ; implicit-def: $vgpr8
                                        ; implicit-def: $vgpr10
                                        ; implicit-def: $vgpr9
	s_and_saveexec_b64 s[12:13], s[2:3]
	s_xor_b64 s[12:13], exec, s[12:13]
	s_cbranch_execz .LBB161_103
; %bb.102:
	s_mov_b32 s2, 0x800000
	v_cmp_lt_f32_e64 vcc, |v4|, s2
	v_cndmask_b32_e64 v8, 0, 32, vcc
	v_ldexp_f32 v8, |v4|, v8
	v_log_f32_e32 v8, v8
	s_mov_b32 s2, 0x3f317217
	s_mov_b32 s3, 0x7f800000
	v_mul_f32_e32 v9, 0x3f317217, v8
	v_fma_f32 v10, v8, s2, -v9
	v_fmac_f32_e32 v10, 0x3377d1cf, v8
	v_add_f32_e32 v9, v9, v10
	v_cmp_lt_f32_e64 s[2:3], |v8|, s3
	v_cndmask_b32_e64 v8, v8, v9, s[2:3]
	v_mov_b32_e32 v9, 0x41b17218
	v_cndmask_b32_e32 v9, 0, v9, vcc
	s_mov_b32 s2, 0x3f3b4a23
	s_mov_b32 s3, 0xbeec5b0c
	v_sub_f32_e32 v8, v8, v9
	v_sub_f32_e64 v9, 1.0, |v4|
	v_add_f32_e64 v10, |v4|, s3
	v_cmp_lt_f32_e64 vcc, |v4|, s2
	s_mov_b32 s2, 0x3e6d3309
	v_cndmask_b32_e32 v9, v9, v10, vcc
	v_cndmask_b32_e64 v10, 0, 1, vcc
	v_cmp_lt_f32_e64 s[2:3], |v4|, s2
	v_xor_b32_e32 v8, 0x80000000, v8
	v_cndmask_b32_e64 v9, v9, |v4|, s[2:3]
	v_cndmask_b32_e64 v10, v10, 2, s[2:3]
.LBB161_103:
	s_andn2_saveexec_b64 s[2:3], s[12:13]
	s_cbranch_execz .LBB161_105
; %bb.104:
	s_mov_b32 s12, 0x3fdda512
	s_mov_b32 s13, 0xbfbb16c3
	v_sub_f32_e64 v8, 2.0, |v4|
	v_add_f32_e64 v9, |v4|, s13
	v_cmp_lt_f32_e64 vcc, |v4|, s12
	v_cndmask_b32_e32 v9, v8, v9, vcc
	v_cndmask_b32_e64 v8, v8, 1.0, vcc
	v_cvt_i32_f32_e32 v8, v8
	s_mov_b32 s12, 0x3f9d70a4
	v_add_f32_e64 v10, |v4|, -1.0
	v_cmp_lt_f32_e64 vcc, |v4|, s12
	v_cndmask_b32_e32 v9, v9, v10, vcc
	v_cndmask_b32_e64 v10, v8, 2, vcc
	v_mov_b32_e32 v8, 0
.LBB161_105:
	s_or_b64 exec, exec, s[2:3]
	v_cmp_lt_i32_e32 vcc, 0, v10
	s_and_saveexec_b64 s[2:3], vcc
	s_xor_b64 s[2:3], exec, s[2:3]
	s_cbranch_execz .LBB161_113
; %bb.106:
	v_cmp_lt_i32_e32 vcc, 1, v10
	s_and_saveexec_b64 s[12:13], vcc
	s_xor_b64 s[12:13], exec, s[12:13]
	s_cbranch_execz .LBB161_110
; %bb.107:
	v_cmp_eq_u32_e32 vcc, 2, v10
	s_and_saveexec_b64 s[14:15], vcc
	s_cbranch_execz .LBB161_109
; %bb.108:
	v_mov_b32_e32 v10, 0x3e6a7578
	v_fmac_f32_e32 v10, 0x3c5b3c5e, v9
	v_mov_b32_e32 v11, 0x3f7a4bb2
	v_fmac_f32_e32 v11, v9, v10
	;; [unrolled: 2-line block ×8, first 2 shown]
	v_fma_f32 v10, v9, v12, 1.0
	v_rcp_f32_e32 v10, v10
	v_mov_b32_e32 v12, 0xbd9e233f
	v_fmac_f32_e32 v12, v9, v11
	v_mul_f32_e32 v11, v9, v12
	v_mul_f32_e32 v10, v11, v10
	v_fmac_f32_e32 v10, -0.5, v9
	v_add_f32_e32 v8, v8, v10
.LBB161_109:
	s_or_b64 exec, exec, s[14:15]
                                        ; implicit-def: $vgpr9
.LBB161_110:
	s_andn2_saveexec_b64 s[12:13], s[12:13]
	s_cbranch_execz .LBB161_112
; %bb.111:
	v_mul_f32_e32 v10, v9, v9
	v_mul_f32_e32 v11, v9, v10
	v_mov_b32_e32 v12, 0xbab7f476
	v_fmac_f32_e32 v12, 0x39a57b6b, v11
	v_mov_b32_e32 v13, 0x3bc7e707
	v_fmac_f32_e32 v13, v11, v12
	v_mov_b32_e32 v12, 0xbd064d47
	v_fmac_f32_e32 v12, v11, v13
	v_mov_b32_e32 v13, 0x3ef7b95e
	v_fmac_f32_e32 v13, v11, v12
	v_mov_b32_e32 v12, 0x3a66f867
	v_fmac_f32_e32 v12, 0xb9a3f927, v11
	v_mov_b32_e32 v14, 0xbb7177fe
	v_fmac_f32_e32 v14, v11, v12
	v_mov_b32_e32 v12, 0x3c93373d
	v_fmac_f32_e32 v12, v11, v14
	v_mov_b32_e32 v14, 0xbe17213c
	v_fmac_f32_e32 v14, v11, v12
	v_mov_b32_e32 v12, 0xba0d3085
	v_fmac_f32_e32 v12, 0x39afe9f7, v11
	v_mov_b32_e32 v15, 0x3b141699
	v_fmac_f32_e32 v15, v11, v12
	v_mov_b32_e32 v12, 0xbc28fcfe
	v_fmac_f32_e32 v12, v11, v15
	v_mov_b32_e32 v15, 0x3d845a15
	v_fmac_f32_e32 v15, v11, v12
	v_fmac_f32_e32 v14, v9, v15
	s_mov_b32 s14, 0xa2863e55
	v_fma_f32 v9, v11, -v14, s14
	v_fma_f32 v9, v10, v13, -v9
	v_add_f32_e32 v9, 0xbdf8cdce, v9
	v_add_f32_e32 v8, v8, v9
.LBB161_112:
	s_or_b64 exec, exec, s[12:13]
                                        ; implicit-def: $vgpr10
                                        ; implicit-def: $vgpr9
.LBB161_113:
	s_andn2_saveexec_b64 s[2:3], s[2:3]
	s_cbranch_execz .LBB161_117
; %bb.114:
	v_cmp_eq_u32_e32 vcc, 0, v10
	s_and_saveexec_b64 s[12:13], vcc
	s_cbranch_execz .LBB161_116
; %bb.115:
	v_mul_f32_e32 v10, v9, v9
	v_mov_b32_e32 v11, 0x39679767
	v_fmac_f32_e32 v11, 0x37d383a2, v10
	v_mov_b32_e32 v12, 0x3a9c54a1
	v_fmac_f32_e32 v12, v10, v11
	;; [unrolled: 2-line block ×10, first 2 shown]
	v_mul_f32_e32 v10, v10, v12
	v_fmac_f32_e32 v10, v9, v11
	v_fmac_f32_e32 v10, -0.5, v9
	v_add_f32_e32 v8, v8, v10
.LBB161_116:
	s_or_b64 exec, exec, s[12:13]
.LBB161_117:
	s_or_b64 exec, exec, s[2:3]
.LBB161_118:
	s_or_b64 exec, exec, s[10:11]
.LBB161_119:
	s_andn2_saveexec_b64 s[4:5], s[4:5]
	s_cbranch_execz .LBB161_121
; %bb.120:
	s_mov_b32 s2, 0x3e8a8991
	v_mov_b32_e32 v8, 0xbecd26ab
	v_fma_f32 v8, |v4|, s2, v8
	s_mov_b32 s2, 0x3f528d33
	v_fma_f32 v8, |v4|, v8, s2
	s_mov_b32 s2, 0x800000
	v_cmp_lt_f32_e64 vcc, |v4|, s2
	v_cndmask_b32_e64 v9, 0, 32, vcc
	v_ldexp_f32 v9, |v4|, v9
	v_log_f32_e32 v9, v9
	s_mov_b32 s2, 0xbf13c468
	v_fma_f32 v8, |v4|, v8, s2
	s_mov_b32 s2, 0x3f317217
	v_mul_f32_e32 v10, 0x3f317217, v9
	v_fma_f32 v11, v9, s2, -v10
	v_fmac_f32_e32 v11, 0x3377d1cf, v9
	s_mov_b32 s2, 0x7f800000
	v_add_f32_e32 v10, v10, v11
	v_cmp_lt_f32_e64 s[2:3], |v9|, s2
	v_cndmask_b32_e64 v9, v9, v10, s[2:3]
	v_mov_b32_e32 v10, 0x41b17218
	v_cndmask_b32_e32 v10, 0, v10, vcc
	v_sub_f32_e32 v9, v9, v10
	v_fma_f32 v8, |v4|, v8, -v9
.LBB161_121:
	s_or_b64 exec, exec, s[4:5]
	v_cmp_le_f32_e32 vcc, 0, v4
	v_cmp_nle_f32_e64 s[2:3], 0, v4
	s_and_saveexec_b64 s[4:5], s[2:3]
	s_xor_b64 s[10:11], exec, s[4:5]
	s_cbranch_execz .LBB161_125
; %bb.122:
	s_mov_b32 s2, 0x4b000000
	s_mov_b32 s4, 0x35000000
	v_cmp_lt_f32_e64 s[2:3], |v4|, s2
	v_cmp_gt_f32_e64 s[4:5], |v4|, s4
	s_and_b64 s[2:3], s[2:3], s[4:5]
	s_and_saveexec_b64 s[12:13], s[2:3]
	s_cbranch_execz .LBB161_124
; %bb.123:
	v_mul_f32_e64 v9, |v4|, 0.5
	v_floor_f32_e32 v10, v9
	v_sub_f32_e32 v10, v9, v10
	v_min_f32_e32 v10, 0x3f7fffff, v10
	s_mov_b32 s4, 0x7f800000
	v_add_f32_e32 v10, v10, v10
	v_cmp_neq_f32_e64 s[2:3], s4, v9
	v_cndmask_b32_e64 v9, 0, v10, s[2:3]
	v_cmp_gt_f32_e64 s[2:3], |v4|, 1.0
	v_cndmask_b32_e64 v9, |v4|, v9, s[2:3]
	v_add_f32_e32 v10, v9, v9
	v_rndne_f32_e32 v10, v10
	v_fmac_f32_e32 v9, -0.5, v10
	v_mul_f32_e32 v11, v9, v9
	v_mov_b32_e32 v12, 0xbf1f24be
	v_fmac_f32_e32 v12, 0x3e75aa41, v11
	v_mov_b32_e32 v13, 0x40234736
	v_fmac_f32_e32 v13, v11, v12
	;; [unrolled: 2-line block ×3, first 2 shown]
	v_mul_f32_e32 v13, v9, v11
	v_mul_f32_e32 v12, v13, v12
	v_fmac_f32_e32 v12, 0x40490fdb, v9
	v_mov_b32_e32 v9, 0x3e642e9d
	v_cvt_i32_f32_e32 v10, v10
	v_fmac_f32_e32 v9, 0x3d4be544, v11
	v_mov_b32_e32 v13, 0xbfaad1da
	v_fmac_f32_e32 v13, v11, v9
	v_mov_b32_e32 v9, 0x4081e0d3
	;; [unrolled: 2-line block ×3, first 2 shown]
	v_fmac_f32_e32 v13, v11, v9
	v_fma_f32 v9, v11, v13, 1.0
	v_and_b32_e32 v11, 1, v10
	v_cmp_eq_u32_e64 s[2:3], 0, v11
	v_cndmask_b32_e64 v9, v9, v12, s[2:3]
	v_lshlrev_b32_e32 v10, 30, v10
	s_brev_b32 s2, 1
	v_and_or_b32 v6, v10, s2, v6
	v_xor_b32_e32 v6, v6, v9
	v_xor_b32_e32 v6, v6, v4
	v_mul_f32_e32 v6, v4, v6
	v_frexp_mant_f32_e64 v9, |v6|
	v_rcp_f32_e32 v9, v9
	v_frexp_exp_i32_f32_e32 v6, v6
	v_sub_u32_e32 v6, 2, v6
	s_mov_b32 s2, 0x800000
	v_mul_f32_e32 v9, 0x3f490fdb, v9
	v_ldexp_f32 v6, v9, v6
	v_cmp_gt_f32_e64 s[2:3], s2, v6
	v_cndmask_b32_e64 v9, 0, 32, s[2:3]
	v_ldexp_f32 v6, v6, v9
	v_log_f32_e32 v6, v6
	s_mov_b32 s5, 0x3f317217
	v_mul_f32_e32 v9, 0x3f317217, v6
	v_fma_f32 v10, v6, s5, -v9
	v_fmac_f32_e32 v10, 0x3377d1cf, v6
	v_add_f32_e32 v9, v9, v10
	v_cmp_lt_f32_e64 s[4:5], |v6|, s4
	v_cndmask_b32_e64 v6, v6, v9, s[4:5]
	v_mov_b32_e32 v9, 0x41b17218
	v_cndmask_b32_e64 v9, 0, v9, s[2:3]
	v_sub_f32_e32 v6, v6, v9
	v_sub_f32_e32 v6, v6, v8
	v_floor_f32_e32 v8, v4
	v_sub_f32_e32 v8, v4, v8
	v_min_f32_e32 v8, 0x3f7fffff, v8
	v_mov_b32_e32 v9, 0x7f800000
	v_cmp_neq_f32_e64 s[2:3], 0, v8
	v_cndmask_b32_e64 v8, v9, v6, s[2:3]
.LBB161_124:
	s_or_b64 exec, exec, s[12:13]
.LBB161_125:
	s_andn2_saveexec_b64 s[10:11], s[10:11]
; %bb.126:
	v_cmp_eq_f32_e64 s[2:3], 1.0, v4
	v_cmp_eq_f32_e64 s[4:5], 2.0, v4
	s_or_b64 s[2:3], s[2:3], s[4:5]
	v_cndmask_b32_e64 v8, v8, 0, s[2:3]
; %bb.127:
	s_or_b64 exec, exec, s[10:11]
	s_mov_b32 s2, 0x4b000000
	v_cmp_lt_f32_e64 s[2:3], |v4|, s2
	v_mov_b32_e32 v6, 0x264
	v_mov_b32_e32 v9, 0x7f800000
	s_or_b64 vcc, vcc, s[2:3]
	v_cndmask_b32_e32 v8, v9, v8, vcc
	v_cmp_class_f32_e32 vcc, v4, v6
	v_cndmask_b32_e32 v6, v8, v9, vcc
	v_cmp_u_f32_e32 vcc, v4, v4
	v_cndmask_b32_e32 v4, v6, v4, vcc
	v_bfe_u32 v6, v4, 16, 1
	s_movk_i32 s2, 0x7fff
	v_add3_u32 v6, v4, v6, s2
	v_cmp_o_f32_e32 vcc, v4, v4
	v_mov_b32_e32 v4, 0x7fc0
	v_cndmask_b32_sdwa v6, v4, v6, vcc dst_sel:DWORD dst_unused:UNUSED_PAD src0_sel:DWORD src1_sel:WORD_1
.LBB161_128:
	s_or_b64 exec, exec, s[6:7]
	v_or_b32_e32 v4, 0x300, v0
	v_cmp_gt_i32_e32 vcc, s17, v4
                                        ; implicit-def: $vgpr4
	s_and_saveexec_b64 s[6:7], vcc
	s_cbranch_execnz .LBB161_134
; %bb.129:
	s_or_b64 exec, exec, s[6:7]
	s_and_saveexec_b64 s[2:3], s[0:1]
	s_xor_b64 s[0:1], exec, s[2:3]
	s_cbranch_execnz .LBB161_173
.LBB161_130:
	s_or_b64 exec, exec, s[0:1]
	v_cmp_gt_i32_e32 vcc, s17, v0
	s_and_saveexec_b64 s[0:1], vcc
	s_cbranch_execnz .LBB161_174
.LBB161_131:
	s_or_b64 exec, exec, s[0:1]
	v_cmp_gt_i32_e32 vcc, s17, v0
	s_and_saveexec_b64 s[0:1], vcc
	s_cbranch_execnz .LBB161_175
.LBB161_132:
	s_or_b64 exec, exec, s[0:1]
	v_cmp_gt_i32_e32 vcc, s17, v0
	s_and_saveexec_b64 s[0:1], vcc
	s_cbranch_execnz .LBB161_176
.LBB161_133:
	s_endpgm
.LBB161_134:
	s_mov_b32 s2, 0x3c800000
	v_and_b32_e32 v4, 0x7fffffff, v2
	v_cmp_nlt_f32_e64 s[2:3], |v2|, s2
                                        ; implicit-def: $vgpr8
	s_and_saveexec_b64 s[4:5], s[2:3]
	s_xor_b64 s[4:5], exec, s[4:5]
	s_cbranch_execz .LBB161_164
; %bb.135:
	v_cmp_nlt_f32_e64 s[2:3], |v2|, 2.0
                                        ; implicit-def: $vgpr8
	s_and_saveexec_b64 s[10:11], s[2:3]
	s_xor_b64 s[10:11], exec, s[10:11]
	s_cbranch_execz .LBB161_145
; %bb.136:
	s_mov_b32 s2, 0x41000000
	v_cmp_nlt_f32_e64 s[2:3], |v2|, s2
                                        ; implicit-def: $vgpr8
	s_and_saveexec_b64 s[12:13], s[2:3]
	s_xor_b64 s[12:13], exec, s[12:13]
	s_cbranch_execz .LBB161_142
; %bb.137:
	s_mov_b32 s2, 0x5c800000
	v_cmp_nlt_f32_e64 s[2:3], |v2|, s2
                                        ; implicit-def: $vgpr8
	s_and_saveexec_b64 s[14:15], s[2:3]
	s_xor_b64 s[14:15], exec, s[14:15]
	s_cbranch_execz .LBB161_139
; %bb.138:
	s_mov_b32 s2, 0x800000
	v_cmp_lt_f32_e64 vcc, |v2|, s2
	v_cndmask_b32_e64 v8, 0, 32, vcc
	v_ldexp_f32 v8, |v2|, v8
	v_log_f32_e32 v8, v8
	s_mov_b32 s2, 0x3f317217
	s_mov_b32 s3, 0x7f800000
	v_mul_f32_e32 v9, 0x3f317217, v8
	v_fma_f32 v10, v8, s2, -v9
	v_fmac_f32_e32 v10, 0x3377d1cf, v8
	v_add_f32_e32 v9, v9, v10
	v_cmp_lt_f32_e64 s[2:3], |v8|, s3
	v_cndmask_b32_e64 v8, v8, v9, s[2:3]
	v_mov_b32_e32 v9, 0x41b17218
	v_cndmask_b32_e32 v9, 0, v9, vcc
	v_sub_f32_e32 v8, v8, v9
	v_fma_f32 v8, |v2|, v8, -|v2|
.LBB161_139:
	s_andn2_saveexec_b64 s[14:15], s[14:15]
	s_cbranch_execz .LBB161_141
; %bb.140:
	v_rcp_f32_e64 v9, |v2|
	v_mov_b32_e32 v8, 0x3a5b3dd2
	v_mov_b32_e32 v10, 0xba1c065c
	;; [unrolled: 1-line block ×3, first 2 shown]
	v_mul_f32_e32 v12, v9, v9
	v_fmac_f32_e32 v8, 0xbad5c4e8, v12
	v_fmac_f32_e32 v10, v12, v8
	s_mov_b32 s2, 0x800000
	v_fmac_f32_e32 v11, v12, v10
	v_mov_b32_e32 v8, 0xbb360b61
	v_cmp_lt_f32_e64 vcc, |v2|, s2
	v_fmac_f32_e32 v8, v12, v11
	v_cndmask_b32_e64 v11, 0, 32, vcc
	v_ldexp_f32 v11, |v2|, v11
	v_log_f32_e32 v11, v11
	v_mov_b32_e32 v10, 0x3daaaaab
	v_fmac_f32_e32 v10, v12, v8
	v_mov_b32_e32 v8, 0x3ed67f1d
	v_fmac_f32_e32 v8, v9, v10
	s_mov_b32 s2, 0x3f317217
	v_mul_f32_e32 v10, 0x3f317217, v11
	v_fma_f32 v12, v11, s2, -v10
	v_fmac_f32_e32 v12, 0x3377d1cf, v11
	s_mov_b32 s2, 0x7f800000
	v_add_f32_e32 v10, v10, v12
	v_cmp_lt_f32_e64 s[2:3], |v11|, s2
	v_cndmask_b32_e64 v10, v11, v10, s[2:3]
	v_mov_b32_e32 v11, 0x41b17218
	v_cndmask_b32_e32 v11, 0, v11, vcc
	v_sub_f32_e32 v10, v10, v11
	v_add_f32_e64 v9, |v2|, -0.5
	v_add_f32_e32 v10, -1.0, v10
	v_fmac_f32_e32 v8, v9, v10
.LBB161_141:
	s_or_b64 exec, exec, s[14:15]
.LBB161_142:
	s_andn2_saveexec_b64 s[12:13], s[12:13]
	s_cbranch_execz .LBB161_144
; %bb.143:
	v_cvt_i32_f32_e32 v8, v4
	v_mov_b32_e32 v9, 0x3af135b4
	v_mov_b32_e32 v10, 0x3cda40e4
	;; [unrolled: 1-line block ×3, first 2 shown]
	v_cvt_f32_i32_e32 v12, v8
	v_mov_b32_e32 v13, 0x3ea6cc7a
	v_mov_b32_e32 v14, 0x3e5c245a
	v_cmp_lt_i32_e32 vcc, 2, v8
	v_sub_f32_e64 v12, |v2|, v12
	v_fmac_f32_e32 v9, 0x3805ff67, v12
	v_fmac_f32_e32 v10, v12, v9
	;; [unrolled: 1-line block ×3, first 2 shown]
	v_mov_b32_e32 v10, 0x3a4beed6
	v_fmac_f32_e32 v13, v12, v11
	v_fmac_f32_e32 v10, 0x36f5d7bd, v12
	v_mov_b32_e32 v11, 0x3c98bf54
	v_fmac_f32_e32 v11, v12, v10
	v_mov_b32_e32 v10, 0x3e300f6e
	;; [unrolled: 2-line block ×4, first 2 shown]
	v_fmac_f32_e32 v10, v12, v11
	v_add_f32_e32 v11, 2.0, v12
	v_mov_b32_e32 v15, 0xbd9e233f
	v_fmac_f32_e32 v14, v12, v13
	v_add_f32_e32 v13, 0x40400000, v12
	v_cndmask_b32_e32 v11, 1.0, v11, vcc
	v_cmp_lt_i32_e32 vcc, 3, v8
	v_fmac_f32_e32 v15, v12, v14
	v_add_f32_e32 v14, 4.0, v12
	v_cndmask_b32_e32 v13, 1.0, v13, vcc
	v_cmp_lt_i32_e32 vcc, 4, v8
	v_mul_f32_e32 v9, v12, v15
	v_add_f32_e32 v15, 0x40a00000, v12
	v_mul_f32_e32 v11, v11, v13
	v_cndmask_b32_e32 v13, 1.0, v14, vcc
	v_cmp_lt_i32_e32 vcc, 5, v8
	v_add_f32_e32 v16, 0x40c00000, v12
	v_mul_f32_e32 v11, v13, v11
	v_cndmask_b32_e32 v13, 1.0, v15, vcc
	v_cmp_lt_i32_e32 vcc, 6, v8
	v_mul_f32_e32 v11, v13, v11
	v_cndmask_b32_e32 v8, 1.0, v16, vcc
	v_mul_f32_e32 v8, v8, v11
	s_mov_b32 s2, 0x800000
	v_cmp_gt_f32_e32 vcc, s2, v8
	v_cndmask_b32_e64 v11, 0, 32, vcc
	v_fma_f32 v10, v12, v10, 1.0
	v_ldexp_f32 v8, v8, v11
	v_rcp_f32_e32 v10, v10
	v_log_f32_e32 v8, v8
	s_mov_b32 s2, 0x3f317217
	v_mul_f32_e32 v9, v9, v10
	v_mul_f32_e32 v10, 0x3f317217, v8
	v_fma_f32 v11, v8, s2, -v10
	v_fmac_f32_e32 v11, 0x3377d1cf, v8
	s_mov_b32 s2, 0x7f800000
	v_add_f32_e32 v10, v10, v11
	v_cmp_lt_f32_e64 s[2:3], |v8|, s2
	v_cndmask_b32_e64 v8, v8, v10, s[2:3]
	v_mov_b32_e32 v10, 0x41b17218
	v_cndmask_b32_e32 v10, 0, v10, vcc
	v_fmac_f32_e32 v9, 0.5, v12
	v_sub_f32_e32 v8, v8, v10
	v_add_f32_e32 v8, v8, v9
.LBB161_144:
	s_or_b64 exec, exec, s[12:13]
.LBB161_145:
	s_andn2_saveexec_b64 s[10:11], s[10:11]
	s_cbranch_execz .LBB161_163
; %bb.146:
	s_mov_b32 s2, 0x3f666666
	v_cmp_le_f32_e64 s[2:3], |v2|, s2
                                        ; implicit-def: $vgpr8
                                        ; implicit-def: $vgpr10
                                        ; implicit-def: $vgpr9
	s_and_saveexec_b64 s[12:13], s[2:3]
	s_xor_b64 s[12:13], exec, s[12:13]
	s_cbranch_execz .LBB161_148
; %bb.147:
	s_mov_b32 s2, 0x800000
	v_cmp_lt_f32_e64 vcc, |v2|, s2
	v_cndmask_b32_e64 v8, 0, 32, vcc
	v_ldexp_f32 v8, |v2|, v8
	v_log_f32_e32 v8, v8
	s_mov_b32 s2, 0x3f317217
	s_mov_b32 s3, 0x7f800000
	v_mul_f32_e32 v9, 0x3f317217, v8
	v_fma_f32 v10, v8, s2, -v9
	v_fmac_f32_e32 v10, 0x3377d1cf, v8
	v_add_f32_e32 v9, v9, v10
	v_cmp_lt_f32_e64 s[2:3], |v8|, s3
	v_cndmask_b32_e64 v8, v8, v9, s[2:3]
	v_mov_b32_e32 v9, 0x41b17218
	v_cndmask_b32_e32 v9, 0, v9, vcc
	s_mov_b32 s2, 0x3f3b4a23
	s_mov_b32 s3, 0xbeec5b0c
	v_sub_f32_e32 v8, v8, v9
	v_sub_f32_e64 v9, 1.0, |v2|
	v_add_f32_e64 v10, |v2|, s3
	v_cmp_lt_f32_e64 vcc, |v2|, s2
	s_mov_b32 s2, 0x3e6d3309
	v_cndmask_b32_e32 v9, v9, v10, vcc
	v_cndmask_b32_e64 v10, 0, 1, vcc
	v_cmp_lt_f32_e64 s[2:3], |v2|, s2
	v_xor_b32_e32 v8, 0x80000000, v8
	v_cndmask_b32_e64 v9, v9, |v2|, s[2:3]
	v_cndmask_b32_e64 v10, v10, 2, s[2:3]
.LBB161_148:
	s_andn2_saveexec_b64 s[2:3], s[12:13]
	s_cbranch_execz .LBB161_150
; %bb.149:
	s_mov_b32 s12, 0x3fdda512
	s_mov_b32 s13, 0xbfbb16c3
	v_sub_f32_e64 v8, 2.0, |v2|
	v_add_f32_e64 v9, |v2|, s13
	v_cmp_lt_f32_e64 vcc, |v2|, s12
	v_cndmask_b32_e32 v9, v8, v9, vcc
	v_cndmask_b32_e64 v8, v8, 1.0, vcc
	v_cvt_i32_f32_e32 v8, v8
	s_mov_b32 s12, 0x3f9d70a4
	v_add_f32_e64 v10, |v2|, -1.0
	v_cmp_lt_f32_e64 vcc, |v2|, s12
	v_cndmask_b32_e32 v9, v9, v10, vcc
	v_cndmask_b32_e64 v10, v8, 2, vcc
	v_mov_b32_e32 v8, 0
.LBB161_150:
	s_or_b64 exec, exec, s[2:3]
	v_cmp_lt_i32_e32 vcc, 0, v10
	s_and_saveexec_b64 s[2:3], vcc
	s_xor_b64 s[2:3], exec, s[2:3]
	s_cbranch_execz .LBB161_158
; %bb.151:
	v_cmp_lt_i32_e32 vcc, 1, v10
	s_and_saveexec_b64 s[12:13], vcc
	s_xor_b64 s[12:13], exec, s[12:13]
	s_cbranch_execz .LBB161_155
; %bb.152:
	v_cmp_eq_u32_e32 vcc, 2, v10
	s_and_saveexec_b64 s[14:15], vcc
	s_cbranch_execz .LBB161_154
; %bb.153:
	v_mov_b32_e32 v10, 0x3e6a7578
	v_fmac_f32_e32 v10, 0x3c5b3c5e, v9
	v_mov_b32_e32 v11, 0x3f7a4bb2
	v_fmac_f32_e32 v11, v9, v10
	;; [unrolled: 2-line block ×8, first 2 shown]
	v_fma_f32 v10, v9, v12, 1.0
	v_rcp_f32_e32 v10, v10
	v_mov_b32_e32 v12, 0xbd9e233f
	v_fmac_f32_e32 v12, v9, v11
	v_mul_f32_e32 v11, v9, v12
	v_mul_f32_e32 v10, v11, v10
	v_fmac_f32_e32 v10, -0.5, v9
	v_add_f32_e32 v8, v8, v10
.LBB161_154:
	s_or_b64 exec, exec, s[14:15]
                                        ; implicit-def: $vgpr9
.LBB161_155:
	s_andn2_saveexec_b64 s[12:13], s[12:13]
	s_cbranch_execz .LBB161_157
; %bb.156:
	v_mul_f32_e32 v10, v9, v9
	v_mul_f32_e32 v11, v9, v10
	v_mov_b32_e32 v12, 0xbab7f476
	v_fmac_f32_e32 v12, 0x39a57b6b, v11
	v_mov_b32_e32 v13, 0x3bc7e707
	v_fmac_f32_e32 v13, v11, v12
	;; [unrolled: 2-line block ×12, first 2 shown]
	v_fmac_f32_e32 v14, v9, v15
	s_mov_b32 s14, 0xa2863e55
	v_fma_f32 v9, v11, -v14, s14
	v_fma_f32 v9, v10, v13, -v9
	v_add_f32_e32 v9, 0xbdf8cdce, v9
	v_add_f32_e32 v8, v8, v9
.LBB161_157:
	s_or_b64 exec, exec, s[12:13]
                                        ; implicit-def: $vgpr10
                                        ; implicit-def: $vgpr9
.LBB161_158:
	s_andn2_saveexec_b64 s[2:3], s[2:3]
	s_cbranch_execz .LBB161_162
; %bb.159:
	v_cmp_eq_u32_e32 vcc, 0, v10
	s_and_saveexec_b64 s[12:13], vcc
	s_cbranch_execz .LBB161_161
; %bb.160:
	v_mul_f32_e32 v10, v9, v9
	v_mov_b32_e32 v11, 0x39679767
	v_fmac_f32_e32 v11, 0x37d383a2, v10
	v_mov_b32_e32 v12, 0x3a9c54a1
	v_fmac_f32_e32 v12, v10, v11
	;; [unrolled: 2-line block ×10, first 2 shown]
	v_mul_f32_e32 v10, v10, v12
	v_fmac_f32_e32 v10, v9, v11
	v_fmac_f32_e32 v10, -0.5, v9
	v_add_f32_e32 v8, v8, v10
.LBB161_161:
	s_or_b64 exec, exec, s[12:13]
.LBB161_162:
	s_or_b64 exec, exec, s[2:3]
.LBB161_163:
	s_or_b64 exec, exec, s[10:11]
.LBB161_164:
	s_andn2_saveexec_b64 s[4:5], s[4:5]
	s_cbranch_execz .LBB161_166
; %bb.165:
	s_mov_b32 s2, 0x3e8a8991
	v_mov_b32_e32 v8, 0xbecd26ab
	v_fma_f32 v8, |v2|, s2, v8
	s_mov_b32 s2, 0x3f528d33
	v_fma_f32 v8, |v2|, v8, s2
	s_mov_b32 s2, 0x800000
	v_cmp_lt_f32_e64 vcc, |v2|, s2
	v_cndmask_b32_e64 v9, 0, 32, vcc
	v_ldexp_f32 v9, |v2|, v9
	v_log_f32_e32 v9, v9
	s_mov_b32 s2, 0xbf13c468
	v_fma_f32 v8, |v2|, v8, s2
	s_mov_b32 s2, 0x3f317217
	v_mul_f32_e32 v10, 0x3f317217, v9
	v_fma_f32 v11, v9, s2, -v10
	v_fmac_f32_e32 v11, 0x3377d1cf, v9
	s_mov_b32 s2, 0x7f800000
	v_add_f32_e32 v10, v10, v11
	v_cmp_lt_f32_e64 s[2:3], |v9|, s2
	v_cndmask_b32_e64 v9, v9, v10, s[2:3]
	v_mov_b32_e32 v10, 0x41b17218
	v_cndmask_b32_e32 v10, 0, v10, vcc
	v_sub_f32_e32 v9, v9, v10
	v_fma_f32 v8, |v2|, v8, -v9
.LBB161_166:
	s_or_b64 exec, exec, s[4:5]
	v_cmp_le_f32_e32 vcc, 0, v2
	v_cmp_nle_f32_e64 s[2:3], 0, v2
	s_and_saveexec_b64 s[4:5], s[2:3]
	s_xor_b64 s[10:11], exec, s[4:5]
	s_cbranch_execz .LBB161_170
; %bb.167:
	s_mov_b32 s2, 0x4b000000
	s_mov_b32 s4, 0x35000000
	v_cmp_lt_f32_e64 s[2:3], |v2|, s2
	v_cmp_gt_f32_e64 s[4:5], |v2|, s4
	s_and_b64 s[2:3], s[2:3], s[4:5]
	s_and_saveexec_b64 s[12:13], s[2:3]
	s_cbranch_execz .LBB161_169
; %bb.168:
	v_mul_f32_e64 v9, |v2|, 0.5
	v_floor_f32_e32 v10, v9
	v_sub_f32_e32 v10, v9, v10
	v_min_f32_e32 v10, 0x3f7fffff, v10
	s_mov_b32 s4, 0x7f800000
	v_add_f32_e32 v10, v10, v10
	v_cmp_neq_f32_e64 s[2:3], s4, v9
	v_cndmask_b32_e64 v9, 0, v10, s[2:3]
	v_cmp_gt_f32_e64 s[2:3], |v2|, 1.0
	v_cndmask_b32_e64 v9, |v2|, v9, s[2:3]
	v_add_f32_e32 v10, v9, v9
	v_rndne_f32_e32 v10, v10
	v_fmac_f32_e32 v9, -0.5, v10
	v_mul_f32_e32 v11, v9, v9
	v_mov_b32_e32 v12, 0xbf1f24be
	v_fmac_f32_e32 v12, 0x3e75aa41, v11
	v_mov_b32_e32 v13, 0x40234736
	v_fmac_f32_e32 v13, v11, v12
	;; [unrolled: 2-line block ×3, first 2 shown]
	v_mul_f32_e32 v13, v9, v11
	v_mul_f32_e32 v12, v13, v12
	v_fmac_f32_e32 v12, 0x40490fdb, v9
	v_mov_b32_e32 v9, 0x3e642e9d
	v_cvt_i32_f32_e32 v10, v10
	v_fmac_f32_e32 v9, 0x3d4be544, v11
	v_mov_b32_e32 v13, 0xbfaad1da
	v_fmac_f32_e32 v13, v11, v9
	v_mov_b32_e32 v9, 0x4081e0d3
	;; [unrolled: 2-line block ×3, first 2 shown]
	v_fmac_f32_e32 v13, v11, v9
	v_fma_f32 v9, v11, v13, 1.0
	v_and_b32_e32 v11, 1, v10
	v_cmp_eq_u32_e64 s[2:3], 0, v11
	v_cndmask_b32_e64 v9, v9, v12, s[2:3]
	v_lshlrev_b32_e32 v10, 30, v10
	s_brev_b32 s2, 1
	v_and_or_b32 v4, v10, s2, v4
	v_xor_b32_e32 v4, v4, v9
	v_xor_b32_e32 v4, v4, v2
	v_mul_f32_e32 v4, v2, v4
	v_frexp_mant_f32_e64 v9, |v4|
	v_rcp_f32_e32 v9, v9
	v_frexp_exp_i32_f32_e32 v4, v4
	v_sub_u32_e32 v4, 2, v4
	s_mov_b32 s2, 0x800000
	v_mul_f32_e32 v9, 0x3f490fdb, v9
	v_ldexp_f32 v4, v9, v4
	v_cmp_gt_f32_e64 s[2:3], s2, v4
	v_cndmask_b32_e64 v9, 0, 32, s[2:3]
	v_ldexp_f32 v4, v4, v9
	v_log_f32_e32 v4, v4
	s_mov_b32 s5, 0x3f317217
	v_mul_f32_e32 v9, 0x3f317217, v4
	v_fma_f32 v10, v4, s5, -v9
	v_fmac_f32_e32 v10, 0x3377d1cf, v4
	v_add_f32_e32 v9, v9, v10
	v_cmp_lt_f32_e64 s[4:5], |v4|, s4
	v_cndmask_b32_e64 v4, v4, v9, s[4:5]
	v_mov_b32_e32 v9, 0x41b17218
	v_cndmask_b32_e64 v9, 0, v9, s[2:3]
	v_sub_f32_e32 v4, v4, v9
	v_sub_f32_e32 v4, v4, v8
	v_floor_f32_e32 v8, v2
	v_sub_f32_e32 v8, v2, v8
	v_min_f32_e32 v8, 0x3f7fffff, v8
	v_mov_b32_e32 v9, 0x7f800000
	v_cmp_neq_f32_e64 s[2:3], 0, v8
	v_cndmask_b32_e64 v8, v9, v4, s[2:3]
.LBB161_169:
	s_or_b64 exec, exec, s[12:13]
.LBB161_170:
	s_andn2_saveexec_b64 s[10:11], s[10:11]
; %bb.171:
	v_cmp_eq_f32_e64 s[2:3], 1.0, v2
	v_cmp_eq_f32_e64 s[4:5], 2.0, v2
	s_or_b64 s[2:3], s[2:3], s[4:5]
	v_cndmask_b32_e64 v8, v8, 0, s[2:3]
; %bb.172:
	s_or_b64 exec, exec, s[10:11]
	s_mov_b32 s2, 0x4b000000
	v_cmp_lt_f32_e64 s[2:3], |v2|, s2
	v_mov_b32_e32 v4, 0x264
	v_mov_b32_e32 v9, 0x7f800000
	s_or_b64 vcc, vcc, s[2:3]
	v_cndmask_b32_e32 v8, v9, v8, vcc
	v_cmp_class_f32_e32 vcc, v2, v4
	v_cndmask_b32_e32 v4, v8, v9, vcc
	v_cmp_u_f32_e32 vcc, v2, v2
	v_cndmask_b32_e32 v2, v4, v2, vcc
	v_bfe_u32 v4, v2, 16, 1
	s_movk_i32 s2, 0x7fff
	v_add3_u32 v4, v2, v4, s2
	v_cmp_o_f32_e32 vcc, v2, v2
	v_mov_b32_e32 v2, 0x7fc0
	v_cndmask_b32_sdwa v4, v2, v4, vcc dst_sel:DWORD dst_unused:UNUSED_PAD src0_sel:DWORD src1_sel:WORD_1
	s_or_b64 exec, exec, s[6:7]
	s_and_saveexec_b64 s[2:3], s[0:1]
	s_xor_b64 s[0:1], exec, s[2:3]
	s_cbranch_execz .LBB161_130
.LBB161_173:
	v_mov_b32_e32 v2, 0
	v_lshlrev_b64 v[0:1], 1, v[1:2]
	v_mov_b32_e32 v2, s9
	v_add_co_u32_e32 v0, vcc, s8, v0
	v_addc_co_u32_e32 v1, vcc, v2, v1, vcc
	global_store_short v[0:1], v3, off
	v_mov_b32_e32 v0, v5
	s_or_b64 exec, exec, s[0:1]
	v_cmp_gt_i32_e32 vcc, s17, v0
	s_and_saveexec_b64 s[0:1], vcc
	s_cbranch_execz .LBB161_131
.LBB161_174:
	v_add_u32_e32 v2, 0x100, v0
	v_add_u32_e32 v0, s16, v0
	v_mov_b32_e32 v1, 0
	v_lshlrev_b64 v[0:1], 1, v[0:1]
	v_mov_b32_e32 v3, s9
	v_add_co_u32_e32 v0, vcc, s8, v0
	v_addc_co_u32_e32 v1, vcc, v3, v1, vcc
	global_store_short v[0:1], v7, off
	v_mov_b32_e32 v0, v2
	s_or_b64 exec, exec, s[0:1]
	v_cmp_gt_i32_e32 vcc, s17, v0
	s_and_saveexec_b64 s[0:1], vcc
	s_cbranch_execz .LBB161_132
.LBB161_175:
	v_add_u32_e32 v2, 0x100, v0
	v_add_u32_e32 v0, s16, v0
	v_mov_b32_e32 v1, 0
	v_lshlrev_b64 v[0:1], 1, v[0:1]
	v_mov_b32_e32 v3, s9
	v_add_co_u32_e32 v0, vcc, s8, v0
	v_addc_co_u32_e32 v1, vcc, v3, v1, vcc
	global_store_short v[0:1], v6, off
	v_mov_b32_e32 v0, v2
	s_or_b64 exec, exec, s[0:1]
	v_cmp_gt_i32_e32 vcc, s17, v0
	s_and_saveexec_b64 s[0:1], vcc
	s_cbranch_execz .LBB161_133
.LBB161_176:
	v_add_u32_e32 v0, s16, v0
	v_mov_b32_e32 v1, 0
	v_lshlrev_b64 v[0:1], 1, v[0:1]
	v_mov_b32_e32 v2, s9
	v_add_co_u32_e32 v0, vcc, s8, v0
	v_addc_co_u32_e32 v1, vcc, v2, v1, vcc
	global_store_short v[0:1], v4, off
	s_endpgm
	.section	.rodata,"a",@progbits
	.p2align	6, 0x0
	.amdhsa_kernel _ZN2at6native27unrolled_elementwise_kernelIZZZNS0_18lgamma_kernel_cudaERNS_18TensorIteratorBaseEENKUlvE_clEvENKUlvE2_clEvEUlN3c108BFloat16EE_St5arrayIPcLm2EELi4E23TrivialOffsetCalculatorILi1EjESD_NS0_6memory15LoadWithoutCastENSE_16StoreWithoutCastEEEviT_T0_T2_T3_T4_T5_
		.amdhsa_group_segment_fixed_size 0
		.amdhsa_private_segment_fixed_size 0
		.amdhsa_kernarg_size 28
		.amdhsa_user_sgpr_count 6
		.amdhsa_user_sgpr_private_segment_buffer 1
		.amdhsa_user_sgpr_dispatch_ptr 0
		.amdhsa_user_sgpr_queue_ptr 0
		.amdhsa_user_sgpr_kernarg_segment_ptr 1
		.amdhsa_user_sgpr_dispatch_id 0
		.amdhsa_user_sgpr_flat_scratch_init 0
		.amdhsa_user_sgpr_private_segment_size 0
		.amdhsa_uses_dynamic_stack 0
		.amdhsa_system_sgpr_private_segment_wavefront_offset 0
		.amdhsa_system_sgpr_workgroup_id_x 1
		.amdhsa_system_sgpr_workgroup_id_y 0
		.amdhsa_system_sgpr_workgroup_id_z 0
		.amdhsa_system_sgpr_workgroup_info 0
		.amdhsa_system_vgpr_workitem_id 0
		.amdhsa_next_free_vgpr 17
		.amdhsa_next_free_sgpr 18
		.amdhsa_reserve_vcc 1
		.amdhsa_reserve_flat_scratch 0
		.amdhsa_float_round_mode_32 0
		.amdhsa_float_round_mode_16_64 0
		.amdhsa_float_denorm_mode_32 3
		.amdhsa_float_denorm_mode_16_64 3
		.amdhsa_dx10_clamp 1
		.amdhsa_ieee_mode 1
		.amdhsa_fp16_overflow 0
		.amdhsa_exception_fp_ieee_invalid_op 0
		.amdhsa_exception_fp_denorm_src 0
		.amdhsa_exception_fp_ieee_div_zero 0
		.amdhsa_exception_fp_ieee_overflow 0
		.amdhsa_exception_fp_ieee_underflow 0
		.amdhsa_exception_fp_ieee_inexact 0
		.amdhsa_exception_int_div_zero 0
	.end_amdhsa_kernel
	.section	.text._ZN2at6native27unrolled_elementwise_kernelIZZZNS0_18lgamma_kernel_cudaERNS_18TensorIteratorBaseEENKUlvE_clEvENKUlvE2_clEvEUlN3c108BFloat16EE_St5arrayIPcLm2EELi4E23TrivialOffsetCalculatorILi1EjESD_NS0_6memory15LoadWithoutCastENSE_16StoreWithoutCastEEEviT_T0_T2_T3_T4_T5_,"axG",@progbits,_ZN2at6native27unrolled_elementwise_kernelIZZZNS0_18lgamma_kernel_cudaERNS_18TensorIteratorBaseEENKUlvE_clEvENKUlvE2_clEvEUlN3c108BFloat16EE_St5arrayIPcLm2EELi4E23TrivialOffsetCalculatorILi1EjESD_NS0_6memory15LoadWithoutCastENSE_16StoreWithoutCastEEEviT_T0_T2_T3_T4_T5_,comdat
.Lfunc_end161:
	.size	_ZN2at6native27unrolled_elementwise_kernelIZZZNS0_18lgamma_kernel_cudaERNS_18TensorIteratorBaseEENKUlvE_clEvENKUlvE2_clEvEUlN3c108BFloat16EE_St5arrayIPcLm2EELi4E23TrivialOffsetCalculatorILi1EjESD_NS0_6memory15LoadWithoutCastENSE_16StoreWithoutCastEEEviT_T0_T2_T3_T4_T5_, .Lfunc_end161-_ZN2at6native27unrolled_elementwise_kernelIZZZNS0_18lgamma_kernel_cudaERNS_18TensorIteratorBaseEENKUlvE_clEvENKUlvE2_clEvEUlN3c108BFloat16EE_St5arrayIPcLm2EELi4E23TrivialOffsetCalculatorILi1EjESD_NS0_6memory15LoadWithoutCastENSE_16StoreWithoutCastEEEviT_T0_T2_T3_T4_T5_
                                        ; -- End function
	.set _ZN2at6native27unrolled_elementwise_kernelIZZZNS0_18lgamma_kernel_cudaERNS_18TensorIteratorBaseEENKUlvE_clEvENKUlvE2_clEvEUlN3c108BFloat16EE_St5arrayIPcLm2EELi4E23TrivialOffsetCalculatorILi1EjESD_NS0_6memory15LoadWithoutCastENSE_16StoreWithoutCastEEEviT_T0_T2_T3_T4_T5_.num_vgpr, 17
	.set _ZN2at6native27unrolled_elementwise_kernelIZZZNS0_18lgamma_kernel_cudaERNS_18TensorIteratorBaseEENKUlvE_clEvENKUlvE2_clEvEUlN3c108BFloat16EE_St5arrayIPcLm2EELi4E23TrivialOffsetCalculatorILi1EjESD_NS0_6memory15LoadWithoutCastENSE_16StoreWithoutCastEEEviT_T0_T2_T3_T4_T5_.num_agpr, 0
	.set _ZN2at6native27unrolled_elementwise_kernelIZZZNS0_18lgamma_kernel_cudaERNS_18TensorIteratorBaseEENKUlvE_clEvENKUlvE2_clEvEUlN3c108BFloat16EE_St5arrayIPcLm2EELi4E23TrivialOffsetCalculatorILi1EjESD_NS0_6memory15LoadWithoutCastENSE_16StoreWithoutCastEEEviT_T0_T2_T3_T4_T5_.numbered_sgpr, 18
	.set _ZN2at6native27unrolled_elementwise_kernelIZZZNS0_18lgamma_kernel_cudaERNS_18TensorIteratorBaseEENKUlvE_clEvENKUlvE2_clEvEUlN3c108BFloat16EE_St5arrayIPcLm2EELi4E23TrivialOffsetCalculatorILi1EjESD_NS0_6memory15LoadWithoutCastENSE_16StoreWithoutCastEEEviT_T0_T2_T3_T4_T5_.num_named_barrier, 0
	.set _ZN2at6native27unrolled_elementwise_kernelIZZZNS0_18lgamma_kernel_cudaERNS_18TensorIteratorBaseEENKUlvE_clEvENKUlvE2_clEvEUlN3c108BFloat16EE_St5arrayIPcLm2EELi4E23TrivialOffsetCalculatorILi1EjESD_NS0_6memory15LoadWithoutCastENSE_16StoreWithoutCastEEEviT_T0_T2_T3_T4_T5_.private_seg_size, 0
	.set _ZN2at6native27unrolled_elementwise_kernelIZZZNS0_18lgamma_kernel_cudaERNS_18TensorIteratorBaseEENKUlvE_clEvENKUlvE2_clEvEUlN3c108BFloat16EE_St5arrayIPcLm2EELi4E23TrivialOffsetCalculatorILi1EjESD_NS0_6memory15LoadWithoutCastENSE_16StoreWithoutCastEEEviT_T0_T2_T3_T4_T5_.uses_vcc, 1
	.set _ZN2at6native27unrolled_elementwise_kernelIZZZNS0_18lgamma_kernel_cudaERNS_18TensorIteratorBaseEENKUlvE_clEvENKUlvE2_clEvEUlN3c108BFloat16EE_St5arrayIPcLm2EELi4E23TrivialOffsetCalculatorILi1EjESD_NS0_6memory15LoadWithoutCastENSE_16StoreWithoutCastEEEviT_T0_T2_T3_T4_T5_.uses_flat_scratch, 0
	.set _ZN2at6native27unrolled_elementwise_kernelIZZZNS0_18lgamma_kernel_cudaERNS_18TensorIteratorBaseEENKUlvE_clEvENKUlvE2_clEvEUlN3c108BFloat16EE_St5arrayIPcLm2EELi4E23TrivialOffsetCalculatorILi1EjESD_NS0_6memory15LoadWithoutCastENSE_16StoreWithoutCastEEEviT_T0_T2_T3_T4_T5_.has_dyn_sized_stack, 0
	.set _ZN2at6native27unrolled_elementwise_kernelIZZZNS0_18lgamma_kernel_cudaERNS_18TensorIteratorBaseEENKUlvE_clEvENKUlvE2_clEvEUlN3c108BFloat16EE_St5arrayIPcLm2EELi4E23TrivialOffsetCalculatorILi1EjESD_NS0_6memory15LoadWithoutCastENSE_16StoreWithoutCastEEEviT_T0_T2_T3_T4_T5_.has_recursion, 0
	.set _ZN2at6native27unrolled_elementwise_kernelIZZZNS0_18lgamma_kernel_cudaERNS_18TensorIteratorBaseEENKUlvE_clEvENKUlvE2_clEvEUlN3c108BFloat16EE_St5arrayIPcLm2EELi4E23TrivialOffsetCalculatorILi1EjESD_NS0_6memory15LoadWithoutCastENSE_16StoreWithoutCastEEEviT_T0_T2_T3_T4_T5_.has_indirect_call, 0
	.section	.AMDGPU.csdata,"",@progbits
; Kernel info:
; codeLenInByte = 11212
; TotalNumSgprs: 22
; NumVgprs: 17
; ScratchSize: 0
; MemoryBound: 0
; FloatMode: 240
; IeeeMode: 1
; LDSByteSize: 0 bytes/workgroup (compile time only)
; SGPRBlocks: 2
; VGPRBlocks: 4
; NumSGPRsForWavesPerEU: 22
; NumVGPRsForWavesPerEU: 17
; Occupancy: 10
; WaveLimiterHint : 0
; COMPUTE_PGM_RSRC2:SCRATCH_EN: 0
; COMPUTE_PGM_RSRC2:USER_SGPR: 6
; COMPUTE_PGM_RSRC2:TRAP_HANDLER: 0
; COMPUTE_PGM_RSRC2:TGID_X_EN: 1
; COMPUTE_PGM_RSRC2:TGID_Y_EN: 0
; COMPUTE_PGM_RSRC2:TGID_Z_EN: 0
; COMPUTE_PGM_RSRC2:TIDIG_COMP_CNT: 0
	.section	.text._ZN2at6native32elementwise_kernel_manual_unrollILi128ELi8EZNS0_22gpu_kernel_impl_nocastIZZZNS0_18lgamma_kernel_cudaERNS_18TensorIteratorBaseEENKUlvE_clEvENKUlvE2_clEvEUlN3c108BFloat16EE_EEvS4_RKT_EUlibE_EEviT1_,"axG",@progbits,_ZN2at6native32elementwise_kernel_manual_unrollILi128ELi8EZNS0_22gpu_kernel_impl_nocastIZZZNS0_18lgamma_kernel_cudaERNS_18TensorIteratorBaseEENKUlvE_clEvENKUlvE2_clEvEUlN3c108BFloat16EE_EEvS4_RKT_EUlibE_EEviT1_,comdat
	.globl	_ZN2at6native32elementwise_kernel_manual_unrollILi128ELi8EZNS0_22gpu_kernel_impl_nocastIZZZNS0_18lgamma_kernel_cudaERNS_18TensorIteratorBaseEENKUlvE_clEvENKUlvE2_clEvEUlN3c108BFloat16EE_EEvS4_RKT_EUlibE_EEviT1_ ; -- Begin function _ZN2at6native32elementwise_kernel_manual_unrollILi128ELi8EZNS0_22gpu_kernel_impl_nocastIZZZNS0_18lgamma_kernel_cudaERNS_18TensorIteratorBaseEENKUlvE_clEvENKUlvE2_clEvEUlN3c108BFloat16EE_EEvS4_RKT_EUlibE_EEviT1_
	.p2align	8
	.type	_ZN2at6native32elementwise_kernel_manual_unrollILi128ELi8EZNS0_22gpu_kernel_impl_nocastIZZZNS0_18lgamma_kernel_cudaERNS_18TensorIteratorBaseEENKUlvE_clEvENKUlvE2_clEvEUlN3c108BFloat16EE_EEvS4_RKT_EUlibE_EEviT1_,@function
_ZN2at6native32elementwise_kernel_manual_unrollILi128ELi8EZNS0_22gpu_kernel_impl_nocastIZZZNS0_18lgamma_kernel_cudaERNS_18TensorIteratorBaseEENKUlvE_clEvENKUlvE2_clEvEUlN3c108BFloat16EE_EEvS4_RKT_EUlibE_EEviT1_: ; @_ZN2at6native32elementwise_kernel_manual_unrollILi128ELi8EZNS0_22gpu_kernel_impl_nocastIZZZNS0_18lgamma_kernel_cudaERNS_18TensorIteratorBaseEENKUlvE_clEvENKUlvE2_clEvEUlN3c108BFloat16EE_EEvS4_RKT_EUlibE_EEviT1_
; %bb.0:
	s_load_dword s55, s[4:5], 0x0
	s_load_dword s33, s[4:5], 0x8
	s_add_u32 s34, s4, 8
	s_addc_u32 s35, s5, 0
	v_lshl_or_b32 v7, s6, 10, v0
	v_or_b32_e32 v25, 0x380, v7
	s_waitcnt lgkmcnt(0)
	s_add_i32 s54, s33, -1
	s_cmp_gt_u32 s54, 1
	v_cmp_le_i32_e32 vcc, s55, v25
	s_cselect_b64 s[36:37], -1, 0
	s_and_saveexec_b64 s[0:1], vcc
	s_xor_b64 s[38:39], exec, s[0:1]
	s_cbranch_execz .LBB162_7
; %bb.1:
	s_load_dwordx4 s[24:27], s[34:35], 0x4
	s_load_dwordx2 s[40:41], s[34:35], 0x14
	s_load_dwordx4 s[20:23], s[34:35], 0xc4
	s_load_dwordx4 s[16:19], s[34:35], 0x148
	s_cmp_lg_u32 s33, 0
	s_cselect_b64 s[46:47], -1, 0
	s_add_u32 s44, s34, 0xc4
	s_addc_u32 s45, s35, 0
	s_min_u32 s56, s54, 15
	s_cmp_gt_u32 s33, 1
	s_cselect_b64 s[42:43], -1, 0
	v_cmp_gt_i32_e32 vcc, s55, v7
	s_and_saveexec_b64 s[48:49], vcc
	s_cbranch_execz .LBB162_14
; %bb.2:
	s_andn2_b64 vcc, exec, s[36:37]
	s_cbranch_vccnz .LBB162_21
; %bb.3:
	s_andn2_b64 vcc, exec, s[46:47]
	s_cbranch_vccnz .LBB162_433
; %bb.4:
	s_add_i32 s58, s56, 1
	s_cmp_eq_u32 s54, 2
	s_cbranch_scc1 .LBB162_435
; %bb.5:
	s_and_b32 s57, s58, 28
	v_mov_b32_e32 v2, 0
	s_mov_b32 s59, 0
	s_mov_b64 s[50:51], s[34:35]
	s_mov_b64 s[52:53], s[44:45]
	v_mov_b32_e32 v0, 0
	v_mov_b32_e32 v1, v7
.LBB162_6:                              ; =>This Inner Loop Header: Depth=1
	s_load_dwordx8 s[8:15], s[50:51], 0x4
	s_load_dwordx4 s[28:31], s[50:51], 0x24
	s_load_dwordx8 s[0:7], s[52:53], 0x0
	s_add_u32 s50, s50, 48
	s_addc_u32 s51, s51, 0
	s_waitcnt lgkmcnt(0)
	v_mul_hi_u32 v3, s9, v1
	s_add_i32 s59, s59, 4
	s_add_u32 s52, s52, 32
	s_addc_u32 s53, s53, 0
	v_add_u32_e32 v3, v1, v3
	v_lshrrev_b32_e32 v3, s10, v3
	v_mul_lo_u32 v4, v3, s8
	v_mul_hi_u32 v5, s12, v3
	s_cmp_lg_u32 s57, s59
	v_sub_u32_e32 v1, v1, v4
	v_add_u32_e32 v4, v3, v5
	v_mul_lo_u32 v5, v1, s0
	v_mul_lo_u32 v6, v1, s1
	v_lshrrev_b32_e32 v1, s13, v4
	v_mul_lo_u32 v4, v1, s11
	v_mul_hi_u32 v8, s15, v1
	v_sub_u32_e32 v3, v3, v4
	v_add_u32_e32 v4, v1, v8
	v_lshrrev_b32_e32 v4, s28, v4
	v_mul_hi_u32 v9, s30, v4
	v_mul_lo_u32 v10, v4, s14
	v_mul_lo_u32 v8, v3, s2
	;; [unrolled: 1-line block ×3, first 2 shown]
	v_sub_u32_e32 v10, v1, v10
	v_add_u32_e32 v1, v4, v9
	v_lshrrev_b32_e32 v1, s31, v1
	v_mul_lo_u32 v9, v1, s29
	v_mul_lo_u32 v11, v10, s4
	;; [unrolled: 1-line block ×3, first 2 shown]
	v_add3_u32 v0, v5, v0, v8
	v_sub_u32_e32 v4, v4, v9
	v_mul_lo_u32 v9, v4, s6
	v_mul_lo_u32 v4, v4, s7
	v_add3_u32 v2, v6, v2, v3
	v_add3_u32 v0, v11, v0, v9
	;; [unrolled: 1-line block ×3, first 2 shown]
	s_cbranch_scc1 .LBB162_6
	s_branch .LBB162_436
.LBB162_7:
	s_andn2_saveexec_b64 s[0:1], s[38:39]
	s_cbranch_execz .LBB162_753
.LBB162_8:
	v_cndmask_b32_e64 v0, 0, 1, s[36:37]
	v_cmp_ne_u32_e64 s[0:1], 1, v0
	s_andn2_b64 vcc, exec, s[36:37]
	s_cbranch_vccnz .LBB162_20
; %bb.9:
	s_cmp_lg_u32 s33, 0
	s_waitcnt lgkmcnt(0)
	s_mov_b32 s26, 0
	s_cbranch_scc0 .LBB162_23
; %bb.10:
	s_min_u32 s27, s54, 15
	s_add_i32 s27, s27, 1
	s_cmp_eq_u32 s54, 2
	s_cbranch_scc1 .LBB162_24
; %bb.11:
	s_and_b32 s26, s27, 28
	s_add_u32 s2, s34, 0xc4
	s_addc_u32 s3, s35, 0
	v_mov_b32_e32 v23, 0
	s_mov_b32 s28, 0
	s_mov_b64 s[24:25], s[34:35]
	v_mov_b32_e32 v0, 0
	v_mov_b32_e32 v1, v7
.LBB162_12:                             ; =>This Inner Loop Header: Depth=1
	s_load_dwordx8 s[12:19], s[24:25], 0x4
	s_load_dwordx4 s[20:23], s[24:25], 0x24
	s_load_dwordx8 s[4:11], s[2:3], 0x0
	s_add_u32 s24, s24, 48
	s_addc_u32 s25, s25, 0
	s_waitcnt lgkmcnt(0)
	v_mul_hi_u32 v2, s13, v1
	s_add_i32 s28, s28, 4
	s_add_u32 s2, s2, 32
	s_addc_u32 s3, s3, 0
	v_add_u32_e32 v2, v1, v2
	v_lshrrev_b32_e32 v2, s14, v2
	v_mul_lo_u32 v3, v2, s12
	v_mul_hi_u32 v4, s16, v2
	s_cmp_lg_u32 s26, s28
	v_sub_u32_e32 v1, v1, v3
	v_add_u32_e32 v3, v2, v4
	v_mul_lo_u32 v4, v1, s4
	v_mul_lo_u32 v5, v1, s5
	v_lshrrev_b32_e32 v1, s17, v3
	v_mul_lo_u32 v3, v1, s15
	v_mul_hi_u32 v6, s19, v1
	v_sub_u32_e32 v2, v2, v3
	v_add_u32_e32 v3, v1, v6
	v_lshrrev_b32_e32 v3, s20, v3
	v_mul_hi_u32 v8, s22, v3
	v_mul_lo_u32 v9, v3, s18
	v_mul_lo_u32 v6, v2, s6
	v_mul_lo_u32 v2, v2, s7
	v_sub_u32_e32 v9, v1, v9
	v_add_u32_e32 v1, v3, v8
	v_lshrrev_b32_e32 v1, s23, v1
	v_mul_lo_u32 v8, v1, s21
	v_mul_lo_u32 v10, v9, s8
	;; [unrolled: 1-line block ×3, first 2 shown]
	v_add3_u32 v0, v4, v0, v6
	v_sub_u32_e32 v3, v3, v8
	v_mul_lo_u32 v8, v3, s10
	v_mul_lo_u32 v3, v3, s11
	v_add3_u32 v2, v5, v23, v2
	v_add3_u32 v0, v10, v0, v8
	;; [unrolled: 1-line block ×3, first 2 shown]
	s_cbranch_scc1 .LBB162_12
; %bb.13:
	s_and_b32 s6, s27, 3
	s_cmp_eq_u32 s6, 0
	s_cbranch_scc0 .LBB162_25
	s_branch .LBB162_27
.LBB162_14:
	s_or_b64 exec, exec, s[48:49]
	v_cmp_gt_i32_e32 vcc, s55, v7
	s_and_saveexec_b64 s[48:49], vcc
	s_cbranch_execz .LBB162_481
.LBB162_15:
	s_andn2_b64 vcc, exec, s[36:37]
	s_cbranch_vccnz .LBB162_22
; %bb.16:
	s_andn2_b64 vcc, exec, s[46:47]
	s_cbranch_vccnz .LBB162_434
; %bb.17:
	s_add_i32 s58, s56, 1
	s_cmp_eq_u32 s54, 2
	s_cbranch_scc1 .LBB162_489
; %bb.18:
	s_and_b32 s57, s58, 28
	v_mov_b32_e32 v2, 0
	s_mov_b32 s59, 0
	s_mov_b64 s[50:51], s[34:35]
	s_mov_b64 s[52:53], s[44:45]
	v_mov_b32_e32 v0, 0
	v_mov_b32_e32 v1, v7
.LBB162_19:                             ; =>This Inner Loop Header: Depth=1
	s_load_dwordx8 s[8:15], s[50:51], 0x4
	s_load_dwordx4 s[28:31], s[50:51], 0x24
	s_load_dwordx8 s[0:7], s[52:53], 0x0
	s_add_u32 s50, s50, 48
	s_addc_u32 s51, s51, 0
	s_waitcnt lgkmcnt(0)
	v_mul_hi_u32 v3, s9, v1
	s_add_i32 s59, s59, 4
	s_add_u32 s52, s52, 32
	s_addc_u32 s53, s53, 0
	v_add_u32_e32 v3, v1, v3
	v_lshrrev_b32_e32 v3, s10, v3
	v_mul_lo_u32 v4, v3, s8
	v_mul_hi_u32 v5, s12, v3
	s_cmp_eq_u32 s57, s59
	v_sub_u32_e32 v1, v1, v4
	v_add_u32_e32 v4, v3, v5
	v_mul_lo_u32 v5, v1, s0
	v_mul_lo_u32 v6, v1, s1
	v_lshrrev_b32_e32 v1, s13, v4
	v_mul_lo_u32 v4, v1, s11
	v_mul_hi_u32 v8, s15, v1
	v_sub_u32_e32 v3, v3, v4
	v_add_u32_e32 v4, v1, v8
	v_lshrrev_b32_e32 v4, s28, v4
	v_mul_hi_u32 v9, s30, v4
	v_mul_lo_u32 v10, v4, s14
	v_mul_lo_u32 v8, v3, s2
	v_mul_lo_u32 v3, v3, s3
	v_sub_u32_e32 v10, v1, v10
	v_add_u32_e32 v1, v4, v9
	v_lshrrev_b32_e32 v1, s31, v1
	v_mul_lo_u32 v9, v1, s29
	v_mul_lo_u32 v11, v10, s4
	;; [unrolled: 1-line block ×3, first 2 shown]
	v_add3_u32 v0, v5, v0, v8
	v_sub_u32_e32 v4, v4, v9
	v_mul_lo_u32 v9, v4, s6
	v_mul_lo_u32 v4, v4, s7
	v_add3_u32 v2, v6, v2, v3
	v_add3_u32 v0, v11, v0, v9
	;; [unrolled: 1-line block ×3, first 2 shown]
	s_cbranch_scc0 .LBB162_19
	s_branch .LBB162_490
.LBB162_20:
                                        ; implicit-def: $vgpr0
                                        ; implicit-def: $vgpr23
	s_branch .LBB162_28
.LBB162_21:
                                        ; implicit-def: $vgpr0
                                        ; implicit-def: $vgpr2
	s_branch .LBB162_440
.LBB162_22:
                                        ; implicit-def: $vgpr0
                                        ; implicit-def: $vgpr2
	s_branch .LBB162_494
.LBB162_23:
	v_mov_b32_e32 v0, 0
	v_mov_b32_e32 v23, 0
	s_branch .LBB162_27
.LBB162_24:
	v_mov_b32_e32 v0, 0
	v_mov_b32_e32 v23, 0
	;; [unrolled: 1-line block ×3, first 2 shown]
	s_and_b32 s6, s27, 3
	s_cmp_eq_u32 s6, 0
	s_cbranch_scc1 .LBB162_27
.LBB162_25:
	s_lshl_b32 s2, s26, 3
	s_add_u32 s2, s34, s2
	s_addc_u32 s3, s35, 0
	s_add_u32 s2, s2, 0xc4
	s_addc_u32 s3, s3, 0
	s_mul_i32 s4, s26, 12
	s_add_u32 s4, s34, s4
	s_addc_u32 s5, s35, 0
.LBB162_26:                             ; =>This Inner Loop Header: Depth=1
	s_load_dwordx2 s[8:9], s[4:5], 0x4
	s_load_dword s7, s[4:5], 0xc
	s_load_dwordx2 s[10:11], s[2:3], 0x0
	s_add_u32 s4, s4, 12
	s_addc_u32 s5, s5, 0
	s_waitcnt lgkmcnt(0)
	v_mul_hi_u32 v2, s9, v1
	s_add_u32 s2, s2, 8
	s_addc_u32 s3, s3, 0
	s_add_i32 s6, s6, -1
	v_add_u32_e32 v2, v1, v2
	v_lshrrev_b32_e32 v2, s7, v2
	v_mul_lo_u32 v3, v2, s8
	s_cmp_lg_u32 s6, 0
	v_sub_u32_e32 v3, v1, v3
	v_mad_u64_u32 v[0:1], s[8:9], v3, s10, v[0:1]
	v_mad_u64_u32 v[23:24], s[8:9], v3, s11, v[23:24]
	v_mov_b32_e32 v1, v2
	s_cbranch_scc1 .LBB162_26
.LBB162_27:
	s_cbranch_execnz .LBB162_30
.LBB162_28:
	s_load_dwordx4 s[4:7], s[34:35], 0x4
	s_load_dwordx2 s[2:3], s[34:35], 0xc4
	s_cmp_lt_u32 s33, 2
	s_waitcnt lgkmcnt(0)
	v_mul_hi_u32 v0, s5, v7
	v_add_u32_e32 v0, v7, v0
	v_lshrrev_b32_e32 v1, s6, v0
	v_mul_lo_u32 v0, v1, s4
	v_sub_u32_e32 v2, v7, v0
	v_mul_lo_u32 v0, v2, s2
	v_mul_lo_u32 v23, v2, s3
	s_cbranch_scc1 .LBB162_30
; %bb.29:
	s_load_dwordx4 s[4:7], s[34:35], 0x10
	s_load_dwordx2 s[2:3], s[34:35], 0xcc
	s_waitcnt lgkmcnt(0)
	v_mul_hi_u32 v2, s5, v1
	v_add_u32_e32 v2, v1, v2
	v_lshrrev_b32_e32 v2, s6, v2
	v_mul_lo_u32 v2, v2, s4
	v_sub_u32_e32 v2, v1, v2
	v_mad_u64_u32 v[0:1], s[4:5], v2, s2, v[0:1]
	v_mad_u64_u32 v[23:24], s[2:3], v2, s3, v[23:24]
.LBB162_30:
	s_and_b64 vcc, exec, s[0:1]
	v_add_u32_e32 v3, 0x80, v7
	s_cbranch_vccnz .LBB162_36
; %bb.31:
	s_cmp_lg_u32 s33, 0
	s_waitcnt lgkmcnt(0)
	s_mov_b32 s26, 0
	s_cbranch_scc0 .LBB162_37
; %bb.32:
	s_min_u32 s27, s54, 15
	s_add_i32 s27, s27, 1
	s_cmp_eq_u32 s54, 2
	s_cbranch_scc1 .LBB162_38
; %bb.33:
	s_and_b32 s26, s27, 28
	s_add_u32 s2, s34, 0xc4
	s_addc_u32 s3, s35, 0
	v_mov_b32_e32 v21, 0
	s_mov_b32 s28, 0
	s_mov_b64 s[24:25], s[34:35]
	v_mov_b32_e32 v1, 0
	v_mov_b32_e32 v2, v3
.LBB162_34:                             ; =>This Inner Loop Header: Depth=1
	s_load_dwordx8 s[12:19], s[24:25], 0x4
	s_load_dwordx4 s[20:23], s[24:25], 0x24
	s_load_dwordx8 s[4:11], s[2:3], 0x0
	s_add_u32 s24, s24, 48
	s_addc_u32 s25, s25, 0
	s_waitcnt lgkmcnt(0)
	v_mul_hi_u32 v4, s13, v2
	s_add_i32 s28, s28, 4
	s_add_u32 s2, s2, 32
	s_addc_u32 s3, s3, 0
	v_add_u32_e32 v4, v2, v4
	v_lshrrev_b32_e32 v4, s14, v4
	v_mul_lo_u32 v5, v4, s12
	v_mul_hi_u32 v6, s16, v4
	s_cmp_lg_u32 s26, s28
	v_sub_u32_e32 v2, v2, v5
	v_add_u32_e32 v5, v4, v6
	v_mul_lo_u32 v6, v2, s4
	v_mul_lo_u32 v8, v2, s5
	v_lshrrev_b32_e32 v2, s17, v5
	v_mul_lo_u32 v5, v2, s15
	v_mul_hi_u32 v9, s19, v2
	v_sub_u32_e32 v4, v4, v5
	v_add_u32_e32 v5, v2, v9
	v_lshrrev_b32_e32 v5, s20, v5
	v_mul_hi_u32 v10, s22, v5
	v_mul_lo_u32 v11, v5, s18
	v_mul_lo_u32 v9, v4, s6
	;; [unrolled: 1-line block ×3, first 2 shown]
	v_sub_u32_e32 v11, v2, v11
	v_add_u32_e32 v2, v5, v10
	v_lshrrev_b32_e32 v2, s23, v2
	v_mul_lo_u32 v10, v2, s21
	v_mul_lo_u32 v12, v11, s8
	;; [unrolled: 1-line block ×3, first 2 shown]
	v_add3_u32 v1, v6, v1, v9
	v_sub_u32_e32 v5, v5, v10
	v_mul_lo_u32 v10, v5, s10
	v_mul_lo_u32 v5, v5, s11
	v_add3_u32 v4, v8, v21, v4
	v_add3_u32 v1, v12, v1, v10
	v_add3_u32 v21, v11, v4, v5
	s_cbranch_scc1 .LBB162_34
; %bb.35:
	s_and_b32 s6, s27, 3
	s_cmp_eq_u32 s6, 0
	s_cbranch_scc0 .LBB162_39
	s_branch .LBB162_41
.LBB162_36:
                                        ; implicit-def: $vgpr1
                                        ; implicit-def: $vgpr21
	s_branch .LBB162_42
.LBB162_37:
	v_mov_b32_e32 v1, 0
	v_mov_b32_e32 v21, 0
	s_branch .LBB162_41
.LBB162_38:
	v_mov_b32_e32 v1, 0
	v_mov_b32_e32 v21, 0
	;; [unrolled: 1-line block ×3, first 2 shown]
	s_and_b32 s6, s27, 3
	s_cmp_eq_u32 s6, 0
	s_cbranch_scc1 .LBB162_41
.LBB162_39:
	s_lshl_b32 s2, s26, 3
	s_add_u32 s2, s34, s2
	s_addc_u32 s3, s35, 0
	s_add_u32 s2, s2, 0xc4
	s_addc_u32 s3, s3, 0
	s_mul_i32 s4, s26, 12
	s_add_u32 s4, s34, s4
	s_addc_u32 s5, s35, 0
.LBB162_40:                             ; =>This Inner Loop Header: Depth=1
	s_load_dwordx2 s[8:9], s[4:5], 0x4
	s_load_dword s7, s[4:5], 0xc
	s_load_dwordx2 s[10:11], s[2:3], 0x0
	s_add_u32 s4, s4, 12
	s_addc_u32 s5, s5, 0
	s_waitcnt lgkmcnt(0)
	v_mul_hi_u32 v4, s9, v2
	s_add_u32 s2, s2, 8
	s_addc_u32 s3, s3, 0
	s_add_i32 s6, s6, -1
	v_add_u32_e32 v4, v2, v4
	v_lshrrev_b32_e32 v4, s7, v4
	v_mul_lo_u32 v5, v4, s8
	s_cmp_lg_u32 s6, 0
	v_sub_u32_e32 v5, v2, v5
	v_mad_u64_u32 v[1:2], s[8:9], v5, s10, v[1:2]
	v_mad_u64_u32 v[21:22], s[8:9], v5, s11, v[21:22]
	v_mov_b32_e32 v2, v4
	s_cbranch_scc1 .LBB162_40
.LBB162_41:
	s_cbranch_execnz .LBB162_44
.LBB162_42:
	s_load_dwordx4 s[4:7], s[34:35], 0x4
	s_load_dwordx2 s[2:3], s[34:35], 0xc4
	s_cmp_lt_u32 s33, 2
	s_waitcnt lgkmcnt(0)
	v_mul_hi_u32 v1, s5, v3
	v_add_u32_e32 v1, v3, v1
	v_lshrrev_b32_e32 v2, s6, v1
	v_mul_lo_u32 v1, v2, s4
	v_sub_u32_e32 v3, v3, v1
	v_mul_lo_u32 v1, v3, s2
	v_mul_lo_u32 v21, v3, s3
	s_cbranch_scc1 .LBB162_44
; %bb.43:
	s_load_dwordx4 s[4:7], s[34:35], 0x10
	s_load_dwordx2 s[2:3], s[34:35], 0xcc
	s_waitcnt lgkmcnt(0)
	v_mul_hi_u32 v3, s5, v2
	v_add_u32_e32 v3, v2, v3
	v_lshrrev_b32_e32 v3, s6, v3
	v_mul_lo_u32 v3, v3, s4
	v_sub_u32_e32 v3, v2, v3
	v_mad_u64_u32 v[1:2], s[4:5], v3, s2, v[1:2]
	v_mad_u64_u32 v[21:22], s[2:3], v3, s3, v[21:22]
.LBB162_44:
	s_and_b64 vcc, exec, s[0:1]
	v_add_u32_e32 v4, 0x100, v7
	s_cbranch_vccnz .LBB162_50
; %bb.45:
	s_cmp_lg_u32 s33, 0
	s_waitcnt lgkmcnt(0)
	s_mov_b32 s26, 0
	s_cbranch_scc0 .LBB162_51
; %bb.46:
	s_min_u32 s27, s54, 15
	s_add_i32 s27, s27, 1
	s_cmp_eq_u32 s54, 2
	s_cbranch_scc1 .LBB162_52
; %bb.47:
	s_and_b32 s26, s27, 28
	s_add_u32 s2, s34, 0xc4
	s_addc_u32 s3, s35, 0
	v_mov_b32_e32 v19, 0
	s_mov_b32 s28, 0
	s_mov_b64 s[24:25], s[34:35]
	v_mov_b32_e32 v2, 0
	v_mov_b32_e32 v3, v4
.LBB162_48:                             ; =>This Inner Loop Header: Depth=1
	s_load_dwordx8 s[12:19], s[24:25], 0x4
	s_load_dwordx4 s[20:23], s[24:25], 0x24
	s_load_dwordx8 s[4:11], s[2:3], 0x0
	s_add_u32 s24, s24, 48
	s_addc_u32 s25, s25, 0
	s_waitcnt lgkmcnt(0)
	v_mul_hi_u32 v5, s13, v3
	s_add_i32 s28, s28, 4
	s_add_u32 s2, s2, 32
	s_addc_u32 s3, s3, 0
	v_add_u32_e32 v5, v3, v5
	v_lshrrev_b32_e32 v5, s14, v5
	v_mul_lo_u32 v6, v5, s12
	v_mul_hi_u32 v8, s16, v5
	s_cmp_lg_u32 s26, s28
	v_sub_u32_e32 v3, v3, v6
	v_add_u32_e32 v6, v5, v8
	v_mul_lo_u32 v8, v3, s4
	v_mul_lo_u32 v9, v3, s5
	v_lshrrev_b32_e32 v3, s17, v6
	v_mul_lo_u32 v6, v3, s15
	v_mul_hi_u32 v10, s19, v3
	v_sub_u32_e32 v5, v5, v6
	v_add_u32_e32 v6, v3, v10
	v_lshrrev_b32_e32 v6, s20, v6
	v_mul_hi_u32 v11, s22, v6
	v_mul_lo_u32 v12, v6, s18
	v_mul_lo_u32 v10, v5, s6
	;; [unrolled: 1-line block ×3, first 2 shown]
	v_sub_u32_e32 v12, v3, v12
	v_add_u32_e32 v3, v6, v11
	v_lshrrev_b32_e32 v3, s23, v3
	v_mul_lo_u32 v11, v3, s21
	v_mul_lo_u32 v13, v12, s8
	;; [unrolled: 1-line block ×3, first 2 shown]
	v_add3_u32 v2, v8, v2, v10
	v_sub_u32_e32 v6, v6, v11
	v_mul_lo_u32 v11, v6, s10
	v_mul_lo_u32 v6, v6, s11
	v_add3_u32 v5, v9, v19, v5
	v_add3_u32 v2, v13, v2, v11
	;; [unrolled: 1-line block ×3, first 2 shown]
	s_cbranch_scc1 .LBB162_48
; %bb.49:
	s_and_b32 s6, s27, 3
	s_cmp_eq_u32 s6, 0
	s_cbranch_scc0 .LBB162_53
	s_branch .LBB162_55
.LBB162_50:
                                        ; implicit-def: $vgpr2
                                        ; implicit-def: $vgpr19
	s_branch .LBB162_56
.LBB162_51:
	v_mov_b32_e32 v2, 0
	v_mov_b32_e32 v19, 0
	s_branch .LBB162_55
.LBB162_52:
	v_mov_b32_e32 v2, 0
	v_mov_b32_e32 v19, 0
	v_mov_b32_e32 v3, v4
	s_and_b32 s6, s27, 3
	s_cmp_eq_u32 s6, 0
	s_cbranch_scc1 .LBB162_55
.LBB162_53:
	s_lshl_b32 s2, s26, 3
	s_add_u32 s2, s34, s2
	s_addc_u32 s3, s35, 0
	s_add_u32 s2, s2, 0xc4
	s_addc_u32 s3, s3, 0
	s_mul_i32 s4, s26, 12
	s_add_u32 s4, s34, s4
	s_addc_u32 s5, s35, 0
.LBB162_54:                             ; =>This Inner Loop Header: Depth=1
	s_load_dwordx2 s[8:9], s[4:5], 0x4
	s_load_dword s7, s[4:5], 0xc
	s_load_dwordx2 s[10:11], s[2:3], 0x0
	s_add_u32 s4, s4, 12
	s_addc_u32 s5, s5, 0
	s_waitcnt lgkmcnt(0)
	v_mul_hi_u32 v5, s9, v3
	s_add_u32 s2, s2, 8
	s_addc_u32 s3, s3, 0
	s_add_i32 s6, s6, -1
	v_add_u32_e32 v5, v3, v5
	v_lshrrev_b32_e32 v5, s7, v5
	v_mul_lo_u32 v6, v5, s8
	s_cmp_lg_u32 s6, 0
	v_sub_u32_e32 v6, v3, v6
	v_mad_u64_u32 v[2:3], s[8:9], v6, s10, v[2:3]
	v_mad_u64_u32 v[19:20], s[8:9], v6, s11, v[19:20]
	v_mov_b32_e32 v3, v5
	s_cbranch_scc1 .LBB162_54
.LBB162_55:
	s_cbranch_execnz .LBB162_58
.LBB162_56:
	s_load_dwordx4 s[4:7], s[34:35], 0x4
	s_load_dwordx2 s[2:3], s[34:35], 0xc4
	s_cmp_lt_u32 s33, 2
	s_waitcnt lgkmcnt(0)
	v_mul_hi_u32 v2, s5, v4
	v_add_u32_e32 v2, v4, v2
	v_lshrrev_b32_e32 v3, s6, v2
	v_mul_lo_u32 v2, v3, s4
	v_sub_u32_e32 v4, v4, v2
	v_mul_lo_u32 v2, v4, s2
	v_mul_lo_u32 v19, v4, s3
	s_cbranch_scc1 .LBB162_58
; %bb.57:
	s_load_dwordx4 s[4:7], s[34:35], 0x10
	s_load_dwordx2 s[2:3], s[34:35], 0xcc
	s_waitcnt lgkmcnt(0)
	v_mul_hi_u32 v4, s5, v3
	v_add_u32_e32 v4, v3, v4
	v_lshrrev_b32_e32 v4, s6, v4
	v_mul_lo_u32 v4, v4, s4
	v_sub_u32_e32 v4, v3, v4
	v_mad_u64_u32 v[2:3], s[4:5], v4, s2, v[2:3]
	v_mad_u64_u32 v[19:20], s[2:3], v4, s3, v[19:20]
.LBB162_58:
	s_and_b64 vcc, exec, s[0:1]
	v_add_u32_e32 v5, 0x180, v7
	s_cbranch_vccnz .LBB162_64
; %bb.59:
	s_cmp_lg_u32 s33, 0
	s_waitcnt lgkmcnt(0)
	s_mov_b32 s26, 0
	s_cbranch_scc0 .LBB162_65
; %bb.60:
	s_min_u32 s27, s54, 15
	s_add_i32 s27, s27, 1
	s_cmp_eq_u32 s54, 2
	s_cbranch_scc1 .LBB162_66
; %bb.61:
	s_and_b32 s26, s27, 28
	s_add_u32 s2, s34, 0xc4
	s_addc_u32 s3, s35, 0
	v_mov_b32_e32 v17, 0
	s_mov_b32 s28, 0
	s_mov_b64 s[24:25], s[34:35]
	v_mov_b32_e32 v3, 0
	v_mov_b32_e32 v4, v5
.LBB162_62:                             ; =>This Inner Loop Header: Depth=1
	s_load_dwordx8 s[12:19], s[24:25], 0x4
	s_load_dwordx4 s[20:23], s[24:25], 0x24
	s_load_dwordx8 s[4:11], s[2:3], 0x0
	s_add_u32 s24, s24, 48
	s_addc_u32 s25, s25, 0
	s_waitcnt lgkmcnt(0)
	v_mul_hi_u32 v6, s13, v4
	s_add_i32 s28, s28, 4
	s_add_u32 s2, s2, 32
	s_addc_u32 s3, s3, 0
	v_add_u32_e32 v6, v4, v6
	v_lshrrev_b32_e32 v6, s14, v6
	v_mul_lo_u32 v8, v6, s12
	v_mul_hi_u32 v9, s16, v6
	s_cmp_lg_u32 s26, s28
	v_sub_u32_e32 v4, v4, v8
	v_add_u32_e32 v8, v6, v9
	v_mul_lo_u32 v9, v4, s4
	v_mul_lo_u32 v10, v4, s5
	v_lshrrev_b32_e32 v4, s17, v8
	v_mul_lo_u32 v8, v4, s15
	v_mul_hi_u32 v11, s19, v4
	v_sub_u32_e32 v6, v6, v8
	v_add_u32_e32 v8, v4, v11
	v_lshrrev_b32_e32 v8, s20, v8
	v_mul_hi_u32 v12, s22, v8
	v_mul_lo_u32 v13, v8, s18
	v_mul_lo_u32 v11, v6, s6
	v_mul_lo_u32 v6, v6, s7
	v_sub_u32_e32 v13, v4, v13
	v_add_u32_e32 v4, v8, v12
	v_lshrrev_b32_e32 v4, s23, v4
	v_mul_lo_u32 v12, v4, s21
	v_mul_lo_u32 v14, v13, s8
	;; [unrolled: 1-line block ×3, first 2 shown]
	v_add3_u32 v3, v9, v3, v11
	v_sub_u32_e32 v8, v8, v12
	v_mul_lo_u32 v12, v8, s10
	v_mul_lo_u32 v8, v8, s11
	v_add3_u32 v6, v10, v17, v6
	v_add3_u32 v3, v14, v3, v12
	;; [unrolled: 1-line block ×3, first 2 shown]
	s_cbranch_scc1 .LBB162_62
; %bb.63:
	s_and_b32 s6, s27, 3
	s_cmp_eq_u32 s6, 0
	s_cbranch_scc0 .LBB162_67
	s_branch .LBB162_69
.LBB162_64:
                                        ; implicit-def: $vgpr3
                                        ; implicit-def: $vgpr17
	s_branch .LBB162_70
.LBB162_65:
	v_mov_b32_e32 v3, 0
	v_mov_b32_e32 v17, 0
	s_branch .LBB162_69
.LBB162_66:
	v_mov_b32_e32 v3, 0
	v_mov_b32_e32 v17, 0
	;; [unrolled: 1-line block ×3, first 2 shown]
	s_and_b32 s6, s27, 3
	s_cmp_eq_u32 s6, 0
	s_cbranch_scc1 .LBB162_69
.LBB162_67:
	s_lshl_b32 s2, s26, 3
	s_add_u32 s2, s34, s2
	s_addc_u32 s3, s35, 0
	s_add_u32 s2, s2, 0xc4
	s_addc_u32 s3, s3, 0
	s_mul_i32 s4, s26, 12
	s_add_u32 s4, s34, s4
	s_addc_u32 s5, s35, 0
.LBB162_68:                             ; =>This Inner Loop Header: Depth=1
	s_load_dwordx2 s[8:9], s[4:5], 0x4
	s_load_dword s7, s[4:5], 0xc
	s_load_dwordx2 s[10:11], s[2:3], 0x0
	s_add_u32 s4, s4, 12
	s_addc_u32 s5, s5, 0
	s_waitcnt lgkmcnt(0)
	v_mul_hi_u32 v6, s9, v4
	s_add_u32 s2, s2, 8
	s_addc_u32 s3, s3, 0
	s_add_i32 s6, s6, -1
	v_add_u32_e32 v6, v4, v6
	v_lshrrev_b32_e32 v6, s7, v6
	v_mul_lo_u32 v8, v6, s8
	s_cmp_lg_u32 s6, 0
	v_sub_u32_e32 v8, v4, v8
	v_mad_u64_u32 v[3:4], s[8:9], v8, s10, v[3:4]
	v_mad_u64_u32 v[17:18], s[8:9], v8, s11, v[17:18]
	v_mov_b32_e32 v4, v6
	s_cbranch_scc1 .LBB162_68
.LBB162_69:
	s_cbranch_execnz .LBB162_72
.LBB162_70:
	s_load_dwordx4 s[4:7], s[34:35], 0x4
	s_load_dwordx2 s[2:3], s[34:35], 0xc4
	s_cmp_lt_u32 s33, 2
	s_waitcnt lgkmcnt(0)
	v_mul_hi_u32 v3, s5, v5
	v_add_u32_e32 v3, v5, v3
	v_lshrrev_b32_e32 v4, s6, v3
	v_mul_lo_u32 v3, v4, s4
	v_sub_u32_e32 v5, v5, v3
	v_mul_lo_u32 v3, v5, s2
	v_mul_lo_u32 v17, v5, s3
	s_cbranch_scc1 .LBB162_72
; %bb.71:
	s_load_dwordx4 s[4:7], s[34:35], 0x10
	s_load_dwordx2 s[2:3], s[34:35], 0xcc
	s_waitcnt lgkmcnt(0)
	v_mul_hi_u32 v5, s5, v4
	v_add_u32_e32 v5, v4, v5
	v_lshrrev_b32_e32 v5, s6, v5
	v_mul_lo_u32 v5, v5, s4
	v_sub_u32_e32 v5, v4, v5
	v_mad_u64_u32 v[3:4], s[4:5], v5, s2, v[3:4]
	v_mad_u64_u32 v[17:18], s[2:3], v5, s3, v[17:18]
.LBB162_72:
	s_and_b64 vcc, exec, s[0:1]
	v_add_u32_e32 v6, 0x200, v7
	s_cbranch_vccnz .LBB162_78
; %bb.73:
	s_cmp_lg_u32 s33, 0
	s_waitcnt lgkmcnt(0)
	s_mov_b32 s26, 0
	s_cbranch_scc0 .LBB162_79
; %bb.74:
	s_min_u32 s27, s54, 15
	s_add_i32 s27, s27, 1
	s_cmp_eq_u32 s54, 2
	s_cbranch_scc1 .LBB162_80
; %bb.75:
	s_and_b32 s26, s27, 28
	s_add_u32 s2, s34, 0xc4
	s_addc_u32 s3, s35, 0
	v_mov_b32_e32 v15, 0
	s_mov_b32 s28, 0
	s_mov_b64 s[24:25], s[34:35]
	v_mov_b32_e32 v4, 0
	v_mov_b32_e32 v5, v6
.LBB162_76:                             ; =>This Inner Loop Header: Depth=1
	s_load_dwordx8 s[12:19], s[24:25], 0x4
	s_load_dwordx4 s[20:23], s[24:25], 0x24
	s_load_dwordx8 s[4:11], s[2:3], 0x0
	s_add_u32 s24, s24, 48
	s_addc_u32 s25, s25, 0
	s_waitcnt lgkmcnt(0)
	v_mul_hi_u32 v8, s13, v5
	s_add_i32 s28, s28, 4
	s_add_u32 s2, s2, 32
	s_addc_u32 s3, s3, 0
	v_add_u32_e32 v8, v5, v8
	v_lshrrev_b32_e32 v8, s14, v8
	v_mul_lo_u32 v9, v8, s12
	v_mul_hi_u32 v10, s16, v8
	s_cmp_lg_u32 s26, s28
	v_sub_u32_e32 v5, v5, v9
	v_add_u32_e32 v9, v8, v10
	v_mul_lo_u32 v10, v5, s4
	v_mul_lo_u32 v11, v5, s5
	v_lshrrev_b32_e32 v5, s17, v9
	v_mul_lo_u32 v9, v5, s15
	v_mul_hi_u32 v12, s19, v5
	v_sub_u32_e32 v8, v8, v9
	v_add_u32_e32 v9, v5, v12
	v_lshrrev_b32_e32 v9, s20, v9
	v_mul_hi_u32 v13, s22, v9
	v_mul_lo_u32 v14, v9, s18
	v_mul_lo_u32 v12, v8, s6
	;; [unrolled: 1-line block ×3, first 2 shown]
	v_sub_u32_e32 v14, v5, v14
	v_add_u32_e32 v5, v9, v13
	v_lshrrev_b32_e32 v5, s23, v5
	v_mul_lo_u32 v13, v5, s21
	v_mul_lo_u32 v16, v14, s8
	;; [unrolled: 1-line block ×3, first 2 shown]
	v_add3_u32 v4, v10, v4, v12
	v_sub_u32_e32 v9, v9, v13
	v_mul_lo_u32 v13, v9, s10
	v_mul_lo_u32 v9, v9, s11
	v_add3_u32 v8, v11, v15, v8
	v_add3_u32 v4, v16, v4, v13
	;; [unrolled: 1-line block ×3, first 2 shown]
	s_cbranch_scc1 .LBB162_76
; %bb.77:
	s_and_b32 s6, s27, 3
	s_cmp_eq_u32 s6, 0
	s_cbranch_scc0 .LBB162_81
	s_branch .LBB162_83
.LBB162_78:
                                        ; implicit-def: $vgpr4
                                        ; implicit-def: $vgpr15
	s_branch .LBB162_84
.LBB162_79:
	v_mov_b32_e32 v4, 0
	v_mov_b32_e32 v15, 0
	s_branch .LBB162_83
.LBB162_80:
	v_mov_b32_e32 v4, 0
	v_mov_b32_e32 v15, 0
	;; [unrolled: 1-line block ×3, first 2 shown]
	s_and_b32 s6, s27, 3
	s_cmp_eq_u32 s6, 0
	s_cbranch_scc1 .LBB162_83
.LBB162_81:
	s_lshl_b32 s2, s26, 3
	s_add_u32 s2, s34, s2
	s_addc_u32 s3, s35, 0
	s_add_u32 s2, s2, 0xc4
	s_addc_u32 s3, s3, 0
	s_mul_i32 s4, s26, 12
	s_add_u32 s4, s34, s4
	s_addc_u32 s5, s35, 0
.LBB162_82:                             ; =>This Inner Loop Header: Depth=1
	s_load_dwordx2 s[8:9], s[4:5], 0x4
	s_load_dword s7, s[4:5], 0xc
	s_load_dwordx2 s[10:11], s[2:3], 0x0
	s_add_u32 s4, s4, 12
	s_addc_u32 s5, s5, 0
	s_waitcnt lgkmcnt(0)
	v_mul_hi_u32 v8, s9, v5
	s_add_u32 s2, s2, 8
	s_addc_u32 s3, s3, 0
	s_add_i32 s6, s6, -1
	v_add_u32_e32 v8, v5, v8
	v_lshrrev_b32_e32 v8, s7, v8
	v_mul_lo_u32 v9, v8, s8
	s_cmp_lg_u32 s6, 0
	v_sub_u32_e32 v9, v5, v9
	v_mad_u64_u32 v[4:5], s[8:9], v9, s10, v[4:5]
	v_mad_u64_u32 v[15:16], s[8:9], v9, s11, v[15:16]
	v_mov_b32_e32 v5, v8
	s_cbranch_scc1 .LBB162_82
.LBB162_83:
	s_cbranch_execnz .LBB162_86
.LBB162_84:
	s_load_dwordx4 s[4:7], s[34:35], 0x4
	s_load_dwordx2 s[2:3], s[34:35], 0xc4
	s_cmp_lt_u32 s33, 2
	s_waitcnt lgkmcnt(0)
	v_mul_hi_u32 v4, s5, v6
	v_add_u32_e32 v4, v6, v4
	v_lshrrev_b32_e32 v5, s6, v4
	v_mul_lo_u32 v4, v5, s4
	v_sub_u32_e32 v6, v6, v4
	v_mul_lo_u32 v4, v6, s2
	v_mul_lo_u32 v15, v6, s3
	s_cbranch_scc1 .LBB162_86
; %bb.85:
	s_load_dwordx4 s[4:7], s[34:35], 0x10
	s_load_dwordx2 s[2:3], s[34:35], 0xcc
	s_waitcnt lgkmcnt(0)
	v_mul_hi_u32 v6, s5, v5
	v_add_u32_e32 v6, v5, v6
	v_lshrrev_b32_e32 v6, s6, v6
	v_mul_lo_u32 v6, v6, s4
	v_sub_u32_e32 v6, v5, v6
	v_mad_u64_u32 v[4:5], s[4:5], v6, s2, v[4:5]
	v_mad_u64_u32 v[15:16], s[2:3], v6, s3, v[15:16]
.LBB162_86:
	s_and_b64 vcc, exec, s[0:1]
	v_add_u32_e32 v8, 0x280, v7
	s_cbranch_vccnz .LBB162_92
; %bb.87:
	s_cmp_lg_u32 s33, 0
	s_waitcnt lgkmcnt(0)
	s_mov_b32 s26, 0
	s_cbranch_scc0 .LBB162_93
; %bb.88:
	s_min_u32 s27, s54, 15
	s_add_i32 s27, s27, 1
	s_cmp_eq_u32 s54, 2
	s_cbranch_scc1 .LBB162_94
; %bb.89:
	s_and_b32 s26, s27, 28
	s_add_u32 s2, s34, 0xc4
	s_addc_u32 s3, s35, 0
	v_mov_b32_e32 v13, 0
	s_mov_b32 s28, 0
	s_mov_b64 s[24:25], s[34:35]
	v_mov_b32_e32 v5, 0
	v_mov_b32_e32 v6, v8
.LBB162_90:                             ; =>This Inner Loop Header: Depth=1
	s_load_dwordx8 s[12:19], s[24:25], 0x4
	s_load_dwordx4 s[20:23], s[24:25], 0x24
	s_load_dwordx8 s[4:11], s[2:3], 0x0
	s_add_u32 s24, s24, 48
	s_addc_u32 s25, s25, 0
	s_waitcnt lgkmcnt(0)
	v_mul_hi_u32 v9, s13, v6
	s_add_i32 s28, s28, 4
	s_add_u32 s2, s2, 32
	s_addc_u32 s3, s3, 0
	v_add_u32_e32 v9, v6, v9
	v_lshrrev_b32_e32 v9, s14, v9
	v_mul_lo_u32 v10, v9, s12
	v_mul_hi_u32 v11, s16, v9
	s_cmp_lg_u32 s26, s28
	v_sub_u32_e32 v6, v6, v10
	v_add_u32_e32 v10, v9, v11
	v_mul_lo_u32 v11, v6, s4
	v_mul_lo_u32 v12, v6, s5
	v_lshrrev_b32_e32 v6, s17, v10
	v_mul_lo_u32 v10, v6, s15
	v_mul_hi_u32 v14, s19, v6
	v_sub_u32_e32 v9, v9, v10
	v_add_u32_e32 v10, v6, v14
	v_lshrrev_b32_e32 v10, s20, v10
	v_mul_hi_u32 v16, s22, v10
	v_mul_lo_u32 v18, v10, s18
	v_mul_lo_u32 v14, v9, s6
	;; [unrolled: 1-line block ×3, first 2 shown]
	v_sub_u32_e32 v18, v6, v18
	v_add_u32_e32 v6, v10, v16
	v_lshrrev_b32_e32 v6, s23, v6
	v_mul_lo_u32 v16, v6, s21
	v_mul_lo_u32 v20, v18, s8
	;; [unrolled: 1-line block ×3, first 2 shown]
	v_add3_u32 v5, v11, v5, v14
	v_sub_u32_e32 v10, v10, v16
	v_mul_lo_u32 v16, v10, s10
	v_mul_lo_u32 v10, v10, s11
	v_add3_u32 v9, v12, v13, v9
	v_add3_u32 v5, v20, v5, v16
	;; [unrolled: 1-line block ×3, first 2 shown]
	s_cbranch_scc1 .LBB162_90
; %bb.91:
	s_and_b32 s6, s27, 3
	s_cmp_eq_u32 s6, 0
	s_cbranch_scc0 .LBB162_95
	s_branch .LBB162_97
.LBB162_92:
                                        ; implicit-def: $vgpr5
                                        ; implicit-def: $vgpr13
	s_branch .LBB162_98
.LBB162_93:
	v_mov_b32_e32 v5, 0
	v_mov_b32_e32 v13, 0
	s_branch .LBB162_97
.LBB162_94:
	v_mov_b32_e32 v5, 0
	v_mov_b32_e32 v13, 0
	;; [unrolled: 1-line block ×3, first 2 shown]
	s_and_b32 s6, s27, 3
	s_cmp_eq_u32 s6, 0
	s_cbranch_scc1 .LBB162_97
.LBB162_95:
	s_lshl_b32 s2, s26, 3
	s_add_u32 s2, s34, s2
	s_addc_u32 s3, s35, 0
	s_add_u32 s2, s2, 0xc4
	s_addc_u32 s3, s3, 0
	s_mul_i32 s4, s26, 12
	s_add_u32 s4, s34, s4
	s_addc_u32 s5, s35, 0
.LBB162_96:                             ; =>This Inner Loop Header: Depth=1
	s_load_dwordx2 s[8:9], s[4:5], 0x4
	s_load_dword s7, s[4:5], 0xc
	s_load_dwordx2 s[10:11], s[2:3], 0x0
	s_add_u32 s4, s4, 12
	s_addc_u32 s5, s5, 0
	s_waitcnt lgkmcnt(0)
	v_mul_hi_u32 v9, s9, v6
	s_add_u32 s2, s2, 8
	s_addc_u32 s3, s3, 0
	s_add_i32 s6, s6, -1
	v_add_u32_e32 v9, v6, v9
	v_lshrrev_b32_e32 v9, s7, v9
	v_mul_lo_u32 v10, v9, s8
	s_cmp_lg_u32 s6, 0
	v_sub_u32_e32 v10, v6, v10
	v_mad_u64_u32 v[5:6], s[8:9], v10, s10, v[5:6]
	v_mad_u64_u32 v[13:14], s[8:9], v10, s11, v[13:14]
	v_mov_b32_e32 v6, v9
	s_cbranch_scc1 .LBB162_96
.LBB162_97:
	s_cbranch_execnz .LBB162_100
.LBB162_98:
	s_load_dwordx4 s[4:7], s[34:35], 0x4
	s_load_dwordx2 s[2:3], s[34:35], 0xc4
	s_cmp_lt_u32 s33, 2
	s_waitcnt lgkmcnt(0)
	v_mul_hi_u32 v5, s5, v8
	v_add_u32_e32 v5, v8, v5
	v_lshrrev_b32_e32 v6, s6, v5
	v_mul_lo_u32 v5, v6, s4
	v_sub_u32_e32 v8, v8, v5
	v_mul_lo_u32 v5, v8, s2
	v_mul_lo_u32 v13, v8, s3
	s_cbranch_scc1 .LBB162_100
; %bb.99:
	s_load_dwordx4 s[4:7], s[34:35], 0x10
	s_load_dwordx2 s[2:3], s[34:35], 0xcc
	s_waitcnt lgkmcnt(0)
	v_mul_hi_u32 v8, s5, v6
	v_add_u32_e32 v8, v6, v8
	v_lshrrev_b32_e32 v8, s6, v8
	v_mul_lo_u32 v8, v8, s4
	v_sub_u32_e32 v8, v6, v8
	v_mad_u64_u32 v[5:6], s[4:5], v8, s2, v[5:6]
	v_mad_u64_u32 v[13:14], s[2:3], v8, s3, v[13:14]
.LBB162_100:
	s_and_b64 vcc, exec, s[0:1]
	v_add_u32_e32 v8, 0x300, v7
	s_cbranch_vccnz .LBB162_106
; %bb.101:
	s_cmp_lg_u32 s33, 0
	s_waitcnt lgkmcnt(0)
	s_mov_b32 s26, 0
	s_cbranch_scc0 .LBB162_107
; %bb.102:
	s_min_u32 s27, s54, 15
	s_add_i32 s27, s27, 1
	s_cmp_eq_u32 s54, 2
	s_cbranch_scc1 .LBB162_108
; %bb.103:
	s_and_b32 s26, s27, 28
	s_add_u32 s2, s34, 0xc4
	s_addc_u32 s3, s35, 0
	v_mov_b32_e32 v11, 0
	s_mov_b32 s28, 0
	s_mov_b64 s[24:25], s[34:35]
	v_mov_b32_e32 v6, 0
	v_mov_b32_e32 v7, v8
.LBB162_104:                            ; =>This Inner Loop Header: Depth=1
	s_load_dwordx8 s[12:19], s[24:25], 0x4
	s_load_dwordx4 s[20:23], s[24:25], 0x24
	s_load_dwordx8 s[4:11], s[2:3], 0x0
	s_add_u32 s24, s24, 48
	s_addc_u32 s25, s25, 0
	s_waitcnt lgkmcnt(0)
	v_mul_hi_u32 v9, s13, v7
	s_add_i32 s28, s28, 4
	s_add_u32 s2, s2, 32
	s_addc_u32 s3, s3, 0
	v_add_u32_e32 v9, v7, v9
	v_lshrrev_b32_e32 v9, s14, v9
	v_mul_lo_u32 v10, v9, s12
	v_mul_hi_u32 v12, s16, v9
	s_cmp_lg_u32 s26, s28
	v_sub_u32_e32 v7, v7, v10
	v_add_u32_e32 v10, v9, v12
	v_mul_lo_u32 v12, v7, s4
	v_mul_lo_u32 v14, v7, s5
	v_lshrrev_b32_e32 v7, s17, v10
	v_mul_lo_u32 v10, v7, s15
	v_mul_hi_u32 v16, s19, v7
	v_sub_u32_e32 v9, v9, v10
	v_add_u32_e32 v10, v7, v16
	v_lshrrev_b32_e32 v10, s20, v10
	v_mul_hi_u32 v18, s22, v10
	v_mul_lo_u32 v20, v10, s18
	v_mul_lo_u32 v16, v9, s6
	;; [unrolled: 1-line block ×3, first 2 shown]
	v_sub_u32_e32 v20, v7, v20
	v_add_u32_e32 v7, v10, v18
	v_lshrrev_b32_e32 v7, s23, v7
	v_mul_lo_u32 v18, v7, s21
	v_mul_lo_u32 v22, v20, s8
	;; [unrolled: 1-line block ×3, first 2 shown]
	v_add3_u32 v6, v12, v6, v16
	v_sub_u32_e32 v10, v10, v18
	v_mul_lo_u32 v18, v10, s10
	v_mul_lo_u32 v10, v10, s11
	v_add3_u32 v9, v14, v11, v9
	v_add3_u32 v6, v22, v6, v18
	;; [unrolled: 1-line block ×3, first 2 shown]
	s_cbranch_scc1 .LBB162_104
; %bb.105:
	s_and_b32 s6, s27, 3
	s_cmp_eq_u32 s6, 0
	s_cbranch_scc0 .LBB162_109
	s_branch .LBB162_111
.LBB162_106:
                                        ; implicit-def: $vgpr6
                                        ; implicit-def: $vgpr11
	s_branch .LBB162_112
.LBB162_107:
	v_mov_b32_e32 v6, 0
	v_mov_b32_e32 v11, 0
	s_branch .LBB162_111
.LBB162_108:
	v_mov_b32_e32 v6, 0
	v_mov_b32_e32 v11, 0
	;; [unrolled: 1-line block ×3, first 2 shown]
	s_and_b32 s6, s27, 3
	s_cmp_eq_u32 s6, 0
	s_cbranch_scc1 .LBB162_111
.LBB162_109:
	s_lshl_b32 s2, s26, 3
	s_add_u32 s2, s34, s2
	s_addc_u32 s3, s35, 0
	s_add_u32 s2, s2, 0xc4
	s_addc_u32 s3, s3, 0
	s_mul_i32 s4, s26, 12
	s_add_u32 s4, s34, s4
	s_addc_u32 s5, s35, 0
.LBB162_110:                            ; =>This Inner Loop Header: Depth=1
	s_load_dwordx2 s[8:9], s[4:5], 0x4
	s_load_dword s7, s[4:5], 0xc
	s_load_dwordx2 s[10:11], s[2:3], 0x0
	s_add_u32 s4, s4, 12
	s_addc_u32 s5, s5, 0
	s_waitcnt lgkmcnt(0)
	v_mul_hi_u32 v9, s9, v7
	s_add_u32 s2, s2, 8
	s_addc_u32 s3, s3, 0
	s_add_i32 s6, s6, -1
	v_add_u32_e32 v9, v7, v9
	v_lshrrev_b32_e32 v9, s7, v9
	v_mul_lo_u32 v10, v9, s8
	s_cmp_lg_u32 s6, 0
	v_sub_u32_e32 v10, v7, v10
	v_mad_u64_u32 v[6:7], s[8:9], v10, s10, v[6:7]
	v_mad_u64_u32 v[11:12], s[8:9], v10, s11, v[11:12]
	v_mov_b32_e32 v7, v9
	s_cbranch_scc1 .LBB162_110
.LBB162_111:
	s_cbranch_execnz .LBB162_114
.LBB162_112:
	s_load_dwordx4 s[4:7], s[34:35], 0x4
	s_load_dwordx2 s[2:3], s[34:35], 0xc4
	s_cmp_lt_u32 s33, 2
	s_waitcnt lgkmcnt(0)
	v_mul_hi_u32 v6, s5, v8
	v_add_u32_e32 v6, v8, v6
	v_lshrrev_b32_e32 v7, s6, v6
	v_mul_lo_u32 v6, v7, s4
	v_sub_u32_e32 v8, v8, v6
	v_mul_lo_u32 v6, v8, s2
	v_mul_lo_u32 v11, v8, s3
	s_cbranch_scc1 .LBB162_114
; %bb.113:
	s_load_dwordx4 s[4:7], s[34:35], 0x10
	s_load_dwordx2 s[2:3], s[34:35], 0xcc
	s_waitcnt lgkmcnt(0)
	v_mul_hi_u32 v8, s5, v7
	v_add_u32_e32 v8, v7, v8
	v_lshrrev_b32_e32 v8, s6, v8
	v_mul_lo_u32 v8, v8, s4
	v_sub_u32_e32 v8, v7, v8
	v_mad_u64_u32 v[6:7], s[4:5], v8, s2, v[6:7]
	v_mad_u64_u32 v[11:12], s[2:3], v8, s3, v[11:12]
.LBB162_114:
	s_and_b64 vcc, exec, s[0:1]
	s_cbranch_vccnz .LBB162_120
; %bb.115:
	s_cmp_lg_u32 s33, 0
	s_waitcnt lgkmcnt(0)
	s_mov_b32 s24, 0
	s_cbranch_scc0 .LBB162_121
; %bb.116:
	s_min_u32 s25, s54, 15
	s_add_i32 s25, s25, 1
	s_cmp_eq_u32 s54, 2
	s_cbranch_scc1 .LBB162_122
; %bb.117:
	s_and_b32 s24, s25, 28
	s_add_u32 s20, s34, 0xc4
	s_addc_u32 s21, s35, 0
	v_mov_b32_e32 v9, 0
	s_mov_b32 s26, 0
	s_mov_b64 s[22:23], s[34:35]
	v_mov_b32_e32 v7, 0
	v_mov_b32_e32 v8, v25
.LBB162_118:                            ; =>This Inner Loop Header: Depth=1
	s_load_dwordx8 s[8:15], s[22:23], 0x4
	s_load_dwordx4 s[16:19], s[22:23], 0x24
	s_load_dwordx8 s[0:7], s[20:21], 0x0
	s_add_u32 s22, s22, 48
	s_addc_u32 s23, s23, 0
	s_waitcnt lgkmcnt(0)
	v_mul_hi_u32 v10, s9, v8
	s_add_i32 s26, s26, 4
	s_add_u32 s20, s20, 32
	s_addc_u32 s21, s21, 0
	v_add_u32_e32 v10, v8, v10
	v_lshrrev_b32_e32 v10, s10, v10
	v_mul_lo_u32 v12, v10, s8
	v_mul_hi_u32 v14, s12, v10
	s_cmp_lg_u32 s24, s26
	v_sub_u32_e32 v8, v8, v12
	v_add_u32_e32 v12, v10, v14
	v_mul_lo_u32 v14, v8, s0
	v_mul_lo_u32 v16, v8, s1
	v_lshrrev_b32_e32 v8, s13, v12
	v_mul_lo_u32 v12, v8, s11
	v_mul_hi_u32 v18, s15, v8
	v_sub_u32_e32 v10, v10, v12
	v_add_u32_e32 v12, v8, v18
	v_lshrrev_b32_e32 v12, s16, v12
	v_mul_hi_u32 v20, s18, v12
	v_mul_lo_u32 v22, v12, s14
	v_mul_lo_u32 v18, v10, s2
	;; [unrolled: 1-line block ×3, first 2 shown]
	v_sub_u32_e32 v22, v8, v22
	v_add_u32_e32 v8, v12, v20
	v_lshrrev_b32_e32 v8, s19, v8
	v_mul_lo_u32 v20, v8, s17
	v_mul_lo_u32 v24, v22, s4
	;; [unrolled: 1-line block ×3, first 2 shown]
	v_add3_u32 v7, v14, v7, v18
	v_sub_u32_e32 v12, v12, v20
	v_mul_lo_u32 v20, v12, s6
	v_mul_lo_u32 v12, v12, s7
	v_add3_u32 v9, v16, v9, v10
	v_add3_u32 v7, v24, v7, v20
	;; [unrolled: 1-line block ×3, first 2 shown]
	s_cbranch_scc1 .LBB162_118
; %bb.119:
	s_and_b32 s4, s25, 3
	s_cmp_eq_u32 s4, 0
	s_cbranch_scc0 .LBB162_123
	s_branch .LBB162_125
.LBB162_120:
                                        ; implicit-def: $vgpr7
                                        ; implicit-def: $vgpr9
	s_branch .LBB162_126
.LBB162_121:
	v_mov_b32_e32 v7, 0
	v_mov_b32_e32 v9, 0
	s_branch .LBB162_125
.LBB162_122:
	v_mov_b32_e32 v7, 0
	v_mov_b32_e32 v9, 0
	;; [unrolled: 1-line block ×3, first 2 shown]
	s_and_b32 s4, s25, 3
	s_cmp_eq_u32 s4, 0
	s_cbranch_scc1 .LBB162_125
.LBB162_123:
	s_lshl_b32 s0, s24, 3
	s_add_u32 s0, s34, s0
	s_addc_u32 s1, s35, 0
	s_add_u32 s0, s0, 0xc4
	s_addc_u32 s1, s1, 0
	s_mul_i32 s2, s24, 12
	s_add_u32 s2, s34, s2
	s_addc_u32 s3, s35, 0
.LBB162_124:                            ; =>This Inner Loop Header: Depth=1
	s_load_dwordx2 s[6:7], s[2:3], 0x4
	s_load_dword s5, s[2:3], 0xc
	s_load_dwordx2 s[8:9], s[0:1], 0x0
	s_add_u32 s2, s2, 12
	s_addc_u32 s3, s3, 0
	s_waitcnt lgkmcnt(0)
	v_mul_hi_u32 v10, s7, v8
	s_add_u32 s0, s0, 8
	s_addc_u32 s1, s1, 0
	s_add_i32 s4, s4, -1
	v_add_u32_e32 v10, v8, v10
	v_lshrrev_b32_e32 v12, s5, v10
	v_mul_lo_u32 v10, v12, s6
	s_cmp_lg_u32 s4, 0
	v_sub_u32_e32 v10, v8, v10
	v_mad_u64_u32 v[7:8], s[6:7], v10, s8, v[7:8]
	v_mad_u64_u32 v[9:10], s[6:7], v10, s9, v[9:10]
	v_mov_b32_e32 v8, v12
	s_cbranch_scc1 .LBB162_124
.LBB162_125:
	s_cbranch_execnz .LBB162_128
.LBB162_126:
	s_load_dwordx4 s[0:3], s[34:35], 0x4
	s_load_dwordx2 s[4:5], s[34:35], 0xc4
	s_cmp_lt_u32 s33, 2
	s_waitcnt lgkmcnt(0)
	v_mul_hi_u32 v7, s1, v25
	v_add_u32_e32 v7, v25, v7
	v_lshrrev_b32_e32 v8, s2, v7
	v_mul_lo_u32 v7, v8, s0
	v_sub_u32_e32 v9, v25, v7
	v_mul_lo_u32 v7, v9, s4
	v_mul_lo_u32 v9, v9, s5
	s_cbranch_scc1 .LBB162_128
; %bb.127:
	s_load_dwordx4 s[0:3], s[34:35], 0x10
	s_load_dwordx2 s[4:5], s[34:35], 0xcc
	s_waitcnt lgkmcnt(0)
	v_mul_hi_u32 v10, s1, v8
	v_add_u32_e32 v10, v8, v10
	v_lshrrev_b32_e32 v10, s2, v10
	v_mul_lo_u32 v10, v10, s0
	v_sub_u32_e32 v10, v8, v10
	v_mad_u64_u32 v[7:8], s[0:1], v10, s4, v[7:8]
	v_mad_u64_u32 v[9:10], s[0:1], v10, s5, v[9:10]
.LBB162_128:
	s_waitcnt lgkmcnt(0)
	s_load_dwordx4 s[20:23], s[34:35], 0x148
	s_mov_b32 s0, 0x3c800000
                                        ; implicit-def: $vgpr10
	s_waitcnt lgkmcnt(0)
	global_load_ushort v8, v23, s[22:23]
	s_waitcnt vmcnt(0)
	v_lshlrev_b32_e32 v8, 16, v8
	v_and_b32_e32 v12, 0x7fffffff, v8
	v_cmp_nlt_f32_e64 s[0:1], |v8|, s0
	s_and_saveexec_b64 s[2:3], s[0:1]
	s_xor_b64 s[2:3], exec, s[2:3]
	s_cbranch_execz .LBB162_158
; %bb.129:
	v_cmp_nlt_f32_e64 s[0:1], |v8|, 2.0
                                        ; implicit-def: $vgpr10
	s_and_saveexec_b64 s[4:5], s[0:1]
	s_xor_b64 s[4:5], exec, s[4:5]
	s_cbranch_execz .LBB162_139
; %bb.130:
	s_mov_b32 s0, 0x41000000
	v_cmp_nlt_f32_e64 s[0:1], |v8|, s0
                                        ; implicit-def: $vgpr10
	s_and_saveexec_b64 s[6:7], s[0:1]
	s_xor_b64 s[6:7], exec, s[6:7]
	s_cbranch_execz .LBB162_136
; %bb.131:
	s_mov_b32 s0, 0x5c800000
	v_cmp_nlt_f32_e64 s[0:1], |v8|, s0
                                        ; implicit-def: $vgpr10
	s_and_saveexec_b64 s[8:9], s[0:1]
	s_xor_b64 s[8:9], exec, s[8:9]
	s_cbranch_execz .LBB162_133
; %bb.132:
	s_mov_b32 s0, 0x800000
	v_cmp_lt_f32_e64 vcc, |v8|, s0
	v_cndmask_b32_e64 v10, 0, 32, vcc
	v_ldexp_f32 v10, |v8|, v10
	v_log_f32_e32 v10, v10
	s_mov_b32 s0, 0x3f317217
	s_mov_b32 s1, 0x7f800000
	v_mul_f32_e32 v14, 0x3f317217, v10
	v_fma_f32 v16, v10, s0, -v14
	v_fmac_f32_e32 v16, 0x3377d1cf, v10
	v_add_f32_e32 v14, v14, v16
	v_cmp_lt_f32_e64 s[0:1], |v10|, s1
	v_cndmask_b32_e64 v10, v10, v14, s[0:1]
	v_mov_b32_e32 v14, 0x41b17218
	v_cndmask_b32_e32 v14, 0, v14, vcc
	v_sub_f32_e32 v10, v10, v14
	v_fma_f32 v10, |v8|, v10, -|v8|
.LBB162_133:
	s_andn2_saveexec_b64 s[8:9], s[8:9]
	s_cbranch_execz .LBB162_135
; %bb.134:
	v_rcp_f32_e64 v14, |v8|
	v_mov_b32_e32 v10, 0x3a5b3dd2
	v_mov_b32_e32 v16, 0xba1c065c
	v_mov_b32_e32 v18, 0x3a500cfd
	v_mul_f32_e32 v20, v14, v14
	v_fmac_f32_e32 v10, 0xbad5c4e8, v20
	v_fmac_f32_e32 v16, v20, v10
	s_mov_b32 s0, 0x800000
	v_fmac_f32_e32 v18, v20, v16
	v_mov_b32_e32 v10, 0xbb360b61
	v_cmp_lt_f32_e64 vcc, |v8|, s0
	v_fmac_f32_e32 v10, v20, v18
	v_cndmask_b32_e64 v18, 0, 32, vcc
	v_ldexp_f32 v18, |v8|, v18
	v_log_f32_e32 v18, v18
	v_mov_b32_e32 v16, 0x3daaaaab
	v_fmac_f32_e32 v16, v20, v10
	v_mov_b32_e32 v10, 0x3ed67f1d
	v_fmac_f32_e32 v10, v14, v16
	s_mov_b32 s0, 0x3f317217
	v_mul_f32_e32 v16, 0x3f317217, v18
	v_fma_f32 v20, v18, s0, -v16
	v_fmac_f32_e32 v20, 0x3377d1cf, v18
	s_mov_b32 s0, 0x7f800000
	v_add_f32_e32 v16, v16, v20
	v_cmp_lt_f32_e64 s[0:1], |v18|, s0
	v_cndmask_b32_e64 v16, v18, v16, s[0:1]
	v_mov_b32_e32 v18, 0x41b17218
	v_cndmask_b32_e32 v18, 0, v18, vcc
	v_sub_f32_e32 v16, v16, v18
	v_add_f32_e64 v14, |v8|, -0.5
	v_add_f32_e32 v16, -1.0, v16
	v_fmac_f32_e32 v10, v14, v16
.LBB162_135:
	s_or_b64 exec, exec, s[8:9]
.LBB162_136:
	s_andn2_saveexec_b64 s[6:7], s[6:7]
	s_cbranch_execz .LBB162_138
; %bb.137:
	v_cvt_i32_f32_e32 v10, v12
	v_mov_b32_e32 v14, 0x3af135b4
	v_mov_b32_e32 v16, 0x3cda40e4
	;; [unrolled: 1-line block ×3, first 2 shown]
	v_cvt_f32_i32_e32 v20, v10
	v_mov_b32_e32 v22, 0x3ea6cc7a
	v_mov_b32_e32 v23, 0x3e5c245a
	v_cmp_lt_i32_e32 vcc, 2, v10
	v_sub_f32_e64 v20, |v8|, v20
	v_fmac_f32_e32 v14, 0x3805ff67, v20
	v_fmac_f32_e32 v16, v20, v14
	;; [unrolled: 1-line block ×3, first 2 shown]
	v_mov_b32_e32 v16, 0x3a4beed6
	v_fmac_f32_e32 v22, v20, v18
	v_fmac_f32_e32 v16, 0x36f5d7bd, v20
	v_mov_b32_e32 v18, 0x3c98bf54
	v_fmac_f32_e32 v18, v20, v16
	v_mov_b32_e32 v16, 0x3e300f6e
	v_fmac_f32_e32 v16, v20, v18
	v_mov_b32_e32 v18, 0x3f38d0c5
	v_fmac_f32_e32 v18, v20, v16
	v_mov_b32_e32 v16, 0x3fb22d3b
	v_fmac_f32_e32 v16, v20, v18
	v_add_f32_e32 v18, 2.0, v20
	v_mov_b32_e32 v24, 0xbd9e233f
	v_fmac_f32_e32 v23, v20, v22
	v_add_f32_e32 v22, 0x40400000, v20
	v_cndmask_b32_e32 v18, 1.0, v18, vcc
	v_cmp_lt_i32_e32 vcc, 3, v10
	v_fmac_f32_e32 v24, v20, v23
	v_add_f32_e32 v23, 4.0, v20
	v_cndmask_b32_e32 v22, 1.0, v22, vcc
	v_cmp_lt_i32_e32 vcc, 4, v10
	v_mul_f32_e32 v14, v20, v24
	v_add_f32_e32 v24, 0x40a00000, v20
	v_mul_f32_e32 v18, v18, v22
	v_cndmask_b32_e32 v22, 1.0, v23, vcc
	v_cmp_lt_i32_e32 vcc, 5, v10
	v_add_f32_e32 v25, 0x40c00000, v20
	v_mul_f32_e32 v18, v22, v18
	v_cndmask_b32_e32 v22, 1.0, v24, vcc
	v_cmp_lt_i32_e32 vcc, 6, v10
	v_mul_f32_e32 v18, v22, v18
	v_cndmask_b32_e32 v10, 1.0, v25, vcc
	v_mul_f32_e32 v10, v10, v18
	s_mov_b32 s0, 0x800000
	v_cmp_gt_f32_e32 vcc, s0, v10
	v_cndmask_b32_e64 v18, 0, 32, vcc
	v_fma_f32 v16, v20, v16, 1.0
	v_ldexp_f32 v10, v10, v18
	v_rcp_f32_e32 v16, v16
	v_log_f32_e32 v10, v10
	s_mov_b32 s0, 0x3f317217
	v_mul_f32_e32 v14, v14, v16
	v_mul_f32_e32 v16, 0x3f317217, v10
	v_fma_f32 v18, v10, s0, -v16
	v_fmac_f32_e32 v18, 0x3377d1cf, v10
	s_mov_b32 s0, 0x7f800000
	v_add_f32_e32 v16, v16, v18
	v_cmp_lt_f32_e64 s[0:1], |v10|, s0
	v_cndmask_b32_e64 v10, v10, v16, s[0:1]
	v_mov_b32_e32 v16, 0x41b17218
	v_cndmask_b32_e32 v16, 0, v16, vcc
	v_fmac_f32_e32 v14, 0.5, v20
	v_sub_f32_e32 v10, v10, v16
	v_add_f32_e32 v10, v10, v14
.LBB162_138:
	s_or_b64 exec, exec, s[6:7]
.LBB162_139:
	s_andn2_saveexec_b64 s[4:5], s[4:5]
	s_cbranch_execz .LBB162_157
; %bb.140:
	s_mov_b32 s0, 0x3f666666
	v_cmp_le_f32_e64 s[0:1], |v8|, s0
                                        ; implicit-def: $vgpr10
                                        ; implicit-def: $vgpr16
                                        ; implicit-def: $vgpr14
	s_and_saveexec_b64 s[6:7], s[0:1]
	s_xor_b64 s[6:7], exec, s[6:7]
	s_cbranch_execz .LBB162_142
; %bb.141:
	s_mov_b32 s0, 0x800000
	v_cmp_lt_f32_e64 vcc, |v8|, s0
	v_cndmask_b32_e64 v10, 0, 32, vcc
	v_ldexp_f32 v10, |v8|, v10
	v_log_f32_e32 v10, v10
	s_mov_b32 s0, 0x3f317217
	s_mov_b32 s1, 0x7f800000
	v_mul_f32_e32 v14, 0x3f317217, v10
	v_fma_f32 v16, v10, s0, -v14
	v_fmac_f32_e32 v16, 0x3377d1cf, v10
	v_add_f32_e32 v14, v14, v16
	v_cmp_lt_f32_e64 s[0:1], |v10|, s1
	v_cndmask_b32_e64 v10, v10, v14, s[0:1]
	v_mov_b32_e32 v14, 0x41b17218
	v_cndmask_b32_e32 v14, 0, v14, vcc
	s_mov_b32 s0, 0x3f3b4a23
	s_mov_b32 s1, 0xbeec5b0c
	v_sub_f32_e32 v10, v10, v14
	v_sub_f32_e64 v14, 1.0, |v8|
	v_add_f32_e64 v16, |v8|, s1
	v_cmp_lt_f32_e64 vcc, |v8|, s0
	s_mov_b32 s0, 0x3e6d3309
	v_cndmask_b32_e32 v14, v14, v16, vcc
	v_cndmask_b32_e64 v16, 0, 1, vcc
	v_cmp_lt_f32_e64 s[0:1], |v8|, s0
	v_xor_b32_e32 v10, 0x80000000, v10
	v_cndmask_b32_e64 v14, v14, |v8|, s[0:1]
	v_cndmask_b32_e64 v16, v16, 2, s[0:1]
.LBB162_142:
	s_andn2_saveexec_b64 s[0:1], s[6:7]
	s_cbranch_execz .LBB162_144
; %bb.143:
	s_mov_b32 s6, 0x3fdda512
	s_mov_b32 s7, 0xbfbb16c3
	v_sub_f32_e64 v10, 2.0, |v8|
	v_add_f32_e64 v14, |v8|, s7
	v_cmp_lt_f32_e64 vcc, |v8|, s6
	v_cndmask_b32_e32 v14, v10, v14, vcc
	v_cndmask_b32_e64 v10, v10, 1.0, vcc
	v_cvt_i32_f32_e32 v10, v10
	s_mov_b32 s6, 0x3f9d70a4
	v_add_f32_e64 v16, |v8|, -1.0
	v_cmp_lt_f32_e64 vcc, |v8|, s6
	v_cndmask_b32_e32 v14, v14, v16, vcc
	v_cndmask_b32_e64 v16, v10, 2, vcc
	v_mov_b32_e32 v10, 0
.LBB162_144:
	s_or_b64 exec, exec, s[0:1]
	v_cmp_lt_i32_e32 vcc, 0, v16
	s_and_saveexec_b64 s[0:1], vcc
	s_xor_b64 s[0:1], exec, s[0:1]
	s_cbranch_execz .LBB162_152
; %bb.145:
	v_cmp_lt_i32_e32 vcc, 1, v16
	s_and_saveexec_b64 s[6:7], vcc
	s_xor_b64 s[6:7], exec, s[6:7]
	s_cbranch_execz .LBB162_149
; %bb.146:
	v_cmp_eq_u32_e32 vcc, 2, v16
	s_and_saveexec_b64 s[8:9], vcc
	s_cbranch_execz .LBB162_148
; %bb.147:
	v_mov_b32_e32 v16, 0x3e6a7578
	v_fmac_f32_e32 v16, 0x3c5b3c5e, v14
	v_mov_b32_e32 v18, 0x3f7a4bb2
	v_fmac_f32_e32 v18, v14, v16
	;; [unrolled: 2-line block ×8, first 2 shown]
	v_fma_f32 v16, v14, v20, 1.0
	v_rcp_f32_e32 v16, v16
	v_mov_b32_e32 v20, 0xbd9e233f
	v_fmac_f32_e32 v20, v14, v18
	v_mul_f32_e32 v18, v14, v20
	v_mul_f32_e32 v16, v18, v16
	v_fmac_f32_e32 v16, -0.5, v14
	v_add_f32_e32 v10, v10, v16
.LBB162_148:
	s_or_b64 exec, exec, s[8:9]
                                        ; implicit-def: $vgpr14
.LBB162_149:
	s_andn2_saveexec_b64 s[6:7], s[6:7]
	s_cbranch_execz .LBB162_151
; %bb.150:
	v_mul_f32_e32 v16, v14, v14
	v_mul_f32_e32 v18, v14, v16
	v_mov_b32_e32 v20, 0xbab7f476
	v_fmac_f32_e32 v20, 0x39a57b6b, v18
	v_mov_b32_e32 v22, 0x3bc7e707
	v_fmac_f32_e32 v22, v18, v20
	;; [unrolled: 2-line block ×12, first 2 shown]
	v_fmac_f32_e32 v23, v14, v24
	s_mov_b32 s8, 0xa2863e55
	v_fma_f32 v14, v18, -v23, s8
	v_fma_f32 v14, v16, v22, -v14
	v_add_f32_e32 v14, 0xbdf8cdce, v14
	v_add_f32_e32 v10, v10, v14
.LBB162_151:
	s_or_b64 exec, exec, s[6:7]
                                        ; implicit-def: $vgpr16
                                        ; implicit-def: $vgpr14
.LBB162_152:
	s_andn2_saveexec_b64 s[0:1], s[0:1]
	s_cbranch_execz .LBB162_156
; %bb.153:
	v_cmp_eq_u32_e32 vcc, 0, v16
	s_and_saveexec_b64 s[6:7], vcc
	s_cbranch_execz .LBB162_155
; %bb.154:
	v_mul_f32_e32 v16, v14, v14
	v_mov_b32_e32 v18, 0x39679767
	v_fmac_f32_e32 v18, 0x37d383a2, v16
	v_mov_b32_e32 v20, 0x3a9c54a1
	v_fmac_f32_e32 v20, v16, v18
	;; [unrolled: 2-line block ×10, first 2 shown]
	v_mul_f32_e32 v16, v16, v20
	v_fmac_f32_e32 v16, v14, v18
	v_fmac_f32_e32 v16, -0.5, v14
	v_add_f32_e32 v10, v10, v16
.LBB162_155:
	s_or_b64 exec, exec, s[6:7]
.LBB162_156:
	s_or_b64 exec, exec, s[0:1]
.LBB162_157:
	s_or_b64 exec, exec, s[4:5]
.LBB162_158:
	s_andn2_saveexec_b64 s[2:3], s[2:3]
	s_cbranch_execz .LBB162_160
; %bb.159:
	s_mov_b32 s0, 0x3e8a8991
	v_mov_b32_e32 v10, 0xbecd26ab
	v_fma_f32 v10, |v8|, s0, v10
	s_mov_b32 s0, 0x3f528d33
	v_fma_f32 v10, |v8|, v10, s0
	s_mov_b32 s0, 0x800000
	v_cmp_lt_f32_e64 vcc, |v8|, s0
	v_cndmask_b32_e64 v14, 0, 32, vcc
	v_ldexp_f32 v14, |v8|, v14
	v_log_f32_e32 v14, v14
	s_mov_b32 s0, 0xbf13c468
	v_fma_f32 v10, |v8|, v10, s0
	s_mov_b32 s0, 0x3f317217
	v_mul_f32_e32 v16, 0x3f317217, v14
	v_fma_f32 v18, v14, s0, -v16
	v_fmac_f32_e32 v18, 0x3377d1cf, v14
	s_mov_b32 s0, 0x7f800000
	v_add_f32_e32 v16, v16, v18
	v_cmp_lt_f32_e64 s[0:1], |v14|, s0
	v_cndmask_b32_e64 v14, v14, v16, s[0:1]
	v_mov_b32_e32 v16, 0x41b17218
	v_cndmask_b32_e32 v16, 0, v16, vcc
	v_sub_f32_e32 v14, v14, v16
	v_fma_f32 v10, |v8|, v10, -v14
.LBB162_160:
	s_or_b64 exec, exec, s[2:3]
	v_cmp_le_f32_e32 vcc, 0, v8
	v_cmp_nle_f32_e64 s[0:1], 0, v8
	s_and_saveexec_b64 s[2:3], s[0:1]
	s_xor_b64 s[4:5], exec, s[2:3]
	s_cbranch_execz .LBB162_164
; %bb.161:
	s_mov_b32 s0, 0x4b000000
	s_mov_b32 s2, 0x35000000
	v_cmp_lt_f32_e64 s[0:1], |v8|, s0
	v_cmp_gt_f32_e64 s[2:3], |v8|, s2
	s_and_b64 s[0:1], s[0:1], s[2:3]
	s_and_saveexec_b64 s[6:7], s[0:1]
	s_cbranch_execz .LBB162_163
; %bb.162:
	v_mul_f32_e64 v14, |v8|, 0.5
	v_floor_f32_e32 v16, v14
	v_sub_f32_e32 v16, v14, v16
	v_min_f32_e32 v16, 0x3f7fffff, v16
	s_mov_b32 s2, 0x7f800000
	v_add_f32_e32 v16, v16, v16
	v_cmp_neq_f32_e64 s[0:1], s2, v14
	v_cndmask_b32_e64 v14, 0, v16, s[0:1]
	v_cmp_gt_f32_e64 s[0:1], |v8|, 1.0
	v_cndmask_b32_e64 v14, |v8|, v14, s[0:1]
	v_add_f32_e32 v16, v14, v14
	v_rndne_f32_e32 v16, v16
	v_fmac_f32_e32 v14, -0.5, v16
	v_mul_f32_e32 v18, v14, v14
	v_mov_b32_e32 v20, 0xbf1f24be
	v_fmac_f32_e32 v20, 0x3e75aa41, v18
	v_mov_b32_e32 v22, 0x40234736
	v_fmac_f32_e32 v22, v18, v20
	;; [unrolled: 2-line block ×3, first 2 shown]
	v_mul_f32_e32 v22, v14, v18
	v_mul_f32_e32 v20, v22, v20
	v_fmac_f32_e32 v20, 0x40490fdb, v14
	v_mov_b32_e32 v14, 0x3e642e9d
	v_cvt_i32_f32_e32 v16, v16
	v_fmac_f32_e32 v14, 0x3d4be544, v18
	v_mov_b32_e32 v22, 0xbfaad1da
	v_fmac_f32_e32 v22, v18, v14
	v_mov_b32_e32 v14, 0x4081e0d3
	;; [unrolled: 2-line block ×3, first 2 shown]
	v_fmac_f32_e32 v22, v18, v14
	v_fma_f32 v14, v18, v22, 1.0
	v_and_b32_e32 v18, 1, v16
	v_cmp_eq_u32_e64 s[0:1], 0, v18
	v_cndmask_b32_e64 v14, v14, v20, s[0:1]
	v_lshlrev_b32_e32 v16, 30, v16
	s_brev_b32 s0, 1
	v_and_or_b32 v12, v16, s0, v12
	v_xor_b32_e32 v12, v12, v14
	v_xor_b32_e32 v12, v12, v8
	v_mul_f32_e32 v12, v8, v12
	v_frexp_mant_f32_e64 v14, |v12|
	v_rcp_f32_e32 v14, v14
	v_frexp_exp_i32_f32_e32 v12, v12
	v_sub_u32_e32 v12, 2, v12
	s_mov_b32 s0, 0x800000
	v_mul_f32_e32 v14, 0x3f490fdb, v14
	v_ldexp_f32 v12, v14, v12
	v_cmp_gt_f32_e64 s[0:1], s0, v12
	v_cndmask_b32_e64 v14, 0, 32, s[0:1]
	v_ldexp_f32 v12, v12, v14
	v_log_f32_e32 v12, v12
	s_mov_b32 s3, 0x3f317217
	v_mul_f32_e32 v14, 0x3f317217, v12
	v_fma_f32 v16, v12, s3, -v14
	v_fmac_f32_e32 v16, 0x3377d1cf, v12
	v_add_f32_e32 v14, v14, v16
	v_cmp_lt_f32_e64 s[2:3], |v12|, s2
	v_cndmask_b32_e64 v12, v12, v14, s[2:3]
	v_mov_b32_e32 v14, 0x41b17218
	v_cndmask_b32_e64 v14, 0, v14, s[0:1]
	v_sub_f32_e32 v12, v12, v14
	v_sub_f32_e32 v10, v12, v10
	v_floor_f32_e32 v12, v8
	v_sub_f32_e32 v12, v8, v12
	v_min_f32_e32 v12, 0x3f7fffff, v12
	v_mov_b32_e32 v14, 0x7f800000
	v_cmp_neq_f32_e64 s[0:1], 0, v12
	v_cndmask_b32_e64 v10, v14, v10, s[0:1]
.LBB162_163:
	s_or_b64 exec, exec, s[6:7]
.LBB162_164:
	s_andn2_saveexec_b64 s[4:5], s[4:5]
; %bb.165:
	v_cmp_eq_f32_e64 s[0:1], 1.0, v8
	v_cmp_eq_f32_e64 s[2:3], 2.0, v8
	s_or_b64 s[0:1], s[0:1], s[2:3]
	v_cndmask_b32_e64 v10, v10, 0, s[0:1]
; %bb.166:
	s_or_b64 exec, exec, s[4:5]
	global_load_ushort v12, v21, s[22:23]
	s_mov_b32 s0, 0x3c800000
                                        ; implicit-def: $vgpr14
	s_waitcnt vmcnt(0)
	v_lshlrev_b32_e32 v12, 16, v12
	v_and_b32_e32 v16, 0x7fffffff, v12
	v_cmp_nlt_f32_e64 s[0:1], |v12|, s0
	s_and_saveexec_b64 s[2:3], s[0:1]
	s_xor_b64 s[4:5], exec, s[2:3]
	s_cbranch_execz .LBB162_196
; %bb.167:
	v_cmp_nlt_f32_e64 s[0:1], |v12|, 2.0
                                        ; implicit-def: $vgpr14
	s_and_saveexec_b64 s[2:3], s[0:1]
	s_xor_b64 s[6:7], exec, s[2:3]
	s_cbranch_execz .LBB162_177
; %bb.168:
	s_mov_b32 s0, 0x41000000
	v_cmp_nlt_f32_e64 s[0:1], |v12|, s0
                                        ; implicit-def: $vgpr14
	s_and_saveexec_b64 s[2:3], s[0:1]
	s_xor_b64 s[8:9], exec, s[2:3]
	s_cbranch_execz .LBB162_174
; %bb.169:
	s_mov_b32 s0, 0x5c800000
	v_cmp_nlt_f32_e64 s[0:1], |v12|, s0
                                        ; implicit-def: $vgpr14
	s_and_saveexec_b64 s[2:3], s[0:1]
	s_xor_b64 s[10:11], exec, s[2:3]
	s_cbranch_execz .LBB162_171
; %bb.170:
	s_mov_b32 s0, 0x800000
	v_cmp_lt_f32_e64 s[0:1], |v12|, s0
	v_cndmask_b32_e64 v14, 0, 32, s[0:1]
	v_ldexp_f32 v14, |v12|, v14
	v_log_f32_e32 v14, v14
	s_mov_b32 s2, 0x3f317217
	s_mov_b32 s3, 0x7f800000
	v_mul_f32_e32 v18, 0x3f317217, v14
	v_fma_f32 v20, v14, s2, -v18
	v_fmac_f32_e32 v20, 0x3377d1cf, v14
	v_add_f32_e32 v18, v18, v20
	v_cmp_lt_f32_e64 s[2:3], |v14|, s3
	v_cndmask_b32_e64 v14, v14, v18, s[2:3]
	v_mov_b32_e32 v18, 0x41b17218
	v_cndmask_b32_e64 v18, 0, v18, s[0:1]
	v_sub_f32_e32 v14, v14, v18
	v_fma_f32 v14, |v12|, v14, -|v12|
.LBB162_171:
	s_andn2_saveexec_b64 s[10:11], s[10:11]
	s_cbranch_execz .LBB162_173
; %bb.172:
	v_rcp_f32_e64 v18, |v12|
	v_mov_b32_e32 v14, 0x3a5b3dd2
	v_mov_b32_e32 v20, 0xba1c065c
	;; [unrolled: 1-line block ×3, first 2 shown]
	v_mul_f32_e32 v22, v18, v18
	v_fmac_f32_e32 v14, 0xbad5c4e8, v22
	v_fmac_f32_e32 v20, v22, v14
	s_mov_b32 s0, 0x800000
	v_fmac_f32_e32 v21, v22, v20
	v_mov_b32_e32 v14, 0xbb360b61
	v_cmp_lt_f32_e64 s[0:1], |v12|, s0
	v_fmac_f32_e32 v14, v22, v21
	v_cndmask_b32_e64 v21, 0, 32, s[0:1]
	v_ldexp_f32 v21, |v12|, v21
	v_log_f32_e32 v21, v21
	v_mov_b32_e32 v20, 0x3daaaaab
	v_fmac_f32_e32 v20, v22, v14
	v_mov_b32_e32 v14, 0x3ed67f1d
	v_fmac_f32_e32 v14, v18, v20
	s_mov_b32 s2, 0x3f317217
	v_mul_f32_e32 v20, 0x3f317217, v21
	v_fma_f32 v22, v21, s2, -v20
	v_fmac_f32_e32 v22, 0x3377d1cf, v21
	s_mov_b32 s2, 0x7f800000
	v_add_f32_e32 v20, v20, v22
	v_cmp_lt_f32_e64 s[2:3], |v21|, s2
	v_cndmask_b32_e64 v20, v21, v20, s[2:3]
	v_mov_b32_e32 v21, 0x41b17218
	v_cndmask_b32_e64 v21, 0, v21, s[0:1]
	v_sub_f32_e32 v20, v20, v21
	v_add_f32_e64 v18, |v12|, -0.5
	v_add_f32_e32 v20, -1.0, v20
	v_fmac_f32_e32 v14, v18, v20
.LBB162_173:
	s_or_b64 exec, exec, s[10:11]
.LBB162_174:
	s_andn2_saveexec_b64 s[8:9], s[8:9]
	s_cbranch_execz .LBB162_176
; %bb.175:
	v_cvt_i32_f32_e32 v14, v16
	v_mov_b32_e32 v18, 0x3af135b4
	v_mov_b32_e32 v20, 0x3cda40e4
	;; [unrolled: 1-line block ×3, first 2 shown]
	v_cvt_f32_i32_e32 v22, v14
	v_mov_b32_e32 v23, 0x3ea6cc7a
	v_mov_b32_e32 v24, 0x3e5c245a
	v_cmp_lt_i32_e64 s[0:1], 2, v14
	v_sub_f32_e64 v22, |v12|, v22
	v_fmac_f32_e32 v18, 0x3805ff67, v22
	v_fmac_f32_e32 v20, v22, v18
	v_fmac_f32_e32 v21, v22, v20
	v_mov_b32_e32 v20, 0x3a4beed6
	v_fmac_f32_e32 v23, v22, v21
	v_fmac_f32_e32 v20, 0x36f5d7bd, v22
	v_mov_b32_e32 v21, 0x3c98bf54
	v_fmac_f32_e32 v21, v22, v20
	v_mov_b32_e32 v20, 0x3e300f6e
	;; [unrolled: 2-line block ×4, first 2 shown]
	v_fmac_f32_e32 v20, v22, v21
	v_add_f32_e32 v21, 2.0, v22
	v_mov_b32_e32 v25, 0xbd9e233f
	v_fmac_f32_e32 v24, v22, v23
	v_add_f32_e32 v23, 0x40400000, v22
	v_cndmask_b32_e64 v21, 1.0, v21, s[0:1]
	v_cmp_lt_i32_e64 s[0:1], 3, v14
	v_fmac_f32_e32 v25, v22, v24
	v_add_f32_e32 v24, 4.0, v22
	v_cndmask_b32_e64 v23, 1.0, v23, s[0:1]
	v_cmp_lt_i32_e64 s[0:1], 4, v14
	v_mul_f32_e32 v18, v22, v25
	v_add_f32_e32 v25, 0x40a00000, v22
	v_mul_f32_e32 v21, v21, v23
	v_cndmask_b32_e64 v23, 1.0, v24, s[0:1]
	v_cmp_lt_i32_e64 s[0:1], 5, v14
	v_add_f32_e32 v26, 0x40c00000, v22
	v_mul_f32_e32 v21, v23, v21
	v_cndmask_b32_e64 v23, 1.0, v25, s[0:1]
	v_cmp_lt_i32_e64 s[0:1], 6, v14
	v_mul_f32_e32 v21, v23, v21
	v_cndmask_b32_e64 v14, 1.0, v26, s[0:1]
	v_mul_f32_e32 v14, v14, v21
	s_mov_b32 s0, 0x800000
	v_cmp_gt_f32_e64 s[0:1], s0, v14
	v_cndmask_b32_e64 v21, 0, 32, s[0:1]
	v_fma_f32 v20, v22, v20, 1.0
	v_ldexp_f32 v14, v14, v21
	v_rcp_f32_e32 v20, v20
	v_log_f32_e32 v14, v14
	s_mov_b32 s2, 0x3f317217
	v_mul_f32_e32 v18, v18, v20
	v_mul_f32_e32 v20, 0x3f317217, v14
	v_fma_f32 v21, v14, s2, -v20
	v_fmac_f32_e32 v21, 0x3377d1cf, v14
	s_mov_b32 s2, 0x7f800000
	v_add_f32_e32 v20, v20, v21
	v_cmp_lt_f32_e64 s[2:3], |v14|, s2
	v_cndmask_b32_e64 v14, v14, v20, s[2:3]
	v_mov_b32_e32 v20, 0x41b17218
	v_cndmask_b32_e64 v20, 0, v20, s[0:1]
	v_fmac_f32_e32 v18, 0.5, v22
	v_sub_f32_e32 v14, v14, v20
	v_add_f32_e32 v14, v14, v18
.LBB162_176:
	s_or_b64 exec, exec, s[8:9]
.LBB162_177:
	s_andn2_saveexec_b64 s[6:7], s[6:7]
	s_cbranch_execz .LBB162_195
; %bb.178:
	s_mov_b32 s0, 0x3f666666
	v_cmp_le_f32_e64 s[0:1], |v12|, s0
                                        ; implicit-def: $vgpr14
                                        ; implicit-def: $vgpr20
                                        ; implicit-def: $vgpr18
	s_and_saveexec_b64 s[2:3], s[0:1]
	s_xor_b64 s[8:9], exec, s[2:3]
	s_cbranch_execz .LBB162_180
; %bb.179:
	s_mov_b32 s0, 0x800000
	v_cmp_lt_f32_e64 s[0:1], |v12|, s0
	v_cndmask_b32_e64 v14, 0, 32, s[0:1]
	v_ldexp_f32 v14, |v12|, v14
	v_log_f32_e32 v14, v14
	s_mov_b32 s2, 0x3f317217
	s_mov_b32 s3, 0x7f800000
	v_mul_f32_e32 v18, 0x3f317217, v14
	v_fma_f32 v20, v14, s2, -v18
	v_fmac_f32_e32 v20, 0x3377d1cf, v14
	v_add_f32_e32 v18, v18, v20
	v_cmp_lt_f32_e64 s[2:3], |v14|, s3
	v_cndmask_b32_e64 v14, v14, v18, s[2:3]
	v_mov_b32_e32 v18, 0x41b17218
	v_cndmask_b32_e64 v18, 0, v18, s[0:1]
	s_mov_b32 s0, 0x3f3b4a23
	s_mov_b32 s1, 0xbeec5b0c
	v_sub_f32_e32 v14, v14, v18
	v_sub_f32_e64 v18, 1.0, |v12|
	v_add_f32_e64 v20, |v12|, s1
	v_cmp_lt_f32_e64 s[0:1], |v12|, s0
	v_cndmask_b32_e64 v18, v18, v20, s[0:1]
	v_cndmask_b32_e64 v20, 0, 1, s[0:1]
	s_mov_b32 s0, 0x3e6d3309
	v_cmp_lt_f32_e64 s[0:1], |v12|, s0
	v_xor_b32_e32 v14, 0x80000000, v14
	v_cndmask_b32_e64 v18, v18, |v12|, s[0:1]
	v_cndmask_b32_e64 v20, v20, 2, s[0:1]
.LBB162_180:
	s_andn2_saveexec_b64 s[2:3], s[8:9]
	s_cbranch_execz .LBB162_182
; %bb.181:
	s_mov_b32 s0, 0x3fdda512
	s_mov_b32 s1, 0xbfbb16c3
	v_sub_f32_e64 v14, 2.0, |v12|
	v_add_f32_e64 v18, |v12|, s1
	v_cmp_lt_f32_e64 s[0:1], |v12|, s0
	v_cndmask_b32_e64 v18, v14, v18, s[0:1]
	v_cndmask_b32_e64 v14, v14, 1.0, s[0:1]
	v_cvt_i32_f32_e32 v14, v14
	s_mov_b32 s0, 0x3f9d70a4
	v_add_f32_e64 v20, |v12|, -1.0
	v_cmp_lt_f32_e64 s[0:1], |v12|, s0
	v_cndmask_b32_e64 v18, v18, v20, s[0:1]
	v_cndmask_b32_e64 v20, v14, 2, s[0:1]
	v_mov_b32_e32 v14, 0
.LBB162_182:
	s_or_b64 exec, exec, s[2:3]
	v_cmp_lt_i32_e64 s[0:1], 0, v20
	s_and_saveexec_b64 s[2:3], s[0:1]
	s_xor_b64 s[2:3], exec, s[2:3]
	s_cbranch_execz .LBB162_190
; %bb.183:
	v_cmp_lt_i32_e64 s[0:1], 1, v20
	s_and_saveexec_b64 s[8:9], s[0:1]
	s_xor_b64 s[8:9], exec, s[8:9]
	s_cbranch_execz .LBB162_187
; %bb.184:
	v_cmp_eq_u32_e64 s[0:1], 2, v20
	s_and_saveexec_b64 s[10:11], s[0:1]
	s_cbranch_execz .LBB162_186
; %bb.185:
	v_mov_b32_e32 v20, 0x3e6a7578
	v_fmac_f32_e32 v20, 0x3c5b3c5e, v18
	v_mov_b32_e32 v21, 0x3f7a4bb2
	v_fmac_f32_e32 v21, v18, v20
	;; [unrolled: 2-line block ×8, first 2 shown]
	v_fma_f32 v20, v18, v22, 1.0
	v_rcp_f32_e32 v20, v20
	v_mov_b32_e32 v22, 0xbd9e233f
	v_fmac_f32_e32 v22, v18, v21
	v_mul_f32_e32 v21, v18, v22
	v_mul_f32_e32 v20, v21, v20
	v_fmac_f32_e32 v20, -0.5, v18
	v_add_f32_e32 v14, v14, v20
.LBB162_186:
	s_or_b64 exec, exec, s[10:11]
                                        ; implicit-def: $vgpr18
.LBB162_187:
	s_andn2_saveexec_b64 s[0:1], s[8:9]
	s_cbranch_execz .LBB162_189
; %bb.188:
	v_mul_f32_e32 v20, v18, v18
	v_mul_f32_e32 v21, v18, v20
	v_mov_b32_e32 v22, 0xbab7f476
	v_fmac_f32_e32 v22, 0x39a57b6b, v21
	v_mov_b32_e32 v23, 0x3bc7e707
	v_fmac_f32_e32 v23, v21, v22
	;; [unrolled: 2-line block ×12, first 2 shown]
	v_fmac_f32_e32 v24, v18, v25
	s_mov_b32 s8, 0xa2863e55
	v_fma_f32 v18, v21, -v24, s8
	v_fma_f32 v18, v20, v23, -v18
	v_add_f32_e32 v18, 0xbdf8cdce, v18
	v_add_f32_e32 v14, v14, v18
.LBB162_189:
	s_or_b64 exec, exec, s[0:1]
                                        ; implicit-def: $vgpr20
                                        ; implicit-def: $vgpr18
.LBB162_190:
	s_andn2_saveexec_b64 s[2:3], s[2:3]
	s_cbranch_execz .LBB162_194
; %bb.191:
	v_cmp_eq_u32_e64 s[0:1], 0, v20
	s_and_saveexec_b64 s[8:9], s[0:1]
	s_cbranch_execz .LBB162_193
; %bb.192:
	v_mul_f32_e32 v20, v18, v18
	v_mov_b32_e32 v21, 0x39679767
	v_fmac_f32_e32 v21, 0x37d383a2, v20
	v_mov_b32_e32 v22, 0x3a9c54a1
	v_fmac_f32_e32 v22, v20, v21
	;; [unrolled: 2-line block ×10, first 2 shown]
	v_mul_f32_e32 v20, v20, v22
	v_fmac_f32_e32 v20, v18, v21
	v_fmac_f32_e32 v20, -0.5, v18
	v_add_f32_e32 v14, v14, v20
.LBB162_193:
	s_or_b64 exec, exec, s[8:9]
.LBB162_194:
	s_or_b64 exec, exec, s[2:3]
.LBB162_195:
	s_or_b64 exec, exec, s[6:7]
.LBB162_196:
	s_andn2_saveexec_b64 s[4:5], s[4:5]
	s_cbranch_execz .LBB162_198
; %bb.197:
	s_mov_b32 s0, 0x3e8a8991
	v_mov_b32_e32 v14, 0xbecd26ab
	v_fma_f32 v14, |v12|, s0, v14
	s_mov_b32 s0, 0x3f528d33
	v_fma_f32 v14, |v12|, v14, s0
	s_mov_b32 s0, 0x800000
	v_cmp_lt_f32_e64 s[0:1], |v12|, s0
	v_cndmask_b32_e64 v18, 0, 32, s[0:1]
	v_ldexp_f32 v18, |v12|, v18
	v_log_f32_e32 v18, v18
	s_mov_b32 s2, 0xbf13c468
	v_fma_f32 v14, |v12|, v14, s2
	s_mov_b32 s2, 0x3f317217
	v_mul_f32_e32 v20, 0x3f317217, v18
	v_fma_f32 v21, v18, s2, -v20
	v_fmac_f32_e32 v21, 0x3377d1cf, v18
	s_mov_b32 s2, 0x7f800000
	v_add_f32_e32 v20, v20, v21
	v_cmp_lt_f32_e64 s[2:3], |v18|, s2
	v_cndmask_b32_e64 v18, v18, v20, s[2:3]
	v_mov_b32_e32 v20, 0x41b17218
	v_cndmask_b32_e64 v20, 0, v20, s[0:1]
	v_sub_f32_e32 v18, v18, v20
	v_fma_f32 v14, |v12|, v14, -v18
.LBB162_198:
	s_or_b64 exec, exec, s[4:5]
	v_cmp_le_f32_e64 s[0:1], 0, v12
	v_cmp_nle_f32_e64 s[2:3], 0, v12
	s_and_saveexec_b64 s[4:5], s[2:3]
	s_xor_b64 s[6:7], exec, s[4:5]
	s_cbranch_execz .LBB162_202
; %bb.199:
	s_mov_b32 s2, 0x4b000000
	s_mov_b32 s4, 0x35000000
	v_cmp_lt_f32_e64 s[2:3], |v12|, s2
	v_cmp_gt_f32_e64 s[4:5], |v12|, s4
	s_and_b64 s[2:3], s[2:3], s[4:5]
	s_and_saveexec_b64 s[8:9], s[2:3]
	s_cbranch_execz .LBB162_201
; %bb.200:
	v_mul_f32_e64 v18, |v12|, 0.5
	v_floor_f32_e32 v20, v18
	v_sub_f32_e32 v20, v18, v20
	v_min_f32_e32 v20, 0x3f7fffff, v20
	s_mov_b32 s4, 0x7f800000
	v_add_f32_e32 v20, v20, v20
	v_cmp_neq_f32_e64 s[2:3], s4, v18
	v_cndmask_b32_e64 v18, 0, v20, s[2:3]
	v_cmp_gt_f32_e64 s[2:3], |v12|, 1.0
	v_cndmask_b32_e64 v18, |v12|, v18, s[2:3]
	v_add_f32_e32 v20, v18, v18
	v_rndne_f32_e32 v20, v20
	v_fmac_f32_e32 v18, -0.5, v20
	v_mul_f32_e32 v21, v18, v18
	v_mov_b32_e32 v22, 0xbf1f24be
	v_fmac_f32_e32 v22, 0x3e75aa41, v21
	v_mov_b32_e32 v23, 0x40234736
	v_fmac_f32_e32 v23, v21, v22
	;; [unrolled: 2-line block ×3, first 2 shown]
	v_mul_f32_e32 v23, v18, v21
	v_mul_f32_e32 v22, v23, v22
	v_fmac_f32_e32 v22, 0x40490fdb, v18
	v_mov_b32_e32 v18, 0x3e642e9d
	v_cvt_i32_f32_e32 v20, v20
	v_fmac_f32_e32 v18, 0x3d4be544, v21
	v_mov_b32_e32 v23, 0xbfaad1da
	v_fmac_f32_e32 v23, v21, v18
	v_mov_b32_e32 v18, 0x4081e0d3
	;; [unrolled: 2-line block ×3, first 2 shown]
	v_fmac_f32_e32 v23, v21, v18
	v_fma_f32 v18, v21, v23, 1.0
	v_and_b32_e32 v21, 1, v20
	v_cmp_eq_u32_e64 s[2:3], 0, v21
	v_cndmask_b32_e64 v18, v18, v22, s[2:3]
	v_lshlrev_b32_e32 v20, 30, v20
	s_brev_b32 s2, 1
	v_and_or_b32 v16, v20, s2, v16
	v_xor_b32_e32 v16, v16, v18
	v_xor_b32_e32 v16, v16, v12
	v_mul_f32_e32 v16, v12, v16
	v_frexp_mant_f32_e64 v18, |v16|
	v_rcp_f32_e32 v18, v18
	v_frexp_exp_i32_f32_e32 v16, v16
	v_sub_u32_e32 v16, 2, v16
	s_mov_b32 s2, 0x800000
	v_mul_f32_e32 v18, 0x3f490fdb, v18
	v_ldexp_f32 v16, v18, v16
	v_cmp_gt_f32_e64 s[2:3], s2, v16
	v_cndmask_b32_e64 v18, 0, 32, s[2:3]
	v_ldexp_f32 v16, v16, v18
	v_log_f32_e32 v16, v16
	s_mov_b32 s5, 0x3f317217
	v_mul_f32_e32 v18, 0x3f317217, v16
	v_fma_f32 v20, v16, s5, -v18
	v_fmac_f32_e32 v20, 0x3377d1cf, v16
	v_add_f32_e32 v18, v18, v20
	v_cmp_lt_f32_e64 s[4:5], |v16|, s4
	v_cndmask_b32_e64 v16, v16, v18, s[4:5]
	v_mov_b32_e32 v18, 0x41b17218
	v_cndmask_b32_e64 v18, 0, v18, s[2:3]
	v_sub_f32_e32 v16, v16, v18
	v_sub_f32_e32 v14, v16, v14
	v_floor_f32_e32 v16, v12
	v_sub_f32_e32 v16, v12, v16
	v_min_f32_e32 v16, 0x3f7fffff, v16
	v_mov_b32_e32 v18, 0x7f800000
	v_cmp_neq_f32_e64 s[2:3], 0, v16
	v_cndmask_b32_e64 v14, v18, v14, s[2:3]
.LBB162_201:
	s_or_b64 exec, exec, s[8:9]
.LBB162_202:
	s_andn2_saveexec_b64 s[6:7], s[6:7]
; %bb.203:
	v_cmp_eq_f32_e64 s[2:3], 1.0, v12
	v_cmp_eq_f32_e64 s[4:5], 2.0, v12
	s_or_b64 s[2:3], s[2:3], s[4:5]
	v_cndmask_b32_e64 v14, v14, 0, s[2:3]
; %bb.204:
	s_or_b64 exec, exec, s[6:7]
	global_load_ushort v16, v19, s[22:23]
	s_mov_b32 s2, 0x3c800000
                                        ; implicit-def: $vgpr18
	s_waitcnt vmcnt(0)
	v_lshlrev_b32_e32 v16, 16, v16
	v_and_b32_e32 v19, 0x7fffffff, v16
	v_cmp_nlt_f32_e64 s[2:3], |v16|, s2
	s_and_saveexec_b64 s[4:5], s[2:3]
	s_xor_b64 s[6:7], exec, s[4:5]
	s_cbranch_execz .LBB162_234
; %bb.205:
	v_cmp_nlt_f32_e64 s[2:3], |v16|, 2.0
                                        ; implicit-def: $vgpr18
	s_and_saveexec_b64 s[4:5], s[2:3]
	s_xor_b64 s[8:9], exec, s[4:5]
	s_cbranch_execz .LBB162_215
; %bb.206:
	s_mov_b32 s2, 0x41000000
	v_cmp_nlt_f32_e64 s[2:3], |v16|, s2
                                        ; implicit-def: $vgpr18
	s_and_saveexec_b64 s[4:5], s[2:3]
	s_xor_b64 s[10:11], exec, s[4:5]
	s_cbranch_execz .LBB162_212
; %bb.207:
	s_mov_b32 s2, 0x5c800000
	v_cmp_nlt_f32_e64 s[2:3], |v16|, s2
                                        ; implicit-def: $vgpr18
	s_and_saveexec_b64 s[4:5], s[2:3]
	s_xor_b64 s[12:13], exec, s[4:5]
	s_cbranch_execz .LBB162_209
; %bb.208:
	s_mov_b32 s2, 0x800000
	v_cmp_lt_f32_e64 s[2:3], |v16|, s2
	v_cndmask_b32_e64 v18, 0, 32, s[2:3]
	v_ldexp_f32 v18, |v16|, v18
	v_log_f32_e32 v18, v18
	s_mov_b32 s4, 0x3f317217
	s_mov_b32 s5, 0x7f800000
	v_mul_f32_e32 v20, 0x3f317217, v18
	v_fma_f32 v21, v18, s4, -v20
	v_fmac_f32_e32 v21, 0x3377d1cf, v18
	v_add_f32_e32 v20, v20, v21
	v_cmp_lt_f32_e64 s[4:5], |v18|, s5
	v_cndmask_b32_e64 v18, v18, v20, s[4:5]
	v_mov_b32_e32 v20, 0x41b17218
	v_cndmask_b32_e64 v20, 0, v20, s[2:3]
	v_sub_f32_e32 v18, v18, v20
	v_fma_f32 v18, |v16|, v18, -|v16|
.LBB162_209:
	s_andn2_saveexec_b64 s[12:13], s[12:13]
	s_cbranch_execz .LBB162_211
; %bb.210:
	v_rcp_f32_e64 v20, |v16|
	v_mov_b32_e32 v18, 0x3a5b3dd2
	v_mov_b32_e32 v21, 0xba1c065c
	v_mov_b32_e32 v22, 0x3a500cfd
	v_mul_f32_e32 v23, v20, v20
	v_fmac_f32_e32 v18, 0xbad5c4e8, v23
	v_fmac_f32_e32 v21, v23, v18
	s_mov_b32 s2, 0x800000
	v_fmac_f32_e32 v22, v23, v21
	v_mov_b32_e32 v18, 0xbb360b61
	v_cmp_lt_f32_e64 s[2:3], |v16|, s2
	v_fmac_f32_e32 v18, v23, v22
	v_cndmask_b32_e64 v22, 0, 32, s[2:3]
	v_ldexp_f32 v22, |v16|, v22
	v_log_f32_e32 v22, v22
	v_mov_b32_e32 v21, 0x3daaaaab
	v_fmac_f32_e32 v21, v23, v18
	v_mov_b32_e32 v18, 0x3ed67f1d
	v_fmac_f32_e32 v18, v20, v21
	s_mov_b32 s4, 0x3f317217
	v_mul_f32_e32 v21, 0x3f317217, v22
	v_fma_f32 v23, v22, s4, -v21
	v_fmac_f32_e32 v23, 0x3377d1cf, v22
	s_mov_b32 s4, 0x7f800000
	v_add_f32_e32 v21, v21, v23
	v_cmp_lt_f32_e64 s[4:5], |v22|, s4
	v_cndmask_b32_e64 v21, v22, v21, s[4:5]
	v_mov_b32_e32 v22, 0x41b17218
	v_cndmask_b32_e64 v22, 0, v22, s[2:3]
	v_sub_f32_e32 v21, v21, v22
	v_add_f32_e64 v20, |v16|, -0.5
	v_add_f32_e32 v21, -1.0, v21
	v_fmac_f32_e32 v18, v20, v21
.LBB162_211:
	s_or_b64 exec, exec, s[12:13]
.LBB162_212:
	s_andn2_saveexec_b64 s[10:11], s[10:11]
	s_cbranch_execz .LBB162_214
; %bb.213:
	v_cvt_i32_f32_e32 v18, v19
	v_mov_b32_e32 v20, 0x3af135b4
	v_mov_b32_e32 v21, 0x3cda40e4
	;; [unrolled: 1-line block ×3, first 2 shown]
	v_cvt_f32_i32_e32 v23, v18
	v_mov_b32_e32 v24, 0x3ea6cc7a
	v_mov_b32_e32 v25, 0x3e5c245a
	v_cmp_lt_i32_e64 s[2:3], 2, v18
	v_sub_f32_e64 v23, |v16|, v23
	v_fmac_f32_e32 v20, 0x3805ff67, v23
	v_fmac_f32_e32 v21, v23, v20
	;; [unrolled: 1-line block ×3, first 2 shown]
	v_mov_b32_e32 v21, 0x3a4beed6
	v_fmac_f32_e32 v24, v23, v22
	v_fmac_f32_e32 v21, 0x36f5d7bd, v23
	v_mov_b32_e32 v22, 0x3c98bf54
	v_fmac_f32_e32 v22, v23, v21
	v_mov_b32_e32 v21, 0x3e300f6e
	;; [unrolled: 2-line block ×4, first 2 shown]
	v_fmac_f32_e32 v21, v23, v22
	v_add_f32_e32 v22, 2.0, v23
	v_mov_b32_e32 v26, 0xbd9e233f
	v_fmac_f32_e32 v25, v23, v24
	v_add_f32_e32 v24, 0x40400000, v23
	v_cndmask_b32_e64 v22, 1.0, v22, s[2:3]
	v_cmp_lt_i32_e64 s[2:3], 3, v18
	v_fmac_f32_e32 v26, v23, v25
	v_add_f32_e32 v25, 4.0, v23
	v_cndmask_b32_e64 v24, 1.0, v24, s[2:3]
	v_cmp_lt_i32_e64 s[2:3], 4, v18
	v_mul_f32_e32 v20, v23, v26
	v_add_f32_e32 v26, 0x40a00000, v23
	v_mul_f32_e32 v22, v22, v24
	v_cndmask_b32_e64 v24, 1.0, v25, s[2:3]
	v_cmp_lt_i32_e64 s[2:3], 5, v18
	v_add_f32_e32 v27, 0x40c00000, v23
	v_mul_f32_e32 v22, v24, v22
	v_cndmask_b32_e64 v24, 1.0, v26, s[2:3]
	v_cmp_lt_i32_e64 s[2:3], 6, v18
	v_mul_f32_e32 v22, v24, v22
	v_cndmask_b32_e64 v18, 1.0, v27, s[2:3]
	v_mul_f32_e32 v18, v18, v22
	s_mov_b32 s2, 0x800000
	v_cmp_gt_f32_e64 s[2:3], s2, v18
	v_cndmask_b32_e64 v22, 0, 32, s[2:3]
	v_fma_f32 v21, v23, v21, 1.0
	v_ldexp_f32 v18, v18, v22
	v_rcp_f32_e32 v21, v21
	v_log_f32_e32 v18, v18
	s_mov_b32 s4, 0x3f317217
	v_mul_f32_e32 v20, v20, v21
	v_mul_f32_e32 v21, 0x3f317217, v18
	v_fma_f32 v22, v18, s4, -v21
	v_fmac_f32_e32 v22, 0x3377d1cf, v18
	s_mov_b32 s4, 0x7f800000
	v_add_f32_e32 v21, v21, v22
	v_cmp_lt_f32_e64 s[4:5], |v18|, s4
	v_cndmask_b32_e64 v18, v18, v21, s[4:5]
	v_mov_b32_e32 v21, 0x41b17218
	v_cndmask_b32_e64 v21, 0, v21, s[2:3]
	v_fmac_f32_e32 v20, 0.5, v23
	v_sub_f32_e32 v18, v18, v21
	v_add_f32_e32 v18, v18, v20
.LBB162_214:
	s_or_b64 exec, exec, s[10:11]
.LBB162_215:
	s_andn2_saveexec_b64 s[8:9], s[8:9]
	s_cbranch_execz .LBB162_233
; %bb.216:
	s_mov_b32 s2, 0x3f666666
	v_cmp_le_f32_e64 s[2:3], |v16|, s2
                                        ; implicit-def: $vgpr18
                                        ; implicit-def: $vgpr21
                                        ; implicit-def: $vgpr20
	s_and_saveexec_b64 s[4:5], s[2:3]
	s_xor_b64 s[10:11], exec, s[4:5]
	s_cbranch_execz .LBB162_218
; %bb.217:
	s_mov_b32 s2, 0x800000
	v_cmp_lt_f32_e64 s[2:3], |v16|, s2
	v_cndmask_b32_e64 v18, 0, 32, s[2:3]
	v_ldexp_f32 v18, |v16|, v18
	v_log_f32_e32 v18, v18
	s_mov_b32 s4, 0x3f317217
	s_mov_b32 s5, 0x7f800000
	v_mul_f32_e32 v20, 0x3f317217, v18
	v_fma_f32 v21, v18, s4, -v20
	v_fmac_f32_e32 v21, 0x3377d1cf, v18
	v_add_f32_e32 v20, v20, v21
	v_cmp_lt_f32_e64 s[4:5], |v18|, s5
	v_cndmask_b32_e64 v18, v18, v20, s[4:5]
	v_mov_b32_e32 v20, 0x41b17218
	v_cndmask_b32_e64 v20, 0, v20, s[2:3]
	s_mov_b32 s2, 0x3f3b4a23
	s_mov_b32 s3, 0xbeec5b0c
	v_sub_f32_e32 v18, v18, v20
	v_sub_f32_e64 v20, 1.0, |v16|
	v_add_f32_e64 v21, |v16|, s3
	v_cmp_lt_f32_e64 s[2:3], |v16|, s2
	v_cndmask_b32_e64 v20, v20, v21, s[2:3]
	v_cndmask_b32_e64 v21, 0, 1, s[2:3]
	s_mov_b32 s2, 0x3e6d3309
	v_cmp_lt_f32_e64 s[2:3], |v16|, s2
	v_xor_b32_e32 v18, 0x80000000, v18
	v_cndmask_b32_e64 v20, v20, |v16|, s[2:3]
	v_cndmask_b32_e64 v21, v21, 2, s[2:3]
.LBB162_218:
	s_andn2_saveexec_b64 s[4:5], s[10:11]
	s_cbranch_execz .LBB162_220
; %bb.219:
	s_mov_b32 s2, 0x3fdda512
	s_mov_b32 s3, 0xbfbb16c3
	v_sub_f32_e64 v18, 2.0, |v16|
	v_add_f32_e64 v20, |v16|, s3
	v_cmp_lt_f32_e64 s[2:3], |v16|, s2
	v_cndmask_b32_e64 v20, v18, v20, s[2:3]
	v_cndmask_b32_e64 v18, v18, 1.0, s[2:3]
	v_cvt_i32_f32_e32 v18, v18
	s_mov_b32 s2, 0x3f9d70a4
	v_add_f32_e64 v21, |v16|, -1.0
	v_cmp_lt_f32_e64 s[2:3], |v16|, s2
	v_cndmask_b32_e64 v20, v20, v21, s[2:3]
	v_cndmask_b32_e64 v21, v18, 2, s[2:3]
	v_mov_b32_e32 v18, 0
.LBB162_220:
	s_or_b64 exec, exec, s[4:5]
	v_cmp_lt_i32_e64 s[2:3], 0, v21
	s_and_saveexec_b64 s[4:5], s[2:3]
	s_xor_b64 s[4:5], exec, s[4:5]
	s_cbranch_execz .LBB162_228
; %bb.221:
	v_cmp_lt_i32_e64 s[2:3], 1, v21
	s_and_saveexec_b64 s[10:11], s[2:3]
	s_xor_b64 s[10:11], exec, s[10:11]
	s_cbranch_execz .LBB162_225
; %bb.222:
	v_cmp_eq_u32_e64 s[2:3], 2, v21
	s_and_saveexec_b64 s[12:13], s[2:3]
	s_cbranch_execz .LBB162_224
; %bb.223:
	v_mov_b32_e32 v21, 0x3e6a7578
	v_fmac_f32_e32 v21, 0x3c5b3c5e, v20
	v_mov_b32_e32 v22, 0x3f7a4bb2
	v_fmac_f32_e32 v22, v20, v21
	;; [unrolled: 2-line block ×8, first 2 shown]
	v_fma_f32 v21, v20, v23, 1.0
	v_rcp_f32_e32 v21, v21
	v_mov_b32_e32 v23, 0xbd9e233f
	v_fmac_f32_e32 v23, v20, v22
	v_mul_f32_e32 v22, v20, v23
	v_mul_f32_e32 v21, v22, v21
	v_fmac_f32_e32 v21, -0.5, v20
	v_add_f32_e32 v18, v18, v21
.LBB162_224:
	s_or_b64 exec, exec, s[12:13]
                                        ; implicit-def: $vgpr20
.LBB162_225:
	s_andn2_saveexec_b64 s[2:3], s[10:11]
	s_cbranch_execz .LBB162_227
; %bb.226:
	v_mul_f32_e32 v21, v20, v20
	v_mul_f32_e32 v22, v20, v21
	v_mov_b32_e32 v23, 0xbab7f476
	v_fmac_f32_e32 v23, 0x39a57b6b, v22
	v_mov_b32_e32 v24, 0x3bc7e707
	v_fmac_f32_e32 v24, v22, v23
	;; [unrolled: 2-line block ×12, first 2 shown]
	v_fmac_f32_e32 v25, v20, v26
	s_mov_b32 s10, 0xa2863e55
	v_fma_f32 v20, v22, -v25, s10
	v_fma_f32 v20, v21, v24, -v20
	v_add_f32_e32 v20, 0xbdf8cdce, v20
	v_add_f32_e32 v18, v18, v20
.LBB162_227:
	s_or_b64 exec, exec, s[2:3]
                                        ; implicit-def: $vgpr21
                                        ; implicit-def: $vgpr20
.LBB162_228:
	s_andn2_saveexec_b64 s[4:5], s[4:5]
	s_cbranch_execz .LBB162_232
; %bb.229:
	v_cmp_eq_u32_e64 s[2:3], 0, v21
	s_and_saveexec_b64 s[10:11], s[2:3]
	s_cbranch_execz .LBB162_231
; %bb.230:
	v_mul_f32_e32 v21, v20, v20
	v_mov_b32_e32 v22, 0x39679767
	v_fmac_f32_e32 v22, 0x37d383a2, v21
	v_mov_b32_e32 v23, 0x3a9c54a1
	v_fmac_f32_e32 v23, v21, v22
	;; [unrolled: 2-line block ×10, first 2 shown]
	v_mul_f32_e32 v21, v21, v23
	v_fmac_f32_e32 v21, v20, v22
	v_fmac_f32_e32 v21, -0.5, v20
	v_add_f32_e32 v18, v18, v21
.LBB162_231:
	s_or_b64 exec, exec, s[10:11]
.LBB162_232:
	s_or_b64 exec, exec, s[4:5]
.LBB162_233:
	s_or_b64 exec, exec, s[8:9]
.LBB162_234:
	s_andn2_saveexec_b64 s[6:7], s[6:7]
	s_cbranch_execz .LBB162_236
; %bb.235:
	s_mov_b32 s2, 0x3e8a8991
	v_mov_b32_e32 v18, 0xbecd26ab
	v_fma_f32 v18, |v16|, s2, v18
	s_mov_b32 s2, 0x3f528d33
	v_fma_f32 v18, |v16|, v18, s2
	s_mov_b32 s2, 0x800000
	v_cmp_lt_f32_e64 s[2:3], |v16|, s2
	v_cndmask_b32_e64 v20, 0, 32, s[2:3]
	v_ldexp_f32 v20, |v16|, v20
	v_log_f32_e32 v20, v20
	s_mov_b32 s4, 0xbf13c468
	v_fma_f32 v18, |v16|, v18, s4
	s_mov_b32 s4, 0x3f317217
	v_mul_f32_e32 v21, 0x3f317217, v20
	v_fma_f32 v22, v20, s4, -v21
	v_fmac_f32_e32 v22, 0x3377d1cf, v20
	s_mov_b32 s4, 0x7f800000
	v_add_f32_e32 v21, v21, v22
	v_cmp_lt_f32_e64 s[4:5], |v20|, s4
	v_cndmask_b32_e64 v20, v20, v21, s[4:5]
	v_mov_b32_e32 v21, 0x41b17218
	v_cndmask_b32_e64 v21, 0, v21, s[2:3]
	v_sub_f32_e32 v20, v20, v21
	v_fma_f32 v18, |v16|, v18, -v20
.LBB162_236:
	s_or_b64 exec, exec, s[6:7]
	v_cmp_le_f32_e64 s[2:3], 0, v16
	v_cmp_nle_f32_e64 s[4:5], 0, v16
	s_and_saveexec_b64 s[6:7], s[4:5]
	s_xor_b64 s[8:9], exec, s[6:7]
	s_cbranch_execz .LBB162_240
; %bb.237:
	s_mov_b32 s4, 0x4b000000
	s_mov_b32 s6, 0x35000000
	v_cmp_lt_f32_e64 s[4:5], |v16|, s4
	v_cmp_gt_f32_e64 s[6:7], |v16|, s6
	s_and_b64 s[4:5], s[4:5], s[6:7]
	s_and_saveexec_b64 s[10:11], s[4:5]
	s_cbranch_execz .LBB162_239
; %bb.238:
	v_mul_f32_e64 v20, |v16|, 0.5
	v_floor_f32_e32 v21, v20
	v_sub_f32_e32 v21, v20, v21
	v_min_f32_e32 v21, 0x3f7fffff, v21
	s_mov_b32 s6, 0x7f800000
	v_add_f32_e32 v21, v21, v21
	v_cmp_neq_f32_e64 s[4:5], s6, v20
	v_cndmask_b32_e64 v20, 0, v21, s[4:5]
	v_cmp_gt_f32_e64 s[4:5], |v16|, 1.0
	v_cndmask_b32_e64 v20, |v16|, v20, s[4:5]
	v_add_f32_e32 v21, v20, v20
	v_rndne_f32_e32 v21, v21
	v_fmac_f32_e32 v20, -0.5, v21
	v_mul_f32_e32 v22, v20, v20
	v_mov_b32_e32 v23, 0xbf1f24be
	v_fmac_f32_e32 v23, 0x3e75aa41, v22
	v_mov_b32_e32 v24, 0x40234736
	v_fmac_f32_e32 v24, v22, v23
	;; [unrolled: 2-line block ×3, first 2 shown]
	v_mul_f32_e32 v24, v20, v22
	v_mul_f32_e32 v23, v24, v23
	v_fmac_f32_e32 v23, 0x40490fdb, v20
	v_mov_b32_e32 v20, 0x3e642e9d
	v_cvt_i32_f32_e32 v21, v21
	v_fmac_f32_e32 v20, 0x3d4be544, v22
	v_mov_b32_e32 v24, 0xbfaad1da
	v_fmac_f32_e32 v24, v22, v20
	v_mov_b32_e32 v20, 0x4081e0d3
	;; [unrolled: 2-line block ×3, first 2 shown]
	v_fmac_f32_e32 v24, v22, v20
	v_fma_f32 v20, v22, v24, 1.0
	v_and_b32_e32 v22, 1, v21
	v_cmp_eq_u32_e64 s[4:5], 0, v22
	v_cndmask_b32_e64 v20, v20, v23, s[4:5]
	v_lshlrev_b32_e32 v21, 30, v21
	s_brev_b32 s4, 1
	v_and_or_b32 v19, v21, s4, v19
	v_xor_b32_e32 v19, v19, v20
	v_xor_b32_e32 v19, v19, v16
	v_mul_f32_e32 v19, v16, v19
	v_frexp_mant_f32_e64 v20, |v19|
	v_rcp_f32_e32 v20, v20
	v_frexp_exp_i32_f32_e32 v19, v19
	v_sub_u32_e32 v19, 2, v19
	s_mov_b32 s4, 0x800000
	v_mul_f32_e32 v20, 0x3f490fdb, v20
	v_ldexp_f32 v19, v20, v19
	v_cmp_gt_f32_e64 s[4:5], s4, v19
	v_cndmask_b32_e64 v20, 0, 32, s[4:5]
	v_ldexp_f32 v19, v19, v20
	v_log_f32_e32 v19, v19
	s_mov_b32 s7, 0x3f317217
	v_mul_f32_e32 v20, 0x3f317217, v19
	v_fma_f32 v21, v19, s7, -v20
	v_fmac_f32_e32 v21, 0x3377d1cf, v19
	v_add_f32_e32 v20, v20, v21
	v_cmp_lt_f32_e64 s[6:7], |v19|, s6
	v_cndmask_b32_e64 v19, v19, v20, s[6:7]
	v_mov_b32_e32 v20, 0x41b17218
	v_cndmask_b32_e64 v20, 0, v20, s[4:5]
	v_sub_f32_e32 v19, v19, v20
	v_sub_f32_e32 v18, v19, v18
	v_floor_f32_e32 v19, v16
	v_sub_f32_e32 v19, v16, v19
	v_min_f32_e32 v19, 0x3f7fffff, v19
	v_mov_b32_e32 v20, 0x7f800000
	v_cmp_neq_f32_e64 s[4:5], 0, v19
	v_cndmask_b32_e64 v18, v20, v18, s[4:5]
.LBB162_239:
	s_or_b64 exec, exec, s[10:11]
.LBB162_240:
	s_andn2_saveexec_b64 s[8:9], s[8:9]
; %bb.241:
	v_cmp_eq_f32_e64 s[4:5], 1.0, v16
	v_cmp_eq_f32_e64 s[6:7], 2.0, v16
	s_or_b64 s[4:5], s[4:5], s[6:7]
	v_cndmask_b32_e64 v18, v18, 0, s[4:5]
; %bb.242:
	s_or_b64 exec, exec, s[8:9]
	global_load_ushort v17, v17, s[22:23]
	s_mov_b32 s4, 0x3c800000
                                        ; implicit-def: $vgpr19
	s_waitcnt vmcnt(0)
	v_lshlrev_b32_e32 v17, 16, v17
	v_and_b32_e32 v20, 0x7fffffff, v17
	v_cmp_nlt_f32_e64 s[4:5], |v17|, s4
	s_and_saveexec_b64 s[6:7], s[4:5]
	s_xor_b64 s[8:9], exec, s[6:7]
	s_cbranch_execz .LBB162_272
; %bb.243:
	v_cmp_nlt_f32_e64 s[4:5], |v17|, 2.0
                                        ; implicit-def: $vgpr19
	s_and_saveexec_b64 s[6:7], s[4:5]
	s_xor_b64 s[10:11], exec, s[6:7]
	s_cbranch_execz .LBB162_253
; %bb.244:
	s_mov_b32 s4, 0x41000000
	v_cmp_nlt_f32_e64 s[4:5], |v17|, s4
                                        ; implicit-def: $vgpr19
	s_and_saveexec_b64 s[6:7], s[4:5]
	s_xor_b64 s[12:13], exec, s[6:7]
	s_cbranch_execz .LBB162_250
; %bb.245:
	s_mov_b32 s4, 0x5c800000
	v_cmp_nlt_f32_e64 s[4:5], |v17|, s4
                                        ; implicit-def: $vgpr19
	s_and_saveexec_b64 s[6:7], s[4:5]
	s_xor_b64 s[14:15], exec, s[6:7]
	s_cbranch_execz .LBB162_247
; %bb.246:
	s_mov_b32 s4, 0x800000
	v_cmp_lt_f32_e64 s[4:5], |v17|, s4
	v_cndmask_b32_e64 v19, 0, 32, s[4:5]
	v_ldexp_f32 v19, |v17|, v19
	v_log_f32_e32 v19, v19
	s_mov_b32 s6, 0x3f317217
	s_mov_b32 s7, 0x7f800000
	v_mul_f32_e32 v21, 0x3f317217, v19
	v_fma_f32 v22, v19, s6, -v21
	v_fmac_f32_e32 v22, 0x3377d1cf, v19
	v_add_f32_e32 v21, v21, v22
	v_cmp_lt_f32_e64 s[6:7], |v19|, s7
	v_cndmask_b32_e64 v19, v19, v21, s[6:7]
	v_mov_b32_e32 v21, 0x41b17218
	v_cndmask_b32_e64 v21, 0, v21, s[4:5]
	v_sub_f32_e32 v19, v19, v21
	v_fma_f32 v19, |v17|, v19, -|v17|
.LBB162_247:
	s_andn2_saveexec_b64 s[14:15], s[14:15]
	s_cbranch_execz .LBB162_249
; %bb.248:
	v_rcp_f32_e64 v21, |v17|
	v_mov_b32_e32 v19, 0x3a5b3dd2
	v_mov_b32_e32 v22, 0xba1c065c
	;; [unrolled: 1-line block ×3, first 2 shown]
	v_mul_f32_e32 v24, v21, v21
	v_fmac_f32_e32 v19, 0xbad5c4e8, v24
	v_fmac_f32_e32 v22, v24, v19
	s_mov_b32 s4, 0x800000
	v_fmac_f32_e32 v23, v24, v22
	v_mov_b32_e32 v19, 0xbb360b61
	v_cmp_lt_f32_e64 s[4:5], |v17|, s4
	v_fmac_f32_e32 v19, v24, v23
	v_cndmask_b32_e64 v23, 0, 32, s[4:5]
	v_ldexp_f32 v23, |v17|, v23
	v_log_f32_e32 v23, v23
	v_mov_b32_e32 v22, 0x3daaaaab
	v_fmac_f32_e32 v22, v24, v19
	v_mov_b32_e32 v19, 0x3ed67f1d
	v_fmac_f32_e32 v19, v21, v22
	s_mov_b32 s6, 0x3f317217
	v_mul_f32_e32 v22, 0x3f317217, v23
	v_fma_f32 v24, v23, s6, -v22
	v_fmac_f32_e32 v24, 0x3377d1cf, v23
	s_mov_b32 s6, 0x7f800000
	v_add_f32_e32 v22, v22, v24
	v_cmp_lt_f32_e64 s[6:7], |v23|, s6
	v_cndmask_b32_e64 v22, v23, v22, s[6:7]
	v_mov_b32_e32 v23, 0x41b17218
	v_cndmask_b32_e64 v23, 0, v23, s[4:5]
	v_sub_f32_e32 v22, v22, v23
	v_add_f32_e64 v21, |v17|, -0.5
	v_add_f32_e32 v22, -1.0, v22
	v_fmac_f32_e32 v19, v21, v22
.LBB162_249:
	s_or_b64 exec, exec, s[14:15]
.LBB162_250:
	s_andn2_saveexec_b64 s[12:13], s[12:13]
	s_cbranch_execz .LBB162_252
; %bb.251:
	v_cvt_i32_f32_e32 v19, v20
	v_mov_b32_e32 v21, 0x3af135b4
	v_mov_b32_e32 v22, 0x3cda40e4
	;; [unrolled: 1-line block ×3, first 2 shown]
	v_cvt_f32_i32_e32 v24, v19
	v_mov_b32_e32 v25, 0x3ea6cc7a
	v_mov_b32_e32 v26, 0x3e5c245a
	v_cmp_lt_i32_e64 s[4:5], 2, v19
	v_sub_f32_e64 v24, |v17|, v24
	v_fmac_f32_e32 v21, 0x3805ff67, v24
	v_fmac_f32_e32 v22, v24, v21
	;; [unrolled: 1-line block ×3, first 2 shown]
	v_mov_b32_e32 v22, 0x3a4beed6
	v_fmac_f32_e32 v25, v24, v23
	v_fmac_f32_e32 v22, 0x36f5d7bd, v24
	v_mov_b32_e32 v23, 0x3c98bf54
	v_fmac_f32_e32 v23, v24, v22
	v_mov_b32_e32 v22, 0x3e300f6e
	;; [unrolled: 2-line block ×4, first 2 shown]
	v_fmac_f32_e32 v22, v24, v23
	v_add_f32_e32 v23, 2.0, v24
	v_mov_b32_e32 v27, 0xbd9e233f
	v_fmac_f32_e32 v26, v24, v25
	v_add_f32_e32 v25, 0x40400000, v24
	v_cndmask_b32_e64 v23, 1.0, v23, s[4:5]
	v_cmp_lt_i32_e64 s[4:5], 3, v19
	v_fmac_f32_e32 v27, v24, v26
	v_add_f32_e32 v26, 4.0, v24
	v_cndmask_b32_e64 v25, 1.0, v25, s[4:5]
	v_cmp_lt_i32_e64 s[4:5], 4, v19
	v_mul_f32_e32 v21, v24, v27
	v_add_f32_e32 v27, 0x40a00000, v24
	v_mul_f32_e32 v23, v23, v25
	v_cndmask_b32_e64 v25, 1.0, v26, s[4:5]
	v_cmp_lt_i32_e64 s[4:5], 5, v19
	v_add_f32_e32 v28, 0x40c00000, v24
	v_mul_f32_e32 v23, v25, v23
	v_cndmask_b32_e64 v25, 1.0, v27, s[4:5]
	v_cmp_lt_i32_e64 s[4:5], 6, v19
	v_mul_f32_e32 v23, v25, v23
	v_cndmask_b32_e64 v19, 1.0, v28, s[4:5]
	v_mul_f32_e32 v19, v19, v23
	s_mov_b32 s4, 0x800000
	v_cmp_gt_f32_e64 s[4:5], s4, v19
	v_cndmask_b32_e64 v23, 0, 32, s[4:5]
	v_fma_f32 v22, v24, v22, 1.0
	v_ldexp_f32 v19, v19, v23
	v_rcp_f32_e32 v22, v22
	v_log_f32_e32 v19, v19
	s_mov_b32 s6, 0x3f317217
	v_mul_f32_e32 v21, v21, v22
	v_mul_f32_e32 v22, 0x3f317217, v19
	v_fma_f32 v23, v19, s6, -v22
	v_fmac_f32_e32 v23, 0x3377d1cf, v19
	s_mov_b32 s6, 0x7f800000
	v_add_f32_e32 v22, v22, v23
	v_cmp_lt_f32_e64 s[6:7], |v19|, s6
	v_cndmask_b32_e64 v19, v19, v22, s[6:7]
	v_mov_b32_e32 v22, 0x41b17218
	v_cndmask_b32_e64 v22, 0, v22, s[4:5]
	v_fmac_f32_e32 v21, 0.5, v24
	v_sub_f32_e32 v19, v19, v22
	v_add_f32_e32 v19, v19, v21
.LBB162_252:
	s_or_b64 exec, exec, s[12:13]
.LBB162_253:
	s_andn2_saveexec_b64 s[10:11], s[10:11]
	s_cbranch_execz .LBB162_271
; %bb.254:
	s_mov_b32 s4, 0x3f666666
	v_cmp_le_f32_e64 s[4:5], |v17|, s4
                                        ; implicit-def: $vgpr19
                                        ; implicit-def: $vgpr22
                                        ; implicit-def: $vgpr21
	s_and_saveexec_b64 s[6:7], s[4:5]
	s_xor_b64 s[12:13], exec, s[6:7]
	s_cbranch_execz .LBB162_256
; %bb.255:
	s_mov_b32 s4, 0x800000
	v_cmp_lt_f32_e64 s[4:5], |v17|, s4
	v_cndmask_b32_e64 v19, 0, 32, s[4:5]
	v_ldexp_f32 v19, |v17|, v19
	v_log_f32_e32 v19, v19
	s_mov_b32 s6, 0x3f317217
	s_mov_b32 s7, 0x7f800000
	v_mul_f32_e32 v21, 0x3f317217, v19
	v_fma_f32 v22, v19, s6, -v21
	v_fmac_f32_e32 v22, 0x3377d1cf, v19
	v_add_f32_e32 v21, v21, v22
	v_cmp_lt_f32_e64 s[6:7], |v19|, s7
	v_cndmask_b32_e64 v19, v19, v21, s[6:7]
	v_mov_b32_e32 v21, 0x41b17218
	v_cndmask_b32_e64 v21, 0, v21, s[4:5]
	s_mov_b32 s4, 0x3f3b4a23
	s_mov_b32 s5, 0xbeec5b0c
	v_sub_f32_e32 v19, v19, v21
	v_sub_f32_e64 v21, 1.0, |v17|
	v_add_f32_e64 v22, |v17|, s5
	v_cmp_lt_f32_e64 s[4:5], |v17|, s4
	v_cndmask_b32_e64 v21, v21, v22, s[4:5]
	v_cndmask_b32_e64 v22, 0, 1, s[4:5]
	s_mov_b32 s4, 0x3e6d3309
	v_cmp_lt_f32_e64 s[4:5], |v17|, s4
	v_xor_b32_e32 v19, 0x80000000, v19
	v_cndmask_b32_e64 v21, v21, |v17|, s[4:5]
	v_cndmask_b32_e64 v22, v22, 2, s[4:5]
.LBB162_256:
	s_andn2_saveexec_b64 s[6:7], s[12:13]
	s_cbranch_execz .LBB162_258
; %bb.257:
	s_mov_b32 s4, 0x3fdda512
	s_mov_b32 s5, 0xbfbb16c3
	v_sub_f32_e64 v19, 2.0, |v17|
	v_add_f32_e64 v21, |v17|, s5
	v_cmp_lt_f32_e64 s[4:5], |v17|, s4
	v_cndmask_b32_e64 v21, v19, v21, s[4:5]
	v_cndmask_b32_e64 v19, v19, 1.0, s[4:5]
	v_cvt_i32_f32_e32 v19, v19
	s_mov_b32 s4, 0x3f9d70a4
	v_add_f32_e64 v22, |v17|, -1.0
	v_cmp_lt_f32_e64 s[4:5], |v17|, s4
	v_cndmask_b32_e64 v21, v21, v22, s[4:5]
	v_cndmask_b32_e64 v22, v19, 2, s[4:5]
	v_mov_b32_e32 v19, 0
.LBB162_258:
	s_or_b64 exec, exec, s[6:7]
	v_cmp_lt_i32_e64 s[4:5], 0, v22
	s_and_saveexec_b64 s[6:7], s[4:5]
	s_xor_b64 s[6:7], exec, s[6:7]
	s_cbranch_execz .LBB162_266
; %bb.259:
	v_cmp_lt_i32_e64 s[4:5], 1, v22
	s_and_saveexec_b64 s[12:13], s[4:5]
	s_xor_b64 s[12:13], exec, s[12:13]
	s_cbranch_execz .LBB162_263
; %bb.260:
	v_cmp_eq_u32_e64 s[4:5], 2, v22
	s_and_saveexec_b64 s[14:15], s[4:5]
	s_cbranch_execz .LBB162_262
; %bb.261:
	v_mov_b32_e32 v22, 0x3e6a7578
	v_fmac_f32_e32 v22, 0x3c5b3c5e, v21
	v_mov_b32_e32 v23, 0x3f7a4bb2
	v_fmac_f32_e32 v23, v21, v22
	;; [unrolled: 2-line block ×8, first 2 shown]
	v_fma_f32 v22, v21, v24, 1.0
	v_rcp_f32_e32 v22, v22
	v_mov_b32_e32 v24, 0xbd9e233f
	v_fmac_f32_e32 v24, v21, v23
	v_mul_f32_e32 v23, v21, v24
	v_mul_f32_e32 v22, v23, v22
	v_fmac_f32_e32 v22, -0.5, v21
	v_add_f32_e32 v19, v19, v22
.LBB162_262:
	s_or_b64 exec, exec, s[14:15]
                                        ; implicit-def: $vgpr21
.LBB162_263:
	s_andn2_saveexec_b64 s[4:5], s[12:13]
	s_cbranch_execz .LBB162_265
; %bb.264:
	v_mul_f32_e32 v22, v21, v21
	v_mul_f32_e32 v23, v21, v22
	v_mov_b32_e32 v24, 0xbab7f476
	v_fmac_f32_e32 v24, 0x39a57b6b, v23
	v_mov_b32_e32 v25, 0x3bc7e707
	v_fmac_f32_e32 v25, v23, v24
	;; [unrolled: 2-line block ×12, first 2 shown]
	v_fmac_f32_e32 v26, v21, v27
	s_mov_b32 s12, 0xa2863e55
	v_fma_f32 v21, v23, -v26, s12
	v_fma_f32 v21, v22, v25, -v21
	v_add_f32_e32 v21, 0xbdf8cdce, v21
	v_add_f32_e32 v19, v19, v21
.LBB162_265:
	s_or_b64 exec, exec, s[4:5]
                                        ; implicit-def: $vgpr22
                                        ; implicit-def: $vgpr21
.LBB162_266:
	s_andn2_saveexec_b64 s[6:7], s[6:7]
	s_cbranch_execz .LBB162_270
; %bb.267:
	v_cmp_eq_u32_e64 s[4:5], 0, v22
	s_and_saveexec_b64 s[12:13], s[4:5]
	s_cbranch_execz .LBB162_269
; %bb.268:
	v_mul_f32_e32 v22, v21, v21
	v_mov_b32_e32 v23, 0x39679767
	v_fmac_f32_e32 v23, 0x37d383a2, v22
	v_mov_b32_e32 v24, 0x3a9c54a1
	v_fmac_f32_e32 v24, v22, v23
	;; [unrolled: 2-line block ×10, first 2 shown]
	v_mul_f32_e32 v22, v22, v24
	v_fmac_f32_e32 v22, v21, v23
	v_fmac_f32_e32 v22, -0.5, v21
	v_add_f32_e32 v19, v19, v22
.LBB162_269:
	s_or_b64 exec, exec, s[12:13]
.LBB162_270:
	s_or_b64 exec, exec, s[6:7]
.LBB162_271:
	s_or_b64 exec, exec, s[10:11]
.LBB162_272:
	s_andn2_saveexec_b64 s[8:9], s[8:9]
	s_cbranch_execz .LBB162_274
; %bb.273:
	s_mov_b32 s4, 0x3e8a8991
	v_mov_b32_e32 v19, 0xbecd26ab
	v_fma_f32 v19, |v17|, s4, v19
	s_mov_b32 s4, 0x3f528d33
	v_fma_f32 v19, |v17|, v19, s4
	s_mov_b32 s4, 0x800000
	v_cmp_lt_f32_e64 s[4:5], |v17|, s4
	v_cndmask_b32_e64 v21, 0, 32, s[4:5]
	v_ldexp_f32 v21, |v17|, v21
	v_log_f32_e32 v21, v21
	s_mov_b32 s6, 0xbf13c468
	v_fma_f32 v19, |v17|, v19, s6
	s_mov_b32 s6, 0x3f317217
	v_mul_f32_e32 v22, 0x3f317217, v21
	v_fma_f32 v23, v21, s6, -v22
	v_fmac_f32_e32 v23, 0x3377d1cf, v21
	s_mov_b32 s6, 0x7f800000
	v_add_f32_e32 v22, v22, v23
	v_cmp_lt_f32_e64 s[6:7], |v21|, s6
	v_cndmask_b32_e64 v21, v21, v22, s[6:7]
	v_mov_b32_e32 v22, 0x41b17218
	v_cndmask_b32_e64 v22, 0, v22, s[4:5]
	v_sub_f32_e32 v21, v21, v22
	v_fma_f32 v19, |v17|, v19, -v21
.LBB162_274:
	s_or_b64 exec, exec, s[8:9]
	v_cmp_le_f32_e64 s[4:5], 0, v17
	v_cmp_nle_f32_e64 s[6:7], 0, v17
	s_and_saveexec_b64 s[8:9], s[6:7]
	s_xor_b64 s[10:11], exec, s[8:9]
	s_cbranch_execz .LBB162_278
; %bb.275:
	s_mov_b32 s6, 0x4b000000
	s_mov_b32 s8, 0x35000000
	v_cmp_lt_f32_e64 s[6:7], |v17|, s6
	v_cmp_gt_f32_e64 s[8:9], |v17|, s8
	s_and_b64 s[6:7], s[6:7], s[8:9]
	s_and_saveexec_b64 s[12:13], s[6:7]
	s_cbranch_execz .LBB162_277
; %bb.276:
	v_mul_f32_e64 v21, |v17|, 0.5
	v_floor_f32_e32 v22, v21
	v_sub_f32_e32 v22, v21, v22
	v_min_f32_e32 v22, 0x3f7fffff, v22
	s_mov_b32 s8, 0x7f800000
	v_add_f32_e32 v22, v22, v22
	v_cmp_neq_f32_e64 s[6:7], s8, v21
	v_cndmask_b32_e64 v21, 0, v22, s[6:7]
	v_cmp_gt_f32_e64 s[6:7], |v17|, 1.0
	v_cndmask_b32_e64 v21, |v17|, v21, s[6:7]
	v_add_f32_e32 v22, v21, v21
	v_rndne_f32_e32 v22, v22
	v_fmac_f32_e32 v21, -0.5, v22
	v_mul_f32_e32 v23, v21, v21
	v_mov_b32_e32 v24, 0xbf1f24be
	v_fmac_f32_e32 v24, 0x3e75aa41, v23
	v_mov_b32_e32 v25, 0x40234736
	v_fmac_f32_e32 v25, v23, v24
	v_mov_b32_e32 v24, 0xc0a55e0e
	v_fmac_f32_e32 v24, v23, v25
	v_mul_f32_e32 v25, v21, v23
	v_mul_f32_e32 v24, v25, v24
	v_fmac_f32_e32 v24, 0x40490fdb, v21
	v_mov_b32_e32 v21, 0x3e642e9d
	v_cvt_i32_f32_e32 v22, v22
	v_fmac_f32_e32 v21, 0x3d4be544, v23
	v_mov_b32_e32 v25, 0xbfaad1da
	v_fmac_f32_e32 v25, v23, v21
	v_mov_b32_e32 v21, 0x4081e0d3
	;; [unrolled: 2-line block ×3, first 2 shown]
	v_fmac_f32_e32 v25, v23, v21
	v_fma_f32 v21, v23, v25, 1.0
	v_and_b32_e32 v23, 1, v22
	v_cmp_eq_u32_e64 s[6:7], 0, v23
	v_cndmask_b32_e64 v21, v21, v24, s[6:7]
	v_lshlrev_b32_e32 v22, 30, v22
	s_brev_b32 s6, 1
	v_and_or_b32 v20, v22, s6, v20
	v_xor_b32_e32 v20, v20, v21
	v_xor_b32_e32 v20, v20, v17
	v_mul_f32_e32 v20, v17, v20
	v_frexp_mant_f32_e64 v21, |v20|
	v_rcp_f32_e32 v21, v21
	v_frexp_exp_i32_f32_e32 v20, v20
	v_sub_u32_e32 v20, 2, v20
	s_mov_b32 s6, 0x800000
	v_mul_f32_e32 v21, 0x3f490fdb, v21
	v_ldexp_f32 v20, v21, v20
	v_cmp_gt_f32_e64 s[6:7], s6, v20
	v_cndmask_b32_e64 v21, 0, 32, s[6:7]
	v_ldexp_f32 v20, v20, v21
	v_log_f32_e32 v20, v20
	s_mov_b32 s9, 0x3f317217
	v_mul_f32_e32 v21, 0x3f317217, v20
	v_fma_f32 v22, v20, s9, -v21
	v_fmac_f32_e32 v22, 0x3377d1cf, v20
	v_add_f32_e32 v21, v21, v22
	v_cmp_lt_f32_e64 s[8:9], |v20|, s8
	v_cndmask_b32_e64 v20, v20, v21, s[8:9]
	v_mov_b32_e32 v21, 0x41b17218
	v_cndmask_b32_e64 v21, 0, v21, s[6:7]
	v_sub_f32_e32 v20, v20, v21
	v_sub_f32_e32 v19, v20, v19
	v_floor_f32_e32 v20, v17
	v_sub_f32_e32 v20, v17, v20
	v_min_f32_e32 v20, 0x3f7fffff, v20
	v_mov_b32_e32 v21, 0x7f800000
	v_cmp_neq_f32_e64 s[6:7], 0, v20
	v_cndmask_b32_e64 v19, v21, v19, s[6:7]
.LBB162_277:
	s_or_b64 exec, exec, s[12:13]
.LBB162_278:
	s_andn2_saveexec_b64 s[10:11], s[10:11]
; %bb.279:
	v_cmp_eq_f32_e64 s[6:7], 1.0, v17
	v_cmp_eq_f32_e64 s[8:9], 2.0, v17
	s_or_b64 s[6:7], s[6:7], s[8:9]
	v_cndmask_b32_e64 v19, v19, 0, s[6:7]
; %bb.280:
	s_or_b64 exec, exec, s[10:11]
	global_load_ushort v15, v15, s[22:23]
	s_mov_b32 s6, 0x3c800000
                                        ; implicit-def: $vgpr20
	s_waitcnt vmcnt(0)
	v_lshlrev_b32_e32 v15, 16, v15
	v_and_b32_e32 v21, 0x7fffffff, v15
	v_cmp_nlt_f32_e64 s[6:7], |v15|, s6
	s_and_saveexec_b64 s[8:9], s[6:7]
	s_xor_b64 s[10:11], exec, s[8:9]
	s_cbranch_execz .LBB162_310
; %bb.281:
	v_cmp_nlt_f32_e64 s[6:7], |v15|, 2.0
                                        ; implicit-def: $vgpr20
	s_and_saveexec_b64 s[8:9], s[6:7]
	s_xor_b64 s[12:13], exec, s[8:9]
	s_cbranch_execz .LBB162_291
; %bb.282:
	s_mov_b32 s6, 0x41000000
	v_cmp_nlt_f32_e64 s[6:7], |v15|, s6
                                        ; implicit-def: $vgpr20
	s_and_saveexec_b64 s[8:9], s[6:7]
	s_xor_b64 s[14:15], exec, s[8:9]
	s_cbranch_execz .LBB162_288
; %bb.283:
	s_mov_b32 s6, 0x5c800000
	v_cmp_nlt_f32_e64 s[6:7], |v15|, s6
                                        ; implicit-def: $vgpr20
	s_and_saveexec_b64 s[8:9], s[6:7]
	s_xor_b64 s[16:17], exec, s[8:9]
	s_cbranch_execz .LBB162_285
; %bb.284:
	s_mov_b32 s6, 0x800000
	v_cmp_lt_f32_e64 s[6:7], |v15|, s6
	v_cndmask_b32_e64 v20, 0, 32, s[6:7]
	v_ldexp_f32 v20, |v15|, v20
	v_log_f32_e32 v20, v20
	s_mov_b32 s8, 0x3f317217
	s_mov_b32 s9, 0x7f800000
	v_mul_f32_e32 v22, 0x3f317217, v20
	v_fma_f32 v23, v20, s8, -v22
	v_fmac_f32_e32 v23, 0x3377d1cf, v20
	v_add_f32_e32 v22, v22, v23
	v_cmp_lt_f32_e64 s[8:9], |v20|, s9
	v_cndmask_b32_e64 v20, v20, v22, s[8:9]
	v_mov_b32_e32 v22, 0x41b17218
	v_cndmask_b32_e64 v22, 0, v22, s[6:7]
	v_sub_f32_e32 v20, v20, v22
	v_fma_f32 v20, |v15|, v20, -|v15|
.LBB162_285:
	s_andn2_saveexec_b64 s[16:17], s[16:17]
	s_cbranch_execz .LBB162_287
; %bb.286:
	v_rcp_f32_e64 v22, |v15|
	v_mov_b32_e32 v20, 0x3a5b3dd2
	v_mov_b32_e32 v23, 0xba1c065c
	;; [unrolled: 1-line block ×3, first 2 shown]
	v_mul_f32_e32 v25, v22, v22
	v_fmac_f32_e32 v20, 0xbad5c4e8, v25
	v_fmac_f32_e32 v23, v25, v20
	s_mov_b32 s6, 0x800000
	v_fmac_f32_e32 v24, v25, v23
	v_mov_b32_e32 v20, 0xbb360b61
	v_cmp_lt_f32_e64 s[6:7], |v15|, s6
	v_fmac_f32_e32 v20, v25, v24
	v_cndmask_b32_e64 v24, 0, 32, s[6:7]
	v_ldexp_f32 v24, |v15|, v24
	v_log_f32_e32 v24, v24
	v_mov_b32_e32 v23, 0x3daaaaab
	v_fmac_f32_e32 v23, v25, v20
	v_mov_b32_e32 v20, 0x3ed67f1d
	v_fmac_f32_e32 v20, v22, v23
	s_mov_b32 s8, 0x3f317217
	v_mul_f32_e32 v23, 0x3f317217, v24
	v_fma_f32 v25, v24, s8, -v23
	v_fmac_f32_e32 v25, 0x3377d1cf, v24
	s_mov_b32 s8, 0x7f800000
	v_add_f32_e32 v23, v23, v25
	v_cmp_lt_f32_e64 s[8:9], |v24|, s8
	v_cndmask_b32_e64 v23, v24, v23, s[8:9]
	v_mov_b32_e32 v24, 0x41b17218
	v_cndmask_b32_e64 v24, 0, v24, s[6:7]
	v_sub_f32_e32 v23, v23, v24
	v_add_f32_e64 v22, |v15|, -0.5
	v_add_f32_e32 v23, -1.0, v23
	v_fmac_f32_e32 v20, v22, v23
.LBB162_287:
	s_or_b64 exec, exec, s[16:17]
.LBB162_288:
	s_andn2_saveexec_b64 s[14:15], s[14:15]
	s_cbranch_execz .LBB162_290
; %bb.289:
	v_cvt_i32_f32_e32 v20, v21
	v_mov_b32_e32 v22, 0x3af135b4
	v_mov_b32_e32 v23, 0x3cda40e4
	;; [unrolled: 1-line block ×3, first 2 shown]
	v_cvt_f32_i32_e32 v25, v20
	v_mov_b32_e32 v26, 0x3ea6cc7a
	v_mov_b32_e32 v27, 0x3e5c245a
	v_cmp_lt_i32_e64 s[6:7], 2, v20
	v_sub_f32_e64 v25, |v15|, v25
	v_fmac_f32_e32 v22, 0x3805ff67, v25
	v_fmac_f32_e32 v23, v25, v22
	;; [unrolled: 1-line block ×3, first 2 shown]
	v_mov_b32_e32 v23, 0x3a4beed6
	v_fmac_f32_e32 v26, v25, v24
	v_fmac_f32_e32 v23, 0x36f5d7bd, v25
	v_mov_b32_e32 v24, 0x3c98bf54
	v_fmac_f32_e32 v24, v25, v23
	v_mov_b32_e32 v23, 0x3e300f6e
	;; [unrolled: 2-line block ×4, first 2 shown]
	v_fmac_f32_e32 v23, v25, v24
	v_add_f32_e32 v24, 2.0, v25
	v_mov_b32_e32 v28, 0xbd9e233f
	v_fmac_f32_e32 v27, v25, v26
	v_add_f32_e32 v26, 0x40400000, v25
	v_cndmask_b32_e64 v24, 1.0, v24, s[6:7]
	v_cmp_lt_i32_e64 s[6:7], 3, v20
	v_fmac_f32_e32 v28, v25, v27
	v_add_f32_e32 v27, 4.0, v25
	v_cndmask_b32_e64 v26, 1.0, v26, s[6:7]
	v_cmp_lt_i32_e64 s[6:7], 4, v20
	v_mul_f32_e32 v22, v25, v28
	v_add_f32_e32 v28, 0x40a00000, v25
	v_mul_f32_e32 v24, v24, v26
	v_cndmask_b32_e64 v26, 1.0, v27, s[6:7]
	v_cmp_lt_i32_e64 s[6:7], 5, v20
	v_add_f32_e32 v29, 0x40c00000, v25
	v_mul_f32_e32 v24, v26, v24
	v_cndmask_b32_e64 v26, 1.0, v28, s[6:7]
	v_cmp_lt_i32_e64 s[6:7], 6, v20
	v_mul_f32_e32 v24, v26, v24
	v_cndmask_b32_e64 v20, 1.0, v29, s[6:7]
	v_mul_f32_e32 v20, v20, v24
	s_mov_b32 s6, 0x800000
	v_cmp_gt_f32_e64 s[6:7], s6, v20
	v_cndmask_b32_e64 v24, 0, 32, s[6:7]
	v_fma_f32 v23, v25, v23, 1.0
	v_ldexp_f32 v20, v20, v24
	v_rcp_f32_e32 v23, v23
	v_log_f32_e32 v20, v20
	s_mov_b32 s8, 0x3f317217
	v_mul_f32_e32 v22, v22, v23
	v_mul_f32_e32 v23, 0x3f317217, v20
	v_fma_f32 v24, v20, s8, -v23
	v_fmac_f32_e32 v24, 0x3377d1cf, v20
	s_mov_b32 s8, 0x7f800000
	v_add_f32_e32 v23, v23, v24
	v_cmp_lt_f32_e64 s[8:9], |v20|, s8
	v_cndmask_b32_e64 v20, v20, v23, s[8:9]
	v_mov_b32_e32 v23, 0x41b17218
	v_cndmask_b32_e64 v23, 0, v23, s[6:7]
	v_fmac_f32_e32 v22, 0.5, v25
	v_sub_f32_e32 v20, v20, v23
	v_add_f32_e32 v20, v20, v22
.LBB162_290:
	s_or_b64 exec, exec, s[14:15]
.LBB162_291:
	s_andn2_saveexec_b64 s[12:13], s[12:13]
	s_cbranch_execz .LBB162_309
; %bb.292:
	s_mov_b32 s6, 0x3f666666
	v_cmp_le_f32_e64 s[6:7], |v15|, s6
                                        ; implicit-def: $vgpr20
                                        ; implicit-def: $vgpr23
                                        ; implicit-def: $vgpr22
	s_and_saveexec_b64 s[8:9], s[6:7]
	s_xor_b64 s[14:15], exec, s[8:9]
	s_cbranch_execz .LBB162_294
; %bb.293:
	s_mov_b32 s6, 0x800000
	v_cmp_lt_f32_e64 s[6:7], |v15|, s6
	v_cndmask_b32_e64 v20, 0, 32, s[6:7]
	v_ldexp_f32 v20, |v15|, v20
	v_log_f32_e32 v20, v20
	s_mov_b32 s8, 0x3f317217
	s_mov_b32 s9, 0x7f800000
	v_mul_f32_e32 v22, 0x3f317217, v20
	v_fma_f32 v23, v20, s8, -v22
	v_fmac_f32_e32 v23, 0x3377d1cf, v20
	v_add_f32_e32 v22, v22, v23
	v_cmp_lt_f32_e64 s[8:9], |v20|, s9
	v_cndmask_b32_e64 v20, v20, v22, s[8:9]
	v_mov_b32_e32 v22, 0x41b17218
	v_cndmask_b32_e64 v22, 0, v22, s[6:7]
	s_mov_b32 s6, 0x3f3b4a23
	s_mov_b32 s7, 0xbeec5b0c
	v_sub_f32_e32 v20, v20, v22
	v_sub_f32_e64 v22, 1.0, |v15|
	v_add_f32_e64 v23, |v15|, s7
	v_cmp_lt_f32_e64 s[6:7], |v15|, s6
	v_cndmask_b32_e64 v22, v22, v23, s[6:7]
	v_cndmask_b32_e64 v23, 0, 1, s[6:7]
	s_mov_b32 s6, 0x3e6d3309
	v_cmp_lt_f32_e64 s[6:7], |v15|, s6
	v_xor_b32_e32 v20, 0x80000000, v20
	v_cndmask_b32_e64 v22, v22, |v15|, s[6:7]
	v_cndmask_b32_e64 v23, v23, 2, s[6:7]
.LBB162_294:
	s_andn2_saveexec_b64 s[8:9], s[14:15]
	s_cbranch_execz .LBB162_296
; %bb.295:
	s_mov_b32 s6, 0x3fdda512
	s_mov_b32 s7, 0xbfbb16c3
	v_sub_f32_e64 v20, 2.0, |v15|
	v_add_f32_e64 v22, |v15|, s7
	v_cmp_lt_f32_e64 s[6:7], |v15|, s6
	v_cndmask_b32_e64 v22, v20, v22, s[6:7]
	v_cndmask_b32_e64 v20, v20, 1.0, s[6:7]
	v_cvt_i32_f32_e32 v20, v20
	s_mov_b32 s6, 0x3f9d70a4
	v_add_f32_e64 v23, |v15|, -1.0
	v_cmp_lt_f32_e64 s[6:7], |v15|, s6
	v_cndmask_b32_e64 v22, v22, v23, s[6:7]
	v_cndmask_b32_e64 v23, v20, 2, s[6:7]
	v_mov_b32_e32 v20, 0
.LBB162_296:
	s_or_b64 exec, exec, s[8:9]
	v_cmp_lt_i32_e64 s[6:7], 0, v23
	s_and_saveexec_b64 s[8:9], s[6:7]
	s_xor_b64 s[8:9], exec, s[8:9]
	s_cbranch_execz .LBB162_304
; %bb.297:
	v_cmp_lt_i32_e64 s[6:7], 1, v23
	s_and_saveexec_b64 s[14:15], s[6:7]
	s_xor_b64 s[14:15], exec, s[14:15]
	s_cbranch_execz .LBB162_301
; %bb.298:
	v_cmp_eq_u32_e64 s[6:7], 2, v23
	s_and_saveexec_b64 s[16:17], s[6:7]
	s_cbranch_execz .LBB162_300
; %bb.299:
	v_mov_b32_e32 v23, 0x3e6a7578
	v_fmac_f32_e32 v23, 0x3c5b3c5e, v22
	v_mov_b32_e32 v24, 0x3f7a4bb2
	v_fmac_f32_e32 v24, v22, v23
	;; [unrolled: 2-line block ×8, first 2 shown]
	v_fma_f32 v23, v22, v25, 1.0
	v_rcp_f32_e32 v23, v23
	v_mov_b32_e32 v25, 0xbd9e233f
	v_fmac_f32_e32 v25, v22, v24
	v_mul_f32_e32 v24, v22, v25
	v_mul_f32_e32 v23, v24, v23
	v_fmac_f32_e32 v23, -0.5, v22
	v_add_f32_e32 v20, v20, v23
.LBB162_300:
	s_or_b64 exec, exec, s[16:17]
                                        ; implicit-def: $vgpr22
.LBB162_301:
	s_andn2_saveexec_b64 s[6:7], s[14:15]
	s_cbranch_execz .LBB162_303
; %bb.302:
	v_mul_f32_e32 v23, v22, v22
	v_mul_f32_e32 v24, v22, v23
	v_mov_b32_e32 v25, 0xbab7f476
	v_fmac_f32_e32 v25, 0x39a57b6b, v24
	v_mov_b32_e32 v26, 0x3bc7e707
	v_fmac_f32_e32 v26, v24, v25
	;; [unrolled: 2-line block ×12, first 2 shown]
	v_fmac_f32_e32 v27, v22, v28
	s_mov_b32 s14, 0xa2863e55
	v_fma_f32 v22, v24, -v27, s14
	v_fma_f32 v22, v23, v26, -v22
	v_add_f32_e32 v22, 0xbdf8cdce, v22
	v_add_f32_e32 v20, v20, v22
.LBB162_303:
	s_or_b64 exec, exec, s[6:7]
                                        ; implicit-def: $vgpr23
                                        ; implicit-def: $vgpr22
.LBB162_304:
	s_andn2_saveexec_b64 s[8:9], s[8:9]
	s_cbranch_execz .LBB162_308
; %bb.305:
	v_cmp_eq_u32_e64 s[6:7], 0, v23
	s_and_saveexec_b64 s[14:15], s[6:7]
	s_cbranch_execz .LBB162_307
; %bb.306:
	v_mul_f32_e32 v23, v22, v22
	v_mov_b32_e32 v24, 0x39679767
	v_fmac_f32_e32 v24, 0x37d383a2, v23
	v_mov_b32_e32 v25, 0x3a9c54a1
	v_fmac_f32_e32 v25, v23, v24
	;; [unrolled: 2-line block ×10, first 2 shown]
	v_mul_f32_e32 v23, v23, v25
	v_fmac_f32_e32 v23, v22, v24
	v_fmac_f32_e32 v23, -0.5, v22
	v_add_f32_e32 v20, v20, v23
.LBB162_307:
	s_or_b64 exec, exec, s[14:15]
.LBB162_308:
	s_or_b64 exec, exec, s[8:9]
.LBB162_309:
	s_or_b64 exec, exec, s[12:13]
.LBB162_310:
	s_andn2_saveexec_b64 s[10:11], s[10:11]
	s_cbranch_execz .LBB162_312
; %bb.311:
	s_mov_b32 s6, 0x3e8a8991
	v_mov_b32_e32 v20, 0xbecd26ab
	v_fma_f32 v20, |v15|, s6, v20
	s_mov_b32 s6, 0x3f528d33
	v_fma_f32 v20, |v15|, v20, s6
	s_mov_b32 s6, 0x800000
	v_cmp_lt_f32_e64 s[6:7], |v15|, s6
	v_cndmask_b32_e64 v22, 0, 32, s[6:7]
	v_ldexp_f32 v22, |v15|, v22
	v_log_f32_e32 v22, v22
	s_mov_b32 s8, 0xbf13c468
	v_fma_f32 v20, |v15|, v20, s8
	s_mov_b32 s8, 0x3f317217
	v_mul_f32_e32 v23, 0x3f317217, v22
	v_fma_f32 v24, v22, s8, -v23
	v_fmac_f32_e32 v24, 0x3377d1cf, v22
	s_mov_b32 s8, 0x7f800000
	v_add_f32_e32 v23, v23, v24
	v_cmp_lt_f32_e64 s[8:9], |v22|, s8
	v_cndmask_b32_e64 v22, v22, v23, s[8:9]
	v_mov_b32_e32 v23, 0x41b17218
	v_cndmask_b32_e64 v23, 0, v23, s[6:7]
	v_sub_f32_e32 v22, v22, v23
	v_fma_f32 v20, |v15|, v20, -v22
.LBB162_312:
	s_or_b64 exec, exec, s[10:11]
	v_cmp_le_f32_e64 s[6:7], 0, v15
	v_cmp_nle_f32_e64 s[8:9], 0, v15
	s_and_saveexec_b64 s[10:11], s[8:9]
	s_xor_b64 s[12:13], exec, s[10:11]
	s_cbranch_execz .LBB162_316
; %bb.313:
	s_mov_b32 s8, 0x4b000000
	s_mov_b32 s10, 0x35000000
	v_cmp_lt_f32_e64 s[8:9], |v15|, s8
	v_cmp_gt_f32_e64 s[10:11], |v15|, s10
	s_and_b64 s[8:9], s[8:9], s[10:11]
	s_and_saveexec_b64 s[14:15], s[8:9]
	s_cbranch_execz .LBB162_315
; %bb.314:
	v_mul_f32_e64 v22, |v15|, 0.5
	v_floor_f32_e32 v23, v22
	v_sub_f32_e32 v23, v22, v23
	v_min_f32_e32 v23, 0x3f7fffff, v23
	s_mov_b32 s10, 0x7f800000
	v_add_f32_e32 v23, v23, v23
	v_cmp_neq_f32_e64 s[8:9], s10, v22
	v_cndmask_b32_e64 v22, 0, v23, s[8:9]
	v_cmp_gt_f32_e64 s[8:9], |v15|, 1.0
	v_cndmask_b32_e64 v22, |v15|, v22, s[8:9]
	v_add_f32_e32 v23, v22, v22
	v_rndne_f32_e32 v23, v23
	v_fmac_f32_e32 v22, -0.5, v23
	v_mul_f32_e32 v24, v22, v22
	v_mov_b32_e32 v25, 0xbf1f24be
	v_fmac_f32_e32 v25, 0x3e75aa41, v24
	v_mov_b32_e32 v26, 0x40234736
	v_fmac_f32_e32 v26, v24, v25
	;; [unrolled: 2-line block ×3, first 2 shown]
	v_mul_f32_e32 v26, v22, v24
	v_mul_f32_e32 v25, v26, v25
	v_fmac_f32_e32 v25, 0x40490fdb, v22
	v_mov_b32_e32 v22, 0x3e642e9d
	v_cvt_i32_f32_e32 v23, v23
	v_fmac_f32_e32 v22, 0x3d4be544, v24
	v_mov_b32_e32 v26, 0xbfaad1da
	v_fmac_f32_e32 v26, v24, v22
	v_mov_b32_e32 v22, 0x4081e0d3
	;; [unrolled: 2-line block ×3, first 2 shown]
	v_fmac_f32_e32 v26, v24, v22
	v_fma_f32 v22, v24, v26, 1.0
	v_and_b32_e32 v24, 1, v23
	v_cmp_eq_u32_e64 s[8:9], 0, v24
	v_cndmask_b32_e64 v22, v22, v25, s[8:9]
	v_lshlrev_b32_e32 v23, 30, v23
	s_brev_b32 s8, 1
	v_and_or_b32 v21, v23, s8, v21
	v_xor_b32_e32 v21, v21, v22
	v_xor_b32_e32 v21, v21, v15
	v_mul_f32_e32 v21, v15, v21
	v_frexp_mant_f32_e64 v22, |v21|
	v_rcp_f32_e32 v22, v22
	v_frexp_exp_i32_f32_e32 v21, v21
	v_sub_u32_e32 v21, 2, v21
	s_mov_b32 s8, 0x800000
	v_mul_f32_e32 v22, 0x3f490fdb, v22
	v_ldexp_f32 v21, v22, v21
	v_cmp_gt_f32_e64 s[8:9], s8, v21
	v_cndmask_b32_e64 v22, 0, 32, s[8:9]
	v_ldexp_f32 v21, v21, v22
	v_log_f32_e32 v21, v21
	s_mov_b32 s11, 0x3f317217
	v_mul_f32_e32 v22, 0x3f317217, v21
	v_fma_f32 v23, v21, s11, -v22
	v_fmac_f32_e32 v23, 0x3377d1cf, v21
	v_add_f32_e32 v22, v22, v23
	v_cmp_lt_f32_e64 s[10:11], |v21|, s10
	v_cndmask_b32_e64 v21, v21, v22, s[10:11]
	v_mov_b32_e32 v22, 0x41b17218
	v_cndmask_b32_e64 v22, 0, v22, s[8:9]
	v_sub_f32_e32 v21, v21, v22
	v_sub_f32_e32 v20, v21, v20
	v_floor_f32_e32 v21, v15
	v_sub_f32_e32 v21, v15, v21
	v_min_f32_e32 v21, 0x3f7fffff, v21
	v_mov_b32_e32 v22, 0x7f800000
	v_cmp_neq_f32_e64 s[8:9], 0, v21
	v_cndmask_b32_e64 v20, v22, v20, s[8:9]
.LBB162_315:
	s_or_b64 exec, exec, s[14:15]
.LBB162_316:
	s_andn2_saveexec_b64 s[12:13], s[12:13]
; %bb.317:
	v_cmp_eq_f32_e64 s[8:9], 1.0, v15
	v_cmp_eq_f32_e64 s[10:11], 2.0, v15
	s_or_b64 s[8:9], s[8:9], s[10:11]
	v_cndmask_b32_e64 v20, v20, 0, s[8:9]
; %bb.318:
	s_or_b64 exec, exec, s[12:13]
	global_load_ushort v13, v13, s[22:23]
	s_mov_b32 s8, 0x3c800000
                                        ; implicit-def: $vgpr21
	s_waitcnt vmcnt(0)
	v_lshlrev_b32_e32 v13, 16, v13
	v_and_b32_e32 v22, 0x7fffffff, v13
	v_cmp_nlt_f32_e64 s[8:9], |v13|, s8
	s_and_saveexec_b64 s[10:11], s[8:9]
	s_xor_b64 s[12:13], exec, s[10:11]
	s_cbranch_execz .LBB162_348
; %bb.319:
	v_cmp_nlt_f32_e64 s[8:9], |v13|, 2.0
                                        ; implicit-def: $vgpr21
	s_and_saveexec_b64 s[10:11], s[8:9]
	s_xor_b64 s[14:15], exec, s[10:11]
	s_cbranch_execz .LBB162_329
; %bb.320:
	s_mov_b32 s8, 0x41000000
	v_cmp_nlt_f32_e64 s[8:9], |v13|, s8
                                        ; implicit-def: $vgpr21
	s_and_saveexec_b64 s[10:11], s[8:9]
	s_xor_b64 s[16:17], exec, s[10:11]
	s_cbranch_execz .LBB162_326
; %bb.321:
	s_mov_b32 s8, 0x5c800000
	v_cmp_nlt_f32_e64 s[8:9], |v13|, s8
                                        ; implicit-def: $vgpr21
	s_and_saveexec_b64 s[10:11], s[8:9]
	s_xor_b64 s[18:19], exec, s[10:11]
	s_cbranch_execz .LBB162_323
; %bb.322:
	s_mov_b32 s8, 0x800000
	v_cmp_lt_f32_e64 s[8:9], |v13|, s8
	v_cndmask_b32_e64 v21, 0, 32, s[8:9]
	v_ldexp_f32 v21, |v13|, v21
	v_log_f32_e32 v21, v21
	s_mov_b32 s10, 0x3f317217
	s_mov_b32 s11, 0x7f800000
	v_mul_f32_e32 v23, 0x3f317217, v21
	v_fma_f32 v24, v21, s10, -v23
	v_fmac_f32_e32 v24, 0x3377d1cf, v21
	v_add_f32_e32 v23, v23, v24
	v_cmp_lt_f32_e64 s[10:11], |v21|, s11
	v_cndmask_b32_e64 v21, v21, v23, s[10:11]
	v_mov_b32_e32 v23, 0x41b17218
	v_cndmask_b32_e64 v23, 0, v23, s[8:9]
	v_sub_f32_e32 v21, v21, v23
	v_fma_f32 v21, |v13|, v21, -|v13|
.LBB162_323:
	s_andn2_saveexec_b64 s[18:19], s[18:19]
	s_cbranch_execz .LBB162_325
; %bb.324:
	v_rcp_f32_e64 v23, |v13|
	v_mov_b32_e32 v21, 0x3a5b3dd2
	v_mov_b32_e32 v24, 0xba1c065c
	;; [unrolled: 1-line block ×3, first 2 shown]
	v_mul_f32_e32 v26, v23, v23
	v_fmac_f32_e32 v21, 0xbad5c4e8, v26
	v_fmac_f32_e32 v24, v26, v21
	s_mov_b32 s8, 0x800000
	v_fmac_f32_e32 v25, v26, v24
	v_mov_b32_e32 v21, 0xbb360b61
	v_cmp_lt_f32_e64 s[8:9], |v13|, s8
	v_fmac_f32_e32 v21, v26, v25
	v_cndmask_b32_e64 v25, 0, 32, s[8:9]
	v_ldexp_f32 v25, |v13|, v25
	v_log_f32_e32 v25, v25
	v_mov_b32_e32 v24, 0x3daaaaab
	v_fmac_f32_e32 v24, v26, v21
	v_mov_b32_e32 v21, 0x3ed67f1d
	v_fmac_f32_e32 v21, v23, v24
	s_mov_b32 s10, 0x3f317217
	v_mul_f32_e32 v24, 0x3f317217, v25
	v_fma_f32 v26, v25, s10, -v24
	v_fmac_f32_e32 v26, 0x3377d1cf, v25
	s_mov_b32 s10, 0x7f800000
	v_add_f32_e32 v24, v24, v26
	v_cmp_lt_f32_e64 s[10:11], |v25|, s10
	v_cndmask_b32_e64 v24, v25, v24, s[10:11]
	v_mov_b32_e32 v25, 0x41b17218
	v_cndmask_b32_e64 v25, 0, v25, s[8:9]
	v_sub_f32_e32 v24, v24, v25
	v_add_f32_e64 v23, |v13|, -0.5
	v_add_f32_e32 v24, -1.0, v24
	v_fmac_f32_e32 v21, v23, v24
.LBB162_325:
	s_or_b64 exec, exec, s[18:19]
.LBB162_326:
	s_andn2_saveexec_b64 s[16:17], s[16:17]
	s_cbranch_execz .LBB162_328
; %bb.327:
	v_cvt_i32_f32_e32 v21, v22
	v_mov_b32_e32 v23, 0x3af135b4
	v_mov_b32_e32 v24, 0x3cda40e4
	;; [unrolled: 1-line block ×3, first 2 shown]
	v_cvt_f32_i32_e32 v26, v21
	v_mov_b32_e32 v27, 0x3ea6cc7a
	v_mov_b32_e32 v28, 0x3e5c245a
	v_cmp_lt_i32_e64 s[8:9], 2, v21
	v_sub_f32_e64 v26, |v13|, v26
	v_fmac_f32_e32 v23, 0x3805ff67, v26
	v_fmac_f32_e32 v24, v26, v23
	;; [unrolled: 1-line block ×3, first 2 shown]
	v_mov_b32_e32 v24, 0x3a4beed6
	v_fmac_f32_e32 v27, v26, v25
	v_fmac_f32_e32 v24, 0x36f5d7bd, v26
	v_mov_b32_e32 v25, 0x3c98bf54
	v_fmac_f32_e32 v25, v26, v24
	v_mov_b32_e32 v24, 0x3e300f6e
	v_fmac_f32_e32 v24, v26, v25
	v_mov_b32_e32 v25, 0x3f38d0c5
	v_fmac_f32_e32 v25, v26, v24
	v_mov_b32_e32 v24, 0x3fb22d3b
	v_fmac_f32_e32 v24, v26, v25
	v_add_f32_e32 v25, 2.0, v26
	v_mov_b32_e32 v29, 0xbd9e233f
	v_fmac_f32_e32 v28, v26, v27
	v_add_f32_e32 v27, 0x40400000, v26
	v_cndmask_b32_e64 v25, 1.0, v25, s[8:9]
	v_cmp_lt_i32_e64 s[8:9], 3, v21
	v_fmac_f32_e32 v29, v26, v28
	v_add_f32_e32 v28, 4.0, v26
	v_cndmask_b32_e64 v27, 1.0, v27, s[8:9]
	v_cmp_lt_i32_e64 s[8:9], 4, v21
	v_mul_f32_e32 v23, v26, v29
	v_add_f32_e32 v29, 0x40a00000, v26
	v_mul_f32_e32 v25, v25, v27
	v_cndmask_b32_e64 v27, 1.0, v28, s[8:9]
	v_cmp_lt_i32_e64 s[8:9], 5, v21
	v_add_f32_e32 v30, 0x40c00000, v26
	v_mul_f32_e32 v25, v27, v25
	v_cndmask_b32_e64 v27, 1.0, v29, s[8:9]
	v_cmp_lt_i32_e64 s[8:9], 6, v21
	v_mul_f32_e32 v25, v27, v25
	v_cndmask_b32_e64 v21, 1.0, v30, s[8:9]
	v_mul_f32_e32 v21, v21, v25
	s_mov_b32 s8, 0x800000
	v_cmp_gt_f32_e64 s[8:9], s8, v21
	v_cndmask_b32_e64 v25, 0, 32, s[8:9]
	v_fma_f32 v24, v26, v24, 1.0
	v_ldexp_f32 v21, v21, v25
	v_rcp_f32_e32 v24, v24
	v_log_f32_e32 v21, v21
	s_mov_b32 s10, 0x3f317217
	v_mul_f32_e32 v23, v23, v24
	v_mul_f32_e32 v24, 0x3f317217, v21
	v_fma_f32 v25, v21, s10, -v24
	v_fmac_f32_e32 v25, 0x3377d1cf, v21
	s_mov_b32 s10, 0x7f800000
	v_add_f32_e32 v24, v24, v25
	v_cmp_lt_f32_e64 s[10:11], |v21|, s10
	v_cndmask_b32_e64 v21, v21, v24, s[10:11]
	v_mov_b32_e32 v24, 0x41b17218
	v_cndmask_b32_e64 v24, 0, v24, s[8:9]
	v_fmac_f32_e32 v23, 0.5, v26
	v_sub_f32_e32 v21, v21, v24
	v_add_f32_e32 v21, v21, v23
.LBB162_328:
	s_or_b64 exec, exec, s[16:17]
.LBB162_329:
	s_andn2_saveexec_b64 s[14:15], s[14:15]
	s_cbranch_execz .LBB162_347
; %bb.330:
	s_mov_b32 s8, 0x3f666666
	v_cmp_le_f32_e64 s[8:9], |v13|, s8
                                        ; implicit-def: $vgpr21
                                        ; implicit-def: $vgpr24
                                        ; implicit-def: $vgpr23
	s_and_saveexec_b64 s[10:11], s[8:9]
	s_xor_b64 s[16:17], exec, s[10:11]
	s_cbranch_execz .LBB162_332
; %bb.331:
	s_mov_b32 s8, 0x800000
	v_cmp_lt_f32_e64 s[8:9], |v13|, s8
	v_cndmask_b32_e64 v21, 0, 32, s[8:9]
	v_ldexp_f32 v21, |v13|, v21
	v_log_f32_e32 v21, v21
	s_mov_b32 s10, 0x3f317217
	s_mov_b32 s11, 0x7f800000
	v_mul_f32_e32 v23, 0x3f317217, v21
	v_fma_f32 v24, v21, s10, -v23
	v_fmac_f32_e32 v24, 0x3377d1cf, v21
	v_add_f32_e32 v23, v23, v24
	v_cmp_lt_f32_e64 s[10:11], |v21|, s11
	v_cndmask_b32_e64 v21, v21, v23, s[10:11]
	v_mov_b32_e32 v23, 0x41b17218
	v_cndmask_b32_e64 v23, 0, v23, s[8:9]
	s_mov_b32 s8, 0x3f3b4a23
	s_mov_b32 s9, 0xbeec5b0c
	v_sub_f32_e32 v21, v21, v23
	v_sub_f32_e64 v23, 1.0, |v13|
	v_add_f32_e64 v24, |v13|, s9
	v_cmp_lt_f32_e64 s[8:9], |v13|, s8
	v_cndmask_b32_e64 v23, v23, v24, s[8:9]
	v_cndmask_b32_e64 v24, 0, 1, s[8:9]
	s_mov_b32 s8, 0x3e6d3309
	v_cmp_lt_f32_e64 s[8:9], |v13|, s8
	v_xor_b32_e32 v21, 0x80000000, v21
	v_cndmask_b32_e64 v23, v23, |v13|, s[8:9]
	v_cndmask_b32_e64 v24, v24, 2, s[8:9]
.LBB162_332:
	s_andn2_saveexec_b64 s[10:11], s[16:17]
	s_cbranch_execz .LBB162_334
; %bb.333:
	s_mov_b32 s8, 0x3fdda512
	s_mov_b32 s9, 0xbfbb16c3
	v_sub_f32_e64 v21, 2.0, |v13|
	v_add_f32_e64 v23, |v13|, s9
	v_cmp_lt_f32_e64 s[8:9], |v13|, s8
	v_cndmask_b32_e64 v23, v21, v23, s[8:9]
	v_cndmask_b32_e64 v21, v21, 1.0, s[8:9]
	v_cvt_i32_f32_e32 v21, v21
	s_mov_b32 s8, 0x3f9d70a4
	v_add_f32_e64 v24, |v13|, -1.0
	v_cmp_lt_f32_e64 s[8:9], |v13|, s8
	v_cndmask_b32_e64 v23, v23, v24, s[8:9]
	v_cndmask_b32_e64 v24, v21, 2, s[8:9]
	v_mov_b32_e32 v21, 0
.LBB162_334:
	s_or_b64 exec, exec, s[10:11]
	v_cmp_lt_i32_e64 s[8:9], 0, v24
	s_and_saveexec_b64 s[10:11], s[8:9]
	s_xor_b64 s[10:11], exec, s[10:11]
	s_cbranch_execz .LBB162_342
; %bb.335:
	v_cmp_lt_i32_e64 s[8:9], 1, v24
	s_and_saveexec_b64 s[16:17], s[8:9]
	s_xor_b64 s[16:17], exec, s[16:17]
	s_cbranch_execz .LBB162_339
; %bb.336:
	v_cmp_eq_u32_e64 s[8:9], 2, v24
	s_and_saveexec_b64 s[18:19], s[8:9]
	s_cbranch_execz .LBB162_338
; %bb.337:
	v_mov_b32_e32 v24, 0x3e6a7578
	v_fmac_f32_e32 v24, 0x3c5b3c5e, v23
	v_mov_b32_e32 v25, 0x3f7a4bb2
	v_fmac_f32_e32 v25, v23, v24
	;; [unrolled: 2-line block ×8, first 2 shown]
	v_fma_f32 v24, v23, v26, 1.0
	v_rcp_f32_e32 v24, v24
	v_mov_b32_e32 v26, 0xbd9e233f
	v_fmac_f32_e32 v26, v23, v25
	v_mul_f32_e32 v25, v23, v26
	v_mul_f32_e32 v24, v25, v24
	v_fmac_f32_e32 v24, -0.5, v23
	v_add_f32_e32 v21, v21, v24
.LBB162_338:
	s_or_b64 exec, exec, s[18:19]
                                        ; implicit-def: $vgpr23
.LBB162_339:
	s_andn2_saveexec_b64 s[8:9], s[16:17]
	s_cbranch_execz .LBB162_341
; %bb.340:
	v_mul_f32_e32 v24, v23, v23
	v_mul_f32_e32 v25, v23, v24
	v_mov_b32_e32 v26, 0xbab7f476
	v_fmac_f32_e32 v26, 0x39a57b6b, v25
	v_mov_b32_e32 v27, 0x3bc7e707
	v_fmac_f32_e32 v27, v25, v26
	v_mov_b32_e32 v26, 0xbd064d47
	v_fmac_f32_e32 v26, v25, v27
	v_mov_b32_e32 v27, 0x3ef7b95e
	v_fmac_f32_e32 v27, v25, v26
	v_mov_b32_e32 v26, 0x3a66f867
	v_fmac_f32_e32 v26, 0xb9a3f927, v25
	v_mov_b32_e32 v28, 0xbb7177fe
	v_fmac_f32_e32 v28, v25, v26
	v_mov_b32_e32 v26, 0x3c93373d
	v_fmac_f32_e32 v26, v25, v28
	v_mov_b32_e32 v28, 0xbe17213c
	v_fmac_f32_e32 v28, v25, v26
	v_mov_b32_e32 v26, 0xba0d3085
	v_fmac_f32_e32 v26, 0x39afe9f7, v25
	v_mov_b32_e32 v29, 0x3b141699
	v_fmac_f32_e32 v29, v25, v26
	v_mov_b32_e32 v26, 0xbc28fcfe
	v_fmac_f32_e32 v26, v25, v29
	v_mov_b32_e32 v29, 0x3d845a15
	v_fmac_f32_e32 v29, v25, v26
	v_fmac_f32_e32 v28, v23, v29
	s_mov_b32 s16, 0xa2863e55
	v_fma_f32 v23, v25, -v28, s16
	v_fma_f32 v23, v24, v27, -v23
	v_add_f32_e32 v23, 0xbdf8cdce, v23
	v_add_f32_e32 v21, v21, v23
.LBB162_341:
	s_or_b64 exec, exec, s[8:9]
                                        ; implicit-def: $vgpr24
                                        ; implicit-def: $vgpr23
.LBB162_342:
	s_andn2_saveexec_b64 s[10:11], s[10:11]
	s_cbranch_execz .LBB162_346
; %bb.343:
	v_cmp_eq_u32_e64 s[8:9], 0, v24
	s_and_saveexec_b64 s[16:17], s[8:9]
	s_cbranch_execz .LBB162_345
; %bb.344:
	v_mul_f32_e32 v24, v23, v23
	v_mov_b32_e32 v25, 0x39679767
	v_fmac_f32_e32 v25, 0x37d383a2, v24
	v_mov_b32_e32 v26, 0x3a9c54a1
	v_fmac_f32_e32 v26, v24, v25
	;; [unrolled: 2-line block ×10, first 2 shown]
	v_mul_f32_e32 v24, v24, v26
	v_fmac_f32_e32 v24, v23, v25
	v_fmac_f32_e32 v24, -0.5, v23
	v_add_f32_e32 v21, v21, v24
.LBB162_345:
	s_or_b64 exec, exec, s[16:17]
.LBB162_346:
	s_or_b64 exec, exec, s[10:11]
.LBB162_347:
	s_or_b64 exec, exec, s[14:15]
.LBB162_348:
	s_andn2_saveexec_b64 s[12:13], s[12:13]
	s_cbranch_execz .LBB162_350
; %bb.349:
	s_mov_b32 s8, 0x3e8a8991
	v_mov_b32_e32 v21, 0xbecd26ab
	v_fma_f32 v21, |v13|, s8, v21
	s_mov_b32 s8, 0x3f528d33
	v_fma_f32 v21, |v13|, v21, s8
	s_mov_b32 s8, 0x800000
	v_cmp_lt_f32_e64 s[8:9], |v13|, s8
	v_cndmask_b32_e64 v23, 0, 32, s[8:9]
	v_ldexp_f32 v23, |v13|, v23
	v_log_f32_e32 v23, v23
	s_mov_b32 s10, 0xbf13c468
	v_fma_f32 v21, |v13|, v21, s10
	s_mov_b32 s10, 0x3f317217
	v_mul_f32_e32 v24, 0x3f317217, v23
	v_fma_f32 v25, v23, s10, -v24
	v_fmac_f32_e32 v25, 0x3377d1cf, v23
	s_mov_b32 s10, 0x7f800000
	v_add_f32_e32 v24, v24, v25
	v_cmp_lt_f32_e64 s[10:11], |v23|, s10
	v_cndmask_b32_e64 v23, v23, v24, s[10:11]
	v_mov_b32_e32 v24, 0x41b17218
	v_cndmask_b32_e64 v24, 0, v24, s[8:9]
	v_sub_f32_e32 v23, v23, v24
	v_fma_f32 v21, |v13|, v21, -v23
.LBB162_350:
	s_or_b64 exec, exec, s[12:13]
	v_cmp_le_f32_e64 s[8:9], 0, v13
	v_cmp_nle_f32_e64 s[10:11], 0, v13
	s_and_saveexec_b64 s[12:13], s[10:11]
	s_xor_b64 s[14:15], exec, s[12:13]
	s_cbranch_execz .LBB162_354
; %bb.351:
	s_mov_b32 s10, 0x4b000000
	s_mov_b32 s12, 0x35000000
	v_cmp_lt_f32_e64 s[10:11], |v13|, s10
	v_cmp_gt_f32_e64 s[12:13], |v13|, s12
	s_and_b64 s[10:11], s[10:11], s[12:13]
	s_and_saveexec_b64 s[16:17], s[10:11]
	s_cbranch_execz .LBB162_353
; %bb.352:
	v_mul_f32_e64 v23, |v13|, 0.5
	v_floor_f32_e32 v24, v23
	v_sub_f32_e32 v24, v23, v24
	v_min_f32_e32 v24, 0x3f7fffff, v24
	s_mov_b32 s12, 0x7f800000
	v_add_f32_e32 v24, v24, v24
	v_cmp_neq_f32_e64 s[10:11], s12, v23
	v_cndmask_b32_e64 v23, 0, v24, s[10:11]
	v_cmp_gt_f32_e64 s[10:11], |v13|, 1.0
	v_cndmask_b32_e64 v23, |v13|, v23, s[10:11]
	v_add_f32_e32 v24, v23, v23
	v_rndne_f32_e32 v24, v24
	v_fmac_f32_e32 v23, -0.5, v24
	v_mul_f32_e32 v25, v23, v23
	v_mov_b32_e32 v26, 0xbf1f24be
	v_fmac_f32_e32 v26, 0x3e75aa41, v25
	v_mov_b32_e32 v27, 0x40234736
	v_fmac_f32_e32 v27, v25, v26
	;; [unrolled: 2-line block ×3, first 2 shown]
	v_mul_f32_e32 v27, v23, v25
	v_mul_f32_e32 v26, v27, v26
	v_fmac_f32_e32 v26, 0x40490fdb, v23
	v_mov_b32_e32 v23, 0x3e642e9d
	v_cvt_i32_f32_e32 v24, v24
	v_fmac_f32_e32 v23, 0x3d4be544, v25
	v_mov_b32_e32 v27, 0xbfaad1da
	v_fmac_f32_e32 v27, v25, v23
	v_mov_b32_e32 v23, 0x4081e0d3
	;; [unrolled: 2-line block ×3, first 2 shown]
	v_fmac_f32_e32 v27, v25, v23
	v_fma_f32 v23, v25, v27, 1.0
	v_and_b32_e32 v25, 1, v24
	v_cmp_eq_u32_e64 s[10:11], 0, v25
	v_cndmask_b32_e64 v23, v23, v26, s[10:11]
	v_lshlrev_b32_e32 v24, 30, v24
	s_brev_b32 s10, 1
	v_and_or_b32 v22, v24, s10, v22
	v_xor_b32_e32 v22, v22, v23
	v_xor_b32_e32 v22, v22, v13
	v_mul_f32_e32 v22, v13, v22
	v_frexp_mant_f32_e64 v23, |v22|
	v_rcp_f32_e32 v23, v23
	v_frexp_exp_i32_f32_e32 v22, v22
	v_sub_u32_e32 v22, 2, v22
	s_mov_b32 s10, 0x800000
	v_mul_f32_e32 v23, 0x3f490fdb, v23
	v_ldexp_f32 v22, v23, v22
	v_cmp_gt_f32_e64 s[10:11], s10, v22
	v_cndmask_b32_e64 v23, 0, 32, s[10:11]
	v_ldexp_f32 v22, v22, v23
	v_log_f32_e32 v22, v22
	s_mov_b32 s13, 0x3f317217
	v_mul_f32_e32 v23, 0x3f317217, v22
	v_fma_f32 v24, v22, s13, -v23
	v_fmac_f32_e32 v24, 0x3377d1cf, v22
	v_add_f32_e32 v23, v23, v24
	v_cmp_lt_f32_e64 s[12:13], |v22|, s12
	v_cndmask_b32_e64 v22, v22, v23, s[12:13]
	v_mov_b32_e32 v23, 0x41b17218
	v_cndmask_b32_e64 v23, 0, v23, s[10:11]
	v_sub_f32_e32 v22, v22, v23
	v_sub_f32_e32 v21, v22, v21
	v_floor_f32_e32 v22, v13
	v_sub_f32_e32 v22, v13, v22
	v_min_f32_e32 v22, 0x3f7fffff, v22
	v_mov_b32_e32 v23, 0x7f800000
	v_cmp_neq_f32_e64 s[10:11], 0, v22
	v_cndmask_b32_e64 v21, v23, v21, s[10:11]
.LBB162_353:
	s_or_b64 exec, exec, s[16:17]
.LBB162_354:
	s_andn2_saveexec_b64 s[14:15], s[14:15]
; %bb.355:
	v_cmp_eq_f32_e64 s[10:11], 1.0, v13
	v_cmp_eq_f32_e64 s[12:13], 2.0, v13
	s_or_b64 s[10:11], s[10:11], s[12:13]
	v_cndmask_b32_e64 v21, v21, 0, s[10:11]
; %bb.356:
	s_or_b64 exec, exec, s[14:15]
	global_load_ushort v11, v11, s[22:23]
	s_mov_b32 s10, 0x3c800000
                                        ; implicit-def: $vgpr22
	s_waitcnt vmcnt(0)
	v_lshlrev_b32_e32 v11, 16, v11
	v_and_b32_e32 v23, 0x7fffffff, v11
	v_cmp_nlt_f32_e64 s[10:11], |v11|, s10
	s_and_saveexec_b64 s[12:13], s[10:11]
	s_xor_b64 s[14:15], exec, s[12:13]
	s_cbranch_execz .LBB162_386
; %bb.357:
	v_cmp_nlt_f32_e64 s[10:11], |v11|, 2.0
                                        ; implicit-def: $vgpr22
	s_and_saveexec_b64 s[12:13], s[10:11]
	s_xor_b64 s[16:17], exec, s[12:13]
	s_cbranch_execz .LBB162_367
; %bb.358:
	s_mov_b32 s10, 0x41000000
	v_cmp_nlt_f32_e64 s[10:11], |v11|, s10
                                        ; implicit-def: $vgpr22
	s_and_saveexec_b64 s[12:13], s[10:11]
	s_xor_b64 s[18:19], exec, s[12:13]
	s_cbranch_execz .LBB162_364
; %bb.359:
	s_mov_b32 s10, 0x5c800000
	v_cmp_nlt_f32_e64 s[10:11], |v11|, s10
                                        ; implicit-def: $vgpr22
	s_and_saveexec_b64 s[12:13], s[10:11]
	s_xor_b64 s[24:25], exec, s[12:13]
	s_cbranch_execz .LBB162_361
; %bb.360:
	s_mov_b32 s10, 0x800000
	v_cmp_lt_f32_e64 s[10:11], |v11|, s10
	v_cndmask_b32_e64 v22, 0, 32, s[10:11]
	v_ldexp_f32 v22, |v11|, v22
	v_log_f32_e32 v22, v22
	s_mov_b32 s12, 0x3f317217
	s_mov_b32 s13, 0x7f800000
	v_mul_f32_e32 v24, 0x3f317217, v22
	v_fma_f32 v25, v22, s12, -v24
	v_fmac_f32_e32 v25, 0x3377d1cf, v22
	v_add_f32_e32 v24, v24, v25
	v_cmp_lt_f32_e64 s[12:13], |v22|, s13
	v_cndmask_b32_e64 v22, v22, v24, s[12:13]
	v_mov_b32_e32 v24, 0x41b17218
	v_cndmask_b32_e64 v24, 0, v24, s[10:11]
	v_sub_f32_e32 v22, v22, v24
	v_fma_f32 v22, |v11|, v22, -|v11|
.LBB162_361:
	s_andn2_saveexec_b64 s[24:25], s[24:25]
	s_cbranch_execz .LBB162_363
; %bb.362:
	v_rcp_f32_e64 v24, |v11|
	v_mov_b32_e32 v22, 0x3a5b3dd2
	v_mov_b32_e32 v25, 0xba1c065c
	;; [unrolled: 1-line block ×3, first 2 shown]
	v_mul_f32_e32 v27, v24, v24
	v_fmac_f32_e32 v22, 0xbad5c4e8, v27
	v_fmac_f32_e32 v25, v27, v22
	s_mov_b32 s10, 0x800000
	v_fmac_f32_e32 v26, v27, v25
	v_mov_b32_e32 v22, 0xbb360b61
	v_cmp_lt_f32_e64 s[10:11], |v11|, s10
	v_fmac_f32_e32 v22, v27, v26
	v_cndmask_b32_e64 v26, 0, 32, s[10:11]
	v_ldexp_f32 v26, |v11|, v26
	v_log_f32_e32 v26, v26
	v_mov_b32_e32 v25, 0x3daaaaab
	v_fmac_f32_e32 v25, v27, v22
	v_mov_b32_e32 v22, 0x3ed67f1d
	v_fmac_f32_e32 v22, v24, v25
	s_mov_b32 s12, 0x3f317217
	v_mul_f32_e32 v25, 0x3f317217, v26
	v_fma_f32 v27, v26, s12, -v25
	v_fmac_f32_e32 v27, 0x3377d1cf, v26
	s_mov_b32 s12, 0x7f800000
	v_add_f32_e32 v25, v25, v27
	v_cmp_lt_f32_e64 s[12:13], |v26|, s12
	v_cndmask_b32_e64 v25, v26, v25, s[12:13]
	v_mov_b32_e32 v26, 0x41b17218
	v_cndmask_b32_e64 v26, 0, v26, s[10:11]
	v_sub_f32_e32 v25, v25, v26
	v_add_f32_e64 v24, |v11|, -0.5
	v_add_f32_e32 v25, -1.0, v25
	v_fmac_f32_e32 v22, v24, v25
.LBB162_363:
	s_or_b64 exec, exec, s[24:25]
.LBB162_364:
	s_andn2_saveexec_b64 s[18:19], s[18:19]
	s_cbranch_execz .LBB162_366
; %bb.365:
	v_cvt_i32_f32_e32 v22, v23
	v_mov_b32_e32 v24, 0x3af135b4
	v_mov_b32_e32 v25, 0x3cda40e4
	;; [unrolled: 1-line block ×3, first 2 shown]
	v_cvt_f32_i32_e32 v27, v22
	v_mov_b32_e32 v28, 0x3ea6cc7a
	v_mov_b32_e32 v29, 0x3e5c245a
	v_cmp_lt_i32_e64 s[10:11], 2, v22
	v_sub_f32_e64 v27, |v11|, v27
	v_fmac_f32_e32 v24, 0x3805ff67, v27
	v_fmac_f32_e32 v25, v27, v24
	;; [unrolled: 1-line block ×3, first 2 shown]
	v_mov_b32_e32 v25, 0x3a4beed6
	v_fmac_f32_e32 v28, v27, v26
	v_fmac_f32_e32 v25, 0x36f5d7bd, v27
	v_mov_b32_e32 v26, 0x3c98bf54
	v_fmac_f32_e32 v26, v27, v25
	v_mov_b32_e32 v25, 0x3e300f6e
	;; [unrolled: 2-line block ×4, first 2 shown]
	v_fmac_f32_e32 v25, v27, v26
	v_add_f32_e32 v26, 2.0, v27
	v_mov_b32_e32 v30, 0xbd9e233f
	v_fmac_f32_e32 v29, v27, v28
	v_add_f32_e32 v28, 0x40400000, v27
	v_cndmask_b32_e64 v26, 1.0, v26, s[10:11]
	v_cmp_lt_i32_e64 s[10:11], 3, v22
	v_fmac_f32_e32 v30, v27, v29
	v_add_f32_e32 v29, 4.0, v27
	v_cndmask_b32_e64 v28, 1.0, v28, s[10:11]
	v_cmp_lt_i32_e64 s[10:11], 4, v22
	v_mul_f32_e32 v24, v27, v30
	v_add_f32_e32 v30, 0x40a00000, v27
	v_mul_f32_e32 v26, v26, v28
	v_cndmask_b32_e64 v28, 1.0, v29, s[10:11]
	v_cmp_lt_i32_e64 s[10:11], 5, v22
	v_add_f32_e32 v31, 0x40c00000, v27
	v_mul_f32_e32 v26, v28, v26
	v_cndmask_b32_e64 v28, 1.0, v30, s[10:11]
	v_cmp_lt_i32_e64 s[10:11], 6, v22
	v_mul_f32_e32 v26, v28, v26
	v_cndmask_b32_e64 v22, 1.0, v31, s[10:11]
	v_mul_f32_e32 v22, v22, v26
	s_mov_b32 s10, 0x800000
	v_cmp_gt_f32_e64 s[10:11], s10, v22
	v_cndmask_b32_e64 v26, 0, 32, s[10:11]
	v_fma_f32 v25, v27, v25, 1.0
	v_ldexp_f32 v22, v22, v26
	v_rcp_f32_e32 v25, v25
	v_log_f32_e32 v22, v22
	s_mov_b32 s12, 0x3f317217
	v_mul_f32_e32 v24, v24, v25
	v_mul_f32_e32 v25, 0x3f317217, v22
	v_fma_f32 v26, v22, s12, -v25
	v_fmac_f32_e32 v26, 0x3377d1cf, v22
	s_mov_b32 s12, 0x7f800000
	v_add_f32_e32 v25, v25, v26
	v_cmp_lt_f32_e64 s[12:13], |v22|, s12
	v_cndmask_b32_e64 v22, v22, v25, s[12:13]
	v_mov_b32_e32 v25, 0x41b17218
	v_cndmask_b32_e64 v25, 0, v25, s[10:11]
	v_fmac_f32_e32 v24, 0.5, v27
	v_sub_f32_e32 v22, v22, v25
	v_add_f32_e32 v22, v22, v24
.LBB162_366:
	s_or_b64 exec, exec, s[18:19]
.LBB162_367:
	s_andn2_saveexec_b64 s[16:17], s[16:17]
	s_cbranch_execz .LBB162_385
; %bb.368:
	s_mov_b32 s10, 0x3f666666
	v_cmp_le_f32_e64 s[10:11], |v11|, s10
                                        ; implicit-def: $vgpr22
                                        ; implicit-def: $vgpr25
                                        ; implicit-def: $vgpr24
	s_and_saveexec_b64 s[12:13], s[10:11]
	s_xor_b64 s[18:19], exec, s[12:13]
	s_cbranch_execz .LBB162_370
; %bb.369:
	s_mov_b32 s10, 0x800000
	v_cmp_lt_f32_e64 s[10:11], |v11|, s10
	v_cndmask_b32_e64 v22, 0, 32, s[10:11]
	v_ldexp_f32 v22, |v11|, v22
	v_log_f32_e32 v22, v22
	s_mov_b32 s12, 0x3f317217
	s_mov_b32 s13, 0x7f800000
	v_mul_f32_e32 v24, 0x3f317217, v22
	v_fma_f32 v25, v22, s12, -v24
	v_fmac_f32_e32 v25, 0x3377d1cf, v22
	v_add_f32_e32 v24, v24, v25
	v_cmp_lt_f32_e64 s[12:13], |v22|, s13
	v_cndmask_b32_e64 v22, v22, v24, s[12:13]
	v_mov_b32_e32 v24, 0x41b17218
	v_cndmask_b32_e64 v24, 0, v24, s[10:11]
	s_mov_b32 s10, 0x3f3b4a23
	s_mov_b32 s11, 0xbeec5b0c
	v_sub_f32_e32 v22, v22, v24
	v_sub_f32_e64 v24, 1.0, |v11|
	v_add_f32_e64 v25, |v11|, s11
	v_cmp_lt_f32_e64 s[10:11], |v11|, s10
	v_cndmask_b32_e64 v24, v24, v25, s[10:11]
	v_cndmask_b32_e64 v25, 0, 1, s[10:11]
	s_mov_b32 s10, 0x3e6d3309
	v_cmp_lt_f32_e64 s[10:11], |v11|, s10
	v_xor_b32_e32 v22, 0x80000000, v22
	v_cndmask_b32_e64 v24, v24, |v11|, s[10:11]
	v_cndmask_b32_e64 v25, v25, 2, s[10:11]
.LBB162_370:
	s_andn2_saveexec_b64 s[12:13], s[18:19]
	s_cbranch_execz .LBB162_372
; %bb.371:
	s_mov_b32 s10, 0x3fdda512
	s_mov_b32 s11, 0xbfbb16c3
	v_sub_f32_e64 v22, 2.0, |v11|
	v_add_f32_e64 v24, |v11|, s11
	v_cmp_lt_f32_e64 s[10:11], |v11|, s10
	v_cndmask_b32_e64 v24, v22, v24, s[10:11]
	v_cndmask_b32_e64 v22, v22, 1.0, s[10:11]
	v_cvt_i32_f32_e32 v22, v22
	s_mov_b32 s10, 0x3f9d70a4
	v_add_f32_e64 v25, |v11|, -1.0
	v_cmp_lt_f32_e64 s[10:11], |v11|, s10
	v_cndmask_b32_e64 v24, v24, v25, s[10:11]
	v_cndmask_b32_e64 v25, v22, 2, s[10:11]
	v_mov_b32_e32 v22, 0
.LBB162_372:
	s_or_b64 exec, exec, s[12:13]
	v_cmp_lt_i32_e64 s[10:11], 0, v25
	s_and_saveexec_b64 s[12:13], s[10:11]
	s_xor_b64 s[12:13], exec, s[12:13]
	s_cbranch_execz .LBB162_380
; %bb.373:
	v_cmp_lt_i32_e64 s[10:11], 1, v25
	s_and_saveexec_b64 s[18:19], s[10:11]
	s_xor_b64 s[18:19], exec, s[18:19]
	s_cbranch_execz .LBB162_377
; %bb.374:
	v_cmp_eq_u32_e64 s[10:11], 2, v25
	s_and_saveexec_b64 s[24:25], s[10:11]
	s_cbranch_execz .LBB162_376
; %bb.375:
	v_mov_b32_e32 v25, 0x3e6a7578
	v_fmac_f32_e32 v25, 0x3c5b3c5e, v24
	v_mov_b32_e32 v26, 0x3f7a4bb2
	v_fmac_f32_e32 v26, v24, v25
	;; [unrolled: 2-line block ×8, first 2 shown]
	v_fma_f32 v25, v24, v27, 1.0
	v_rcp_f32_e32 v25, v25
	v_mov_b32_e32 v27, 0xbd9e233f
	v_fmac_f32_e32 v27, v24, v26
	v_mul_f32_e32 v26, v24, v27
	v_mul_f32_e32 v25, v26, v25
	v_fmac_f32_e32 v25, -0.5, v24
	v_add_f32_e32 v22, v22, v25
.LBB162_376:
	s_or_b64 exec, exec, s[24:25]
                                        ; implicit-def: $vgpr24
.LBB162_377:
	s_andn2_saveexec_b64 s[10:11], s[18:19]
	s_cbranch_execz .LBB162_379
; %bb.378:
	v_mul_f32_e32 v25, v24, v24
	v_mul_f32_e32 v26, v24, v25
	v_mov_b32_e32 v27, 0xbab7f476
	v_fmac_f32_e32 v27, 0x39a57b6b, v26
	v_mov_b32_e32 v28, 0x3bc7e707
	v_fmac_f32_e32 v28, v26, v27
	;; [unrolled: 2-line block ×12, first 2 shown]
	v_fmac_f32_e32 v29, v24, v30
	s_mov_b32 s18, 0xa2863e55
	v_fma_f32 v24, v26, -v29, s18
	v_fma_f32 v24, v25, v28, -v24
	v_add_f32_e32 v24, 0xbdf8cdce, v24
	v_add_f32_e32 v22, v22, v24
.LBB162_379:
	s_or_b64 exec, exec, s[10:11]
                                        ; implicit-def: $vgpr25
                                        ; implicit-def: $vgpr24
.LBB162_380:
	s_andn2_saveexec_b64 s[12:13], s[12:13]
	s_cbranch_execz .LBB162_384
; %bb.381:
	v_cmp_eq_u32_e64 s[10:11], 0, v25
	s_and_saveexec_b64 s[18:19], s[10:11]
	s_cbranch_execz .LBB162_383
; %bb.382:
	v_mul_f32_e32 v25, v24, v24
	v_mov_b32_e32 v26, 0x39679767
	v_fmac_f32_e32 v26, 0x37d383a2, v25
	v_mov_b32_e32 v27, 0x3a9c54a1
	v_fmac_f32_e32 v27, v25, v26
	;; [unrolled: 2-line block ×10, first 2 shown]
	v_mul_f32_e32 v25, v25, v27
	v_fmac_f32_e32 v25, v24, v26
	v_fmac_f32_e32 v25, -0.5, v24
	v_add_f32_e32 v22, v22, v25
.LBB162_383:
	s_or_b64 exec, exec, s[18:19]
.LBB162_384:
	s_or_b64 exec, exec, s[12:13]
.LBB162_385:
	s_or_b64 exec, exec, s[16:17]
.LBB162_386:
	s_andn2_saveexec_b64 s[14:15], s[14:15]
	s_cbranch_execz .LBB162_388
; %bb.387:
	s_mov_b32 s10, 0x3e8a8991
	v_mov_b32_e32 v22, 0xbecd26ab
	v_fma_f32 v22, |v11|, s10, v22
	s_mov_b32 s10, 0x3f528d33
	v_fma_f32 v22, |v11|, v22, s10
	s_mov_b32 s10, 0x800000
	v_cmp_lt_f32_e64 s[10:11], |v11|, s10
	v_cndmask_b32_e64 v24, 0, 32, s[10:11]
	v_ldexp_f32 v24, |v11|, v24
	v_log_f32_e32 v24, v24
	s_mov_b32 s12, 0xbf13c468
	v_fma_f32 v22, |v11|, v22, s12
	s_mov_b32 s12, 0x3f317217
	v_mul_f32_e32 v25, 0x3f317217, v24
	v_fma_f32 v26, v24, s12, -v25
	v_fmac_f32_e32 v26, 0x3377d1cf, v24
	s_mov_b32 s12, 0x7f800000
	v_add_f32_e32 v25, v25, v26
	v_cmp_lt_f32_e64 s[12:13], |v24|, s12
	v_cndmask_b32_e64 v24, v24, v25, s[12:13]
	v_mov_b32_e32 v25, 0x41b17218
	v_cndmask_b32_e64 v25, 0, v25, s[10:11]
	v_sub_f32_e32 v24, v24, v25
	v_fma_f32 v22, |v11|, v22, -v24
.LBB162_388:
	s_or_b64 exec, exec, s[14:15]
	v_cmp_le_f32_e64 s[10:11], 0, v11
	v_cmp_nle_f32_e64 s[12:13], 0, v11
	s_and_saveexec_b64 s[14:15], s[12:13]
	s_xor_b64 s[16:17], exec, s[14:15]
	s_cbranch_execz .LBB162_392
; %bb.389:
	s_mov_b32 s12, 0x4b000000
	s_mov_b32 s14, 0x35000000
	v_cmp_lt_f32_e64 s[12:13], |v11|, s12
	v_cmp_gt_f32_e64 s[14:15], |v11|, s14
	s_and_b64 s[12:13], s[12:13], s[14:15]
	s_and_saveexec_b64 s[18:19], s[12:13]
	s_cbranch_execz .LBB162_391
; %bb.390:
	v_mul_f32_e64 v24, |v11|, 0.5
	v_floor_f32_e32 v25, v24
	v_sub_f32_e32 v25, v24, v25
	v_min_f32_e32 v25, 0x3f7fffff, v25
	s_mov_b32 s14, 0x7f800000
	v_add_f32_e32 v25, v25, v25
	v_cmp_neq_f32_e64 s[12:13], s14, v24
	v_cndmask_b32_e64 v24, 0, v25, s[12:13]
	v_cmp_gt_f32_e64 s[12:13], |v11|, 1.0
	v_cndmask_b32_e64 v24, |v11|, v24, s[12:13]
	v_add_f32_e32 v25, v24, v24
	v_rndne_f32_e32 v25, v25
	v_fmac_f32_e32 v24, -0.5, v25
	v_mul_f32_e32 v26, v24, v24
	v_mov_b32_e32 v27, 0xbf1f24be
	v_fmac_f32_e32 v27, 0x3e75aa41, v26
	v_mov_b32_e32 v28, 0x40234736
	v_fmac_f32_e32 v28, v26, v27
	;; [unrolled: 2-line block ×3, first 2 shown]
	v_mul_f32_e32 v28, v24, v26
	v_mul_f32_e32 v27, v28, v27
	v_fmac_f32_e32 v27, 0x40490fdb, v24
	v_mov_b32_e32 v24, 0x3e642e9d
	v_cvt_i32_f32_e32 v25, v25
	v_fmac_f32_e32 v24, 0x3d4be544, v26
	v_mov_b32_e32 v28, 0xbfaad1da
	v_fmac_f32_e32 v28, v26, v24
	v_mov_b32_e32 v24, 0x4081e0d3
	;; [unrolled: 2-line block ×3, first 2 shown]
	v_fmac_f32_e32 v28, v26, v24
	v_fma_f32 v24, v26, v28, 1.0
	v_and_b32_e32 v26, 1, v25
	v_cmp_eq_u32_e64 s[12:13], 0, v26
	v_cndmask_b32_e64 v24, v24, v27, s[12:13]
	v_lshlrev_b32_e32 v25, 30, v25
	s_brev_b32 s12, 1
	v_and_or_b32 v23, v25, s12, v23
	v_xor_b32_e32 v23, v23, v24
	v_xor_b32_e32 v23, v23, v11
	v_mul_f32_e32 v23, v11, v23
	v_frexp_mant_f32_e64 v24, |v23|
	v_rcp_f32_e32 v24, v24
	v_frexp_exp_i32_f32_e32 v23, v23
	v_sub_u32_e32 v23, 2, v23
	s_mov_b32 s12, 0x800000
	v_mul_f32_e32 v24, 0x3f490fdb, v24
	v_ldexp_f32 v23, v24, v23
	v_cmp_gt_f32_e64 s[12:13], s12, v23
	v_cndmask_b32_e64 v24, 0, 32, s[12:13]
	v_ldexp_f32 v23, v23, v24
	v_log_f32_e32 v23, v23
	s_mov_b32 s15, 0x3f317217
	v_mul_f32_e32 v24, 0x3f317217, v23
	v_fma_f32 v25, v23, s15, -v24
	v_fmac_f32_e32 v25, 0x3377d1cf, v23
	v_add_f32_e32 v24, v24, v25
	v_cmp_lt_f32_e64 s[14:15], |v23|, s14
	v_cndmask_b32_e64 v23, v23, v24, s[14:15]
	v_mov_b32_e32 v24, 0x41b17218
	v_cndmask_b32_e64 v24, 0, v24, s[12:13]
	v_sub_f32_e32 v23, v23, v24
	v_sub_f32_e32 v22, v23, v22
	v_floor_f32_e32 v23, v11
	v_sub_f32_e32 v23, v11, v23
	v_min_f32_e32 v23, 0x3f7fffff, v23
	v_mov_b32_e32 v24, 0x7f800000
	v_cmp_neq_f32_e64 s[12:13], 0, v23
	v_cndmask_b32_e64 v22, v24, v22, s[12:13]
.LBB162_391:
	s_or_b64 exec, exec, s[18:19]
.LBB162_392:
	s_andn2_saveexec_b64 s[16:17], s[16:17]
; %bb.393:
	v_cmp_eq_f32_e64 s[12:13], 1.0, v11
	v_cmp_eq_f32_e64 s[14:15], 2.0, v11
	s_or_b64 s[12:13], s[12:13], s[14:15]
	v_cndmask_b32_e64 v22, v22, 0, s[12:13]
; %bb.394:
	s_or_b64 exec, exec, s[16:17]
	global_load_ushort v9, v9, s[22:23]
	s_mov_b32 s12, 0x3c800000
                                        ; implicit-def: $vgpr24
	s_waitcnt vmcnt(0)
	v_lshlrev_b32_e32 v9, 16, v9
	v_and_b32_e32 v23, 0x7fffffff, v9
	v_cmp_nlt_f32_e64 s[12:13], |v9|, s12
	s_and_saveexec_b64 s[14:15], s[12:13]
	s_xor_b64 s[16:17], exec, s[14:15]
	s_cbranch_execz .LBB162_424
; %bb.395:
	v_cmp_nlt_f32_e64 s[12:13], |v9|, 2.0
                                        ; implicit-def: $vgpr24
	s_and_saveexec_b64 s[14:15], s[12:13]
	s_xor_b64 s[18:19], exec, s[14:15]
	s_cbranch_execz .LBB162_405
; %bb.396:
	s_mov_b32 s12, 0x41000000
	v_cmp_nlt_f32_e64 s[12:13], |v9|, s12
                                        ; implicit-def: $vgpr24
	s_and_saveexec_b64 s[14:15], s[12:13]
	s_xor_b64 s[22:23], exec, s[14:15]
	s_cbranch_execz .LBB162_402
; %bb.397:
	s_mov_b32 s12, 0x5c800000
	v_cmp_nlt_f32_e64 s[12:13], |v9|, s12
                                        ; implicit-def: $vgpr24
	s_and_saveexec_b64 s[14:15], s[12:13]
	s_xor_b64 s[24:25], exec, s[14:15]
	s_cbranch_execz .LBB162_399
; %bb.398:
	s_mov_b32 s12, 0x800000
	v_cmp_lt_f32_e64 s[12:13], |v9|, s12
	v_cndmask_b32_e64 v24, 0, 32, s[12:13]
	v_ldexp_f32 v24, |v9|, v24
	v_log_f32_e32 v24, v24
	s_mov_b32 s14, 0x3f317217
	s_mov_b32 s15, 0x7f800000
	v_mul_f32_e32 v25, 0x3f317217, v24
	v_fma_f32 v26, v24, s14, -v25
	v_fmac_f32_e32 v26, 0x3377d1cf, v24
	v_add_f32_e32 v25, v25, v26
	v_cmp_lt_f32_e64 s[14:15], |v24|, s15
	v_cndmask_b32_e64 v24, v24, v25, s[14:15]
	v_mov_b32_e32 v25, 0x41b17218
	v_cndmask_b32_e64 v25, 0, v25, s[12:13]
	v_sub_f32_e32 v24, v24, v25
	v_fma_f32 v24, |v9|, v24, -|v9|
.LBB162_399:
	s_andn2_saveexec_b64 s[24:25], s[24:25]
	s_cbranch_execz .LBB162_401
; %bb.400:
	v_rcp_f32_e64 v25, |v9|
	v_mov_b32_e32 v24, 0x3a5b3dd2
	v_mov_b32_e32 v26, 0xba1c065c
	;; [unrolled: 1-line block ×3, first 2 shown]
	v_mul_f32_e32 v28, v25, v25
	v_fmac_f32_e32 v24, 0xbad5c4e8, v28
	v_fmac_f32_e32 v26, v28, v24
	s_mov_b32 s12, 0x800000
	v_fmac_f32_e32 v27, v28, v26
	v_mov_b32_e32 v24, 0xbb360b61
	v_cmp_lt_f32_e64 s[12:13], |v9|, s12
	v_fmac_f32_e32 v24, v28, v27
	v_cndmask_b32_e64 v27, 0, 32, s[12:13]
	v_ldexp_f32 v27, |v9|, v27
	v_log_f32_e32 v27, v27
	v_mov_b32_e32 v26, 0x3daaaaab
	v_fmac_f32_e32 v26, v28, v24
	v_mov_b32_e32 v24, 0x3ed67f1d
	v_fmac_f32_e32 v24, v25, v26
	s_mov_b32 s14, 0x3f317217
	v_mul_f32_e32 v26, 0x3f317217, v27
	v_fma_f32 v28, v27, s14, -v26
	v_fmac_f32_e32 v28, 0x3377d1cf, v27
	s_mov_b32 s14, 0x7f800000
	v_add_f32_e32 v26, v26, v28
	v_cmp_lt_f32_e64 s[14:15], |v27|, s14
	v_cndmask_b32_e64 v26, v27, v26, s[14:15]
	v_mov_b32_e32 v27, 0x41b17218
	v_cndmask_b32_e64 v27, 0, v27, s[12:13]
	v_sub_f32_e32 v26, v26, v27
	v_add_f32_e64 v25, |v9|, -0.5
	v_add_f32_e32 v26, -1.0, v26
	v_fmac_f32_e32 v24, v25, v26
.LBB162_401:
	s_or_b64 exec, exec, s[24:25]
.LBB162_402:
	s_andn2_saveexec_b64 s[22:23], s[22:23]
	s_cbranch_execz .LBB162_404
; %bb.403:
	v_cvt_i32_f32_e32 v24, v23
	v_mov_b32_e32 v25, 0x3af135b4
	v_mov_b32_e32 v26, 0x3cda40e4
	;; [unrolled: 1-line block ×3, first 2 shown]
	v_cvt_f32_i32_e32 v28, v24
	v_mov_b32_e32 v29, 0x3ea6cc7a
	v_mov_b32_e32 v30, 0x3e5c245a
	v_cmp_lt_i32_e64 s[12:13], 2, v24
	v_sub_f32_e64 v28, |v9|, v28
	v_fmac_f32_e32 v25, 0x3805ff67, v28
	v_fmac_f32_e32 v26, v28, v25
	;; [unrolled: 1-line block ×3, first 2 shown]
	v_mov_b32_e32 v26, 0x3a4beed6
	v_fmac_f32_e32 v29, v28, v27
	v_fmac_f32_e32 v26, 0x36f5d7bd, v28
	v_mov_b32_e32 v27, 0x3c98bf54
	v_fmac_f32_e32 v27, v28, v26
	v_mov_b32_e32 v26, 0x3e300f6e
	;; [unrolled: 2-line block ×4, first 2 shown]
	v_fmac_f32_e32 v26, v28, v27
	v_add_f32_e32 v27, 2.0, v28
	v_mov_b32_e32 v31, 0xbd9e233f
	v_fmac_f32_e32 v30, v28, v29
	v_add_f32_e32 v29, 0x40400000, v28
	v_cndmask_b32_e64 v27, 1.0, v27, s[12:13]
	v_cmp_lt_i32_e64 s[12:13], 3, v24
	v_fmac_f32_e32 v31, v28, v30
	v_add_f32_e32 v30, 4.0, v28
	v_cndmask_b32_e64 v29, 1.0, v29, s[12:13]
	v_cmp_lt_i32_e64 s[12:13], 4, v24
	v_mul_f32_e32 v25, v28, v31
	v_add_f32_e32 v31, 0x40a00000, v28
	v_mul_f32_e32 v27, v27, v29
	v_cndmask_b32_e64 v29, 1.0, v30, s[12:13]
	v_cmp_lt_i32_e64 s[12:13], 5, v24
	v_add_f32_e32 v32, 0x40c00000, v28
	v_mul_f32_e32 v27, v29, v27
	v_cndmask_b32_e64 v29, 1.0, v31, s[12:13]
	v_cmp_lt_i32_e64 s[12:13], 6, v24
	v_mul_f32_e32 v27, v29, v27
	v_cndmask_b32_e64 v24, 1.0, v32, s[12:13]
	v_mul_f32_e32 v24, v24, v27
	s_mov_b32 s12, 0x800000
	v_cmp_gt_f32_e64 s[12:13], s12, v24
	v_cndmask_b32_e64 v27, 0, 32, s[12:13]
	v_fma_f32 v26, v28, v26, 1.0
	v_ldexp_f32 v24, v24, v27
	v_rcp_f32_e32 v26, v26
	v_log_f32_e32 v24, v24
	s_mov_b32 s14, 0x3f317217
	v_mul_f32_e32 v25, v25, v26
	v_mul_f32_e32 v26, 0x3f317217, v24
	v_fma_f32 v27, v24, s14, -v26
	v_fmac_f32_e32 v27, 0x3377d1cf, v24
	s_mov_b32 s14, 0x7f800000
	v_add_f32_e32 v26, v26, v27
	v_cmp_lt_f32_e64 s[14:15], |v24|, s14
	v_cndmask_b32_e64 v24, v24, v26, s[14:15]
	v_mov_b32_e32 v26, 0x41b17218
	v_cndmask_b32_e64 v26, 0, v26, s[12:13]
	v_fmac_f32_e32 v25, 0.5, v28
	v_sub_f32_e32 v24, v24, v26
	v_add_f32_e32 v24, v24, v25
.LBB162_404:
	s_or_b64 exec, exec, s[22:23]
.LBB162_405:
	s_andn2_saveexec_b64 s[18:19], s[18:19]
	s_cbranch_execz .LBB162_423
; %bb.406:
	s_mov_b32 s12, 0x3f666666
	v_cmp_le_f32_e64 s[12:13], |v9|, s12
                                        ; implicit-def: $vgpr24
                                        ; implicit-def: $vgpr26
                                        ; implicit-def: $vgpr25
	s_and_saveexec_b64 s[14:15], s[12:13]
	s_xor_b64 s[22:23], exec, s[14:15]
	s_cbranch_execz .LBB162_408
; %bb.407:
	s_mov_b32 s12, 0x800000
	v_cmp_lt_f32_e64 s[12:13], |v9|, s12
	v_cndmask_b32_e64 v24, 0, 32, s[12:13]
	v_ldexp_f32 v24, |v9|, v24
	v_log_f32_e32 v24, v24
	s_mov_b32 s14, 0x3f317217
	s_mov_b32 s15, 0x7f800000
	v_mul_f32_e32 v25, 0x3f317217, v24
	v_fma_f32 v26, v24, s14, -v25
	v_fmac_f32_e32 v26, 0x3377d1cf, v24
	v_add_f32_e32 v25, v25, v26
	v_cmp_lt_f32_e64 s[14:15], |v24|, s15
	v_cndmask_b32_e64 v24, v24, v25, s[14:15]
	v_mov_b32_e32 v25, 0x41b17218
	v_cndmask_b32_e64 v25, 0, v25, s[12:13]
	s_mov_b32 s12, 0x3f3b4a23
	s_mov_b32 s13, 0xbeec5b0c
	v_sub_f32_e32 v24, v24, v25
	v_sub_f32_e64 v25, 1.0, |v9|
	v_add_f32_e64 v26, |v9|, s13
	v_cmp_lt_f32_e64 s[12:13], |v9|, s12
	v_cndmask_b32_e64 v25, v25, v26, s[12:13]
	v_cndmask_b32_e64 v26, 0, 1, s[12:13]
	s_mov_b32 s12, 0x3e6d3309
	v_cmp_lt_f32_e64 s[12:13], |v9|, s12
	v_xor_b32_e32 v24, 0x80000000, v24
	v_cndmask_b32_e64 v25, v25, |v9|, s[12:13]
	v_cndmask_b32_e64 v26, v26, 2, s[12:13]
.LBB162_408:
	s_andn2_saveexec_b64 s[14:15], s[22:23]
	s_cbranch_execz .LBB162_410
; %bb.409:
	s_mov_b32 s12, 0x3fdda512
	s_mov_b32 s13, 0xbfbb16c3
	v_sub_f32_e64 v24, 2.0, |v9|
	v_add_f32_e64 v25, |v9|, s13
	v_cmp_lt_f32_e64 s[12:13], |v9|, s12
	v_cndmask_b32_e64 v25, v24, v25, s[12:13]
	v_cndmask_b32_e64 v24, v24, 1.0, s[12:13]
	v_cvt_i32_f32_e32 v24, v24
	s_mov_b32 s12, 0x3f9d70a4
	v_add_f32_e64 v26, |v9|, -1.0
	v_cmp_lt_f32_e64 s[12:13], |v9|, s12
	v_cndmask_b32_e64 v25, v25, v26, s[12:13]
	v_cndmask_b32_e64 v26, v24, 2, s[12:13]
	v_mov_b32_e32 v24, 0
.LBB162_410:
	s_or_b64 exec, exec, s[14:15]
	v_cmp_lt_i32_e64 s[12:13], 0, v26
	s_and_saveexec_b64 s[14:15], s[12:13]
	s_xor_b64 s[14:15], exec, s[14:15]
	s_cbranch_execz .LBB162_418
; %bb.411:
	v_cmp_lt_i32_e64 s[12:13], 1, v26
	s_and_saveexec_b64 s[22:23], s[12:13]
	s_xor_b64 s[22:23], exec, s[22:23]
	s_cbranch_execz .LBB162_415
; %bb.412:
	v_cmp_eq_u32_e64 s[12:13], 2, v26
	s_and_saveexec_b64 s[24:25], s[12:13]
	s_cbranch_execz .LBB162_414
; %bb.413:
	v_mov_b32_e32 v26, 0x3e6a7578
	v_fmac_f32_e32 v26, 0x3c5b3c5e, v25
	v_mov_b32_e32 v27, 0x3f7a4bb2
	v_fmac_f32_e32 v27, v25, v26
	;; [unrolled: 2-line block ×8, first 2 shown]
	v_fma_f32 v26, v25, v28, 1.0
	v_rcp_f32_e32 v26, v26
	v_mov_b32_e32 v28, 0xbd9e233f
	v_fmac_f32_e32 v28, v25, v27
	v_mul_f32_e32 v27, v25, v28
	v_mul_f32_e32 v26, v27, v26
	v_fmac_f32_e32 v26, -0.5, v25
	v_add_f32_e32 v24, v24, v26
.LBB162_414:
	s_or_b64 exec, exec, s[24:25]
                                        ; implicit-def: $vgpr25
.LBB162_415:
	s_andn2_saveexec_b64 s[12:13], s[22:23]
	s_cbranch_execz .LBB162_417
; %bb.416:
	v_mul_f32_e32 v26, v25, v25
	v_mul_f32_e32 v27, v25, v26
	v_mov_b32_e32 v28, 0xbab7f476
	v_fmac_f32_e32 v28, 0x39a57b6b, v27
	v_mov_b32_e32 v29, 0x3bc7e707
	v_fmac_f32_e32 v29, v27, v28
	;; [unrolled: 2-line block ×12, first 2 shown]
	v_fmac_f32_e32 v30, v25, v31
	s_mov_b32 s22, 0xa2863e55
	v_fma_f32 v25, v27, -v30, s22
	v_fma_f32 v25, v26, v29, -v25
	v_add_f32_e32 v25, 0xbdf8cdce, v25
	v_add_f32_e32 v24, v24, v25
.LBB162_417:
	s_or_b64 exec, exec, s[12:13]
                                        ; implicit-def: $vgpr26
                                        ; implicit-def: $vgpr25
.LBB162_418:
	s_andn2_saveexec_b64 s[14:15], s[14:15]
	s_cbranch_execz .LBB162_422
; %bb.419:
	v_cmp_eq_u32_e64 s[12:13], 0, v26
	s_and_saveexec_b64 s[22:23], s[12:13]
	s_cbranch_execz .LBB162_421
; %bb.420:
	v_mul_f32_e32 v26, v25, v25
	v_mov_b32_e32 v27, 0x39679767
	v_fmac_f32_e32 v27, 0x37d383a2, v26
	v_mov_b32_e32 v28, 0x3a9c54a1
	v_fmac_f32_e32 v28, v26, v27
	;; [unrolled: 2-line block ×10, first 2 shown]
	v_mul_f32_e32 v26, v26, v28
	v_fmac_f32_e32 v26, v25, v27
	v_fmac_f32_e32 v26, -0.5, v25
	v_add_f32_e32 v24, v24, v26
.LBB162_421:
	s_or_b64 exec, exec, s[22:23]
.LBB162_422:
	s_or_b64 exec, exec, s[14:15]
.LBB162_423:
	s_or_b64 exec, exec, s[18:19]
.LBB162_424:
	s_andn2_saveexec_b64 s[16:17], s[16:17]
	s_cbranch_execz .LBB162_426
; %bb.425:
	s_mov_b32 s12, 0x3e8a8991
	v_mov_b32_e32 v24, 0xbecd26ab
	v_fma_f32 v24, |v9|, s12, v24
	s_mov_b32 s12, 0x3f528d33
	v_fma_f32 v24, |v9|, v24, s12
	s_mov_b32 s12, 0x800000
	v_cmp_lt_f32_e64 s[12:13], |v9|, s12
	v_cndmask_b32_e64 v25, 0, 32, s[12:13]
	v_ldexp_f32 v25, |v9|, v25
	v_log_f32_e32 v25, v25
	s_mov_b32 s14, 0xbf13c468
	v_fma_f32 v24, |v9|, v24, s14
	s_mov_b32 s14, 0x3f317217
	v_mul_f32_e32 v26, 0x3f317217, v25
	v_fma_f32 v27, v25, s14, -v26
	v_fmac_f32_e32 v27, 0x3377d1cf, v25
	s_mov_b32 s14, 0x7f800000
	v_add_f32_e32 v26, v26, v27
	v_cmp_lt_f32_e64 s[14:15], |v25|, s14
	v_cndmask_b32_e64 v25, v25, v26, s[14:15]
	v_mov_b32_e32 v26, 0x41b17218
	v_cndmask_b32_e64 v26, 0, v26, s[12:13]
	v_sub_f32_e32 v25, v25, v26
	v_fma_f32 v24, |v9|, v24, -v25
.LBB162_426:
	s_or_b64 exec, exec, s[16:17]
	v_cmp_le_f32_e64 s[12:13], 0, v9
	v_cmp_nle_f32_e64 s[14:15], 0, v9
	s_and_saveexec_b64 s[16:17], s[14:15]
	s_xor_b64 s[18:19], exec, s[16:17]
	s_cbranch_execz .LBB162_430
; %bb.427:
	s_mov_b32 s14, 0x4b000000
	s_mov_b32 s16, 0x35000000
	v_cmp_lt_f32_e64 s[14:15], |v9|, s14
	v_cmp_gt_f32_e64 s[16:17], |v9|, s16
	s_and_b64 s[14:15], s[14:15], s[16:17]
	s_and_saveexec_b64 s[22:23], s[14:15]
	s_cbranch_execz .LBB162_429
; %bb.428:
	v_mul_f32_e64 v25, |v9|, 0.5
	v_floor_f32_e32 v26, v25
	v_sub_f32_e32 v26, v25, v26
	v_min_f32_e32 v26, 0x3f7fffff, v26
	s_mov_b32 s16, 0x7f800000
	v_add_f32_e32 v26, v26, v26
	v_cmp_neq_f32_e64 s[14:15], s16, v25
	v_cndmask_b32_e64 v25, 0, v26, s[14:15]
	v_cmp_gt_f32_e64 s[14:15], |v9|, 1.0
	v_cndmask_b32_e64 v25, |v9|, v25, s[14:15]
	v_add_f32_e32 v26, v25, v25
	v_rndne_f32_e32 v26, v26
	v_fmac_f32_e32 v25, -0.5, v26
	v_mul_f32_e32 v27, v25, v25
	v_mov_b32_e32 v28, 0xbf1f24be
	v_fmac_f32_e32 v28, 0x3e75aa41, v27
	v_mov_b32_e32 v29, 0x40234736
	v_fmac_f32_e32 v29, v27, v28
	;; [unrolled: 2-line block ×3, first 2 shown]
	v_mul_f32_e32 v29, v25, v27
	v_mul_f32_e32 v28, v29, v28
	v_fmac_f32_e32 v28, 0x40490fdb, v25
	v_mov_b32_e32 v25, 0x3e642e9d
	v_cvt_i32_f32_e32 v26, v26
	v_fmac_f32_e32 v25, 0x3d4be544, v27
	v_mov_b32_e32 v29, 0xbfaad1da
	v_fmac_f32_e32 v29, v27, v25
	v_mov_b32_e32 v25, 0x4081e0d3
	v_fmac_f32_e32 v25, v27, v29
	v_mov_b32_e32 v29, 0xc09de9e6
	v_fmac_f32_e32 v29, v27, v25
	v_fma_f32 v25, v27, v29, 1.0
	v_and_b32_e32 v27, 1, v26
	v_cmp_eq_u32_e64 s[14:15], 0, v27
	v_cndmask_b32_e64 v25, v25, v28, s[14:15]
	v_lshlrev_b32_e32 v26, 30, v26
	s_brev_b32 s14, 1
	v_and_or_b32 v23, v26, s14, v23
	v_xor_b32_e32 v23, v23, v25
	v_xor_b32_e32 v23, v23, v9
	v_mul_f32_e32 v23, v9, v23
	v_frexp_mant_f32_e64 v25, |v23|
	v_rcp_f32_e32 v25, v25
	v_frexp_exp_i32_f32_e32 v23, v23
	v_sub_u32_e32 v23, 2, v23
	s_mov_b32 s14, 0x800000
	v_mul_f32_e32 v25, 0x3f490fdb, v25
	v_ldexp_f32 v23, v25, v23
	v_cmp_gt_f32_e64 s[14:15], s14, v23
	v_cndmask_b32_e64 v25, 0, 32, s[14:15]
	v_ldexp_f32 v23, v23, v25
	v_log_f32_e32 v23, v23
	s_mov_b32 s17, 0x3f317217
	v_mul_f32_e32 v25, 0x3f317217, v23
	v_fma_f32 v26, v23, s17, -v25
	v_fmac_f32_e32 v26, 0x3377d1cf, v23
	v_add_f32_e32 v25, v25, v26
	v_cmp_lt_f32_e64 s[16:17], |v23|, s16
	v_cndmask_b32_e64 v23, v23, v25, s[16:17]
	v_mov_b32_e32 v25, 0x41b17218
	v_cndmask_b32_e64 v25, 0, v25, s[14:15]
	v_sub_f32_e32 v23, v23, v25
	v_sub_f32_e32 v23, v23, v24
	v_floor_f32_e32 v24, v9
	v_sub_f32_e32 v24, v9, v24
	v_min_f32_e32 v24, 0x3f7fffff, v24
	v_mov_b32_e32 v25, 0x7f800000
	v_cmp_neq_f32_e64 s[14:15], 0, v24
	v_cndmask_b32_e64 v24, v25, v23, s[14:15]
.LBB162_429:
	s_or_b64 exec, exec, s[22:23]
.LBB162_430:
	s_andn2_saveexec_b64 s[18:19], s[18:19]
; %bb.431:
	v_cmp_eq_f32_e64 s[14:15], 1.0, v9
	v_cmp_eq_f32_e64 s[16:17], 2.0, v9
	s_or_b64 s[14:15], s[14:15], s[16:17]
	v_cndmask_b32_e64 v24, v24, 0, s[14:15]
; %bb.432:
	s_or_b64 exec, exec, s[18:19]
	s_mov_b32 s16, 0x4b000000
	v_cmp_lt_f32_e64 s[14:15], |v11|, s16
	v_mov_b32_e32 v23, 0x7f800000
	s_or_b64 s[10:11], s[10:11], s[14:15]
	v_mov_b32_e32 v25, 0x264
	v_cndmask_b32_e64 v22, v23, v22, s[10:11]
	v_cmp_class_f32_e64 s[10:11], v11, v25
	v_cndmask_b32_e64 v22, v22, v23, s[10:11]
	v_cmp_u_f32_e64 s[10:11], v11, v11
	v_cndmask_b32_e64 v11, v22, v11, s[10:11]
	v_cmp_lt_f32_e64 s[10:11], |v13|, s16
	s_or_b64 s[8:9], s[8:9], s[10:11]
	v_cndmask_b32_e64 v21, v23, v21, s[8:9]
	v_cmp_class_f32_e64 s[8:9], v13, v25
	v_cndmask_b32_e64 v21, v21, v23, s[8:9]
	v_cmp_u_f32_e64 s[8:9], v13, v13
	v_cndmask_b32_e64 v13, v21, v13, s[8:9]
	v_cmp_lt_f32_e64 s[10:11], |v15|, s16
	s_movk_i32 s14, 0x7fff
	v_bfe_u32 v21, v13, 16, 1
	s_or_b64 s[6:7], s[6:7], s[10:11]
	v_add3_u32 v21, v13, v21, s14
	v_cmp_o_f32_e64 s[8:9], v13, v13
	v_cndmask_b32_e64 v13, v23, v20, s[6:7]
	v_cmp_class_f32_e64 s[6:7], v15, v25
	v_cndmask_b32_e64 v13, v13, v23, s[6:7]
	v_cmp_u_f32_e64 s[6:7], v15, v15
	v_cndmask_b32_e64 v13, v13, v15, s[6:7]
	v_bfe_u32 v15, v13, 16, 1
	v_add3_u32 v15, v13, v15, s14
	v_mov_b32_e32 v22, 0x7fc0
	v_lshrrev_b32_e32 v15, 16, v15
	v_cmp_o_f32_e64 s[6:7], v13, v13
	v_cndmask_b32_e64 v15, v22, v15, s[6:7]
	v_cmp_lt_f32_e64 s[6:7], |v17|, s16
	s_or_b64 s[4:5], s[4:5], s[6:7]
	v_cndmask_b32_e64 v19, v23, v19, s[4:5]
	v_cmp_class_f32_e64 s[4:5], v17, v25
	v_cndmask_b32_e64 v19, v19, v23, s[4:5]
	v_cmp_u_f32_e64 s[4:5], v17, v17
	v_cndmask_b32_e64 v17, v19, v17, s[4:5]
	v_bfe_u32 v19, v17, 16, 1
	v_add3_u32 v19, v17, v19, s14
	v_lshrrev_b32_e32 v19, 16, v19
	v_cmp_o_f32_e64 s[4:5], v17, v17
	v_cndmask_b32_e64 v17, v22, v19, s[4:5]
	v_cmp_lt_f32_e64 s[4:5], |v16|, s16
	s_or_b64 s[2:3], s[2:3], s[4:5]
	v_cndmask_b32_e64 v18, v23, v18, s[2:3]
	v_cmp_class_f32_e64 s[2:3], v16, v25
	v_cndmask_b32_e64 v18, v18, v23, s[2:3]
	v_cmp_u_f32_e64 s[2:3], v16, v16
	v_cndmask_b32_e64 v16, v18, v16, s[2:3]
	v_bfe_u32 v18, v16, 16, 1
	v_add3_u32 v18, v16, v18, s14
	;; [unrolled: 12-line block ×3, first 2 shown]
	v_lshrrev_b32_e32 v14, 16, v14
	v_cmp_o_f32_e64 s[0:1], v12, v12
	v_cndmask_b32_e64 v12, v22, v14, s[0:1]
	v_cmp_lt_f32_e64 s[0:1], |v8|, s16
	s_or_b64 vcc, vcc, s[0:1]
	v_cndmask_b32_e32 v10, v23, v10, vcc
	v_cmp_class_f32_e32 vcc, v8, v25
	v_cndmask_b32_e32 v10, v10, v23, vcc
	v_cmp_u_f32_e32 vcc, v8, v8
	v_cndmask_b32_e32 v8, v10, v8, vcc
	v_bfe_u32 v10, v8, 16, 1
	v_add3_u32 v10, v8, v10, s14
	v_lshrrev_b32_e32 v10, 16, v10
	v_cmp_o_f32_e32 vcc, v8, v8
	v_cmp_lt_f32_e64 s[0:1], |v9|, s16
	v_cndmask_b32_e32 v8, v22, v10, vcc
	s_or_b64 vcc, s[12:13], s[0:1]
	v_cndmask_b32_e32 v10, v23, v24, vcc
	v_cmp_class_f32_e32 vcc, v9, v25
	v_cndmask_b32_e32 v10, v10, v23, vcc
	v_cmp_u_f32_e32 vcc, v9, v9
	v_bfe_u32 v13, v11, 16, 1
	v_cndmask_b32_e32 v9, v10, v9, vcc
	v_add3_u32 v13, v11, v13, s14
	v_bfe_u32 v10, v9, 16, 1
	v_lshrrev_b32_e32 v21, 16, v21
	v_lshrrev_b32_e32 v13, 16, v13
	v_cmp_o_f32_e64 s[10:11], v11, v11
	v_add3_u32 v10, v9, v10, s14
	v_cmp_o_f32_e32 vcc, v9, v9
	v_cndmask_b32_e64 v11, v22, v13, s[10:11]
	v_cndmask_b32_e64 v13, v22, v21, s[8:9]
	v_cndmask_b32_sdwa v9, v22, v10, vcc dst_sel:DWORD dst_unused:UNUSED_PAD src0_sel:DWORD src1_sel:WORD_1
	global_store_short v0, v8, s[20:21]
	global_store_short v1, v12, s[20:21]
	;; [unrolled: 1-line block ×8, first 2 shown]
	s_endpgm
.LBB162_433:
	v_mov_b32_e32 v0, 0
	v_mov_b32_e32 v2, 0
	s_branch .LBB162_439
.LBB162_434:
	v_mov_b32_e32 v0, 0
	v_mov_b32_e32 v2, 0
	s_branch .LBB162_493
.LBB162_435:
	s_mov_b32 s57, 0
	v_mov_b32_e32 v0, 0
	v_mov_b32_e32 v2, 0
	;; [unrolled: 1-line block ×3, first 2 shown]
.LBB162_436:
	s_and_b32 s4, s58, 3
	s_cmp_eq_u32 s4, 0
	s_cbranch_scc1 .LBB162_439
; %bb.437:
	s_lshl_b32 s0, s57, 3
	s_add_u32 s0, s34, s0
	s_addc_u32 s1, s35, 0
	s_add_u32 s0, s0, 0xc4
	s_addc_u32 s1, s1, 0
	s_mul_i32 s2, s57, 12
	s_add_u32 s2, s34, s2
	s_addc_u32 s3, s35, 0
.LBB162_438:                            ; =>This Inner Loop Header: Depth=1
	s_load_dwordx2 s[6:7], s[2:3], 0x4
	s_load_dword s5, s[2:3], 0xc
	s_load_dwordx2 s[8:9], s[0:1], 0x0
	s_add_u32 s2, s2, 12
	s_addc_u32 s3, s3, 0
	s_waitcnt lgkmcnt(0)
	v_mul_hi_u32 v3, s7, v1
	s_add_u32 s0, s0, 8
	s_addc_u32 s1, s1, 0
	s_add_i32 s4, s4, -1
	v_add_u32_e32 v3, v1, v3
	v_lshrrev_b32_e32 v4, s5, v3
	v_mul_lo_u32 v3, v4, s6
	s_cmp_lg_u32 s4, 0
	v_sub_u32_e32 v3, v1, v3
	v_mad_u64_u32 v[0:1], s[6:7], v3, s8, v[0:1]
	v_mad_u64_u32 v[2:3], s[6:7], v3, s9, v[2:3]
	v_mov_b32_e32 v1, v4
	s_cbranch_scc1 .LBB162_438
.LBB162_439:
	s_cbranch_execnz .LBB162_442
.LBB162_440:
	s_waitcnt lgkmcnt(0)
	v_mul_hi_u32 v0, s25, v7
	s_andn2_b64 vcc, exec, s[42:43]
	v_add_u32_e32 v0, v7, v0
	v_lshrrev_b32_e32 v1, s26, v0
	v_mul_lo_u32 v0, v1, s24
	v_sub_u32_e32 v2, v7, v0
	v_mul_lo_u32 v0, v2, s20
	v_mul_lo_u32 v2, v2, s21
	s_cbranch_vccnz .LBB162_442
; %bb.441:
	v_mul_hi_u32 v3, s40, v1
	v_add_u32_e32 v3, v1, v3
	v_lshrrev_b32_e32 v3, s41, v3
	v_mul_lo_u32 v3, v3, s27
	v_sub_u32_e32 v3, v1, v3
	v_mad_u64_u32 v[0:1], s[0:1], v3, s22, v[0:1]
	v_mad_u64_u32 v[2:3], s[0:1], v3, s23, v[2:3]
.LBB162_442:
	s_waitcnt lgkmcnt(0)
	global_load_ushort v1, v2, s[18:19]
	s_mov_b32 s0, 0x3c800000
                                        ; implicit-def: $vgpr3
	s_waitcnt vmcnt(0)
	v_lshlrev_b32_e32 v1, 16, v1
	v_and_b32_e32 v2, 0x7fffffff, v1
	v_cmp_nlt_f32_e64 s[0:1], |v1|, s0
	s_and_saveexec_b64 s[2:3], s[0:1]
	s_xor_b64 s[2:3], exec, s[2:3]
	s_cbranch_execz .LBB162_472
; %bb.443:
	v_cmp_nlt_f32_e64 s[0:1], |v1|, 2.0
                                        ; implicit-def: $vgpr3
	s_and_saveexec_b64 s[4:5], s[0:1]
	s_xor_b64 s[4:5], exec, s[4:5]
	s_cbranch_execz .LBB162_453
; %bb.444:
	s_mov_b32 s0, 0x41000000
	v_cmp_nlt_f32_e64 s[0:1], |v1|, s0
                                        ; implicit-def: $vgpr3
	s_and_saveexec_b64 s[6:7], s[0:1]
	s_xor_b64 s[6:7], exec, s[6:7]
	s_cbranch_execz .LBB162_450
; %bb.445:
	s_mov_b32 s0, 0x5c800000
	v_cmp_nlt_f32_e64 s[0:1], |v1|, s0
                                        ; implicit-def: $vgpr3
	s_and_saveexec_b64 s[8:9], s[0:1]
	s_xor_b64 s[8:9], exec, s[8:9]
	s_cbranch_execz .LBB162_447
; %bb.446:
	s_mov_b32 s0, 0x800000
	v_cmp_lt_f32_e64 vcc, |v1|, s0
	v_cndmask_b32_e64 v3, 0, 32, vcc
	v_ldexp_f32 v3, |v1|, v3
	v_log_f32_e32 v3, v3
	s_mov_b32 s0, 0x3f317217
	s_mov_b32 s1, 0x7f800000
	v_mul_f32_e32 v4, 0x3f317217, v3
	v_fma_f32 v5, v3, s0, -v4
	v_fmac_f32_e32 v5, 0x3377d1cf, v3
	v_add_f32_e32 v4, v4, v5
	v_cmp_lt_f32_e64 s[0:1], |v3|, s1
	v_cndmask_b32_e64 v3, v3, v4, s[0:1]
	v_mov_b32_e32 v4, 0x41b17218
	v_cndmask_b32_e32 v4, 0, v4, vcc
	v_sub_f32_e32 v3, v3, v4
	v_fma_f32 v3, |v1|, v3, -|v1|
.LBB162_447:
	s_andn2_saveexec_b64 s[8:9], s[8:9]
	s_cbranch_execz .LBB162_449
; %bb.448:
	v_rcp_f32_e64 v4, |v1|
	v_mov_b32_e32 v3, 0x3a5b3dd2
	v_mov_b32_e32 v5, 0xba1c065c
	;; [unrolled: 1-line block ×3, first 2 shown]
	v_mul_f32_e32 v8, v4, v4
	v_fmac_f32_e32 v3, 0xbad5c4e8, v8
	v_fmac_f32_e32 v5, v8, v3
	s_mov_b32 s0, 0x800000
	v_fmac_f32_e32 v6, v8, v5
	v_mov_b32_e32 v3, 0xbb360b61
	v_cmp_lt_f32_e64 vcc, |v1|, s0
	v_fmac_f32_e32 v3, v8, v6
	v_cndmask_b32_e64 v6, 0, 32, vcc
	v_ldexp_f32 v6, |v1|, v6
	v_log_f32_e32 v6, v6
	v_mov_b32_e32 v5, 0x3daaaaab
	v_fmac_f32_e32 v5, v8, v3
	v_mov_b32_e32 v3, 0x3ed67f1d
	v_fmac_f32_e32 v3, v4, v5
	s_mov_b32 s0, 0x3f317217
	v_mul_f32_e32 v5, 0x3f317217, v6
	v_fma_f32 v8, v6, s0, -v5
	v_fmac_f32_e32 v8, 0x3377d1cf, v6
	s_mov_b32 s0, 0x7f800000
	v_add_f32_e32 v5, v5, v8
	v_cmp_lt_f32_e64 s[0:1], |v6|, s0
	v_cndmask_b32_e64 v5, v6, v5, s[0:1]
	v_mov_b32_e32 v6, 0x41b17218
	v_cndmask_b32_e32 v6, 0, v6, vcc
	v_sub_f32_e32 v5, v5, v6
	v_add_f32_e64 v4, |v1|, -0.5
	v_add_f32_e32 v5, -1.0, v5
	v_fmac_f32_e32 v3, v4, v5
.LBB162_449:
	s_or_b64 exec, exec, s[8:9]
.LBB162_450:
	s_andn2_saveexec_b64 s[6:7], s[6:7]
	s_cbranch_execz .LBB162_452
; %bb.451:
	v_cvt_i32_f32_e32 v3, v2
	v_mov_b32_e32 v4, 0x3af135b4
	v_mov_b32_e32 v5, 0x3cda40e4
	;; [unrolled: 1-line block ×3, first 2 shown]
	v_cvt_f32_i32_e32 v8, v3
	v_mov_b32_e32 v9, 0x3ea6cc7a
	v_mov_b32_e32 v10, 0x3e5c245a
	v_cmp_lt_i32_e32 vcc, 2, v3
	v_sub_f32_e64 v8, |v1|, v8
	v_fmac_f32_e32 v4, 0x3805ff67, v8
	v_fmac_f32_e32 v5, v8, v4
	;; [unrolled: 1-line block ×3, first 2 shown]
	v_mov_b32_e32 v5, 0x3a4beed6
	v_fmac_f32_e32 v9, v8, v6
	v_fmac_f32_e32 v5, 0x36f5d7bd, v8
	v_mov_b32_e32 v6, 0x3c98bf54
	v_fmac_f32_e32 v6, v8, v5
	v_mov_b32_e32 v5, 0x3e300f6e
	;; [unrolled: 2-line block ×4, first 2 shown]
	v_fmac_f32_e32 v5, v8, v6
	v_add_f32_e32 v6, 2.0, v8
	v_mov_b32_e32 v11, 0xbd9e233f
	v_fmac_f32_e32 v10, v8, v9
	v_add_f32_e32 v9, 0x40400000, v8
	v_cndmask_b32_e32 v6, 1.0, v6, vcc
	v_cmp_lt_i32_e32 vcc, 3, v3
	v_fmac_f32_e32 v11, v8, v10
	v_add_f32_e32 v10, 4.0, v8
	v_cndmask_b32_e32 v9, 1.0, v9, vcc
	v_cmp_lt_i32_e32 vcc, 4, v3
	v_mul_f32_e32 v4, v8, v11
	v_add_f32_e32 v11, 0x40a00000, v8
	v_mul_f32_e32 v6, v6, v9
	v_cndmask_b32_e32 v9, 1.0, v10, vcc
	v_cmp_lt_i32_e32 vcc, 5, v3
	v_add_f32_e32 v12, 0x40c00000, v8
	v_mul_f32_e32 v6, v9, v6
	v_cndmask_b32_e32 v9, 1.0, v11, vcc
	v_cmp_lt_i32_e32 vcc, 6, v3
	v_mul_f32_e32 v6, v9, v6
	v_cndmask_b32_e32 v3, 1.0, v12, vcc
	v_mul_f32_e32 v3, v3, v6
	s_mov_b32 s0, 0x800000
	v_cmp_gt_f32_e32 vcc, s0, v3
	v_cndmask_b32_e64 v6, 0, 32, vcc
	v_fma_f32 v5, v8, v5, 1.0
	v_ldexp_f32 v3, v3, v6
	v_rcp_f32_e32 v5, v5
	v_log_f32_e32 v3, v3
	s_mov_b32 s0, 0x3f317217
	v_mul_f32_e32 v4, v4, v5
	v_mul_f32_e32 v5, 0x3f317217, v3
	v_fma_f32 v6, v3, s0, -v5
	v_fmac_f32_e32 v6, 0x3377d1cf, v3
	s_mov_b32 s0, 0x7f800000
	v_add_f32_e32 v5, v5, v6
	v_cmp_lt_f32_e64 s[0:1], |v3|, s0
	v_cndmask_b32_e64 v3, v3, v5, s[0:1]
	v_mov_b32_e32 v5, 0x41b17218
	v_cndmask_b32_e32 v5, 0, v5, vcc
	v_fmac_f32_e32 v4, 0.5, v8
	v_sub_f32_e32 v3, v3, v5
	v_add_f32_e32 v3, v3, v4
.LBB162_452:
	s_or_b64 exec, exec, s[6:7]
.LBB162_453:
	s_andn2_saveexec_b64 s[4:5], s[4:5]
	s_cbranch_execz .LBB162_471
; %bb.454:
	s_mov_b32 s0, 0x3f666666
	v_cmp_le_f32_e64 s[0:1], |v1|, s0
                                        ; implicit-def: $vgpr3
                                        ; implicit-def: $vgpr5
                                        ; implicit-def: $vgpr4
	s_and_saveexec_b64 s[6:7], s[0:1]
	s_xor_b64 s[6:7], exec, s[6:7]
	s_cbranch_execz .LBB162_456
; %bb.455:
	s_mov_b32 s0, 0x800000
	v_cmp_lt_f32_e64 vcc, |v1|, s0
	v_cndmask_b32_e64 v3, 0, 32, vcc
	v_ldexp_f32 v3, |v1|, v3
	v_log_f32_e32 v3, v3
	s_mov_b32 s0, 0x3f317217
	s_mov_b32 s1, 0x7f800000
	v_mul_f32_e32 v4, 0x3f317217, v3
	v_fma_f32 v5, v3, s0, -v4
	v_fmac_f32_e32 v5, 0x3377d1cf, v3
	v_add_f32_e32 v4, v4, v5
	v_cmp_lt_f32_e64 s[0:1], |v3|, s1
	v_cndmask_b32_e64 v3, v3, v4, s[0:1]
	v_mov_b32_e32 v4, 0x41b17218
	v_cndmask_b32_e32 v4, 0, v4, vcc
	s_mov_b32 s0, 0x3f3b4a23
	s_mov_b32 s1, 0xbeec5b0c
	v_sub_f32_e32 v3, v3, v4
	v_sub_f32_e64 v4, 1.0, |v1|
	v_add_f32_e64 v5, |v1|, s1
	v_cmp_lt_f32_e64 vcc, |v1|, s0
	s_mov_b32 s0, 0x3e6d3309
	v_cndmask_b32_e32 v4, v4, v5, vcc
	v_cndmask_b32_e64 v5, 0, 1, vcc
	v_cmp_lt_f32_e64 s[0:1], |v1|, s0
	v_xor_b32_e32 v3, 0x80000000, v3
	v_cndmask_b32_e64 v4, v4, |v1|, s[0:1]
	v_cndmask_b32_e64 v5, v5, 2, s[0:1]
.LBB162_456:
	s_andn2_saveexec_b64 s[0:1], s[6:7]
	s_cbranch_execz .LBB162_458
; %bb.457:
	s_mov_b32 s6, 0x3fdda512
	s_mov_b32 s7, 0xbfbb16c3
	v_sub_f32_e64 v3, 2.0, |v1|
	v_add_f32_e64 v4, |v1|, s7
	v_cmp_lt_f32_e64 vcc, |v1|, s6
	v_cndmask_b32_e32 v4, v3, v4, vcc
	v_cndmask_b32_e64 v3, v3, 1.0, vcc
	v_cvt_i32_f32_e32 v3, v3
	s_mov_b32 s6, 0x3f9d70a4
	v_add_f32_e64 v5, |v1|, -1.0
	v_cmp_lt_f32_e64 vcc, |v1|, s6
	v_cndmask_b32_e32 v4, v4, v5, vcc
	v_cndmask_b32_e64 v5, v3, 2, vcc
	v_mov_b32_e32 v3, 0
.LBB162_458:
	s_or_b64 exec, exec, s[0:1]
	v_cmp_lt_i32_e32 vcc, 0, v5
	s_and_saveexec_b64 s[0:1], vcc
	s_xor_b64 s[0:1], exec, s[0:1]
	s_cbranch_execz .LBB162_466
; %bb.459:
	v_cmp_lt_i32_e32 vcc, 1, v5
	s_and_saveexec_b64 s[6:7], vcc
	s_xor_b64 s[6:7], exec, s[6:7]
	s_cbranch_execz .LBB162_463
; %bb.460:
	v_cmp_eq_u32_e32 vcc, 2, v5
	s_and_saveexec_b64 s[8:9], vcc
	s_cbranch_execz .LBB162_462
; %bb.461:
	v_mov_b32_e32 v5, 0x3e6a7578
	v_fmac_f32_e32 v5, 0x3c5b3c5e, v4
	v_mov_b32_e32 v6, 0x3f7a4bb2
	v_fmac_f32_e32 v6, v4, v5
	;; [unrolled: 2-line block ×8, first 2 shown]
	v_fma_f32 v5, v4, v8, 1.0
	v_rcp_f32_e32 v5, v5
	v_mov_b32_e32 v8, 0xbd9e233f
	v_fmac_f32_e32 v8, v4, v6
	v_mul_f32_e32 v6, v4, v8
	v_mul_f32_e32 v5, v6, v5
	v_fmac_f32_e32 v5, -0.5, v4
	v_add_f32_e32 v3, v3, v5
.LBB162_462:
	s_or_b64 exec, exec, s[8:9]
                                        ; implicit-def: $vgpr4
.LBB162_463:
	s_andn2_saveexec_b64 s[6:7], s[6:7]
	s_cbranch_execz .LBB162_465
; %bb.464:
	v_mul_f32_e32 v5, v4, v4
	v_mul_f32_e32 v6, v4, v5
	v_mov_b32_e32 v8, 0xbab7f476
	v_fmac_f32_e32 v8, 0x39a57b6b, v6
	v_mov_b32_e32 v9, 0x3bc7e707
	v_fmac_f32_e32 v9, v6, v8
	v_mov_b32_e32 v8, 0xbd064d47
	v_fmac_f32_e32 v8, v6, v9
	v_mov_b32_e32 v9, 0x3ef7b95e
	v_fmac_f32_e32 v9, v6, v8
	v_mov_b32_e32 v8, 0x3a66f867
	v_fmac_f32_e32 v8, 0xb9a3f927, v6
	v_mov_b32_e32 v10, 0xbb7177fe
	v_fmac_f32_e32 v10, v6, v8
	v_mov_b32_e32 v8, 0x3c93373d
	v_fmac_f32_e32 v8, v6, v10
	v_mov_b32_e32 v10, 0xbe17213c
	v_fmac_f32_e32 v10, v6, v8
	v_mov_b32_e32 v8, 0xba0d3085
	v_fmac_f32_e32 v8, 0x39afe9f7, v6
	v_mov_b32_e32 v11, 0x3b141699
	v_fmac_f32_e32 v11, v6, v8
	v_mov_b32_e32 v8, 0xbc28fcfe
	v_fmac_f32_e32 v8, v6, v11
	v_mov_b32_e32 v11, 0x3d845a15
	v_fmac_f32_e32 v11, v6, v8
	v_fmac_f32_e32 v10, v4, v11
	s_mov_b32 s8, 0xa2863e55
	v_fma_f32 v4, v6, -v10, s8
	v_fma_f32 v4, v5, v9, -v4
	v_add_f32_e32 v4, 0xbdf8cdce, v4
	v_add_f32_e32 v3, v3, v4
.LBB162_465:
	s_or_b64 exec, exec, s[6:7]
                                        ; implicit-def: $vgpr5
                                        ; implicit-def: $vgpr4
.LBB162_466:
	s_andn2_saveexec_b64 s[0:1], s[0:1]
	s_cbranch_execz .LBB162_470
; %bb.467:
	v_cmp_eq_u32_e32 vcc, 0, v5
	s_and_saveexec_b64 s[6:7], vcc
	s_cbranch_execz .LBB162_469
; %bb.468:
	v_mul_f32_e32 v5, v4, v4
	v_mov_b32_e32 v6, 0x39679767
	v_fmac_f32_e32 v6, 0x37d383a2, v5
	v_mov_b32_e32 v8, 0x3a9c54a1
	v_fmac_f32_e32 v8, v5, v6
	v_mov_b32_e32 v6, 0x3bf2027e
	v_fmac_f32_e32 v6, v5, v8
	v_mov_b32_e32 v8, 0x3d89f001
	v_fmac_f32_e32 v8, v5, v6
	v_mov_b32_e32 v6, 0x3d9e233f
	v_fmac_f32_e32 v6, v5, v8
	v_mov_b32_e32 v8, 0x38e28445
	v_fmac_f32_e32 v8, 0x383c2c75, v5
	v_mov_b32_e32 v9, 0x3a05b634
	v_fmac_f32_e32 v9, v5, v8
	v_mov_b32_e32 v8, 0x3b3d6ec6
	v_fmac_f32_e32 v8, v5, v9
	v_mov_b32_e32 v9, 0x3ca89915
	v_fmac_f32_e32 v9, v5, v8
	v_mov_b32_e32 v8, 0x3ea51a66
	v_fmac_f32_e32 v8, v5, v9
	v_mul_f32_e32 v5, v5, v8
	v_fmac_f32_e32 v5, v4, v6
	v_fmac_f32_e32 v5, -0.5, v4
	v_add_f32_e32 v3, v3, v5
.LBB162_469:
	s_or_b64 exec, exec, s[6:7]
.LBB162_470:
	s_or_b64 exec, exec, s[0:1]
.LBB162_471:
	s_or_b64 exec, exec, s[4:5]
.LBB162_472:
	s_andn2_saveexec_b64 s[2:3], s[2:3]
	s_cbranch_execz .LBB162_474
; %bb.473:
	s_mov_b32 s0, 0x3e8a8991
	v_mov_b32_e32 v3, 0xbecd26ab
	v_fma_f32 v3, |v1|, s0, v3
	s_mov_b32 s0, 0x3f528d33
	v_fma_f32 v3, |v1|, v3, s0
	s_mov_b32 s0, 0x800000
	v_cmp_lt_f32_e64 vcc, |v1|, s0
	v_cndmask_b32_e64 v4, 0, 32, vcc
	v_ldexp_f32 v4, |v1|, v4
	v_log_f32_e32 v4, v4
	s_mov_b32 s0, 0xbf13c468
	v_fma_f32 v3, |v1|, v3, s0
	s_mov_b32 s0, 0x3f317217
	v_mul_f32_e32 v5, 0x3f317217, v4
	v_fma_f32 v6, v4, s0, -v5
	v_fmac_f32_e32 v6, 0x3377d1cf, v4
	s_mov_b32 s0, 0x7f800000
	v_add_f32_e32 v5, v5, v6
	v_cmp_lt_f32_e64 s[0:1], |v4|, s0
	v_cndmask_b32_e64 v4, v4, v5, s[0:1]
	v_mov_b32_e32 v5, 0x41b17218
	v_cndmask_b32_e32 v5, 0, v5, vcc
	v_sub_f32_e32 v4, v4, v5
	v_fma_f32 v3, |v1|, v3, -v4
.LBB162_474:
	s_or_b64 exec, exec, s[2:3]
	v_cmp_le_f32_e32 vcc, 0, v1
	v_cmp_nle_f32_e64 s[0:1], 0, v1
	s_and_saveexec_b64 s[2:3], s[0:1]
	s_xor_b64 s[4:5], exec, s[2:3]
	s_cbranch_execz .LBB162_478
; %bb.475:
	s_mov_b32 s0, 0x4b000000
	s_mov_b32 s2, 0x35000000
	v_cmp_lt_f32_e64 s[0:1], |v1|, s0
	v_cmp_gt_f32_e64 s[2:3], |v1|, s2
	s_and_b64 s[0:1], s[0:1], s[2:3]
	s_and_saveexec_b64 s[6:7], s[0:1]
	s_cbranch_execz .LBB162_477
; %bb.476:
	v_mul_f32_e64 v4, |v1|, 0.5
	v_floor_f32_e32 v5, v4
	v_sub_f32_e32 v5, v4, v5
	v_min_f32_e32 v5, 0x3f7fffff, v5
	s_mov_b32 s2, 0x7f800000
	v_add_f32_e32 v5, v5, v5
	v_cmp_neq_f32_e64 s[0:1], s2, v4
	v_cndmask_b32_e64 v4, 0, v5, s[0:1]
	v_cmp_gt_f32_e64 s[0:1], |v1|, 1.0
	v_cndmask_b32_e64 v4, |v1|, v4, s[0:1]
	v_add_f32_e32 v5, v4, v4
	v_rndne_f32_e32 v5, v5
	v_fmac_f32_e32 v4, -0.5, v5
	v_mul_f32_e32 v6, v4, v4
	v_mov_b32_e32 v8, 0xbf1f24be
	v_fmac_f32_e32 v8, 0x3e75aa41, v6
	v_mov_b32_e32 v9, 0x40234736
	v_fmac_f32_e32 v9, v6, v8
	;; [unrolled: 2-line block ×3, first 2 shown]
	v_mul_f32_e32 v9, v4, v6
	v_mul_f32_e32 v8, v9, v8
	v_fmac_f32_e32 v8, 0x40490fdb, v4
	v_mov_b32_e32 v4, 0x3e642e9d
	v_cvt_i32_f32_e32 v5, v5
	v_fmac_f32_e32 v4, 0x3d4be544, v6
	v_mov_b32_e32 v9, 0xbfaad1da
	v_fmac_f32_e32 v9, v6, v4
	v_mov_b32_e32 v4, 0x4081e0d3
	;; [unrolled: 2-line block ×3, first 2 shown]
	v_fmac_f32_e32 v9, v6, v4
	v_fma_f32 v4, v6, v9, 1.0
	v_and_b32_e32 v6, 1, v5
	v_cmp_eq_u32_e64 s[0:1], 0, v6
	v_cndmask_b32_e64 v4, v4, v8, s[0:1]
	v_lshlrev_b32_e32 v5, 30, v5
	s_brev_b32 s0, 1
	v_and_or_b32 v2, v5, s0, v2
	v_xor_b32_e32 v2, v2, v4
	v_xor_b32_e32 v2, v2, v1
	v_mul_f32_e32 v2, v1, v2
	v_frexp_mant_f32_e64 v4, |v2|
	v_rcp_f32_e32 v4, v4
	v_frexp_exp_i32_f32_e32 v2, v2
	v_sub_u32_e32 v2, 2, v2
	s_mov_b32 s0, 0x800000
	v_mul_f32_e32 v4, 0x3f490fdb, v4
	v_ldexp_f32 v2, v4, v2
	v_cmp_gt_f32_e64 s[0:1], s0, v2
	v_cndmask_b32_e64 v4, 0, 32, s[0:1]
	v_ldexp_f32 v2, v2, v4
	v_log_f32_e32 v2, v2
	s_mov_b32 s3, 0x3f317217
	v_mul_f32_e32 v4, 0x3f317217, v2
	v_fma_f32 v5, v2, s3, -v4
	v_fmac_f32_e32 v5, 0x3377d1cf, v2
	v_add_f32_e32 v4, v4, v5
	v_cmp_lt_f32_e64 s[2:3], |v2|, s2
	v_cndmask_b32_e64 v2, v2, v4, s[2:3]
	v_mov_b32_e32 v4, 0x41b17218
	v_cndmask_b32_e64 v4, 0, v4, s[0:1]
	v_sub_f32_e32 v2, v2, v4
	v_sub_f32_e32 v2, v2, v3
	v_floor_f32_e32 v3, v1
	v_sub_f32_e32 v3, v1, v3
	v_min_f32_e32 v3, 0x3f7fffff, v3
	v_mov_b32_e32 v4, 0x7f800000
	v_cmp_neq_f32_e64 s[0:1], 0, v3
	v_cndmask_b32_e64 v3, v4, v2, s[0:1]
.LBB162_477:
	s_or_b64 exec, exec, s[6:7]
.LBB162_478:
	s_andn2_saveexec_b64 s[4:5], s[4:5]
; %bb.479:
	v_cmp_eq_f32_e64 s[0:1], 1.0, v1
	v_cmp_eq_f32_e64 s[2:3], 2.0, v1
	s_or_b64 s[0:1], s[0:1], s[2:3]
	v_cndmask_b32_e64 v3, v3, 0, s[0:1]
; %bb.480:
	s_or_b64 exec, exec, s[4:5]
	s_mov_b32 s0, 0x4b000000
	v_cmp_lt_f32_e64 s[0:1], |v1|, s0
	v_mov_b32_e32 v2, 0x264
	v_mov_b32_e32 v4, 0x7f800000
	s_or_b64 vcc, vcc, s[0:1]
	v_cndmask_b32_e32 v3, v4, v3, vcc
	v_cmp_class_f32_e32 vcc, v1, v2
	v_cndmask_b32_e32 v2, v3, v4, vcc
	v_cmp_u_f32_e32 vcc, v1, v1
	v_cndmask_b32_e32 v1, v2, v1, vcc
	v_bfe_u32 v2, v1, 16, 1
	s_movk_i32 s0, 0x7fff
	v_add3_u32 v2, v1, v2, s0
	v_cmp_o_f32_e32 vcc, v1, v1
	v_mov_b32_e32 v1, 0x7fc0
	v_cndmask_b32_sdwa v1, v1, v2, vcc dst_sel:DWORD dst_unused:UNUSED_PAD src0_sel:DWORD src1_sel:WORD_1
	v_add_u32_e32 v7, 0x80, v7
	global_store_short v0, v1, s[16:17]
	s_or_b64 exec, exec, s[48:49]
	v_cmp_gt_i32_e32 vcc, s55, v7
	s_and_saveexec_b64 s[48:49], vcc
	s_cbranch_execnz .LBB162_15
.LBB162_481:
	s_or_b64 exec, exec, s[48:49]
	v_cmp_gt_i32_e32 vcc, s55, v7
	s_and_saveexec_b64 s[48:49], vcc
	s_cbranch_execz .LBB162_535
.LBB162_482:
	s_andn2_b64 vcc, exec, s[36:37]
	s_cbranch_vccnz .LBB162_487
; %bb.483:
	s_andn2_b64 vcc, exec, s[46:47]
	s_cbranch_vccnz .LBB162_488
; %bb.484:
	s_add_i32 s58, s56, 1
	s_cmp_eq_u32 s54, 2
	s_cbranch_scc1 .LBB162_543
; %bb.485:
	s_and_b32 s57, s58, 28
	v_mov_b32_e32 v2, 0
	s_mov_b32 s59, 0
	s_mov_b64 s[50:51], s[34:35]
	s_mov_b64 s[52:53], s[44:45]
	v_mov_b32_e32 v0, 0
	v_mov_b32_e32 v1, v7
.LBB162_486:                            ; =>This Inner Loop Header: Depth=1
	s_load_dwordx8 s[8:15], s[50:51], 0x4
	s_load_dwordx4 s[28:31], s[50:51], 0x24
	s_load_dwordx8 s[0:7], s[52:53], 0x0
	s_add_u32 s50, s50, 48
	s_addc_u32 s51, s51, 0
	s_waitcnt lgkmcnt(0)
	v_mul_hi_u32 v3, s9, v1
	s_add_i32 s59, s59, 4
	s_add_u32 s52, s52, 32
	s_addc_u32 s53, s53, 0
	v_add_u32_e32 v3, v1, v3
	v_lshrrev_b32_e32 v3, s10, v3
	v_mul_lo_u32 v4, v3, s8
	v_mul_hi_u32 v5, s12, v3
	s_cmp_eq_u32 s57, s59
	v_sub_u32_e32 v1, v1, v4
	v_add_u32_e32 v4, v3, v5
	v_mul_lo_u32 v5, v1, s0
	v_mul_lo_u32 v6, v1, s1
	v_lshrrev_b32_e32 v1, s13, v4
	v_mul_lo_u32 v4, v1, s11
	v_mul_hi_u32 v8, s15, v1
	v_sub_u32_e32 v3, v3, v4
	v_add_u32_e32 v4, v1, v8
	v_lshrrev_b32_e32 v4, s28, v4
	v_mul_hi_u32 v9, s30, v4
	v_mul_lo_u32 v10, v4, s14
	v_mul_lo_u32 v8, v3, s2
	;; [unrolled: 1-line block ×3, first 2 shown]
	v_sub_u32_e32 v10, v1, v10
	v_add_u32_e32 v1, v4, v9
	v_lshrrev_b32_e32 v1, s31, v1
	v_mul_lo_u32 v9, v1, s29
	v_mul_lo_u32 v11, v10, s4
	;; [unrolled: 1-line block ×3, first 2 shown]
	v_add3_u32 v0, v5, v0, v8
	v_sub_u32_e32 v4, v4, v9
	v_mul_lo_u32 v9, v4, s6
	v_mul_lo_u32 v4, v4, s7
	v_add3_u32 v2, v6, v2, v3
	v_add3_u32 v0, v11, v0, v9
	;; [unrolled: 1-line block ×3, first 2 shown]
	s_cbranch_scc0 .LBB162_486
	s_branch .LBB162_544
.LBB162_487:
                                        ; implicit-def: $vgpr0
                                        ; implicit-def: $vgpr2
	s_branch .LBB162_548
.LBB162_488:
	v_mov_b32_e32 v0, 0
	v_mov_b32_e32 v2, 0
	s_branch .LBB162_547
.LBB162_489:
	s_mov_b32 s57, 0
	v_mov_b32_e32 v0, 0
	v_mov_b32_e32 v2, 0
	v_mov_b32_e32 v1, v7
.LBB162_490:
	s_and_b32 s4, s58, 3
	s_cmp_eq_u32 s4, 0
	s_cbranch_scc1 .LBB162_493
; %bb.491:
	s_lshl_b32 s0, s57, 3
	s_add_u32 s0, s34, s0
	s_addc_u32 s1, s35, 0
	s_add_u32 s0, s0, 0xc4
	s_addc_u32 s1, s1, 0
	s_mul_i32 s2, s57, 12
	s_add_u32 s2, s34, s2
	s_addc_u32 s3, s35, 0
.LBB162_492:                            ; =>This Inner Loop Header: Depth=1
	s_load_dwordx2 s[6:7], s[2:3], 0x4
	s_load_dword s5, s[2:3], 0xc
	s_load_dwordx2 s[8:9], s[0:1], 0x0
	s_add_u32 s2, s2, 12
	s_addc_u32 s3, s3, 0
	s_waitcnt lgkmcnt(0)
	v_mul_hi_u32 v3, s7, v1
	s_add_u32 s0, s0, 8
	s_addc_u32 s1, s1, 0
	s_add_i32 s4, s4, -1
	v_add_u32_e32 v3, v1, v3
	v_lshrrev_b32_e32 v4, s5, v3
	v_mul_lo_u32 v3, v4, s6
	s_cmp_lg_u32 s4, 0
	v_sub_u32_e32 v3, v1, v3
	v_mad_u64_u32 v[0:1], s[6:7], v3, s8, v[0:1]
	v_mad_u64_u32 v[2:3], s[6:7], v3, s9, v[2:3]
	v_mov_b32_e32 v1, v4
	s_cbranch_scc1 .LBB162_492
.LBB162_493:
	s_cbranch_execnz .LBB162_496
.LBB162_494:
	s_waitcnt lgkmcnt(0)
	v_mul_hi_u32 v0, s25, v7
	s_andn2_b64 vcc, exec, s[42:43]
	v_add_u32_e32 v0, v7, v0
	v_lshrrev_b32_e32 v1, s26, v0
	v_mul_lo_u32 v0, v1, s24
	v_sub_u32_e32 v2, v7, v0
	v_mul_lo_u32 v0, v2, s20
	v_mul_lo_u32 v2, v2, s21
	s_cbranch_vccnz .LBB162_496
; %bb.495:
	v_mul_hi_u32 v3, s40, v1
	v_add_u32_e32 v3, v1, v3
	v_lshrrev_b32_e32 v3, s41, v3
	v_mul_lo_u32 v3, v3, s27
	v_sub_u32_e32 v3, v1, v3
	v_mad_u64_u32 v[0:1], s[0:1], v3, s22, v[0:1]
	v_mad_u64_u32 v[2:3], s[0:1], v3, s23, v[2:3]
.LBB162_496:
	s_waitcnt lgkmcnt(0)
	global_load_ushort v1, v2, s[18:19]
	s_mov_b32 s0, 0x3c800000
                                        ; implicit-def: $vgpr3
	s_waitcnt vmcnt(0)
	v_lshlrev_b32_e32 v1, 16, v1
	v_and_b32_e32 v2, 0x7fffffff, v1
	v_cmp_nlt_f32_e64 s[0:1], |v1|, s0
	s_and_saveexec_b64 s[2:3], s[0:1]
	s_xor_b64 s[2:3], exec, s[2:3]
	s_cbranch_execz .LBB162_526
; %bb.497:
	v_cmp_nlt_f32_e64 s[0:1], |v1|, 2.0
                                        ; implicit-def: $vgpr3
	s_and_saveexec_b64 s[4:5], s[0:1]
	s_xor_b64 s[4:5], exec, s[4:5]
	s_cbranch_execz .LBB162_507
; %bb.498:
	s_mov_b32 s0, 0x41000000
	v_cmp_nlt_f32_e64 s[0:1], |v1|, s0
                                        ; implicit-def: $vgpr3
	s_and_saveexec_b64 s[6:7], s[0:1]
	s_xor_b64 s[6:7], exec, s[6:7]
	s_cbranch_execz .LBB162_504
; %bb.499:
	s_mov_b32 s0, 0x5c800000
	v_cmp_nlt_f32_e64 s[0:1], |v1|, s0
                                        ; implicit-def: $vgpr3
	s_and_saveexec_b64 s[8:9], s[0:1]
	s_xor_b64 s[8:9], exec, s[8:9]
	s_cbranch_execz .LBB162_501
; %bb.500:
	s_mov_b32 s0, 0x800000
	v_cmp_lt_f32_e64 vcc, |v1|, s0
	v_cndmask_b32_e64 v3, 0, 32, vcc
	v_ldexp_f32 v3, |v1|, v3
	v_log_f32_e32 v3, v3
	s_mov_b32 s0, 0x3f317217
	s_mov_b32 s1, 0x7f800000
	v_mul_f32_e32 v4, 0x3f317217, v3
	v_fma_f32 v5, v3, s0, -v4
	v_fmac_f32_e32 v5, 0x3377d1cf, v3
	v_add_f32_e32 v4, v4, v5
	v_cmp_lt_f32_e64 s[0:1], |v3|, s1
	v_cndmask_b32_e64 v3, v3, v4, s[0:1]
	v_mov_b32_e32 v4, 0x41b17218
	v_cndmask_b32_e32 v4, 0, v4, vcc
	v_sub_f32_e32 v3, v3, v4
	v_fma_f32 v3, |v1|, v3, -|v1|
.LBB162_501:
	s_andn2_saveexec_b64 s[8:9], s[8:9]
	s_cbranch_execz .LBB162_503
; %bb.502:
	v_rcp_f32_e64 v4, |v1|
	v_mov_b32_e32 v3, 0x3a5b3dd2
	v_mov_b32_e32 v5, 0xba1c065c
	;; [unrolled: 1-line block ×3, first 2 shown]
	v_mul_f32_e32 v8, v4, v4
	v_fmac_f32_e32 v3, 0xbad5c4e8, v8
	v_fmac_f32_e32 v5, v8, v3
	s_mov_b32 s0, 0x800000
	v_fmac_f32_e32 v6, v8, v5
	v_mov_b32_e32 v3, 0xbb360b61
	v_cmp_lt_f32_e64 vcc, |v1|, s0
	v_fmac_f32_e32 v3, v8, v6
	v_cndmask_b32_e64 v6, 0, 32, vcc
	v_ldexp_f32 v6, |v1|, v6
	v_log_f32_e32 v6, v6
	v_mov_b32_e32 v5, 0x3daaaaab
	v_fmac_f32_e32 v5, v8, v3
	v_mov_b32_e32 v3, 0x3ed67f1d
	v_fmac_f32_e32 v3, v4, v5
	s_mov_b32 s0, 0x3f317217
	v_mul_f32_e32 v5, 0x3f317217, v6
	v_fma_f32 v8, v6, s0, -v5
	v_fmac_f32_e32 v8, 0x3377d1cf, v6
	s_mov_b32 s0, 0x7f800000
	v_add_f32_e32 v5, v5, v8
	v_cmp_lt_f32_e64 s[0:1], |v6|, s0
	v_cndmask_b32_e64 v5, v6, v5, s[0:1]
	v_mov_b32_e32 v6, 0x41b17218
	v_cndmask_b32_e32 v6, 0, v6, vcc
	v_sub_f32_e32 v5, v5, v6
	v_add_f32_e64 v4, |v1|, -0.5
	v_add_f32_e32 v5, -1.0, v5
	v_fmac_f32_e32 v3, v4, v5
.LBB162_503:
	s_or_b64 exec, exec, s[8:9]
.LBB162_504:
	s_andn2_saveexec_b64 s[6:7], s[6:7]
	s_cbranch_execz .LBB162_506
; %bb.505:
	v_cvt_i32_f32_e32 v3, v2
	v_mov_b32_e32 v4, 0x3af135b4
	v_mov_b32_e32 v5, 0x3cda40e4
	;; [unrolled: 1-line block ×3, first 2 shown]
	v_cvt_f32_i32_e32 v8, v3
	v_mov_b32_e32 v9, 0x3ea6cc7a
	v_mov_b32_e32 v10, 0x3e5c245a
	v_cmp_lt_i32_e32 vcc, 2, v3
	v_sub_f32_e64 v8, |v1|, v8
	v_fmac_f32_e32 v4, 0x3805ff67, v8
	v_fmac_f32_e32 v5, v8, v4
	;; [unrolled: 1-line block ×3, first 2 shown]
	v_mov_b32_e32 v5, 0x3a4beed6
	v_fmac_f32_e32 v9, v8, v6
	v_fmac_f32_e32 v5, 0x36f5d7bd, v8
	v_mov_b32_e32 v6, 0x3c98bf54
	v_fmac_f32_e32 v6, v8, v5
	v_mov_b32_e32 v5, 0x3e300f6e
	;; [unrolled: 2-line block ×4, first 2 shown]
	v_fmac_f32_e32 v5, v8, v6
	v_add_f32_e32 v6, 2.0, v8
	v_mov_b32_e32 v11, 0xbd9e233f
	v_fmac_f32_e32 v10, v8, v9
	v_add_f32_e32 v9, 0x40400000, v8
	v_cndmask_b32_e32 v6, 1.0, v6, vcc
	v_cmp_lt_i32_e32 vcc, 3, v3
	v_fmac_f32_e32 v11, v8, v10
	v_add_f32_e32 v10, 4.0, v8
	v_cndmask_b32_e32 v9, 1.0, v9, vcc
	v_cmp_lt_i32_e32 vcc, 4, v3
	v_mul_f32_e32 v4, v8, v11
	v_add_f32_e32 v11, 0x40a00000, v8
	v_mul_f32_e32 v6, v6, v9
	v_cndmask_b32_e32 v9, 1.0, v10, vcc
	v_cmp_lt_i32_e32 vcc, 5, v3
	v_add_f32_e32 v12, 0x40c00000, v8
	v_mul_f32_e32 v6, v9, v6
	v_cndmask_b32_e32 v9, 1.0, v11, vcc
	v_cmp_lt_i32_e32 vcc, 6, v3
	v_mul_f32_e32 v6, v9, v6
	v_cndmask_b32_e32 v3, 1.0, v12, vcc
	v_mul_f32_e32 v3, v3, v6
	s_mov_b32 s0, 0x800000
	v_cmp_gt_f32_e32 vcc, s0, v3
	v_cndmask_b32_e64 v6, 0, 32, vcc
	v_fma_f32 v5, v8, v5, 1.0
	v_ldexp_f32 v3, v3, v6
	v_rcp_f32_e32 v5, v5
	v_log_f32_e32 v3, v3
	s_mov_b32 s0, 0x3f317217
	v_mul_f32_e32 v4, v4, v5
	v_mul_f32_e32 v5, 0x3f317217, v3
	v_fma_f32 v6, v3, s0, -v5
	v_fmac_f32_e32 v6, 0x3377d1cf, v3
	s_mov_b32 s0, 0x7f800000
	v_add_f32_e32 v5, v5, v6
	v_cmp_lt_f32_e64 s[0:1], |v3|, s0
	v_cndmask_b32_e64 v3, v3, v5, s[0:1]
	v_mov_b32_e32 v5, 0x41b17218
	v_cndmask_b32_e32 v5, 0, v5, vcc
	v_fmac_f32_e32 v4, 0.5, v8
	v_sub_f32_e32 v3, v3, v5
	v_add_f32_e32 v3, v3, v4
.LBB162_506:
	s_or_b64 exec, exec, s[6:7]
.LBB162_507:
	s_andn2_saveexec_b64 s[4:5], s[4:5]
	s_cbranch_execz .LBB162_525
; %bb.508:
	s_mov_b32 s0, 0x3f666666
	v_cmp_le_f32_e64 s[0:1], |v1|, s0
                                        ; implicit-def: $vgpr3
                                        ; implicit-def: $vgpr5
                                        ; implicit-def: $vgpr4
	s_and_saveexec_b64 s[6:7], s[0:1]
	s_xor_b64 s[6:7], exec, s[6:7]
	s_cbranch_execz .LBB162_510
; %bb.509:
	s_mov_b32 s0, 0x800000
	v_cmp_lt_f32_e64 vcc, |v1|, s0
	v_cndmask_b32_e64 v3, 0, 32, vcc
	v_ldexp_f32 v3, |v1|, v3
	v_log_f32_e32 v3, v3
	s_mov_b32 s0, 0x3f317217
	s_mov_b32 s1, 0x7f800000
	v_mul_f32_e32 v4, 0x3f317217, v3
	v_fma_f32 v5, v3, s0, -v4
	v_fmac_f32_e32 v5, 0x3377d1cf, v3
	v_add_f32_e32 v4, v4, v5
	v_cmp_lt_f32_e64 s[0:1], |v3|, s1
	v_cndmask_b32_e64 v3, v3, v4, s[0:1]
	v_mov_b32_e32 v4, 0x41b17218
	v_cndmask_b32_e32 v4, 0, v4, vcc
	s_mov_b32 s0, 0x3f3b4a23
	s_mov_b32 s1, 0xbeec5b0c
	v_sub_f32_e32 v3, v3, v4
	v_sub_f32_e64 v4, 1.0, |v1|
	v_add_f32_e64 v5, |v1|, s1
	v_cmp_lt_f32_e64 vcc, |v1|, s0
	s_mov_b32 s0, 0x3e6d3309
	v_cndmask_b32_e32 v4, v4, v5, vcc
	v_cndmask_b32_e64 v5, 0, 1, vcc
	v_cmp_lt_f32_e64 s[0:1], |v1|, s0
	v_xor_b32_e32 v3, 0x80000000, v3
	v_cndmask_b32_e64 v4, v4, |v1|, s[0:1]
	v_cndmask_b32_e64 v5, v5, 2, s[0:1]
.LBB162_510:
	s_andn2_saveexec_b64 s[0:1], s[6:7]
	s_cbranch_execz .LBB162_512
; %bb.511:
	s_mov_b32 s6, 0x3fdda512
	s_mov_b32 s7, 0xbfbb16c3
	v_sub_f32_e64 v3, 2.0, |v1|
	v_add_f32_e64 v4, |v1|, s7
	v_cmp_lt_f32_e64 vcc, |v1|, s6
	v_cndmask_b32_e32 v4, v3, v4, vcc
	v_cndmask_b32_e64 v3, v3, 1.0, vcc
	v_cvt_i32_f32_e32 v3, v3
	s_mov_b32 s6, 0x3f9d70a4
	v_add_f32_e64 v5, |v1|, -1.0
	v_cmp_lt_f32_e64 vcc, |v1|, s6
	v_cndmask_b32_e32 v4, v4, v5, vcc
	v_cndmask_b32_e64 v5, v3, 2, vcc
	v_mov_b32_e32 v3, 0
.LBB162_512:
	s_or_b64 exec, exec, s[0:1]
	v_cmp_lt_i32_e32 vcc, 0, v5
	s_and_saveexec_b64 s[0:1], vcc
	s_xor_b64 s[0:1], exec, s[0:1]
	s_cbranch_execz .LBB162_520
; %bb.513:
	v_cmp_lt_i32_e32 vcc, 1, v5
	s_and_saveexec_b64 s[6:7], vcc
	s_xor_b64 s[6:7], exec, s[6:7]
	s_cbranch_execz .LBB162_517
; %bb.514:
	v_cmp_eq_u32_e32 vcc, 2, v5
	s_and_saveexec_b64 s[8:9], vcc
	s_cbranch_execz .LBB162_516
; %bb.515:
	v_mov_b32_e32 v5, 0x3e6a7578
	v_fmac_f32_e32 v5, 0x3c5b3c5e, v4
	v_mov_b32_e32 v6, 0x3f7a4bb2
	v_fmac_f32_e32 v6, v4, v5
	;; [unrolled: 2-line block ×8, first 2 shown]
	v_fma_f32 v5, v4, v8, 1.0
	v_rcp_f32_e32 v5, v5
	v_mov_b32_e32 v8, 0xbd9e233f
	v_fmac_f32_e32 v8, v4, v6
	v_mul_f32_e32 v6, v4, v8
	v_mul_f32_e32 v5, v6, v5
	v_fmac_f32_e32 v5, -0.5, v4
	v_add_f32_e32 v3, v3, v5
.LBB162_516:
	s_or_b64 exec, exec, s[8:9]
                                        ; implicit-def: $vgpr4
.LBB162_517:
	s_andn2_saveexec_b64 s[6:7], s[6:7]
	s_cbranch_execz .LBB162_519
; %bb.518:
	v_mul_f32_e32 v5, v4, v4
	v_mul_f32_e32 v6, v4, v5
	v_mov_b32_e32 v8, 0xbab7f476
	v_fmac_f32_e32 v8, 0x39a57b6b, v6
	v_mov_b32_e32 v9, 0x3bc7e707
	v_fmac_f32_e32 v9, v6, v8
	;; [unrolled: 2-line block ×12, first 2 shown]
	v_fmac_f32_e32 v10, v4, v11
	s_mov_b32 s8, 0xa2863e55
	v_fma_f32 v4, v6, -v10, s8
	v_fma_f32 v4, v5, v9, -v4
	v_add_f32_e32 v4, 0xbdf8cdce, v4
	v_add_f32_e32 v3, v3, v4
.LBB162_519:
	s_or_b64 exec, exec, s[6:7]
                                        ; implicit-def: $vgpr5
                                        ; implicit-def: $vgpr4
.LBB162_520:
	s_andn2_saveexec_b64 s[0:1], s[0:1]
	s_cbranch_execz .LBB162_524
; %bb.521:
	v_cmp_eq_u32_e32 vcc, 0, v5
	s_and_saveexec_b64 s[6:7], vcc
	s_cbranch_execz .LBB162_523
; %bb.522:
	v_mul_f32_e32 v5, v4, v4
	v_mov_b32_e32 v6, 0x39679767
	v_fmac_f32_e32 v6, 0x37d383a2, v5
	v_mov_b32_e32 v8, 0x3a9c54a1
	v_fmac_f32_e32 v8, v5, v6
	;; [unrolled: 2-line block ×10, first 2 shown]
	v_mul_f32_e32 v5, v5, v8
	v_fmac_f32_e32 v5, v4, v6
	v_fmac_f32_e32 v5, -0.5, v4
	v_add_f32_e32 v3, v3, v5
.LBB162_523:
	s_or_b64 exec, exec, s[6:7]
.LBB162_524:
	s_or_b64 exec, exec, s[0:1]
.LBB162_525:
	s_or_b64 exec, exec, s[4:5]
.LBB162_526:
	s_andn2_saveexec_b64 s[2:3], s[2:3]
	s_cbranch_execz .LBB162_528
; %bb.527:
	s_mov_b32 s0, 0x3e8a8991
	v_mov_b32_e32 v3, 0xbecd26ab
	v_fma_f32 v3, |v1|, s0, v3
	s_mov_b32 s0, 0x3f528d33
	v_fma_f32 v3, |v1|, v3, s0
	s_mov_b32 s0, 0x800000
	v_cmp_lt_f32_e64 vcc, |v1|, s0
	v_cndmask_b32_e64 v4, 0, 32, vcc
	v_ldexp_f32 v4, |v1|, v4
	v_log_f32_e32 v4, v4
	s_mov_b32 s0, 0xbf13c468
	v_fma_f32 v3, |v1|, v3, s0
	s_mov_b32 s0, 0x3f317217
	v_mul_f32_e32 v5, 0x3f317217, v4
	v_fma_f32 v6, v4, s0, -v5
	v_fmac_f32_e32 v6, 0x3377d1cf, v4
	s_mov_b32 s0, 0x7f800000
	v_add_f32_e32 v5, v5, v6
	v_cmp_lt_f32_e64 s[0:1], |v4|, s0
	v_cndmask_b32_e64 v4, v4, v5, s[0:1]
	v_mov_b32_e32 v5, 0x41b17218
	v_cndmask_b32_e32 v5, 0, v5, vcc
	v_sub_f32_e32 v4, v4, v5
	v_fma_f32 v3, |v1|, v3, -v4
.LBB162_528:
	s_or_b64 exec, exec, s[2:3]
	v_cmp_le_f32_e32 vcc, 0, v1
	v_cmp_nle_f32_e64 s[0:1], 0, v1
	s_and_saveexec_b64 s[2:3], s[0:1]
	s_xor_b64 s[4:5], exec, s[2:3]
	s_cbranch_execz .LBB162_532
; %bb.529:
	s_mov_b32 s0, 0x4b000000
	s_mov_b32 s2, 0x35000000
	v_cmp_lt_f32_e64 s[0:1], |v1|, s0
	v_cmp_gt_f32_e64 s[2:3], |v1|, s2
	s_and_b64 s[0:1], s[0:1], s[2:3]
	s_and_saveexec_b64 s[6:7], s[0:1]
	s_cbranch_execz .LBB162_531
; %bb.530:
	v_mul_f32_e64 v4, |v1|, 0.5
	v_floor_f32_e32 v5, v4
	v_sub_f32_e32 v5, v4, v5
	v_min_f32_e32 v5, 0x3f7fffff, v5
	s_mov_b32 s2, 0x7f800000
	v_add_f32_e32 v5, v5, v5
	v_cmp_neq_f32_e64 s[0:1], s2, v4
	v_cndmask_b32_e64 v4, 0, v5, s[0:1]
	v_cmp_gt_f32_e64 s[0:1], |v1|, 1.0
	v_cndmask_b32_e64 v4, |v1|, v4, s[0:1]
	v_add_f32_e32 v5, v4, v4
	v_rndne_f32_e32 v5, v5
	v_fmac_f32_e32 v4, -0.5, v5
	v_mul_f32_e32 v6, v4, v4
	v_mov_b32_e32 v8, 0xbf1f24be
	v_fmac_f32_e32 v8, 0x3e75aa41, v6
	v_mov_b32_e32 v9, 0x40234736
	v_fmac_f32_e32 v9, v6, v8
	;; [unrolled: 2-line block ×3, first 2 shown]
	v_mul_f32_e32 v9, v4, v6
	v_mul_f32_e32 v8, v9, v8
	v_fmac_f32_e32 v8, 0x40490fdb, v4
	v_mov_b32_e32 v4, 0x3e642e9d
	v_cvt_i32_f32_e32 v5, v5
	v_fmac_f32_e32 v4, 0x3d4be544, v6
	v_mov_b32_e32 v9, 0xbfaad1da
	v_fmac_f32_e32 v9, v6, v4
	v_mov_b32_e32 v4, 0x4081e0d3
	;; [unrolled: 2-line block ×3, first 2 shown]
	v_fmac_f32_e32 v9, v6, v4
	v_fma_f32 v4, v6, v9, 1.0
	v_and_b32_e32 v6, 1, v5
	v_cmp_eq_u32_e64 s[0:1], 0, v6
	v_cndmask_b32_e64 v4, v4, v8, s[0:1]
	v_lshlrev_b32_e32 v5, 30, v5
	s_brev_b32 s0, 1
	v_and_or_b32 v2, v5, s0, v2
	v_xor_b32_e32 v2, v2, v4
	v_xor_b32_e32 v2, v2, v1
	v_mul_f32_e32 v2, v1, v2
	v_frexp_mant_f32_e64 v4, |v2|
	v_rcp_f32_e32 v4, v4
	v_frexp_exp_i32_f32_e32 v2, v2
	v_sub_u32_e32 v2, 2, v2
	s_mov_b32 s0, 0x800000
	v_mul_f32_e32 v4, 0x3f490fdb, v4
	v_ldexp_f32 v2, v4, v2
	v_cmp_gt_f32_e64 s[0:1], s0, v2
	v_cndmask_b32_e64 v4, 0, 32, s[0:1]
	v_ldexp_f32 v2, v2, v4
	v_log_f32_e32 v2, v2
	s_mov_b32 s3, 0x3f317217
	v_mul_f32_e32 v4, 0x3f317217, v2
	v_fma_f32 v5, v2, s3, -v4
	v_fmac_f32_e32 v5, 0x3377d1cf, v2
	v_add_f32_e32 v4, v4, v5
	v_cmp_lt_f32_e64 s[2:3], |v2|, s2
	v_cndmask_b32_e64 v2, v2, v4, s[2:3]
	v_mov_b32_e32 v4, 0x41b17218
	v_cndmask_b32_e64 v4, 0, v4, s[0:1]
	v_sub_f32_e32 v2, v2, v4
	v_sub_f32_e32 v2, v2, v3
	v_floor_f32_e32 v3, v1
	v_sub_f32_e32 v3, v1, v3
	v_min_f32_e32 v3, 0x3f7fffff, v3
	v_mov_b32_e32 v4, 0x7f800000
	v_cmp_neq_f32_e64 s[0:1], 0, v3
	v_cndmask_b32_e64 v3, v4, v2, s[0:1]
.LBB162_531:
	s_or_b64 exec, exec, s[6:7]
.LBB162_532:
	s_andn2_saveexec_b64 s[4:5], s[4:5]
; %bb.533:
	v_cmp_eq_f32_e64 s[0:1], 1.0, v1
	v_cmp_eq_f32_e64 s[2:3], 2.0, v1
	s_or_b64 s[0:1], s[0:1], s[2:3]
	v_cndmask_b32_e64 v3, v3, 0, s[0:1]
; %bb.534:
	s_or_b64 exec, exec, s[4:5]
	s_mov_b32 s0, 0x4b000000
	v_cmp_lt_f32_e64 s[0:1], |v1|, s0
	v_mov_b32_e32 v2, 0x264
	v_mov_b32_e32 v4, 0x7f800000
	s_or_b64 vcc, vcc, s[0:1]
	v_cndmask_b32_e32 v3, v4, v3, vcc
	v_cmp_class_f32_e32 vcc, v1, v2
	v_cndmask_b32_e32 v2, v3, v4, vcc
	v_cmp_u_f32_e32 vcc, v1, v1
	v_cndmask_b32_e32 v1, v2, v1, vcc
	v_bfe_u32 v2, v1, 16, 1
	s_movk_i32 s0, 0x7fff
	v_add3_u32 v2, v1, v2, s0
	v_cmp_o_f32_e32 vcc, v1, v1
	v_mov_b32_e32 v1, 0x7fc0
	v_cndmask_b32_sdwa v1, v1, v2, vcc dst_sel:DWORD dst_unused:UNUSED_PAD src0_sel:DWORD src1_sel:WORD_1
	v_add_u32_e32 v7, 0x80, v7
	global_store_short v0, v1, s[16:17]
	s_or_b64 exec, exec, s[48:49]
	v_cmp_gt_i32_e32 vcc, s55, v7
	s_and_saveexec_b64 s[48:49], vcc
	s_cbranch_execnz .LBB162_482
.LBB162_535:
	s_or_b64 exec, exec, s[48:49]
	v_cmp_gt_i32_e32 vcc, s55, v7
	s_and_saveexec_b64 s[48:49], vcc
	s_cbranch_execz .LBB162_589
.LBB162_536:
	s_andn2_b64 vcc, exec, s[36:37]
	s_cbranch_vccnz .LBB162_541
; %bb.537:
	s_andn2_b64 vcc, exec, s[46:47]
	s_cbranch_vccnz .LBB162_542
; %bb.538:
	s_add_i32 s58, s56, 1
	s_cmp_eq_u32 s54, 2
	s_cbranch_scc1 .LBB162_597
; %bb.539:
	s_and_b32 s57, s58, 28
	v_mov_b32_e32 v2, 0
	s_mov_b32 s59, 0
	s_mov_b64 s[50:51], s[34:35]
	s_mov_b64 s[52:53], s[44:45]
	v_mov_b32_e32 v0, 0
	v_mov_b32_e32 v1, v7
.LBB162_540:                            ; =>This Inner Loop Header: Depth=1
	s_load_dwordx8 s[8:15], s[50:51], 0x4
	s_load_dwordx4 s[28:31], s[50:51], 0x24
	s_load_dwordx8 s[0:7], s[52:53], 0x0
	s_add_u32 s50, s50, 48
	s_addc_u32 s51, s51, 0
	s_waitcnt lgkmcnt(0)
	v_mul_hi_u32 v3, s9, v1
	s_add_i32 s59, s59, 4
	s_add_u32 s52, s52, 32
	s_addc_u32 s53, s53, 0
	v_add_u32_e32 v3, v1, v3
	v_lshrrev_b32_e32 v3, s10, v3
	v_mul_lo_u32 v4, v3, s8
	v_mul_hi_u32 v5, s12, v3
	s_cmp_eq_u32 s57, s59
	v_sub_u32_e32 v1, v1, v4
	v_add_u32_e32 v4, v3, v5
	v_mul_lo_u32 v5, v1, s0
	v_mul_lo_u32 v6, v1, s1
	v_lshrrev_b32_e32 v1, s13, v4
	v_mul_lo_u32 v4, v1, s11
	v_mul_hi_u32 v8, s15, v1
	v_sub_u32_e32 v3, v3, v4
	v_add_u32_e32 v4, v1, v8
	v_lshrrev_b32_e32 v4, s28, v4
	v_mul_hi_u32 v9, s30, v4
	v_mul_lo_u32 v10, v4, s14
	v_mul_lo_u32 v8, v3, s2
	;; [unrolled: 1-line block ×3, first 2 shown]
	v_sub_u32_e32 v10, v1, v10
	v_add_u32_e32 v1, v4, v9
	v_lshrrev_b32_e32 v1, s31, v1
	v_mul_lo_u32 v9, v1, s29
	v_mul_lo_u32 v11, v10, s4
	;; [unrolled: 1-line block ×3, first 2 shown]
	v_add3_u32 v0, v5, v0, v8
	v_sub_u32_e32 v4, v4, v9
	v_mul_lo_u32 v9, v4, s6
	v_mul_lo_u32 v4, v4, s7
	v_add3_u32 v2, v6, v2, v3
	v_add3_u32 v0, v11, v0, v9
	v_add3_u32 v2, v10, v2, v4
	s_cbranch_scc0 .LBB162_540
	s_branch .LBB162_598
.LBB162_541:
                                        ; implicit-def: $vgpr0
                                        ; implicit-def: $vgpr2
	s_branch .LBB162_602
.LBB162_542:
	v_mov_b32_e32 v0, 0
	v_mov_b32_e32 v2, 0
	s_branch .LBB162_601
.LBB162_543:
	s_mov_b32 s57, 0
	v_mov_b32_e32 v0, 0
	v_mov_b32_e32 v2, 0
	;; [unrolled: 1-line block ×3, first 2 shown]
.LBB162_544:
	s_and_b32 s4, s58, 3
	s_cmp_eq_u32 s4, 0
	s_cbranch_scc1 .LBB162_547
; %bb.545:
	s_lshl_b32 s0, s57, 3
	s_add_u32 s0, s34, s0
	s_addc_u32 s1, s35, 0
	s_add_u32 s0, s0, 0xc4
	s_addc_u32 s1, s1, 0
	s_mul_i32 s2, s57, 12
	s_add_u32 s2, s34, s2
	s_addc_u32 s3, s35, 0
.LBB162_546:                            ; =>This Inner Loop Header: Depth=1
	s_load_dwordx2 s[6:7], s[2:3], 0x4
	s_load_dword s5, s[2:3], 0xc
	s_load_dwordx2 s[8:9], s[0:1], 0x0
	s_add_u32 s2, s2, 12
	s_addc_u32 s3, s3, 0
	s_waitcnt lgkmcnt(0)
	v_mul_hi_u32 v3, s7, v1
	s_add_u32 s0, s0, 8
	s_addc_u32 s1, s1, 0
	s_add_i32 s4, s4, -1
	v_add_u32_e32 v3, v1, v3
	v_lshrrev_b32_e32 v4, s5, v3
	v_mul_lo_u32 v3, v4, s6
	s_cmp_lg_u32 s4, 0
	v_sub_u32_e32 v3, v1, v3
	v_mad_u64_u32 v[0:1], s[6:7], v3, s8, v[0:1]
	v_mad_u64_u32 v[2:3], s[6:7], v3, s9, v[2:3]
	v_mov_b32_e32 v1, v4
	s_cbranch_scc1 .LBB162_546
.LBB162_547:
	s_cbranch_execnz .LBB162_550
.LBB162_548:
	s_waitcnt lgkmcnt(0)
	v_mul_hi_u32 v0, s25, v7
	s_andn2_b64 vcc, exec, s[42:43]
	v_add_u32_e32 v0, v7, v0
	v_lshrrev_b32_e32 v1, s26, v0
	v_mul_lo_u32 v0, v1, s24
	v_sub_u32_e32 v2, v7, v0
	v_mul_lo_u32 v0, v2, s20
	v_mul_lo_u32 v2, v2, s21
	s_cbranch_vccnz .LBB162_550
; %bb.549:
	v_mul_hi_u32 v3, s40, v1
	v_add_u32_e32 v3, v1, v3
	v_lshrrev_b32_e32 v3, s41, v3
	v_mul_lo_u32 v3, v3, s27
	v_sub_u32_e32 v3, v1, v3
	v_mad_u64_u32 v[0:1], s[0:1], v3, s22, v[0:1]
	v_mad_u64_u32 v[2:3], s[0:1], v3, s23, v[2:3]
.LBB162_550:
	s_waitcnt lgkmcnt(0)
	global_load_ushort v1, v2, s[18:19]
	s_mov_b32 s0, 0x3c800000
                                        ; implicit-def: $vgpr3
	s_waitcnt vmcnt(0)
	v_lshlrev_b32_e32 v1, 16, v1
	v_and_b32_e32 v2, 0x7fffffff, v1
	v_cmp_nlt_f32_e64 s[0:1], |v1|, s0
	s_and_saveexec_b64 s[2:3], s[0:1]
	s_xor_b64 s[2:3], exec, s[2:3]
	s_cbranch_execz .LBB162_580
; %bb.551:
	v_cmp_nlt_f32_e64 s[0:1], |v1|, 2.0
                                        ; implicit-def: $vgpr3
	s_and_saveexec_b64 s[4:5], s[0:1]
	s_xor_b64 s[4:5], exec, s[4:5]
	s_cbranch_execz .LBB162_561
; %bb.552:
	s_mov_b32 s0, 0x41000000
	v_cmp_nlt_f32_e64 s[0:1], |v1|, s0
                                        ; implicit-def: $vgpr3
	s_and_saveexec_b64 s[6:7], s[0:1]
	s_xor_b64 s[6:7], exec, s[6:7]
	s_cbranch_execz .LBB162_558
; %bb.553:
	s_mov_b32 s0, 0x5c800000
	v_cmp_nlt_f32_e64 s[0:1], |v1|, s0
                                        ; implicit-def: $vgpr3
	s_and_saveexec_b64 s[8:9], s[0:1]
	s_xor_b64 s[8:9], exec, s[8:9]
	s_cbranch_execz .LBB162_555
; %bb.554:
	s_mov_b32 s0, 0x800000
	v_cmp_lt_f32_e64 vcc, |v1|, s0
	v_cndmask_b32_e64 v3, 0, 32, vcc
	v_ldexp_f32 v3, |v1|, v3
	v_log_f32_e32 v3, v3
	s_mov_b32 s0, 0x3f317217
	s_mov_b32 s1, 0x7f800000
	v_mul_f32_e32 v4, 0x3f317217, v3
	v_fma_f32 v5, v3, s0, -v4
	v_fmac_f32_e32 v5, 0x3377d1cf, v3
	v_add_f32_e32 v4, v4, v5
	v_cmp_lt_f32_e64 s[0:1], |v3|, s1
	v_cndmask_b32_e64 v3, v3, v4, s[0:1]
	v_mov_b32_e32 v4, 0x41b17218
	v_cndmask_b32_e32 v4, 0, v4, vcc
	v_sub_f32_e32 v3, v3, v4
	v_fma_f32 v3, |v1|, v3, -|v1|
.LBB162_555:
	s_andn2_saveexec_b64 s[8:9], s[8:9]
	s_cbranch_execz .LBB162_557
; %bb.556:
	v_rcp_f32_e64 v4, |v1|
	v_mov_b32_e32 v3, 0x3a5b3dd2
	v_mov_b32_e32 v5, 0xba1c065c
	;; [unrolled: 1-line block ×3, first 2 shown]
	v_mul_f32_e32 v8, v4, v4
	v_fmac_f32_e32 v3, 0xbad5c4e8, v8
	v_fmac_f32_e32 v5, v8, v3
	s_mov_b32 s0, 0x800000
	v_fmac_f32_e32 v6, v8, v5
	v_mov_b32_e32 v3, 0xbb360b61
	v_cmp_lt_f32_e64 vcc, |v1|, s0
	v_fmac_f32_e32 v3, v8, v6
	v_cndmask_b32_e64 v6, 0, 32, vcc
	v_ldexp_f32 v6, |v1|, v6
	v_log_f32_e32 v6, v6
	v_mov_b32_e32 v5, 0x3daaaaab
	v_fmac_f32_e32 v5, v8, v3
	v_mov_b32_e32 v3, 0x3ed67f1d
	v_fmac_f32_e32 v3, v4, v5
	s_mov_b32 s0, 0x3f317217
	v_mul_f32_e32 v5, 0x3f317217, v6
	v_fma_f32 v8, v6, s0, -v5
	v_fmac_f32_e32 v8, 0x3377d1cf, v6
	s_mov_b32 s0, 0x7f800000
	v_add_f32_e32 v5, v5, v8
	v_cmp_lt_f32_e64 s[0:1], |v6|, s0
	v_cndmask_b32_e64 v5, v6, v5, s[0:1]
	v_mov_b32_e32 v6, 0x41b17218
	v_cndmask_b32_e32 v6, 0, v6, vcc
	v_sub_f32_e32 v5, v5, v6
	v_add_f32_e64 v4, |v1|, -0.5
	v_add_f32_e32 v5, -1.0, v5
	v_fmac_f32_e32 v3, v4, v5
.LBB162_557:
	s_or_b64 exec, exec, s[8:9]
.LBB162_558:
	s_andn2_saveexec_b64 s[6:7], s[6:7]
	s_cbranch_execz .LBB162_560
; %bb.559:
	v_cvt_i32_f32_e32 v3, v2
	v_mov_b32_e32 v4, 0x3af135b4
	v_mov_b32_e32 v5, 0x3cda40e4
	;; [unrolled: 1-line block ×3, first 2 shown]
	v_cvt_f32_i32_e32 v8, v3
	v_mov_b32_e32 v9, 0x3ea6cc7a
	v_mov_b32_e32 v10, 0x3e5c245a
	v_cmp_lt_i32_e32 vcc, 2, v3
	v_sub_f32_e64 v8, |v1|, v8
	v_fmac_f32_e32 v4, 0x3805ff67, v8
	v_fmac_f32_e32 v5, v8, v4
	;; [unrolled: 1-line block ×3, first 2 shown]
	v_mov_b32_e32 v5, 0x3a4beed6
	v_fmac_f32_e32 v9, v8, v6
	v_fmac_f32_e32 v5, 0x36f5d7bd, v8
	v_mov_b32_e32 v6, 0x3c98bf54
	v_fmac_f32_e32 v6, v8, v5
	v_mov_b32_e32 v5, 0x3e300f6e
	;; [unrolled: 2-line block ×4, first 2 shown]
	v_fmac_f32_e32 v5, v8, v6
	v_add_f32_e32 v6, 2.0, v8
	v_mov_b32_e32 v11, 0xbd9e233f
	v_fmac_f32_e32 v10, v8, v9
	v_add_f32_e32 v9, 0x40400000, v8
	v_cndmask_b32_e32 v6, 1.0, v6, vcc
	v_cmp_lt_i32_e32 vcc, 3, v3
	v_fmac_f32_e32 v11, v8, v10
	v_add_f32_e32 v10, 4.0, v8
	v_cndmask_b32_e32 v9, 1.0, v9, vcc
	v_cmp_lt_i32_e32 vcc, 4, v3
	v_mul_f32_e32 v4, v8, v11
	v_add_f32_e32 v11, 0x40a00000, v8
	v_mul_f32_e32 v6, v6, v9
	v_cndmask_b32_e32 v9, 1.0, v10, vcc
	v_cmp_lt_i32_e32 vcc, 5, v3
	v_add_f32_e32 v12, 0x40c00000, v8
	v_mul_f32_e32 v6, v9, v6
	v_cndmask_b32_e32 v9, 1.0, v11, vcc
	v_cmp_lt_i32_e32 vcc, 6, v3
	v_mul_f32_e32 v6, v9, v6
	v_cndmask_b32_e32 v3, 1.0, v12, vcc
	v_mul_f32_e32 v3, v3, v6
	s_mov_b32 s0, 0x800000
	v_cmp_gt_f32_e32 vcc, s0, v3
	v_cndmask_b32_e64 v6, 0, 32, vcc
	v_fma_f32 v5, v8, v5, 1.0
	v_ldexp_f32 v3, v3, v6
	v_rcp_f32_e32 v5, v5
	v_log_f32_e32 v3, v3
	s_mov_b32 s0, 0x3f317217
	v_mul_f32_e32 v4, v4, v5
	v_mul_f32_e32 v5, 0x3f317217, v3
	v_fma_f32 v6, v3, s0, -v5
	v_fmac_f32_e32 v6, 0x3377d1cf, v3
	s_mov_b32 s0, 0x7f800000
	v_add_f32_e32 v5, v5, v6
	v_cmp_lt_f32_e64 s[0:1], |v3|, s0
	v_cndmask_b32_e64 v3, v3, v5, s[0:1]
	v_mov_b32_e32 v5, 0x41b17218
	v_cndmask_b32_e32 v5, 0, v5, vcc
	v_fmac_f32_e32 v4, 0.5, v8
	v_sub_f32_e32 v3, v3, v5
	v_add_f32_e32 v3, v3, v4
.LBB162_560:
	s_or_b64 exec, exec, s[6:7]
.LBB162_561:
	s_andn2_saveexec_b64 s[4:5], s[4:5]
	s_cbranch_execz .LBB162_579
; %bb.562:
	s_mov_b32 s0, 0x3f666666
	v_cmp_le_f32_e64 s[0:1], |v1|, s0
                                        ; implicit-def: $vgpr3
                                        ; implicit-def: $vgpr5
                                        ; implicit-def: $vgpr4
	s_and_saveexec_b64 s[6:7], s[0:1]
	s_xor_b64 s[6:7], exec, s[6:7]
	s_cbranch_execz .LBB162_564
; %bb.563:
	s_mov_b32 s0, 0x800000
	v_cmp_lt_f32_e64 vcc, |v1|, s0
	v_cndmask_b32_e64 v3, 0, 32, vcc
	v_ldexp_f32 v3, |v1|, v3
	v_log_f32_e32 v3, v3
	s_mov_b32 s0, 0x3f317217
	s_mov_b32 s1, 0x7f800000
	v_mul_f32_e32 v4, 0x3f317217, v3
	v_fma_f32 v5, v3, s0, -v4
	v_fmac_f32_e32 v5, 0x3377d1cf, v3
	v_add_f32_e32 v4, v4, v5
	v_cmp_lt_f32_e64 s[0:1], |v3|, s1
	v_cndmask_b32_e64 v3, v3, v4, s[0:1]
	v_mov_b32_e32 v4, 0x41b17218
	v_cndmask_b32_e32 v4, 0, v4, vcc
	s_mov_b32 s0, 0x3f3b4a23
	s_mov_b32 s1, 0xbeec5b0c
	v_sub_f32_e32 v3, v3, v4
	v_sub_f32_e64 v4, 1.0, |v1|
	v_add_f32_e64 v5, |v1|, s1
	v_cmp_lt_f32_e64 vcc, |v1|, s0
	s_mov_b32 s0, 0x3e6d3309
	v_cndmask_b32_e32 v4, v4, v5, vcc
	v_cndmask_b32_e64 v5, 0, 1, vcc
	v_cmp_lt_f32_e64 s[0:1], |v1|, s0
	v_xor_b32_e32 v3, 0x80000000, v3
	v_cndmask_b32_e64 v4, v4, |v1|, s[0:1]
	v_cndmask_b32_e64 v5, v5, 2, s[0:1]
.LBB162_564:
	s_andn2_saveexec_b64 s[0:1], s[6:7]
	s_cbranch_execz .LBB162_566
; %bb.565:
	s_mov_b32 s6, 0x3fdda512
	s_mov_b32 s7, 0xbfbb16c3
	v_sub_f32_e64 v3, 2.0, |v1|
	v_add_f32_e64 v4, |v1|, s7
	v_cmp_lt_f32_e64 vcc, |v1|, s6
	v_cndmask_b32_e32 v4, v3, v4, vcc
	v_cndmask_b32_e64 v3, v3, 1.0, vcc
	v_cvt_i32_f32_e32 v3, v3
	s_mov_b32 s6, 0x3f9d70a4
	v_add_f32_e64 v5, |v1|, -1.0
	v_cmp_lt_f32_e64 vcc, |v1|, s6
	v_cndmask_b32_e32 v4, v4, v5, vcc
	v_cndmask_b32_e64 v5, v3, 2, vcc
	v_mov_b32_e32 v3, 0
.LBB162_566:
	s_or_b64 exec, exec, s[0:1]
	v_cmp_lt_i32_e32 vcc, 0, v5
	s_and_saveexec_b64 s[0:1], vcc
	s_xor_b64 s[0:1], exec, s[0:1]
	s_cbranch_execz .LBB162_574
; %bb.567:
	v_cmp_lt_i32_e32 vcc, 1, v5
	s_and_saveexec_b64 s[6:7], vcc
	s_xor_b64 s[6:7], exec, s[6:7]
	s_cbranch_execz .LBB162_571
; %bb.568:
	v_cmp_eq_u32_e32 vcc, 2, v5
	s_and_saveexec_b64 s[8:9], vcc
	s_cbranch_execz .LBB162_570
; %bb.569:
	v_mov_b32_e32 v5, 0x3e6a7578
	v_fmac_f32_e32 v5, 0x3c5b3c5e, v4
	v_mov_b32_e32 v6, 0x3f7a4bb2
	v_fmac_f32_e32 v6, v4, v5
	;; [unrolled: 2-line block ×8, first 2 shown]
	v_fma_f32 v5, v4, v8, 1.0
	v_rcp_f32_e32 v5, v5
	v_mov_b32_e32 v8, 0xbd9e233f
	v_fmac_f32_e32 v8, v4, v6
	v_mul_f32_e32 v6, v4, v8
	v_mul_f32_e32 v5, v6, v5
	v_fmac_f32_e32 v5, -0.5, v4
	v_add_f32_e32 v3, v3, v5
.LBB162_570:
	s_or_b64 exec, exec, s[8:9]
                                        ; implicit-def: $vgpr4
.LBB162_571:
	s_andn2_saveexec_b64 s[6:7], s[6:7]
	s_cbranch_execz .LBB162_573
; %bb.572:
	v_mul_f32_e32 v5, v4, v4
	v_mul_f32_e32 v6, v4, v5
	v_mov_b32_e32 v8, 0xbab7f476
	v_fmac_f32_e32 v8, 0x39a57b6b, v6
	v_mov_b32_e32 v9, 0x3bc7e707
	v_fmac_f32_e32 v9, v6, v8
	;; [unrolled: 2-line block ×12, first 2 shown]
	v_fmac_f32_e32 v10, v4, v11
	s_mov_b32 s8, 0xa2863e55
	v_fma_f32 v4, v6, -v10, s8
	v_fma_f32 v4, v5, v9, -v4
	v_add_f32_e32 v4, 0xbdf8cdce, v4
	v_add_f32_e32 v3, v3, v4
.LBB162_573:
	s_or_b64 exec, exec, s[6:7]
                                        ; implicit-def: $vgpr5
                                        ; implicit-def: $vgpr4
.LBB162_574:
	s_andn2_saveexec_b64 s[0:1], s[0:1]
	s_cbranch_execz .LBB162_578
; %bb.575:
	v_cmp_eq_u32_e32 vcc, 0, v5
	s_and_saveexec_b64 s[6:7], vcc
	s_cbranch_execz .LBB162_577
; %bb.576:
	v_mul_f32_e32 v5, v4, v4
	v_mov_b32_e32 v6, 0x39679767
	v_fmac_f32_e32 v6, 0x37d383a2, v5
	v_mov_b32_e32 v8, 0x3a9c54a1
	v_fmac_f32_e32 v8, v5, v6
	v_mov_b32_e32 v6, 0x3bf2027e
	v_fmac_f32_e32 v6, v5, v8
	v_mov_b32_e32 v8, 0x3d89f001
	v_fmac_f32_e32 v8, v5, v6
	v_mov_b32_e32 v6, 0x3d9e233f
	v_fmac_f32_e32 v6, v5, v8
	v_mov_b32_e32 v8, 0x38e28445
	v_fmac_f32_e32 v8, 0x383c2c75, v5
	v_mov_b32_e32 v9, 0x3a05b634
	v_fmac_f32_e32 v9, v5, v8
	v_mov_b32_e32 v8, 0x3b3d6ec6
	v_fmac_f32_e32 v8, v5, v9
	v_mov_b32_e32 v9, 0x3ca89915
	v_fmac_f32_e32 v9, v5, v8
	v_mov_b32_e32 v8, 0x3ea51a66
	v_fmac_f32_e32 v8, v5, v9
	v_mul_f32_e32 v5, v5, v8
	v_fmac_f32_e32 v5, v4, v6
	v_fmac_f32_e32 v5, -0.5, v4
	v_add_f32_e32 v3, v3, v5
.LBB162_577:
	s_or_b64 exec, exec, s[6:7]
.LBB162_578:
	s_or_b64 exec, exec, s[0:1]
.LBB162_579:
	s_or_b64 exec, exec, s[4:5]
.LBB162_580:
	s_andn2_saveexec_b64 s[2:3], s[2:3]
	s_cbranch_execz .LBB162_582
; %bb.581:
	s_mov_b32 s0, 0x3e8a8991
	v_mov_b32_e32 v3, 0xbecd26ab
	v_fma_f32 v3, |v1|, s0, v3
	s_mov_b32 s0, 0x3f528d33
	v_fma_f32 v3, |v1|, v3, s0
	s_mov_b32 s0, 0x800000
	v_cmp_lt_f32_e64 vcc, |v1|, s0
	v_cndmask_b32_e64 v4, 0, 32, vcc
	v_ldexp_f32 v4, |v1|, v4
	v_log_f32_e32 v4, v4
	s_mov_b32 s0, 0xbf13c468
	v_fma_f32 v3, |v1|, v3, s0
	s_mov_b32 s0, 0x3f317217
	v_mul_f32_e32 v5, 0x3f317217, v4
	v_fma_f32 v6, v4, s0, -v5
	v_fmac_f32_e32 v6, 0x3377d1cf, v4
	s_mov_b32 s0, 0x7f800000
	v_add_f32_e32 v5, v5, v6
	v_cmp_lt_f32_e64 s[0:1], |v4|, s0
	v_cndmask_b32_e64 v4, v4, v5, s[0:1]
	v_mov_b32_e32 v5, 0x41b17218
	v_cndmask_b32_e32 v5, 0, v5, vcc
	v_sub_f32_e32 v4, v4, v5
	v_fma_f32 v3, |v1|, v3, -v4
.LBB162_582:
	s_or_b64 exec, exec, s[2:3]
	v_cmp_le_f32_e32 vcc, 0, v1
	v_cmp_nle_f32_e64 s[0:1], 0, v1
	s_and_saveexec_b64 s[2:3], s[0:1]
	s_xor_b64 s[4:5], exec, s[2:3]
	s_cbranch_execz .LBB162_586
; %bb.583:
	s_mov_b32 s0, 0x4b000000
	s_mov_b32 s2, 0x35000000
	v_cmp_lt_f32_e64 s[0:1], |v1|, s0
	v_cmp_gt_f32_e64 s[2:3], |v1|, s2
	s_and_b64 s[0:1], s[0:1], s[2:3]
	s_and_saveexec_b64 s[6:7], s[0:1]
	s_cbranch_execz .LBB162_585
; %bb.584:
	v_mul_f32_e64 v4, |v1|, 0.5
	v_floor_f32_e32 v5, v4
	v_sub_f32_e32 v5, v4, v5
	v_min_f32_e32 v5, 0x3f7fffff, v5
	s_mov_b32 s2, 0x7f800000
	v_add_f32_e32 v5, v5, v5
	v_cmp_neq_f32_e64 s[0:1], s2, v4
	v_cndmask_b32_e64 v4, 0, v5, s[0:1]
	v_cmp_gt_f32_e64 s[0:1], |v1|, 1.0
	v_cndmask_b32_e64 v4, |v1|, v4, s[0:1]
	v_add_f32_e32 v5, v4, v4
	v_rndne_f32_e32 v5, v5
	v_fmac_f32_e32 v4, -0.5, v5
	v_mul_f32_e32 v6, v4, v4
	v_mov_b32_e32 v8, 0xbf1f24be
	v_fmac_f32_e32 v8, 0x3e75aa41, v6
	v_mov_b32_e32 v9, 0x40234736
	v_fmac_f32_e32 v9, v6, v8
	;; [unrolled: 2-line block ×3, first 2 shown]
	v_mul_f32_e32 v9, v4, v6
	v_mul_f32_e32 v8, v9, v8
	v_fmac_f32_e32 v8, 0x40490fdb, v4
	v_mov_b32_e32 v4, 0x3e642e9d
	v_cvt_i32_f32_e32 v5, v5
	v_fmac_f32_e32 v4, 0x3d4be544, v6
	v_mov_b32_e32 v9, 0xbfaad1da
	v_fmac_f32_e32 v9, v6, v4
	v_mov_b32_e32 v4, 0x4081e0d3
	v_fmac_f32_e32 v4, v6, v9
	v_mov_b32_e32 v9, 0xc09de9e6
	v_fmac_f32_e32 v9, v6, v4
	v_fma_f32 v4, v6, v9, 1.0
	v_and_b32_e32 v6, 1, v5
	v_cmp_eq_u32_e64 s[0:1], 0, v6
	v_cndmask_b32_e64 v4, v4, v8, s[0:1]
	v_lshlrev_b32_e32 v5, 30, v5
	s_brev_b32 s0, 1
	v_and_or_b32 v2, v5, s0, v2
	v_xor_b32_e32 v2, v2, v4
	v_xor_b32_e32 v2, v2, v1
	v_mul_f32_e32 v2, v1, v2
	v_frexp_mant_f32_e64 v4, |v2|
	v_rcp_f32_e32 v4, v4
	v_frexp_exp_i32_f32_e32 v2, v2
	v_sub_u32_e32 v2, 2, v2
	s_mov_b32 s0, 0x800000
	v_mul_f32_e32 v4, 0x3f490fdb, v4
	v_ldexp_f32 v2, v4, v2
	v_cmp_gt_f32_e64 s[0:1], s0, v2
	v_cndmask_b32_e64 v4, 0, 32, s[0:1]
	v_ldexp_f32 v2, v2, v4
	v_log_f32_e32 v2, v2
	s_mov_b32 s3, 0x3f317217
	v_mul_f32_e32 v4, 0x3f317217, v2
	v_fma_f32 v5, v2, s3, -v4
	v_fmac_f32_e32 v5, 0x3377d1cf, v2
	v_add_f32_e32 v4, v4, v5
	v_cmp_lt_f32_e64 s[2:3], |v2|, s2
	v_cndmask_b32_e64 v2, v2, v4, s[2:3]
	v_mov_b32_e32 v4, 0x41b17218
	v_cndmask_b32_e64 v4, 0, v4, s[0:1]
	v_sub_f32_e32 v2, v2, v4
	v_sub_f32_e32 v2, v2, v3
	v_floor_f32_e32 v3, v1
	v_sub_f32_e32 v3, v1, v3
	v_min_f32_e32 v3, 0x3f7fffff, v3
	v_mov_b32_e32 v4, 0x7f800000
	v_cmp_neq_f32_e64 s[0:1], 0, v3
	v_cndmask_b32_e64 v3, v4, v2, s[0:1]
.LBB162_585:
	s_or_b64 exec, exec, s[6:7]
.LBB162_586:
	s_andn2_saveexec_b64 s[4:5], s[4:5]
; %bb.587:
	v_cmp_eq_f32_e64 s[0:1], 1.0, v1
	v_cmp_eq_f32_e64 s[2:3], 2.0, v1
	s_or_b64 s[0:1], s[0:1], s[2:3]
	v_cndmask_b32_e64 v3, v3, 0, s[0:1]
; %bb.588:
	s_or_b64 exec, exec, s[4:5]
	s_mov_b32 s0, 0x4b000000
	v_cmp_lt_f32_e64 s[0:1], |v1|, s0
	v_mov_b32_e32 v2, 0x264
	v_mov_b32_e32 v4, 0x7f800000
	s_or_b64 vcc, vcc, s[0:1]
	v_cndmask_b32_e32 v3, v4, v3, vcc
	v_cmp_class_f32_e32 vcc, v1, v2
	v_cndmask_b32_e32 v2, v3, v4, vcc
	v_cmp_u_f32_e32 vcc, v1, v1
	v_cndmask_b32_e32 v1, v2, v1, vcc
	v_bfe_u32 v2, v1, 16, 1
	s_movk_i32 s0, 0x7fff
	v_add3_u32 v2, v1, v2, s0
	v_cmp_o_f32_e32 vcc, v1, v1
	v_mov_b32_e32 v1, 0x7fc0
	v_cndmask_b32_sdwa v1, v1, v2, vcc dst_sel:DWORD dst_unused:UNUSED_PAD src0_sel:DWORD src1_sel:WORD_1
	v_add_u32_e32 v7, 0x80, v7
	global_store_short v0, v1, s[16:17]
	s_or_b64 exec, exec, s[48:49]
	v_cmp_gt_i32_e32 vcc, s55, v7
	s_and_saveexec_b64 s[48:49], vcc
	s_cbranch_execnz .LBB162_536
.LBB162_589:
	s_or_b64 exec, exec, s[48:49]
	v_cmp_gt_i32_e32 vcc, s55, v7
	s_and_saveexec_b64 s[48:49], vcc
	s_cbranch_execz .LBB162_643
.LBB162_590:
	s_andn2_b64 vcc, exec, s[36:37]
	s_cbranch_vccnz .LBB162_595
; %bb.591:
	s_andn2_b64 vcc, exec, s[46:47]
	s_cbranch_vccnz .LBB162_596
; %bb.592:
	s_add_i32 s58, s56, 1
	s_cmp_eq_u32 s54, 2
	s_cbranch_scc1 .LBB162_651
; %bb.593:
	s_and_b32 s57, s58, 28
	v_mov_b32_e32 v2, 0
	s_mov_b32 s59, 0
	s_mov_b64 s[50:51], s[34:35]
	s_mov_b64 s[52:53], s[44:45]
	v_mov_b32_e32 v0, 0
	v_mov_b32_e32 v1, v7
.LBB162_594:                            ; =>This Inner Loop Header: Depth=1
	s_load_dwordx8 s[8:15], s[50:51], 0x4
	s_load_dwordx4 s[28:31], s[50:51], 0x24
	s_load_dwordx8 s[0:7], s[52:53], 0x0
	s_add_u32 s50, s50, 48
	s_addc_u32 s51, s51, 0
	s_waitcnt lgkmcnt(0)
	v_mul_hi_u32 v3, s9, v1
	s_add_i32 s59, s59, 4
	s_add_u32 s52, s52, 32
	s_addc_u32 s53, s53, 0
	v_add_u32_e32 v3, v1, v3
	v_lshrrev_b32_e32 v3, s10, v3
	v_mul_lo_u32 v4, v3, s8
	v_mul_hi_u32 v5, s12, v3
	s_cmp_eq_u32 s57, s59
	v_sub_u32_e32 v1, v1, v4
	v_add_u32_e32 v4, v3, v5
	v_mul_lo_u32 v5, v1, s0
	v_mul_lo_u32 v6, v1, s1
	v_lshrrev_b32_e32 v1, s13, v4
	v_mul_lo_u32 v4, v1, s11
	v_mul_hi_u32 v8, s15, v1
	v_sub_u32_e32 v3, v3, v4
	v_add_u32_e32 v4, v1, v8
	v_lshrrev_b32_e32 v4, s28, v4
	v_mul_hi_u32 v9, s30, v4
	v_mul_lo_u32 v10, v4, s14
	v_mul_lo_u32 v8, v3, s2
	;; [unrolled: 1-line block ×3, first 2 shown]
	v_sub_u32_e32 v10, v1, v10
	v_add_u32_e32 v1, v4, v9
	v_lshrrev_b32_e32 v1, s31, v1
	v_mul_lo_u32 v9, v1, s29
	v_mul_lo_u32 v11, v10, s4
	;; [unrolled: 1-line block ×3, first 2 shown]
	v_add3_u32 v0, v5, v0, v8
	v_sub_u32_e32 v4, v4, v9
	v_mul_lo_u32 v9, v4, s6
	v_mul_lo_u32 v4, v4, s7
	v_add3_u32 v2, v6, v2, v3
	v_add3_u32 v0, v11, v0, v9
	;; [unrolled: 1-line block ×3, first 2 shown]
	s_cbranch_scc0 .LBB162_594
	s_branch .LBB162_652
.LBB162_595:
                                        ; implicit-def: $vgpr0
                                        ; implicit-def: $vgpr2
	s_branch .LBB162_656
.LBB162_596:
	v_mov_b32_e32 v0, 0
	v_mov_b32_e32 v2, 0
	s_branch .LBB162_655
.LBB162_597:
	s_mov_b32 s57, 0
	v_mov_b32_e32 v0, 0
	v_mov_b32_e32 v2, 0
	;; [unrolled: 1-line block ×3, first 2 shown]
.LBB162_598:
	s_and_b32 s4, s58, 3
	s_cmp_eq_u32 s4, 0
	s_cbranch_scc1 .LBB162_601
; %bb.599:
	s_lshl_b32 s0, s57, 3
	s_add_u32 s0, s34, s0
	s_addc_u32 s1, s35, 0
	s_add_u32 s0, s0, 0xc4
	s_addc_u32 s1, s1, 0
	s_mul_i32 s2, s57, 12
	s_add_u32 s2, s34, s2
	s_addc_u32 s3, s35, 0
.LBB162_600:                            ; =>This Inner Loop Header: Depth=1
	s_load_dwordx2 s[6:7], s[2:3], 0x4
	s_load_dword s5, s[2:3], 0xc
	s_load_dwordx2 s[8:9], s[0:1], 0x0
	s_add_u32 s2, s2, 12
	s_addc_u32 s3, s3, 0
	s_waitcnt lgkmcnt(0)
	v_mul_hi_u32 v3, s7, v1
	s_add_u32 s0, s0, 8
	s_addc_u32 s1, s1, 0
	s_add_i32 s4, s4, -1
	v_add_u32_e32 v3, v1, v3
	v_lshrrev_b32_e32 v4, s5, v3
	v_mul_lo_u32 v3, v4, s6
	s_cmp_lg_u32 s4, 0
	v_sub_u32_e32 v3, v1, v3
	v_mad_u64_u32 v[0:1], s[6:7], v3, s8, v[0:1]
	v_mad_u64_u32 v[2:3], s[6:7], v3, s9, v[2:3]
	v_mov_b32_e32 v1, v4
	s_cbranch_scc1 .LBB162_600
.LBB162_601:
	s_cbranch_execnz .LBB162_604
.LBB162_602:
	s_waitcnt lgkmcnt(0)
	v_mul_hi_u32 v0, s25, v7
	s_andn2_b64 vcc, exec, s[42:43]
	v_add_u32_e32 v0, v7, v0
	v_lshrrev_b32_e32 v1, s26, v0
	v_mul_lo_u32 v0, v1, s24
	v_sub_u32_e32 v2, v7, v0
	v_mul_lo_u32 v0, v2, s20
	v_mul_lo_u32 v2, v2, s21
	s_cbranch_vccnz .LBB162_604
; %bb.603:
	v_mul_hi_u32 v3, s40, v1
	v_add_u32_e32 v3, v1, v3
	v_lshrrev_b32_e32 v3, s41, v3
	v_mul_lo_u32 v3, v3, s27
	v_sub_u32_e32 v3, v1, v3
	v_mad_u64_u32 v[0:1], s[0:1], v3, s22, v[0:1]
	v_mad_u64_u32 v[2:3], s[0:1], v3, s23, v[2:3]
.LBB162_604:
	s_waitcnt lgkmcnt(0)
	global_load_ushort v1, v2, s[18:19]
	s_mov_b32 s0, 0x3c800000
                                        ; implicit-def: $vgpr3
	s_waitcnt vmcnt(0)
	v_lshlrev_b32_e32 v1, 16, v1
	v_and_b32_e32 v2, 0x7fffffff, v1
	v_cmp_nlt_f32_e64 s[0:1], |v1|, s0
	s_and_saveexec_b64 s[2:3], s[0:1]
	s_xor_b64 s[2:3], exec, s[2:3]
	s_cbranch_execz .LBB162_634
; %bb.605:
	v_cmp_nlt_f32_e64 s[0:1], |v1|, 2.0
                                        ; implicit-def: $vgpr3
	s_and_saveexec_b64 s[4:5], s[0:1]
	s_xor_b64 s[4:5], exec, s[4:5]
	s_cbranch_execz .LBB162_615
; %bb.606:
	s_mov_b32 s0, 0x41000000
	v_cmp_nlt_f32_e64 s[0:1], |v1|, s0
                                        ; implicit-def: $vgpr3
	s_and_saveexec_b64 s[6:7], s[0:1]
	s_xor_b64 s[6:7], exec, s[6:7]
	s_cbranch_execz .LBB162_612
; %bb.607:
	s_mov_b32 s0, 0x5c800000
	v_cmp_nlt_f32_e64 s[0:1], |v1|, s0
                                        ; implicit-def: $vgpr3
	s_and_saveexec_b64 s[8:9], s[0:1]
	s_xor_b64 s[8:9], exec, s[8:9]
	s_cbranch_execz .LBB162_609
; %bb.608:
	s_mov_b32 s0, 0x800000
	v_cmp_lt_f32_e64 vcc, |v1|, s0
	v_cndmask_b32_e64 v3, 0, 32, vcc
	v_ldexp_f32 v3, |v1|, v3
	v_log_f32_e32 v3, v3
	s_mov_b32 s0, 0x3f317217
	s_mov_b32 s1, 0x7f800000
	v_mul_f32_e32 v4, 0x3f317217, v3
	v_fma_f32 v5, v3, s0, -v4
	v_fmac_f32_e32 v5, 0x3377d1cf, v3
	v_add_f32_e32 v4, v4, v5
	v_cmp_lt_f32_e64 s[0:1], |v3|, s1
	v_cndmask_b32_e64 v3, v3, v4, s[0:1]
	v_mov_b32_e32 v4, 0x41b17218
	v_cndmask_b32_e32 v4, 0, v4, vcc
	v_sub_f32_e32 v3, v3, v4
	v_fma_f32 v3, |v1|, v3, -|v1|
.LBB162_609:
	s_andn2_saveexec_b64 s[8:9], s[8:9]
	s_cbranch_execz .LBB162_611
; %bb.610:
	v_rcp_f32_e64 v4, |v1|
	v_mov_b32_e32 v3, 0x3a5b3dd2
	v_mov_b32_e32 v5, 0xba1c065c
	v_mov_b32_e32 v6, 0x3a500cfd
	v_mul_f32_e32 v8, v4, v4
	v_fmac_f32_e32 v3, 0xbad5c4e8, v8
	v_fmac_f32_e32 v5, v8, v3
	s_mov_b32 s0, 0x800000
	v_fmac_f32_e32 v6, v8, v5
	v_mov_b32_e32 v3, 0xbb360b61
	v_cmp_lt_f32_e64 vcc, |v1|, s0
	v_fmac_f32_e32 v3, v8, v6
	v_cndmask_b32_e64 v6, 0, 32, vcc
	v_ldexp_f32 v6, |v1|, v6
	v_log_f32_e32 v6, v6
	v_mov_b32_e32 v5, 0x3daaaaab
	v_fmac_f32_e32 v5, v8, v3
	v_mov_b32_e32 v3, 0x3ed67f1d
	v_fmac_f32_e32 v3, v4, v5
	s_mov_b32 s0, 0x3f317217
	v_mul_f32_e32 v5, 0x3f317217, v6
	v_fma_f32 v8, v6, s0, -v5
	v_fmac_f32_e32 v8, 0x3377d1cf, v6
	s_mov_b32 s0, 0x7f800000
	v_add_f32_e32 v5, v5, v8
	v_cmp_lt_f32_e64 s[0:1], |v6|, s0
	v_cndmask_b32_e64 v5, v6, v5, s[0:1]
	v_mov_b32_e32 v6, 0x41b17218
	v_cndmask_b32_e32 v6, 0, v6, vcc
	v_sub_f32_e32 v5, v5, v6
	v_add_f32_e64 v4, |v1|, -0.5
	v_add_f32_e32 v5, -1.0, v5
	v_fmac_f32_e32 v3, v4, v5
.LBB162_611:
	s_or_b64 exec, exec, s[8:9]
.LBB162_612:
	s_andn2_saveexec_b64 s[6:7], s[6:7]
	s_cbranch_execz .LBB162_614
; %bb.613:
	v_cvt_i32_f32_e32 v3, v2
	v_mov_b32_e32 v4, 0x3af135b4
	v_mov_b32_e32 v5, 0x3cda40e4
	;; [unrolled: 1-line block ×3, first 2 shown]
	v_cvt_f32_i32_e32 v8, v3
	v_mov_b32_e32 v9, 0x3ea6cc7a
	v_mov_b32_e32 v10, 0x3e5c245a
	v_cmp_lt_i32_e32 vcc, 2, v3
	v_sub_f32_e64 v8, |v1|, v8
	v_fmac_f32_e32 v4, 0x3805ff67, v8
	v_fmac_f32_e32 v5, v8, v4
	;; [unrolled: 1-line block ×3, first 2 shown]
	v_mov_b32_e32 v5, 0x3a4beed6
	v_fmac_f32_e32 v9, v8, v6
	v_fmac_f32_e32 v5, 0x36f5d7bd, v8
	v_mov_b32_e32 v6, 0x3c98bf54
	v_fmac_f32_e32 v6, v8, v5
	v_mov_b32_e32 v5, 0x3e300f6e
	;; [unrolled: 2-line block ×4, first 2 shown]
	v_fmac_f32_e32 v5, v8, v6
	v_add_f32_e32 v6, 2.0, v8
	v_mov_b32_e32 v11, 0xbd9e233f
	v_fmac_f32_e32 v10, v8, v9
	v_add_f32_e32 v9, 0x40400000, v8
	v_cndmask_b32_e32 v6, 1.0, v6, vcc
	v_cmp_lt_i32_e32 vcc, 3, v3
	v_fmac_f32_e32 v11, v8, v10
	v_add_f32_e32 v10, 4.0, v8
	v_cndmask_b32_e32 v9, 1.0, v9, vcc
	v_cmp_lt_i32_e32 vcc, 4, v3
	v_mul_f32_e32 v4, v8, v11
	v_add_f32_e32 v11, 0x40a00000, v8
	v_mul_f32_e32 v6, v6, v9
	v_cndmask_b32_e32 v9, 1.0, v10, vcc
	v_cmp_lt_i32_e32 vcc, 5, v3
	v_add_f32_e32 v12, 0x40c00000, v8
	v_mul_f32_e32 v6, v9, v6
	v_cndmask_b32_e32 v9, 1.0, v11, vcc
	v_cmp_lt_i32_e32 vcc, 6, v3
	v_mul_f32_e32 v6, v9, v6
	v_cndmask_b32_e32 v3, 1.0, v12, vcc
	v_mul_f32_e32 v3, v3, v6
	s_mov_b32 s0, 0x800000
	v_cmp_gt_f32_e32 vcc, s0, v3
	v_cndmask_b32_e64 v6, 0, 32, vcc
	v_fma_f32 v5, v8, v5, 1.0
	v_ldexp_f32 v3, v3, v6
	v_rcp_f32_e32 v5, v5
	v_log_f32_e32 v3, v3
	s_mov_b32 s0, 0x3f317217
	v_mul_f32_e32 v4, v4, v5
	v_mul_f32_e32 v5, 0x3f317217, v3
	v_fma_f32 v6, v3, s0, -v5
	v_fmac_f32_e32 v6, 0x3377d1cf, v3
	s_mov_b32 s0, 0x7f800000
	v_add_f32_e32 v5, v5, v6
	v_cmp_lt_f32_e64 s[0:1], |v3|, s0
	v_cndmask_b32_e64 v3, v3, v5, s[0:1]
	v_mov_b32_e32 v5, 0x41b17218
	v_cndmask_b32_e32 v5, 0, v5, vcc
	v_fmac_f32_e32 v4, 0.5, v8
	v_sub_f32_e32 v3, v3, v5
	v_add_f32_e32 v3, v3, v4
.LBB162_614:
	s_or_b64 exec, exec, s[6:7]
.LBB162_615:
	s_andn2_saveexec_b64 s[4:5], s[4:5]
	s_cbranch_execz .LBB162_633
; %bb.616:
	s_mov_b32 s0, 0x3f666666
	v_cmp_le_f32_e64 s[0:1], |v1|, s0
                                        ; implicit-def: $vgpr3
                                        ; implicit-def: $vgpr5
                                        ; implicit-def: $vgpr4
	s_and_saveexec_b64 s[6:7], s[0:1]
	s_xor_b64 s[6:7], exec, s[6:7]
	s_cbranch_execz .LBB162_618
; %bb.617:
	s_mov_b32 s0, 0x800000
	v_cmp_lt_f32_e64 vcc, |v1|, s0
	v_cndmask_b32_e64 v3, 0, 32, vcc
	v_ldexp_f32 v3, |v1|, v3
	v_log_f32_e32 v3, v3
	s_mov_b32 s0, 0x3f317217
	s_mov_b32 s1, 0x7f800000
	v_mul_f32_e32 v4, 0x3f317217, v3
	v_fma_f32 v5, v3, s0, -v4
	v_fmac_f32_e32 v5, 0x3377d1cf, v3
	v_add_f32_e32 v4, v4, v5
	v_cmp_lt_f32_e64 s[0:1], |v3|, s1
	v_cndmask_b32_e64 v3, v3, v4, s[0:1]
	v_mov_b32_e32 v4, 0x41b17218
	v_cndmask_b32_e32 v4, 0, v4, vcc
	s_mov_b32 s0, 0x3f3b4a23
	s_mov_b32 s1, 0xbeec5b0c
	v_sub_f32_e32 v3, v3, v4
	v_sub_f32_e64 v4, 1.0, |v1|
	v_add_f32_e64 v5, |v1|, s1
	v_cmp_lt_f32_e64 vcc, |v1|, s0
	s_mov_b32 s0, 0x3e6d3309
	v_cndmask_b32_e32 v4, v4, v5, vcc
	v_cndmask_b32_e64 v5, 0, 1, vcc
	v_cmp_lt_f32_e64 s[0:1], |v1|, s0
	v_xor_b32_e32 v3, 0x80000000, v3
	v_cndmask_b32_e64 v4, v4, |v1|, s[0:1]
	v_cndmask_b32_e64 v5, v5, 2, s[0:1]
.LBB162_618:
	s_andn2_saveexec_b64 s[0:1], s[6:7]
	s_cbranch_execz .LBB162_620
; %bb.619:
	s_mov_b32 s6, 0x3fdda512
	s_mov_b32 s7, 0xbfbb16c3
	v_sub_f32_e64 v3, 2.0, |v1|
	v_add_f32_e64 v4, |v1|, s7
	v_cmp_lt_f32_e64 vcc, |v1|, s6
	v_cndmask_b32_e32 v4, v3, v4, vcc
	v_cndmask_b32_e64 v3, v3, 1.0, vcc
	v_cvt_i32_f32_e32 v3, v3
	s_mov_b32 s6, 0x3f9d70a4
	v_add_f32_e64 v5, |v1|, -1.0
	v_cmp_lt_f32_e64 vcc, |v1|, s6
	v_cndmask_b32_e32 v4, v4, v5, vcc
	v_cndmask_b32_e64 v5, v3, 2, vcc
	v_mov_b32_e32 v3, 0
.LBB162_620:
	s_or_b64 exec, exec, s[0:1]
	v_cmp_lt_i32_e32 vcc, 0, v5
	s_and_saveexec_b64 s[0:1], vcc
	s_xor_b64 s[0:1], exec, s[0:1]
	s_cbranch_execz .LBB162_628
; %bb.621:
	v_cmp_lt_i32_e32 vcc, 1, v5
	s_and_saveexec_b64 s[6:7], vcc
	s_xor_b64 s[6:7], exec, s[6:7]
	s_cbranch_execz .LBB162_625
; %bb.622:
	v_cmp_eq_u32_e32 vcc, 2, v5
	s_and_saveexec_b64 s[8:9], vcc
	s_cbranch_execz .LBB162_624
; %bb.623:
	v_mov_b32_e32 v5, 0x3e6a7578
	v_fmac_f32_e32 v5, 0x3c5b3c5e, v4
	v_mov_b32_e32 v6, 0x3f7a4bb2
	v_fmac_f32_e32 v6, v4, v5
	;; [unrolled: 2-line block ×8, first 2 shown]
	v_fma_f32 v5, v4, v8, 1.0
	v_rcp_f32_e32 v5, v5
	v_mov_b32_e32 v8, 0xbd9e233f
	v_fmac_f32_e32 v8, v4, v6
	v_mul_f32_e32 v6, v4, v8
	v_mul_f32_e32 v5, v6, v5
	v_fmac_f32_e32 v5, -0.5, v4
	v_add_f32_e32 v3, v3, v5
.LBB162_624:
	s_or_b64 exec, exec, s[8:9]
                                        ; implicit-def: $vgpr4
.LBB162_625:
	s_andn2_saveexec_b64 s[6:7], s[6:7]
	s_cbranch_execz .LBB162_627
; %bb.626:
	v_mul_f32_e32 v5, v4, v4
	v_mul_f32_e32 v6, v4, v5
	v_mov_b32_e32 v8, 0xbab7f476
	v_fmac_f32_e32 v8, 0x39a57b6b, v6
	v_mov_b32_e32 v9, 0x3bc7e707
	v_fmac_f32_e32 v9, v6, v8
	;; [unrolled: 2-line block ×12, first 2 shown]
	v_fmac_f32_e32 v10, v4, v11
	s_mov_b32 s8, 0xa2863e55
	v_fma_f32 v4, v6, -v10, s8
	v_fma_f32 v4, v5, v9, -v4
	v_add_f32_e32 v4, 0xbdf8cdce, v4
	v_add_f32_e32 v3, v3, v4
.LBB162_627:
	s_or_b64 exec, exec, s[6:7]
                                        ; implicit-def: $vgpr5
                                        ; implicit-def: $vgpr4
.LBB162_628:
	s_andn2_saveexec_b64 s[0:1], s[0:1]
	s_cbranch_execz .LBB162_632
; %bb.629:
	v_cmp_eq_u32_e32 vcc, 0, v5
	s_and_saveexec_b64 s[6:7], vcc
	s_cbranch_execz .LBB162_631
; %bb.630:
	v_mul_f32_e32 v5, v4, v4
	v_mov_b32_e32 v6, 0x39679767
	v_fmac_f32_e32 v6, 0x37d383a2, v5
	v_mov_b32_e32 v8, 0x3a9c54a1
	v_fmac_f32_e32 v8, v5, v6
	;; [unrolled: 2-line block ×10, first 2 shown]
	v_mul_f32_e32 v5, v5, v8
	v_fmac_f32_e32 v5, v4, v6
	v_fmac_f32_e32 v5, -0.5, v4
	v_add_f32_e32 v3, v3, v5
.LBB162_631:
	s_or_b64 exec, exec, s[6:7]
.LBB162_632:
	s_or_b64 exec, exec, s[0:1]
.LBB162_633:
	s_or_b64 exec, exec, s[4:5]
.LBB162_634:
	s_andn2_saveexec_b64 s[2:3], s[2:3]
	s_cbranch_execz .LBB162_636
; %bb.635:
	s_mov_b32 s0, 0x3e8a8991
	v_mov_b32_e32 v3, 0xbecd26ab
	v_fma_f32 v3, |v1|, s0, v3
	s_mov_b32 s0, 0x3f528d33
	v_fma_f32 v3, |v1|, v3, s0
	s_mov_b32 s0, 0x800000
	v_cmp_lt_f32_e64 vcc, |v1|, s0
	v_cndmask_b32_e64 v4, 0, 32, vcc
	v_ldexp_f32 v4, |v1|, v4
	v_log_f32_e32 v4, v4
	s_mov_b32 s0, 0xbf13c468
	v_fma_f32 v3, |v1|, v3, s0
	s_mov_b32 s0, 0x3f317217
	v_mul_f32_e32 v5, 0x3f317217, v4
	v_fma_f32 v6, v4, s0, -v5
	v_fmac_f32_e32 v6, 0x3377d1cf, v4
	s_mov_b32 s0, 0x7f800000
	v_add_f32_e32 v5, v5, v6
	v_cmp_lt_f32_e64 s[0:1], |v4|, s0
	v_cndmask_b32_e64 v4, v4, v5, s[0:1]
	v_mov_b32_e32 v5, 0x41b17218
	v_cndmask_b32_e32 v5, 0, v5, vcc
	v_sub_f32_e32 v4, v4, v5
	v_fma_f32 v3, |v1|, v3, -v4
.LBB162_636:
	s_or_b64 exec, exec, s[2:3]
	v_cmp_le_f32_e32 vcc, 0, v1
	v_cmp_nle_f32_e64 s[0:1], 0, v1
	s_and_saveexec_b64 s[2:3], s[0:1]
	s_xor_b64 s[4:5], exec, s[2:3]
	s_cbranch_execz .LBB162_640
; %bb.637:
	s_mov_b32 s0, 0x4b000000
	s_mov_b32 s2, 0x35000000
	v_cmp_lt_f32_e64 s[0:1], |v1|, s0
	v_cmp_gt_f32_e64 s[2:3], |v1|, s2
	s_and_b64 s[0:1], s[0:1], s[2:3]
	s_and_saveexec_b64 s[6:7], s[0:1]
	s_cbranch_execz .LBB162_639
; %bb.638:
	v_mul_f32_e64 v4, |v1|, 0.5
	v_floor_f32_e32 v5, v4
	v_sub_f32_e32 v5, v4, v5
	v_min_f32_e32 v5, 0x3f7fffff, v5
	s_mov_b32 s2, 0x7f800000
	v_add_f32_e32 v5, v5, v5
	v_cmp_neq_f32_e64 s[0:1], s2, v4
	v_cndmask_b32_e64 v4, 0, v5, s[0:1]
	v_cmp_gt_f32_e64 s[0:1], |v1|, 1.0
	v_cndmask_b32_e64 v4, |v1|, v4, s[0:1]
	v_add_f32_e32 v5, v4, v4
	v_rndne_f32_e32 v5, v5
	v_fmac_f32_e32 v4, -0.5, v5
	v_mul_f32_e32 v6, v4, v4
	v_mov_b32_e32 v8, 0xbf1f24be
	v_fmac_f32_e32 v8, 0x3e75aa41, v6
	v_mov_b32_e32 v9, 0x40234736
	v_fmac_f32_e32 v9, v6, v8
	;; [unrolled: 2-line block ×3, first 2 shown]
	v_mul_f32_e32 v9, v4, v6
	v_mul_f32_e32 v8, v9, v8
	v_fmac_f32_e32 v8, 0x40490fdb, v4
	v_mov_b32_e32 v4, 0x3e642e9d
	v_cvt_i32_f32_e32 v5, v5
	v_fmac_f32_e32 v4, 0x3d4be544, v6
	v_mov_b32_e32 v9, 0xbfaad1da
	v_fmac_f32_e32 v9, v6, v4
	v_mov_b32_e32 v4, 0x4081e0d3
	;; [unrolled: 2-line block ×3, first 2 shown]
	v_fmac_f32_e32 v9, v6, v4
	v_fma_f32 v4, v6, v9, 1.0
	v_and_b32_e32 v6, 1, v5
	v_cmp_eq_u32_e64 s[0:1], 0, v6
	v_cndmask_b32_e64 v4, v4, v8, s[0:1]
	v_lshlrev_b32_e32 v5, 30, v5
	s_brev_b32 s0, 1
	v_and_or_b32 v2, v5, s0, v2
	v_xor_b32_e32 v2, v2, v4
	v_xor_b32_e32 v2, v2, v1
	v_mul_f32_e32 v2, v1, v2
	v_frexp_mant_f32_e64 v4, |v2|
	v_rcp_f32_e32 v4, v4
	v_frexp_exp_i32_f32_e32 v2, v2
	v_sub_u32_e32 v2, 2, v2
	s_mov_b32 s0, 0x800000
	v_mul_f32_e32 v4, 0x3f490fdb, v4
	v_ldexp_f32 v2, v4, v2
	v_cmp_gt_f32_e64 s[0:1], s0, v2
	v_cndmask_b32_e64 v4, 0, 32, s[0:1]
	v_ldexp_f32 v2, v2, v4
	v_log_f32_e32 v2, v2
	s_mov_b32 s3, 0x3f317217
	v_mul_f32_e32 v4, 0x3f317217, v2
	v_fma_f32 v5, v2, s3, -v4
	v_fmac_f32_e32 v5, 0x3377d1cf, v2
	v_add_f32_e32 v4, v4, v5
	v_cmp_lt_f32_e64 s[2:3], |v2|, s2
	v_cndmask_b32_e64 v2, v2, v4, s[2:3]
	v_mov_b32_e32 v4, 0x41b17218
	v_cndmask_b32_e64 v4, 0, v4, s[0:1]
	v_sub_f32_e32 v2, v2, v4
	v_sub_f32_e32 v2, v2, v3
	v_floor_f32_e32 v3, v1
	v_sub_f32_e32 v3, v1, v3
	v_min_f32_e32 v3, 0x3f7fffff, v3
	v_mov_b32_e32 v4, 0x7f800000
	v_cmp_neq_f32_e64 s[0:1], 0, v3
	v_cndmask_b32_e64 v3, v4, v2, s[0:1]
.LBB162_639:
	s_or_b64 exec, exec, s[6:7]
.LBB162_640:
	s_andn2_saveexec_b64 s[4:5], s[4:5]
; %bb.641:
	v_cmp_eq_f32_e64 s[0:1], 1.0, v1
	v_cmp_eq_f32_e64 s[2:3], 2.0, v1
	s_or_b64 s[0:1], s[0:1], s[2:3]
	v_cndmask_b32_e64 v3, v3, 0, s[0:1]
; %bb.642:
	s_or_b64 exec, exec, s[4:5]
	s_mov_b32 s0, 0x4b000000
	v_cmp_lt_f32_e64 s[0:1], |v1|, s0
	v_mov_b32_e32 v2, 0x264
	v_mov_b32_e32 v4, 0x7f800000
	s_or_b64 vcc, vcc, s[0:1]
	v_cndmask_b32_e32 v3, v4, v3, vcc
	v_cmp_class_f32_e32 vcc, v1, v2
	v_cndmask_b32_e32 v2, v3, v4, vcc
	v_cmp_u_f32_e32 vcc, v1, v1
	v_cndmask_b32_e32 v1, v2, v1, vcc
	v_bfe_u32 v2, v1, 16, 1
	s_movk_i32 s0, 0x7fff
	v_add3_u32 v2, v1, v2, s0
	v_cmp_o_f32_e32 vcc, v1, v1
	v_mov_b32_e32 v1, 0x7fc0
	v_cndmask_b32_sdwa v1, v1, v2, vcc dst_sel:DWORD dst_unused:UNUSED_PAD src0_sel:DWORD src1_sel:WORD_1
	v_add_u32_e32 v7, 0x80, v7
	global_store_short v0, v1, s[16:17]
	s_or_b64 exec, exec, s[48:49]
	v_cmp_gt_i32_e32 vcc, s55, v7
	s_and_saveexec_b64 s[48:49], vcc
	s_cbranch_execnz .LBB162_590
.LBB162_643:
	s_or_b64 exec, exec, s[48:49]
	v_cmp_gt_i32_e32 vcc, s55, v7
	s_and_saveexec_b64 s[48:49], vcc
	s_cbranch_execz .LBB162_697
.LBB162_644:
	s_andn2_b64 vcc, exec, s[36:37]
	s_cbranch_vccnz .LBB162_649
; %bb.645:
	s_andn2_b64 vcc, exec, s[46:47]
	s_cbranch_vccnz .LBB162_650
; %bb.646:
	s_add_i32 s58, s56, 1
	s_cmp_eq_u32 s54, 2
	s_cbranch_scc1 .LBB162_705
; %bb.647:
	s_and_b32 s57, s58, 28
	v_mov_b32_e32 v2, 0
	s_mov_b32 s59, 0
	s_mov_b64 s[50:51], s[34:35]
	s_mov_b64 s[52:53], s[44:45]
	v_mov_b32_e32 v0, 0
	v_mov_b32_e32 v1, v7
.LBB162_648:                            ; =>This Inner Loop Header: Depth=1
	s_load_dwordx8 s[8:15], s[50:51], 0x4
	s_load_dwordx4 s[28:31], s[50:51], 0x24
	s_load_dwordx8 s[0:7], s[52:53], 0x0
	s_add_u32 s50, s50, 48
	s_addc_u32 s51, s51, 0
	s_waitcnt lgkmcnt(0)
	v_mul_hi_u32 v3, s9, v1
	s_add_i32 s59, s59, 4
	s_add_u32 s52, s52, 32
	s_addc_u32 s53, s53, 0
	v_add_u32_e32 v3, v1, v3
	v_lshrrev_b32_e32 v3, s10, v3
	v_mul_lo_u32 v4, v3, s8
	v_mul_hi_u32 v5, s12, v3
	s_cmp_eq_u32 s57, s59
	v_sub_u32_e32 v1, v1, v4
	v_add_u32_e32 v4, v3, v5
	v_mul_lo_u32 v5, v1, s0
	v_mul_lo_u32 v6, v1, s1
	v_lshrrev_b32_e32 v1, s13, v4
	v_mul_lo_u32 v4, v1, s11
	v_mul_hi_u32 v8, s15, v1
	v_sub_u32_e32 v3, v3, v4
	v_add_u32_e32 v4, v1, v8
	v_lshrrev_b32_e32 v4, s28, v4
	v_mul_hi_u32 v9, s30, v4
	v_mul_lo_u32 v10, v4, s14
	v_mul_lo_u32 v8, v3, s2
	;; [unrolled: 1-line block ×3, first 2 shown]
	v_sub_u32_e32 v10, v1, v10
	v_add_u32_e32 v1, v4, v9
	v_lshrrev_b32_e32 v1, s31, v1
	v_mul_lo_u32 v9, v1, s29
	v_mul_lo_u32 v11, v10, s4
	;; [unrolled: 1-line block ×3, first 2 shown]
	v_add3_u32 v0, v5, v0, v8
	v_sub_u32_e32 v4, v4, v9
	v_mul_lo_u32 v9, v4, s6
	v_mul_lo_u32 v4, v4, s7
	v_add3_u32 v2, v6, v2, v3
	v_add3_u32 v0, v11, v0, v9
	;; [unrolled: 1-line block ×3, first 2 shown]
	s_cbranch_scc0 .LBB162_648
	s_branch .LBB162_706
.LBB162_649:
                                        ; implicit-def: $vgpr0
                                        ; implicit-def: $vgpr2
	s_branch .LBB162_710
.LBB162_650:
	v_mov_b32_e32 v0, 0
	v_mov_b32_e32 v2, 0
	s_branch .LBB162_709
.LBB162_651:
	s_mov_b32 s57, 0
	v_mov_b32_e32 v0, 0
	v_mov_b32_e32 v2, 0
	;; [unrolled: 1-line block ×3, first 2 shown]
.LBB162_652:
	s_and_b32 s4, s58, 3
	s_cmp_eq_u32 s4, 0
	s_cbranch_scc1 .LBB162_655
; %bb.653:
	s_lshl_b32 s0, s57, 3
	s_add_u32 s0, s34, s0
	s_addc_u32 s1, s35, 0
	s_add_u32 s0, s0, 0xc4
	s_addc_u32 s1, s1, 0
	s_mul_i32 s2, s57, 12
	s_add_u32 s2, s34, s2
	s_addc_u32 s3, s35, 0
.LBB162_654:                            ; =>This Inner Loop Header: Depth=1
	s_load_dwordx2 s[6:7], s[2:3], 0x4
	s_load_dword s5, s[2:3], 0xc
	s_load_dwordx2 s[8:9], s[0:1], 0x0
	s_add_u32 s2, s2, 12
	s_addc_u32 s3, s3, 0
	s_waitcnt lgkmcnt(0)
	v_mul_hi_u32 v3, s7, v1
	s_add_u32 s0, s0, 8
	s_addc_u32 s1, s1, 0
	s_add_i32 s4, s4, -1
	v_add_u32_e32 v3, v1, v3
	v_lshrrev_b32_e32 v4, s5, v3
	v_mul_lo_u32 v3, v4, s6
	s_cmp_lg_u32 s4, 0
	v_sub_u32_e32 v3, v1, v3
	v_mad_u64_u32 v[0:1], s[6:7], v3, s8, v[0:1]
	v_mad_u64_u32 v[2:3], s[6:7], v3, s9, v[2:3]
	v_mov_b32_e32 v1, v4
	s_cbranch_scc1 .LBB162_654
.LBB162_655:
	s_cbranch_execnz .LBB162_658
.LBB162_656:
	s_waitcnt lgkmcnt(0)
	v_mul_hi_u32 v0, s25, v7
	s_andn2_b64 vcc, exec, s[42:43]
	v_add_u32_e32 v0, v7, v0
	v_lshrrev_b32_e32 v1, s26, v0
	v_mul_lo_u32 v0, v1, s24
	v_sub_u32_e32 v2, v7, v0
	v_mul_lo_u32 v0, v2, s20
	v_mul_lo_u32 v2, v2, s21
	s_cbranch_vccnz .LBB162_658
; %bb.657:
	v_mul_hi_u32 v3, s40, v1
	v_add_u32_e32 v3, v1, v3
	v_lshrrev_b32_e32 v3, s41, v3
	v_mul_lo_u32 v3, v3, s27
	v_sub_u32_e32 v3, v1, v3
	v_mad_u64_u32 v[0:1], s[0:1], v3, s22, v[0:1]
	v_mad_u64_u32 v[2:3], s[0:1], v3, s23, v[2:3]
.LBB162_658:
	s_waitcnt lgkmcnt(0)
	global_load_ushort v1, v2, s[18:19]
	s_mov_b32 s0, 0x3c800000
                                        ; implicit-def: $vgpr3
	s_waitcnt vmcnt(0)
	v_lshlrev_b32_e32 v1, 16, v1
	v_and_b32_e32 v2, 0x7fffffff, v1
	v_cmp_nlt_f32_e64 s[0:1], |v1|, s0
	s_and_saveexec_b64 s[2:3], s[0:1]
	s_xor_b64 s[2:3], exec, s[2:3]
	s_cbranch_execz .LBB162_688
; %bb.659:
	v_cmp_nlt_f32_e64 s[0:1], |v1|, 2.0
                                        ; implicit-def: $vgpr3
	s_and_saveexec_b64 s[4:5], s[0:1]
	s_xor_b64 s[4:5], exec, s[4:5]
	s_cbranch_execz .LBB162_669
; %bb.660:
	s_mov_b32 s0, 0x41000000
	v_cmp_nlt_f32_e64 s[0:1], |v1|, s0
                                        ; implicit-def: $vgpr3
	s_and_saveexec_b64 s[6:7], s[0:1]
	s_xor_b64 s[6:7], exec, s[6:7]
	s_cbranch_execz .LBB162_666
; %bb.661:
	s_mov_b32 s0, 0x5c800000
	v_cmp_nlt_f32_e64 s[0:1], |v1|, s0
                                        ; implicit-def: $vgpr3
	s_and_saveexec_b64 s[8:9], s[0:1]
	s_xor_b64 s[8:9], exec, s[8:9]
	s_cbranch_execz .LBB162_663
; %bb.662:
	s_mov_b32 s0, 0x800000
	v_cmp_lt_f32_e64 vcc, |v1|, s0
	v_cndmask_b32_e64 v3, 0, 32, vcc
	v_ldexp_f32 v3, |v1|, v3
	v_log_f32_e32 v3, v3
	s_mov_b32 s0, 0x3f317217
	s_mov_b32 s1, 0x7f800000
	v_mul_f32_e32 v4, 0x3f317217, v3
	v_fma_f32 v5, v3, s0, -v4
	v_fmac_f32_e32 v5, 0x3377d1cf, v3
	v_add_f32_e32 v4, v4, v5
	v_cmp_lt_f32_e64 s[0:1], |v3|, s1
	v_cndmask_b32_e64 v3, v3, v4, s[0:1]
	v_mov_b32_e32 v4, 0x41b17218
	v_cndmask_b32_e32 v4, 0, v4, vcc
	v_sub_f32_e32 v3, v3, v4
	v_fma_f32 v3, |v1|, v3, -|v1|
.LBB162_663:
	s_andn2_saveexec_b64 s[8:9], s[8:9]
	s_cbranch_execz .LBB162_665
; %bb.664:
	v_rcp_f32_e64 v4, |v1|
	v_mov_b32_e32 v3, 0x3a5b3dd2
	v_mov_b32_e32 v5, 0xba1c065c
	;; [unrolled: 1-line block ×3, first 2 shown]
	v_mul_f32_e32 v8, v4, v4
	v_fmac_f32_e32 v3, 0xbad5c4e8, v8
	v_fmac_f32_e32 v5, v8, v3
	s_mov_b32 s0, 0x800000
	v_fmac_f32_e32 v6, v8, v5
	v_mov_b32_e32 v3, 0xbb360b61
	v_cmp_lt_f32_e64 vcc, |v1|, s0
	v_fmac_f32_e32 v3, v8, v6
	v_cndmask_b32_e64 v6, 0, 32, vcc
	v_ldexp_f32 v6, |v1|, v6
	v_log_f32_e32 v6, v6
	v_mov_b32_e32 v5, 0x3daaaaab
	v_fmac_f32_e32 v5, v8, v3
	v_mov_b32_e32 v3, 0x3ed67f1d
	v_fmac_f32_e32 v3, v4, v5
	s_mov_b32 s0, 0x3f317217
	v_mul_f32_e32 v5, 0x3f317217, v6
	v_fma_f32 v8, v6, s0, -v5
	v_fmac_f32_e32 v8, 0x3377d1cf, v6
	s_mov_b32 s0, 0x7f800000
	v_add_f32_e32 v5, v5, v8
	v_cmp_lt_f32_e64 s[0:1], |v6|, s0
	v_cndmask_b32_e64 v5, v6, v5, s[0:1]
	v_mov_b32_e32 v6, 0x41b17218
	v_cndmask_b32_e32 v6, 0, v6, vcc
	v_sub_f32_e32 v5, v5, v6
	v_add_f32_e64 v4, |v1|, -0.5
	v_add_f32_e32 v5, -1.0, v5
	v_fmac_f32_e32 v3, v4, v5
.LBB162_665:
	s_or_b64 exec, exec, s[8:9]
.LBB162_666:
	s_andn2_saveexec_b64 s[6:7], s[6:7]
	s_cbranch_execz .LBB162_668
; %bb.667:
	v_cvt_i32_f32_e32 v3, v2
	v_mov_b32_e32 v4, 0x3af135b4
	v_mov_b32_e32 v5, 0x3cda40e4
	v_mov_b32_e32 v6, 0x3e15dce6
	v_cvt_f32_i32_e32 v8, v3
	v_mov_b32_e32 v9, 0x3ea6cc7a
	v_mov_b32_e32 v10, 0x3e5c245a
	v_cmp_lt_i32_e32 vcc, 2, v3
	v_sub_f32_e64 v8, |v1|, v8
	v_fmac_f32_e32 v4, 0x3805ff67, v8
	v_fmac_f32_e32 v5, v8, v4
	;; [unrolled: 1-line block ×3, first 2 shown]
	v_mov_b32_e32 v5, 0x3a4beed6
	v_fmac_f32_e32 v9, v8, v6
	v_fmac_f32_e32 v5, 0x36f5d7bd, v8
	v_mov_b32_e32 v6, 0x3c98bf54
	v_fmac_f32_e32 v6, v8, v5
	v_mov_b32_e32 v5, 0x3e300f6e
	;; [unrolled: 2-line block ×4, first 2 shown]
	v_fmac_f32_e32 v5, v8, v6
	v_add_f32_e32 v6, 2.0, v8
	v_mov_b32_e32 v11, 0xbd9e233f
	v_fmac_f32_e32 v10, v8, v9
	v_add_f32_e32 v9, 0x40400000, v8
	v_cndmask_b32_e32 v6, 1.0, v6, vcc
	v_cmp_lt_i32_e32 vcc, 3, v3
	v_fmac_f32_e32 v11, v8, v10
	v_add_f32_e32 v10, 4.0, v8
	v_cndmask_b32_e32 v9, 1.0, v9, vcc
	v_cmp_lt_i32_e32 vcc, 4, v3
	v_mul_f32_e32 v4, v8, v11
	v_add_f32_e32 v11, 0x40a00000, v8
	v_mul_f32_e32 v6, v6, v9
	v_cndmask_b32_e32 v9, 1.0, v10, vcc
	v_cmp_lt_i32_e32 vcc, 5, v3
	v_add_f32_e32 v12, 0x40c00000, v8
	v_mul_f32_e32 v6, v9, v6
	v_cndmask_b32_e32 v9, 1.0, v11, vcc
	v_cmp_lt_i32_e32 vcc, 6, v3
	v_mul_f32_e32 v6, v9, v6
	v_cndmask_b32_e32 v3, 1.0, v12, vcc
	v_mul_f32_e32 v3, v3, v6
	s_mov_b32 s0, 0x800000
	v_cmp_gt_f32_e32 vcc, s0, v3
	v_cndmask_b32_e64 v6, 0, 32, vcc
	v_fma_f32 v5, v8, v5, 1.0
	v_ldexp_f32 v3, v3, v6
	v_rcp_f32_e32 v5, v5
	v_log_f32_e32 v3, v3
	s_mov_b32 s0, 0x3f317217
	v_mul_f32_e32 v4, v4, v5
	v_mul_f32_e32 v5, 0x3f317217, v3
	v_fma_f32 v6, v3, s0, -v5
	v_fmac_f32_e32 v6, 0x3377d1cf, v3
	s_mov_b32 s0, 0x7f800000
	v_add_f32_e32 v5, v5, v6
	v_cmp_lt_f32_e64 s[0:1], |v3|, s0
	v_cndmask_b32_e64 v3, v3, v5, s[0:1]
	v_mov_b32_e32 v5, 0x41b17218
	v_cndmask_b32_e32 v5, 0, v5, vcc
	v_fmac_f32_e32 v4, 0.5, v8
	v_sub_f32_e32 v3, v3, v5
	v_add_f32_e32 v3, v3, v4
.LBB162_668:
	s_or_b64 exec, exec, s[6:7]
.LBB162_669:
	s_andn2_saveexec_b64 s[4:5], s[4:5]
	s_cbranch_execz .LBB162_687
; %bb.670:
	s_mov_b32 s0, 0x3f666666
	v_cmp_le_f32_e64 s[0:1], |v1|, s0
                                        ; implicit-def: $vgpr3
                                        ; implicit-def: $vgpr5
                                        ; implicit-def: $vgpr4
	s_and_saveexec_b64 s[6:7], s[0:1]
	s_xor_b64 s[6:7], exec, s[6:7]
	s_cbranch_execz .LBB162_672
; %bb.671:
	s_mov_b32 s0, 0x800000
	v_cmp_lt_f32_e64 vcc, |v1|, s0
	v_cndmask_b32_e64 v3, 0, 32, vcc
	v_ldexp_f32 v3, |v1|, v3
	v_log_f32_e32 v3, v3
	s_mov_b32 s0, 0x3f317217
	s_mov_b32 s1, 0x7f800000
	v_mul_f32_e32 v4, 0x3f317217, v3
	v_fma_f32 v5, v3, s0, -v4
	v_fmac_f32_e32 v5, 0x3377d1cf, v3
	v_add_f32_e32 v4, v4, v5
	v_cmp_lt_f32_e64 s[0:1], |v3|, s1
	v_cndmask_b32_e64 v3, v3, v4, s[0:1]
	v_mov_b32_e32 v4, 0x41b17218
	v_cndmask_b32_e32 v4, 0, v4, vcc
	s_mov_b32 s0, 0x3f3b4a23
	s_mov_b32 s1, 0xbeec5b0c
	v_sub_f32_e32 v3, v3, v4
	v_sub_f32_e64 v4, 1.0, |v1|
	v_add_f32_e64 v5, |v1|, s1
	v_cmp_lt_f32_e64 vcc, |v1|, s0
	s_mov_b32 s0, 0x3e6d3309
	v_cndmask_b32_e32 v4, v4, v5, vcc
	v_cndmask_b32_e64 v5, 0, 1, vcc
	v_cmp_lt_f32_e64 s[0:1], |v1|, s0
	v_xor_b32_e32 v3, 0x80000000, v3
	v_cndmask_b32_e64 v4, v4, |v1|, s[0:1]
	v_cndmask_b32_e64 v5, v5, 2, s[0:1]
.LBB162_672:
	s_andn2_saveexec_b64 s[0:1], s[6:7]
	s_cbranch_execz .LBB162_674
; %bb.673:
	s_mov_b32 s6, 0x3fdda512
	s_mov_b32 s7, 0xbfbb16c3
	v_sub_f32_e64 v3, 2.0, |v1|
	v_add_f32_e64 v4, |v1|, s7
	v_cmp_lt_f32_e64 vcc, |v1|, s6
	v_cndmask_b32_e32 v4, v3, v4, vcc
	v_cndmask_b32_e64 v3, v3, 1.0, vcc
	v_cvt_i32_f32_e32 v3, v3
	s_mov_b32 s6, 0x3f9d70a4
	v_add_f32_e64 v5, |v1|, -1.0
	v_cmp_lt_f32_e64 vcc, |v1|, s6
	v_cndmask_b32_e32 v4, v4, v5, vcc
	v_cndmask_b32_e64 v5, v3, 2, vcc
	v_mov_b32_e32 v3, 0
.LBB162_674:
	s_or_b64 exec, exec, s[0:1]
	v_cmp_lt_i32_e32 vcc, 0, v5
	s_and_saveexec_b64 s[0:1], vcc
	s_xor_b64 s[0:1], exec, s[0:1]
	s_cbranch_execz .LBB162_682
; %bb.675:
	v_cmp_lt_i32_e32 vcc, 1, v5
	s_and_saveexec_b64 s[6:7], vcc
	s_xor_b64 s[6:7], exec, s[6:7]
	s_cbranch_execz .LBB162_679
; %bb.676:
	v_cmp_eq_u32_e32 vcc, 2, v5
	s_and_saveexec_b64 s[8:9], vcc
	s_cbranch_execz .LBB162_678
; %bb.677:
	v_mov_b32_e32 v5, 0x3e6a7578
	v_fmac_f32_e32 v5, 0x3c5b3c5e, v4
	v_mov_b32_e32 v6, 0x3f7a4bb2
	v_fmac_f32_e32 v6, v4, v5
	;; [unrolled: 2-line block ×8, first 2 shown]
	v_fma_f32 v5, v4, v8, 1.0
	v_rcp_f32_e32 v5, v5
	v_mov_b32_e32 v8, 0xbd9e233f
	v_fmac_f32_e32 v8, v4, v6
	v_mul_f32_e32 v6, v4, v8
	v_mul_f32_e32 v5, v6, v5
	v_fmac_f32_e32 v5, -0.5, v4
	v_add_f32_e32 v3, v3, v5
.LBB162_678:
	s_or_b64 exec, exec, s[8:9]
                                        ; implicit-def: $vgpr4
.LBB162_679:
	s_andn2_saveexec_b64 s[6:7], s[6:7]
	s_cbranch_execz .LBB162_681
; %bb.680:
	v_mul_f32_e32 v5, v4, v4
	v_mul_f32_e32 v6, v4, v5
	v_mov_b32_e32 v8, 0xbab7f476
	v_fmac_f32_e32 v8, 0x39a57b6b, v6
	v_mov_b32_e32 v9, 0x3bc7e707
	v_fmac_f32_e32 v9, v6, v8
	;; [unrolled: 2-line block ×12, first 2 shown]
	v_fmac_f32_e32 v10, v4, v11
	s_mov_b32 s8, 0xa2863e55
	v_fma_f32 v4, v6, -v10, s8
	v_fma_f32 v4, v5, v9, -v4
	v_add_f32_e32 v4, 0xbdf8cdce, v4
	v_add_f32_e32 v3, v3, v4
.LBB162_681:
	s_or_b64 exec, exec, s[6:7]
                                        ; implicit-def: $vgpr5
                                        ; implicit-def: $vgpr4
.LBB162_682:
	s_andn2_saveexec_b64 s[0:1], s[0:1]
	s_cbranch_execz .LBB162_686
; %bb.683:
	v_cmp_eq_u32_e32 vcc, 0, v5
	s_and_saveexec_b64 s[6:7], vcc
	s_cbranch_execz .LBB162_685
; %bb.684:
	v_mul_f32_e32 v5, v4, v4
	v_mov_b32_e32 v6, 0x39679767
	v_fmac_f32_e32 v6, 0x37d383a2, v5
	v_mov_b32_e32 v8, 0x3a9c54a1
	v_fmac_f32_e32 v8, v5, v6
	;; [unrolled: 2-line block ×10, first 2 shown]
	v_mul_f32_e32 v5, v5, v8
	v_fmac_f32_e32 v5, v4, v6
	v_fmac_f32_e32 v5, -0.5, v4
	v_add_f32_e32 v3, v3, v5
.LBB162_685:
	s_or_b64 exec, exec, s[6:7]
.LBB162_686:
	s_or_b64 exec, exec, s[0:1]
.LBB162_687:
	s_or_b64 exec, exec, s[4:5]
.LBB162_688:
	s_andn2_saveexec_b64 s[2:3], s[2:3]
	s_cbranch_execz .LBB162_690
; %bb.689:
	s_mov_b32 s0, 0x3e8a8991
	v_mov_b32_e32 v3, 0xbecd26ab
	v_fma_f32 v3, |v1|, s0, v3
	s_mov_b32 s0, 0x3f528d33
	v_fma_f32 v3, |v1|, v3, s0
	s_mov_b32 s0, 0x800000
	v_cmp_lt_f32_e64 vcc, |v1|, s0
	v_cndmask_b32_e64 v4, 0, 32, vcc
	v_ldexp_f32 v4, |v1|, v4
	v_log_f32_e32 v4, v4
	s_mov_b32 s0, 0xbf13c468
	v_fma_f32 v3, |v1|, v3, s0
	s_mov_b32 s0, 0x3f317217
	v_mul_f32_e32 v5, 0x3f317217, v4
	v_fma_f32 v6, v4, s0, -v5
	v_fmac_f32_e32 v6, 0x3377d1cf, v4
	s_mov_b32 s0, 0x7f800000
	v_add_f32_e32 v5, v5, v6
	v_cmp_lt_f32_e64 s[0:1], |v4|, s0
	v_cndmask_b32_e64 v4, v4, v5, s[0:1]
	v_mov_b32_e32 v5, 0x41b17218
	v_cndmask_b32_e32 v5, 0, v5, vcc
	v_sub_f32_e32 v4, v4, v5
	v_fma_f32 v3, |v1|, v3, -v4
.LBB162_690:
	s_or_b64 exec, exec, s[2:3]
	v_cmp_le_f32_e32 vcc, 0, v1
	v_cmp_nle_f32_e64 s[0:1], 0, v1
	s_and_saveexec_b64 s[2:3], s[0:1]
	s_xor_b64 s[4:5], exec, s[2:3]
	s_cbranch_execz .LBB162_694
; %bb.691:
	s_mov_b32 s0, 0x4b000000
	s_mov_b32 s2, 0x35000000
	v_cmp_lt_f32_e64 s[0:1], |v1|, s0
	v_cmp_gt_f32_e64 s[2:3], |v1|, s2
	s_and_b64 s[0:1], s[0:1], s[2:3]
	s_and_saveexec_b64 s[6:7], s[0:1]
	s_cbranch_execz .LBB162_693
; %bb.692:
	v_mul_f32_e64 v4, |v1|, 0.5
	v_floor_f32_e32 v5, v4
	v_sub_f32_e32 v5, v4, v5
	v_min_f32_e32 v5, 0x3f7fffff, v5
	s_mov_b32 s2, 0x7f800000
	v_add_f32_e32 v5, v5, v5
	v_cmp_neq_f32_e64 s[0:1], s2, v4
	v_cndmask_b32_e64 v4, 0, v5, s[0:1]
	v_cmp_gt_f32_e64 s[0:1], |v1|, 1.0
	v_cndmask_b32_e64 v4, |v1|, v4, s[0:1]
	v_add_f32_e32 v5, v4, v4
	v_rndne_f32_e32 v5, v5
	v_fmac_f32_e32 v4, -0.5, v5
	v_mul_f32_e32 v6, v4, v4
	v_mov_b32_e32 v8, 0xbf1f24be
	v_fmac_f32_e32 v8, 0x3e75aa41, v6
	v_mov_b32_e32 v9, 0x40234736
	v_fmac_f32_e32 v9, v6, v8
	;; [unrolled: 2-line block ×3, first 2 shown]
	v_mul_f32_e32 v9, v4, v6
	v_mul_f32_e32 v8, v9, v8
	v_fmac_f32_e32 v8, 0x40490fdb, v4
	v_mov_b32_e32 v4, 0x3e642e9d
	v_cvt_i32_f32_e32 v5, v5
	v_fmac_f32_e32 v4, 0x3d4be544, v6
	v_mov_b32_e32 v9, 0xbfaad1da
	v_fmac_f32_e32 v9, v6, v4
	v_mov_b32_e32 v4, 0x4081e0d3
	;; [unrolled: 2-line block ×3, first 2 shown]
	v_fmac_f32_e32 v9, v6, v4
	v_fma_f32 v4, v6, v9, 1.0
	v_and_b32_e32 v6, 1, v5
	v_cmp_eq_u32_e64 s[0:1], 0, v6
	v_cndmask_b32_e64 v4, v4, v8, s[0:1]
	v_lshlrev_b32_e32 v5, 30, v5
	s_brev_b32 s0, 1
	v_and_or_b32 v2, v5, s0, v2
	v_xor_b32_e32 v2, v2, v4
	v_xor_b32_e32 v2, v2, v1
	v_mul_f32_e32 v2, v1, v2
	v_frexp_mant_f32_e64 v4, |v2|
	v_rcp_f32_e32 v4, v4
	v_frexp_exp_i32_f32_e32 v2, v2
	v_sub_u32_e32 v2, 2, v2
	s_mov_b32 s0, 0x800000
	v_mul_f32_e32 v4, 0x3f490fdb, v4
	v_ldexp_f32 v2, v4, v2
	v_cmp_gt_f32_e64 s[0:1], s0, v2
	v_cndmask_b32_e64 v4, 0, 32, s[0:1]
	v_ldexp_f32 v2, v2, v4
	v_log_f32_e32 v2, v2
	s_mov_b32 s3, 0x3f317217
	v_mul_f32_e32 v4, 0x3f317217, v2
	v_fma_f32 v5, v2, s3, -v4
	v_fmac_f32_e32 v5, 0x3377d1cf, v2
	v_add_f32_e32 v4, v4, v5
	v_cmp_lt_f32_e64 s[2:3], |v2|, s2
	v_cndmask_b32_e64 v2, v2, v4, s[2:3]
	v_mov_b32_e32 v4, 0x41b17218
	v_cndmask_b32_e64 v4, 0, v4, s[0:1]
	v_sub_f32_e32 v2, v2, v4
	v_sub_f32_e32 v2, v2, v3
	v_floor_f32_e32 v3, v1
	v_sub_f32_e32 v3, v1, v3
	v_min_f32_e32 v3, 0x3f7fffff, v3
	v_mov_b32_e32 v4, 0x7f800000
	v_cmp_neq_f32_e64 s[0:1], 0, v3
	v_cndmask_b32_e64 v3, v4, v2, s[0:1]
.LBB162_693:
	s_or_b64 exec, exec, s[6:7]
.LBB162_694:
	s_andn2_saveexec_b64 s[4:5], s[4:5]
; %bb.695:
	v_cmp_eq_f32_e64 s[0:1], 1.0, v1
	v_cmp_eq_f32_e64 s[2:3], 2.0, v1
	s_or_b64 s[0:1], s[0:1], s[2:3]
	v_cndmask_b32_e64 v3, v3, 0, s[0:1]
; %bb.696:
	s_or_b64 exec, exec, s[4:5]
	s_mov_b32 s0, 0x4b000000
	v_cmp_lt_f32_e64 s[0:1], |v1|, s0
	v_mov_b32_e32 v2, 0x264
	v_mov_b32_e32 v4, 0x7f800000
	s_or_b64 vcc, vcc, s[0:1]
	v_cndmask_b32_e32 v3, v4, v3, vcc
	v_cmp_class_f32_e32 vcc, v1, v2
	v_cndmask_b32_e32 v2, v3, v4, vcc
	v_cmp_u_f32_e32 vcc, v1, v1
	v_cndmask_b32_e32 v1, v2, v1, vcc
	v_bfe_u32 v2, v1, 16, 1
	s_movk_i32 s0, 0x7fff
	v_add3_u32 v2, v1, v2, s0
	v_cmp_o_f32_e32 vcc, v1, v1
	v_mov_b32_e32 v1, 0x7fc0
	v_cndmask_b32_sdwa v1, v1, v2, vcc dst_sel:DWORD dst_unused:UNUSED_PAD src0_sel:DWORD src1_sel:WORD_1
	v_add_u32_e32 v7, 0x80, v7
	global_store_short v0, v1, s[16:17]
	s_or_b64 exec, exec, s[48:49]
	v_cmp_gt_i32_e32 vcc, s55, v7
	s_and_saveexec_b64 s[48:49], vcc
	s_cbranch_execnz .LBB162_644
.LBB162_697:
	s_or_b64 exec, exec, s[48:49]
	v_cmp_gt_i32_e32 vcc, s55, v7
	s_and_saveexec_b64 s[48:49], vcc
	s_cbranch_execz .LBB162_751
.LBB162_698:
	s_andn2_b64 vcc, exec, s[36:37]
	s_cbranch_vccnz .LBB162_703
; %bb.699:
	s_andn2_b64 vcc, exec, s[46:47]
	s_cbranch_vccnz .LBB162_704
; %bb.700:
	s_add_i32 s58, s56, 1
	s_cmp_eq_u32 s54, 2
	s_cbranch_scc1 .LBB162_754
; %bb.701:
	s_and_b32 s57, s58, 28
	v_mov_b32_e32 v2, 0
	s_mov_b32 s59, 0
	s_mov_b64 s[50:51], s[34:35]
	s_mov_b64 s[52:53], s[44:45]
	v_mov_b32_e32 v0, 0
	v_mov_b32_e32 v1, v7
.LBB162_702:                            ; =>This Inner Loop Header: Depth=1
	s_load_dwordx8 s[8:15], s[50:51], 0x4
	s_load_dwordx4 s[28:31], s[50:51], 0x24
	s_load_dwordx8 s[0:7], s[52:53], 0x0
	s_add_u32 s50, s50, 48
	s_addc_u32 s51, s51, 0
	s_waitcnt lgkmcnt(0)
	v_mul_hi_u32 v3, s9, v1
	s_add_i32 s59, s59, 4
	s_add_u32 s52, s52, 32
	s_addc_u32 s53, s53, 0
	v_add_u32_e32 v3, v1, v3
	v_lshrrev_b32_e32 v3, s10, v3
	v_mul_lo_u32 v4, v3, s8
	v_mul_hi_u32 v5, s12, v3
	s_cmp_eq_u32 s57, s59
	v_sub_u32_e32 v1, v1, v4
	v_add_u32_e32 v4, v3, v5
	v_mul_lo_u32 v5, v1, s0
	v_mul_lo_u32 v6, v1, s1
	v_lshrrev_b32_e32 v1, s13, v4
	v_mul_lo_u32 v4, v1, s11
	v_mul_hi_u32 v8, s15, v1
	v_sub_u32_e32 v3, v3, v4
	v_add_u32_e32 v4, v1, v8
	v_lshrrev_b32_e32 v4, s28, v4
	v_mul_hi_u32 v9, s30, v4
	v_mul_lo_u32 v10, v4, s14
	v_mul_lo_u32 v8, v3, s2
	;; [unrolled: 1-line block ×3, first 2 shown]
	v_sub_u32_e32 v10, v1, v10
	v_add_u32_e32 v1, v4, v9
	v_lshrrev_b32_e32 v1, s31, v1
	v_mul_lo_u32 v9, v1, s29
	v_mul_lo_u32 v11, v10, s4
	;; [unrolled: 1-line block ×3, first 2 shown]
	v_add3_u32 v0, v5, v0, v8
	v_sub_u32_e32 v4, v4, v9
	v_mul_lo_u32 v9, v4, s6
	v_mul_lo_u32 v4, v4, s7
	v_add3_u32 v2, v6, v2, v3
	v_add3_u32 v0, v11, v0, v9
	;; [unrolled: 1-line block ×3, first 2 shown]
	s_cbranch_scc0 .LBB162_702
	s_branch .LBB162_755
.LBB162_703:
                                        ; implicit-def: $vgpr0
                                        ; implicit-def: $vgpr2
	s_branch .LBB162_759
.LBB162_704:
	v_mov_b32_e32 v0, 0
	v_mov_b32_e32 v2, 0
	s_branch .LBB162_758
.LBB162_705:
	s_mov_b32 s57, 0
	v_mov_b32_e32 v0, 0
	v_mov_b32_e32 v2, 0
	;; [unrolled: 1-line block ×3, first 2 shown]
.LBB162_706:
	s_and_b32 s4, s58, 3
	s_cmp_eq_u32 s4, 0
	s_cbranch_scc1 .LBB162_709
; %bb.707:
	s_lshl_b32 s0, s57, 3
	s_add_u32 s0, s34, s0
	s_addc_u32 s1, s35, 0
	s_add_u32 s0, s0, 0xc4
	s_addc_u32 s1, s1, 0
	s_mul_i32 s2, s57, 12
	s_add_u32 s2, s34, s2
	s_addc_u32 s3, s35, 0
.LBB162_708:                            ; =>This Inner Loop Header: Depth=1
	s_load_dwordx2 s[6:7], s[2:3], 0x4
	s_load_dword s5, s[2:3], 0xc
	s_load_dwordx2 s[8:9], s[0:1], 0x0
	s_add_u32 s2, s2, 12
	s_addc_u32 s3, s3, 0
	s_waitcnt lgkmcnt(0)
	v_mul_hi_u32 v3, s7, v1
	s_add_u32 s0, s0, 8
	s_addc_u32 s1, s1, 0
	s_add_i32 s4, s4, -1
	v_add_u32_e32 v3, v1, v3
	v_lshrrev_b32_e32 v4, s5, v3
	v_mul_lo_u32 v3, v4, s6
	s_cmp_lg_u32 s4, 0
	v_sub_u32_e32 v3, v1, v3
	v_mad_u64_u32 v[0:1], s[6:7], v3, s8, v[0:1]
	v_mad_u64_u32 v[2:3], s[6:7], v3, s9, v[2:3]
	v_mov_b32_e32 v1, v4
	s_cbranch_scc1 .LBB162_708
.LBB162_709:
	s_cbranch_execnz .LBB162_712
.LBB162_710:
	s_waitcnt lgkmcnt(0)
	v_mul_hi_u32 v0, s25, v7
	s_andn2_b64 vcc, exec, s[42:43]
	v_add_u32_e32 v0, v7, v0
	v_lshrrev_b32_e32 v1, s26, v0
	v_mul_lo_u32 v0, v1, s24
	v_sub_u32_e32 v2, v7, v0
	v_mul_lo_u32 v0, v2, s20
	v_mul_lo_u32 v2, v2, s21
	s_cbranch_vccnz .LBB162_712
; %bb.711:
	v_mul_hi_u32 v3, s40, v1
	v_add_u32_e32 v3, v1, v3
	v_lshrrev_b32_e32 v3, s41, v3
	v_mul_lo_u32 v3, v3, s27
	v_sub_u32_e32 v3, v1, v3
	v_mad_u64_u32 v[0:1], s[0:1], v3, s22, v[0:1]
	v_mad_u64_u32 v[2:3], s[0:1], v3, s23, v[2:3]
.LBB162_712:
	s_waitcnt lgkmcnt(0)
	global_load_ushort v1, v2, s[18:19]
	s_mov_b32 s0, 0x3c800000
                                        ; implicit-def: $vgpr3
	s_waitcnt vmcnt(0)
	v_lshlrev_b32_e32 v1, 16, v1
	v_and_b32_e32 v2, 0x7fffffff, v1
	v_cmp_nlt_f32_e64 s[0:1], |v1|, s0
	s_and_saveexec_b64 s[2:3], s[0:1]
	s_xor_b64 s[2:3], exec, s[2:3]
	s_cbranch_execz .LBB162_742
; %bb.713:
	v_cmp_nlt_f32_e64 s[0:1], |v1|, 2.0
                                        ; implicit-def: $vgpr3
	s_and_saveexec_b64 s[4:5], s[0:1]
	s_xor_b64 s[4:5], exec, s[4:5]
	s_cbranch_execz .LBB162_723
; %bb.714:
	s_mov_b32 s0, 0x41000000
	v_cmp_nlt_f32_e64 s[0:1], |v1|, s0
                                        ; implicit-def: $vgpr3
	s_and_saveexec_b64 s[6:7], s[0:1]
	s_xor_b64 s[6:7], exec, s[6:7]
	s_cbranch_execz .LBB162_720
; %bb.715:
	s_mov_b32 s0, 0x5c800000
	v_cmp_nlt_f32_e64 s[0:1], |v1|, s0
                                        ; implicit-def: $vgpr3
	s_and_saveexec_b64 s[8:9], s[0:1]
	s_xor_b64 s[8:9], exec, s[8:9]
	s_cbranch_execz .LBB162_717
; %bb.716:
	s_mov_b32 s0, 0x800000
	v_cmp_lt_f32_e64 vcc, |v1|, s0
	v_cndmask_b32_e64 v3, 0, 32, vcc
	v_ldexp_f32 v3, |v1|, v3
	v_log_f32_e32 v3, v3
	s_mov_b32 s0, 0x3f317217
	s_mov_b32 s1, 0x7f800000
	v_mul_f32_e32 v4, 0x3f317217, v3
	v_fma_f32 v5, v3, s0, -v4
	v_fmac_f32_e32 v5, 0x3377d1cf, v3
	v_add_f32_e32 v4, v4, v5
	v_cmp_lt_f32_e64 s[0:1], |v3|, s1
	v_cndmask_b32_e64 v3, v3, v4, s[0:1]
	v_mov_b32_e32 v4, 0x41b17218
	v_cndmask_b32_e32 v4, 0, v4, vcc
	v_sub_f32_e32 v3, v3, v4
	v_fma_f32 v3, |v1|, v3, -|v1|
.LBB162_717:
	s_andn2_saveexec_b64 s[8:9], s[8:9]
	s_cbranch_execz .LBB162_719
; %bb.718:
	v_rcp_f32_e64 v4, |v1|
	v_mov_b32_e32 v3, 0x3a5b3dd2
	v_mov_b32_e32 v5, 0xba1c065c
	;; [unrolled: 1-line block ×3, first 2 shown]
	v_mul_f32_e32 v8, v4, v4
	v_fmac_f32_e32 v3, 0xbad5c4e8, v8
	v_fmac_f32_e32 v5, v8, v3
	s_mov_b32 s0, 0x800000
	v_fmac_f32_e32 v6, v8, v5
	v_mov_b32_e32 v3, 0xbb360b61
	v_cmp_lt_f32_e64 vcc, |v1|, s0
	v_fmac_f32_e32 v3, v8, v6
	v_cndmask_b32_e64 v6, 0, 32, vcc
	v_ldexp_f32 v6, |v1|, v6
	v_log_f32_e32 v6, v6
	v_mov_b32_e32 v5, 0x3daaaaab
	v_fmac_f32_e32 v5, v8, v3
	v_mov_b32_e32 v3, 0x3ed67f1d
	v_fmac_f32_e32 v3, v4, v5
	s_mov_b32 s0, 0x3f317217
	v_mul_f32_e32 v5, 0x3f317217, v6
	v_fma_f32 v8, v6, s0, -v5
	v_fmac_f32_e32 v8, 0x3377d1cf, v6
	s_mov_b32 s0, 0x7f800000
	v_add_f32_e32 v5, v5, v8
	v_cmp_lt_f32_e64 s[0:1], |v6|, s0
	v_cndmask_b32_e64 v5, v6, v5, s[0:1]
	v_mov_b32_e32 v6, 0x41b17218
	v_cndmask_b32_e32 v6, 0, v6, vcc
	v_sub_f32_e32 v5, v5, v6
	v_add_f32_e64 v4, |v1|, -0.5
	v_add_f32_e32 v5, -1.0, v5
	v_fmac_f32_e32 v3, v4, v5
.LBB162_719:
	s_or_b64 exec, exec, s[8:9]
.LBB162_720:
	s_andn2_saveexec_b64 s[6:7], s[6:7]
	s_cbranch_execz .LBB162_722
; %bb.721:
	v_cvt_i32_f32_e32 v3, v2
	v_mov_b32_e32 v4, 0x3af135b4
	v_mov_b32_e32 v5, 0x3cda40e4
	v_mov_b32_e32 v6, 0x3e15dce6
	v_cvt_f32_i32_e32 v8, v3
	v_mov_b32_e32 v9, 0x3ea6cc7a
	v_mov_b32_e32 v10, 0x3e5c245a
	v_cmp_lt_i32_e32 vcc, 2, v3
	v_sub_f32_e64 v8, |v1|, v8
	v_fmac_f32_e32 v4, 0x3805ff67, v8
	v_fmac_f32_e32 v5, v8, v4
	v_fmac_f32_e32 v6, v8, v5
	v_mov_b32_e32 v5, 0x3a4beed6
	v_fmac_f32_e32 v9, v8, v6
	v_fmac_f32_e32 v5, 0x36f5d7bd, v8
	v_mov_b32_e32 v6, 0x3c98bf54
	v_fmac_f32_e32 v6, v8, v5
	v_mov_b32_e32 v5, 0x3e300f6e
	;; [unrolled: 2-line block ×4, first 2 shown]
	v_fmac_f32_e32 v5, v8, v6
	v_add_f32_e32 v6, 2.0, v8
	v_mov_b32_e32 v11, 0xbd9e233f
	v_fmac_f32_e32 v10, v8, v9
	v_add_f32_e32 v9, 0x40400000, v8
	v_cndmask_b32_e32 v6, 1.0, v6, vcc
	v_cmp_lt_i32_e32 vcc, 3, v3
	v_fmac_f32_e32 v11, v8, v10
	v_add_f32_e32 v10, 4.0, v8
	v_cndmask_b32_e32 v9, 1.0, v9, vcc
	v_cmp_lt_i32_e32 vcc, 4, v3
	v_mul_f32_e32 v4, v8, v11
	v_add_f32_e32 v11, 0x40a00000, v8
	v_mul_f32_e32 v6, v6, v9
	v_cndmask_b32_e32 v9, 1.0, v10, vcc
	v_cmp_lt_i32_e32 vcc, 5, v3
	v_add_f32_e32 v12, 0x40c00000, v8
	v_mul_f32_e32 v6, v9, v6
	v_cndmask_b32_e32 v9, 1.0, v11, vcc
	v_cmp_lt_i32_e32 vcc, 6, v3
	v_mul_f32_e32 v6, v9, v6
	v_cndmask_b32_e32 v3, 1.0, v12, vcc
	v_mul_f32_e32 v3, v3, v6
	s_mov_b32 s0, 0x800000
	v_cmp_gt_f32_e32 vcc, s0, v3
	v_cndmask_b32_e64 v6, 0, 32, vcc
	v_fma_f32 v5, v8, v5, 1.0
	v_ldexp_f32 v3, v3, v6
	v_rcp_f32_e32 v5, v5
	v_log_f32_e32 v3, v3
	s_mov_b32 s0, 0x3f317217
	v_mul_f32_e32 v4, v4, v5
	v_mul_f32_e32 v5, 0x3f317217, v3
	v_fma_f32 v6, v3, s0, -v5
	v_fmac_f32_e32 v6, 0x3377d1cf, v3
	s_mov_b32 s0, 0x7f800000
	v_add_f32_e32 v5, v5, v6
	v_cmp_lt_f32_e64 s[0:1], |v3|, s0
	v_cndmask_b32_e64 v3, v3, v5, s[0:1]
	v_mov_b32_e32 v5, 0x41b17218
	v_cndmask_b32_e32 v5, 0, v5, vcc
	v_fmac_f32_e32 v4, 0.5, v8
	v_sub_f32_e32 v3, v3, v5
	v_add_f32_e32 v3, v3, v4
.LBB162_722:
	s_or_b64 exec, exec, s[6:7]
.LBB162_723:
	s_andn2_saveexec_b64 s[4:5], s[4:5]
	s_cbranch_execz .LBB162_741
; %bb.724:
	s_mov_b32 s0, 0x3f666666
	v_cmp_le_f32_e64 s[0:1], |v1|, s0
                                        ; implicit-def: $vgpr3
                                        ; implicit-def: $vgpr5
                                        ; implicit-def: $vgpr4
	s_and_saveexec_b64 s[6:7], s[0:1]
	s_xor_b64 s[6:7], exec, s[6:7]
	s_cbranch_execz .LBB162_726
; %bb.725:
	s_mov_b32 s0, 0x800000
	v_cmp_lt_f32_e64 vcc, |v1|, s0
	v_cndmask_b32_e64 v3, 0, 32, vcc
	v_ldexp_f32 v3, |v1|, v3
	v_log_f32_e32 v3, v3
	s_mov_b32 s0, 0x3f317217
	s_mov_b32 s1, 0x7f800000
	v_mul_f32_e32 v4, 0x3f317217, v3
	v_fma_f32 v5, v3, s0, -v4
	v_fmac_f32_e32 v5, 0x3377d1cf, v3
	v_add_f32_e32 v4, v4, v5
	v_cmp_lt_f32_e64 s[0:1], |v3|, s1
	v_cndmask_b32_e64 v3, v3, v4, s[0:1]
	v_mov_b32_e32 v4, 0x41b17218
	v_cndmask_b32_e32 v4, 0, v4, vcc
	s_mov_b32 s0, 0x3f3b4a23
	s_mov_b32 s1, 0xbeec5b0c
	v_sub_f32_e32 v3, v3, v4
	v_sub_f32_e64 v4, 1.0, |v1|
	v_add_f32_e64 v5, |v1|, s1
	v_cmp_lt_f32_e64 vcc, |v1|, s0
	s_mov_b32 s0, 0x3e6d3309
	v_cndmask_b32_e32 v4, v4, v5, vcc
	v_cndmask_b32_e64 v5, 0, 1, vcc
	v_cmp_lt_f32_e64 s[0:1], |v1|, s0
	v_xor_b32_e32 v3, 0x80000000, v3
	v_cndmask_b32_e64 v4, v4, |v1|, s[0:1]
	v_cndmask_b32_e64 v5, v5, 2, s[0:1]
.LBB162_726:
	s_andn2_saveexec_b64 s[0:1], s[6:7]
	s_cbranch_execz .LBB162_728
; %bb.727:
	s_mov_b32 s6, 0x3fdda512
	s_mov_b32 s7, 0xbfbb16c3
	v_sub_f32_e64 v3, 2.0, |v1|
	v_add_f32_e64 v4, |v1|, s7
	v_cmp_lt_f32_e64 vcc, |v1|, s6
	v_cndmask_b32_e32 v4, v3, v4, vcc
	v_cndmask_b32_e64 v3, v3, 1.0, vcc
	v_cvt_i32_f32_e32 v3, v3
	s_mov_b32 s6, 0x3f9d70a4
	v_add_f32_e64 v5, |v1|, -1.0
	v_cmp_lt_f32_e64 vcc, |v1|, s6
	v_cndmask_b32_e32 v4, v4, v5, vcc
	v_cndmask_b32_e64 v5, v3, 2, vcc
	v_mov_b32_e32 v3, 0
.LBB162_728:
	s_or_b64 exec, exec, s[0:1]
	v_cmp_lt_i32_e32 vcc, 0, v5
	s_and_saveexec_b64 s[0:1], vcc
	s_xor_b64 s[0:1], exec, s[0:1]
	s_cbranch_execz .LBB162_736
; %bb.729:
	v_cmp_lt_i32_e32 vcc, 1, v5
	s_and_saveexec_b64 s[6:7], vcc
	s_xor_b64 s[6:7], exec, s[6:7]
	s_cbranch_execz .LBB162_733
; %bb.730:
	v_cmp_eq_u32_e32 vcc, 2, v5
	s_and_saveexec_b64 s[8:9], vcc
	s_cbranch_execz .LBB162_732
; %bb.731:
	v_mov_b32_e32 v5, 0x3e6a7578
	v_fmac_f32_e32 v5, 0x3c5b3c5e, v4
	v_mov_b32_e32 v6, 0x3f7a4bb2
	v_fmac_f32_e32 v6, v4, v5
	;; [unrolled: 2-line block ×8, first 2 shown]
	v_fma_f32 v5, v4, v8, 1.0
	v_rcp_f32_e32 v5, v5
	v_mov_b32_e32 v8, 0xbd9e233f
	v_fmac_f32_e32 v8, v4, v6
	v_mul_f32_e32 v6, v4, v8
	v_mul_f32_e32 v5, v6, v5
	v_fmac_f32_e32 v5, -0.5, v4
	v_add_f32_e32 v3, v3, v5
.LBB162_732:
	s_or_b64 exec, exec, s[8:9]
                                        ; implicit-def: $vgpr4
.LBB162_733:
	s_andn2_saveexec_b64 s[6:7], s[6:7]
	s_cbranch_execz .LBB162_735
; %bb.734:
	v_mul_f32_e32 v5, v4, v4
	v_mul_f32_e32 v6, v4, v5
	v_mov_b32_e32 v8, 0xbab7f476
	v_fmac_f32_e32 v8, 0x39a57b6b, v6
	v_mov_b32_e32 v9, 0x3bc7e707
	v_fmac_f32_e32 v9, v6, v8
	v_mov_b32_e32 v8, 0xbd064d47
	v_fmac_f32_e32 v8, v6, v9
	v_mov_b32_e32 v9, 0x3ef7b95e
	v_fmac_f32_e32 v9, v6, v8
	v_mov_b32_e32 v8, 0x3a66f867
	v_fmac_f32_e32 v8, 0xb9a3f927, v6
	v_mov_b32_e32 v10, 0xbb7177fe
	v_fmac_f32_e32 v10, v6, v8
	v_mov_b32_e32 v8, 0x3c93373d
	v_fmac_f32_e32 v8, v6, v10
	v_mov_b32_e32 v10, 0xbe17213c
	v_fmac_f32_e32 v10, v6, v8
	v_mov_b32_e32 v8, 0xba0d3085
	v_fmac_f32_e32 v8, 0x39afe9f7, v6
	v_mov_b32_e32 v11, 0x3b141699
	v_fmac_f32_e32 v11, v6, v8
	v_mov_b32_e32 v8, 0xbc28fcfe
	v_fmac_f32_e32 v8, v6, v11
	v_mov_b32_e32 v11, 0x3d845a15
	v_fmac_f32_e32 v11, v6, v8
	v_fmac_f32_e32 v10, v4, v11
	s_mov_b32 s8, 0xa2863e55
	v_fma_f32 v4, v6, -v10, s8
	v_fma_f32 v4, v5, v9, -v4
	v_add_f32_e32 v4, 0xbdf8cdce, v4
	v_add_f32_e32 v3, v3, v4
.LBB162_735:
	s_or_b64 exec, exec, s[6:7]
                                        ; implicit-def: $vgpr5
                                        ; implicit-def: $vgpr4
.LBB162_736:
	s_andn2_saveexec_b64 s[0:1], s[0:1]
	s_cbranch_execz .LBB162_740
; %bb.737:
	v_cmp_eq_u32_e32 vcc, 0, v5
	s_and_saveexec_b64 s[6:7], vcc
	s_cbranch_execz .LBB162_739
; %bb.738:
	v_mul_f32_e32 v5, v4, v4
	v_mov_b32_e32 v6, 0x39679767
	v_fmac_f32_e32 v6, 0x37d383a2, v5
	v_mov_b32_e32 v8, 0x3a9c54a1
	v_fmac_f32_e32 v8, v5, v6
	;; [unrolled: 2-line block ×10, first 2 shown]
	v_mul_f32_e32 v5, v5, v8
	v_fmac_f32_e32 v5, v4, v6
	v_fmac_f32_e32 v5, -0.5, v4
	v_add_f32_e32 v3, v3, v5
.LBB162_739:
	s_or_b64 exec, exec, s[6:7]
.LBB162_740:
	s_or_b64 exec, exec, s[0:1]
.LBB162_741:
	s_or_b64 exec, exec, s[4:5]
.LBB162_742:
	s_andn2_saveexec_b64 s[2:3], s[2:3]
	s_cbranch_execz .LBB162_744
; %bb.743:
	s_mov_b32 s0, 0x3e8a8991
	v_mov_b32_e32 v3, 0xbecd26ab
	v_fma_f32 v3, |v1|, s0, v3
	s_mov_b32 s0, 0x3f528d33
	v_fma_f32 v3, |v1|, v3, s0
	s_mov_b32 s0, 0x800000
	v_cmp_lt_f32_e64 vcc, |v1|, s0
	v_cndmask_b32_e64 v4, 0, 32, vcc
	v_ldexp_f32 v4, |v1|, v4
	v_log_f32_e32 v4, v4
	s_mov_b32 s0, 0xbf13c468
	v_fma_f32 v3, |v1|, v3, s0
	s_mov_b32 s0, 0x3f317217
	v_mul_f32_e32 v5, 0x3f317217, v4
	v_fma_f32 v6, v4, s0, -v5
	v_fmac_f32_e32 v6, 0x3377d1cf, v4
	s_mov_b32 s0, 0x7f800000
	v_add_f32_e32 v5, v5, v6
	v_cmp_lt_f32_e64 s[0:1], |v4|, s0
	v_cndmask_b32_e64 v4, v4, v5, s[0:1]
	v_mov_b32_e32 v5, 0x41b17218
	v_cndmask_b32_e32 v5, 0, v5, vcc
	v_sub_f32_e32 v4, v4, v5
	v_fma_f32 v3, |v1|, v3, -v4
.LBB162_744:
	s_or_b64 exec, exec, s[2:3]
	v_cmp_le_f32_e32 vcc, 0, v1
	v_cmp_nle_f32_e64 s[0:1], 0, v1
	s_and_saveexec_b64 s[2:3], s[0:1]
	s_xor_b64 s[4:5], exec, s[2:3]
	s_cbranch_execz .LBB162_748
; %bb.745:
	s_mov_b32 s0, 0x4b000000
	s_mov_b32 s2, 0x35000000
	v_cmp_lt_f32_e64 s[0:1], |v1|, s0
	v_cmp_gt_f32_e64 s[2:3], |v1|, s2
	s_and_b64 s[0:1], s[0:1], s[2:3]
	s_and_saveexec_b64 s[6:7], s[0:1]
	s_cbranch_execz .LBB162_747
; %bb.746:
	v_mul_f32_e64 v4, |v1|, 0.5
	v_floor_f32_e32 v5, v4
	v_sub_f32_e32 v5, v4, v5
	v_min_f32_e32 v5, 0x3f7fffff, v5
	s_mov_b32 s2, 0x7f800000
	v_add_f32_e32 v5, v5, v5
	v_cmp_neq_f32_e64 s[0:1], s2, v4
	v_cndmask_b32_e64 v4, 0, v5, s[0:1]
	v_cmp_gt_f32_e64 s[0:1], |v1|, 1.0
	v_cndmask_b32_e64 v4, |v1|, v4, s[0:1]
	v_add_f32_e32 v5, v4, v4
	v_rndne_f32_e32 v5, v5
	v_fmac_f32_e32 v4, -0.5, v5
	v_mul_f32_e32 v6, v4, v4
	v_mov_b32_e32 v8, 0xbf1f24be
	v_fmac_f32_e32 v8, 0x3e75aa41, v6
	v_mov_b32_e32 v9, 0x40234736
	v_fmac_f32_e32 v9, v6, v8
	;; [unrolled: 2-line block ×3, first 2 shown]
	v_mul_f32_e32 v9, v4, v6
	v_mul_f32_e32 v8, v9, v8
	v_fmac_f32_e32 v8, 0x40490fdb, v4
	v_mov_b32_e32 v4, 0x3e642e9d
	v_cvt_i32_f32_e32 v5, v5
	v_fmac_f32_e32 v4, 0x3d4be544, v6
	v_mov_b32_e32 v9, 0xbfaad1da
	v_fmac_f32_e32 v9, v6, v4
	v_mov_b32_e32 v4, 0x4081e0d3
	;; [unrolled: 2-line block ×3, first 2 shown]
	v_fmac_f32_e32 v9, v6, v4
	v_fma_f32 v4, v6, v9, 1.0
	v_and_b32_e32 v6, 1, v5
	v_cmp_eq_u32_e64 s[0:1], 0, v6
	v_cndmask_b32_e64 v4, v4, v8, s[0:1]
	v_lshlrev_b32_e32 v5, 30, v5
	s_brev_b32 s0, 1
	v_and_or_b32 v2, v5, s0, v2
	v_xor_b32_e32 v2, v2, v4
	v_xor_b32_e32 v2, v2, v1
	v_mul_f32_e32 v2, v1, v2
	v_frexp_mant_f32_e64 v4, |v2|
	v_rcp_f32_e32 v4, v4
	v_frexp_exp_i32_f32_e32 v2, v2
	v_sub_u32_e32 v2, 2, v2
	s_mov_b32 s0, 0x800000
	v_mul_f32_e32 v4, 0x3f490fdb, v4
	v_ldexp_f32 v2, v4, v2
	v_cmp_gt_f32_e64 s[0:1], s0, v2
	v_cndmask_b32_e64 v4, 0, 32, s[0:1]
	v_ldexp_f32 v2, v2, v4
	v_log_f32_e32 v2, v2
	s_mov_b32 s3, 0x3f317217
	v_mul_f32_e32 v4, 0x3f317217, v2
	v_fma_f32 v5, v2, s3, -v4
	v_fmac_f32_e32 v5, 0x3377d1cf, v2
	v_add_f32_e32 v4, v4, v5
	v_cmp_lt_f32_e64 s[2:3], |v2|, s2
	v_cndmask_b32_e64 v2, v2, v4, s[2:3]
	v_mov_b32_e32 v4, 0x41b17218
	v_cndmask_b32_e64 v4, 0, v4, s[0:1]
	v_sub_f32_e32 v2, v2, v4
	v_sub_f32_e32 v2, v2, v3
	v_floor_f32_e32 v3, v1
	v_sub_f32_e32 v3, v1, v3
	v_min_f32_e32 v3, 0x3f7fffff, v3
	v_mov_b32_e32 v4, 0x7f800000
	v_cmp_neq_f32_e64 s[0:1], 0, v3
	v_cndmask_b32_e64 v3, v4, v2, s[0:1]
.LBB162_747:
	s_or_b64 exec, exec, s[6:7]
.LBB162_748:
	s_andn2_saveexec_b64 s[4:5], s[4:5]
; %bb.749:
	v_cmp_eq_f32_e64 s[0:1], 1.0, v1
	v_cmp_eq_f32_e64 s[2:3], 2.0, v1
	s_or_b64 s[0:1], s[0:1], s[2:3]
	v_cndmask_b32_e64 v3, v3, 0, s[0:1]
; %bb.750:
	s_or_b64 exec, exec, s[4:5]
	s_mov_b32 s0, 0x4b000000
	v_cmp_lt_f32_e64 s[0:1], |v1|, s0
	v_mov_b32_e32 v2, 0x264
	v_mov_b32_e32 v4, 0x7f800000
	s_or_b64 vcc, vcc, s[0:1]
	v_cndmask_b32_e32 v3, v4, v3, vcc
	v_cmp_class_f32_e32 vcc, v1, v2
	v_cndmask_b32_e32 v2, v3, v4, vcc
	v_cmp_u_f32_e32 vcc, v1, v1
	v_cndmask_b32_e32 v1, v2, v1, vcc
	v_bfe_u32 v2, v1, 16, 1
	s_movk_i32 s0, 0x7fff
	v_add3_u32 v2, v1, v2, s0
	v_cmp_o_f32_e32 vcc, v1, v1
	v_mov_b32_e32 v1, 0x7fc0
	v_cndmask_b32_sdwa v1, v1, v2, vcc dst_sel:DWORD dst_unused:UNUSED_PAD src0_sel:DWORD src1_sel:WORD_1
	v_add_u32_e32 v7, 0x80, v7
	global_store_short v0, v1, s[16:17]
	s_or_b64 exec, exec, s[48:49]
	v_cmp_gt_i32_e32 vcc, s55, v7
	s_and_saveexec_b64 s[48:49], vcc
	s_cbranch_execnz .LBB162_698
.LBB162_751:
	s_or_b64 exec, exec, s[48:49]
	v_cmp_gt_i32_e32 vcc, s55, v7
	s_and_saveexec_b64 s[48:49], vcc
	s_cbranch_execnz .LBB162_800
.LBB162_752:
	s_or_b64 exec, exec, s[48:49]
                                        ; implicit-def: $vgpr25
                                        ; implicit-def: $vgpr7
	s_andn2_saveexec_b64 s[0:1], s[38:39]
	s_cbranch_execnz .LBB162_8
.LBB162_753:
	s_endpgm
.LBB162_754:
	s_mov_b32 s57, 0
	v_mov_b32_e32 v0, 0
	v_mov_b32_e32 v2, 0
	;; [unrolled: 1-line block ×3, first 2 shown]
.LBB162_755:
	s_and_b32 s4, s58, 3
	s_cmp_eq_u32 s4, 0
	s_cbranch_scc1 .LBB162_758
; %bb.756:
	s_lshl_b32 s0, s57, 3
	s_add_u32 s0, s34, s0
	s_addc_u32 s1, s35, 0
	s_add_u32 s0, s0, 0xc4
	s_addc_u32 s1, s1, 0
	s_mul_i32 s2, s57, 12
	s_add_u32 s2, s34, s2
	s_addc_u32 s3, s35, 0
.LBB162_757:                            ; =>This Inner Loop Header: Depth=1
	s_load_dwordx2 s[6:7], s[2:3], 0x4
	s_load_dword s5, s[2:3], 0xc
	s_load_dwordx2 s[8:9], s[0:1], 0x0
	s_add_u32 s2, s2, 12
	s_addc_u32 s3, s3, 0
	s_waitcnt lgkmcnt(0)
	v_mul_hi_u32 v3, s7, v1
	s_add_u32 s0, s0, 8
	s_addc_u32 s1, s1, 0
	s_add_i32 s4, s4, -1
	v_add_u32_e32 v3, v1, v3
	v_lshrrev_b32_e32 v4, s5, v3
	v_mul_lo_u32 v3, v4, s6
	s_cmp_lg_u32 s4, 0
	v_sub_u32_e32 v3, v1, v3
	v_mad_u64_u32 v[0:1], s[6:7], v3, s8, v[0:1]
	v_mad_u64_u32 v[2:3], s[6:7], v3, s9, v[2:3]
	v_mov_b32_e32 v1, v4
	s_cbranch_scc1 .LBB162_757
.LBB162_758:
	s_cbranch_execnz .LBB162_761
.LBB162_759:
	s_waitcnt lgkmcnt(0)
	v_mul_hi_u32 v0, s25, v7
	s_andn2_b64 vcc, exec, s[42:43]
	v_add_u32_e32 v0, v7, v0
	v_lshrrev_b32_e32 v1, s26, v0
	v_mul_lo_u32 v0, v1, s24
	v_sub_u32_e32 v2, v7, v0
	v_mul_lo_u32 v0, v2, s20
	v_mul_lo_u32 v2, v2, s21
	s_cbranch_vccnz .LBB162_761
; %bb.760:
	v_mul_hi_u32 v3, s40, v1
	v_add_u32_e32 v3, v1, v3
	v_lshrrev_b32_e32 v3, s41, v3
	v_mul_lo_u32 v3, v3, s27
	v_sub_u32_e32 v3, v1, v3
	v_mad_u64_u32 v[0:1], s[0:1], v3, s22, v[0:1]
	v_mad_u64_u32 v[2:3], s[0:1], v3, s23, v[2:3]
.LBB162_761:
	s_waitcnt lgkmcnt(0)
	global_load_ushort v1, v2, s[18:19]
	s_mov_b32 s0, 0x3c800000
                                        ; implicit-def: $vgpr3
	s_waitcnt vmcnt(0)
	v_lshlrev_b32_e32 v1, 16, v1
	v_and_b32_e32 v2, 0x7fffffff, v1
	v_cmp_nlt_f32_e64 s[0:1], |v1|, s0
	s_and_saveexec_b64 s[2:3], s[0:1]
	s_xor_b64 s[2:3], exec, s[2:3]
	s_cbranch_execz .LBB162_791
; %bb.762:
	v_cmp_nlt_f32_e64 s[0:1], |v1|, 2.0
                                        ; implicit-def: $vgpr3
	s_and_saveexec_b64 s[4:5], s[0:1]
	s_xor_b64 s[4:5], exec, s[4:5]
	s_cbranch_execz .LBB162_772
; %bb.763:
	s_mov_b32 s0, 0x41000000
	v_cmp_nlt_f32_e64 s[0:1], |v1|, s0
                                        ; implicit-def: $vgpr3
	s_and_saveexec_b64 s[6:7], s[0:1]
	s_xor_b64 s[6:7], exec, s[6:7]
	s_cbranch_execz .LBB162_769
; %bb.764:
	s_mov_b32 s0, 0x5c800000
	v_cmp_nlt_f32_e64 s[0:1], |v1|, s0
                                        ; implicit-def: $vgpr3
	s_and_saveexec_b64 s[8:9], s[0:1]
	s_xor_b64 s[8:9], exec, s[8:9]
	s_cbranch_execz .LBB162_766
; %bb.765:
	s_mov_b32 s0, 0x800000
	v_cmp_lt_f32_e64 vcc, |v1|, s0
	v_cndmask_b32_e64 v3, 0, 32, vcc
	v_ldexp_f32 v3, |v1|, v3
	v_log_f32_e32 v3, v3
	s_mov_b32 s0, 0x3f317217
	s_mov_b32 s1, 0x7f800000
	v_mul_f32_e32 v4, 0x3f317217, v3
	v_fma_f32 v5, v3, s0, -v4
	v_fmac_f32_e32 v5, 0x3377d1cf, v3
	v_add_f32_e32 v4, v4, v5
	v_cmp_lt_f32_e64 s[0:1], |v3|, s1
	v_cndmask_b32_e64 v3, v3, v4, s[0:1]
	v_mov_b32_e32 v4, 0x41b17218
	v_cndmask_b32_e32 v4, 0, v4, vcc
	v_sub_f32_e32 v3, v3, v4
	v_fma_f32 v3, |v1|, v3, -|v1|
.LBB162_766:
	s_andn2_saveexec_b64 s[8:9], s[8:9]
	s_cbranch_execz .LBB162_768
; %bb.767:
	v_rcp_f32_e64 v4, |v1|
	v_mov_b32_e32 v3, 0x3a5b3dd2
	v_mov_b32_e32 v5, 0xba1c065c
	;; [unrolled: 1-line block ×3, first 2 shown]
	v_mul_f32_e32 v8, v4, v4
	v_fmac_f32_e32 v3, 0xbad5c4e8, v8
	v_fmac_f32_e32 v5, v8, v3
	s_mov_b32 s0, 0x800000
	v_fmac_f32_e32 v6, v8, v5
	v_mov_b32_e32 v3, 0xbb360b61
	v_cmp_lt_f32_e64 vcc, |v1|, s0
	v_fmac_f32_e32 v3, v8, v6
	v_cndmask_b32_e64 v6, 0, 32, vcc
	v_ldexp_f32 v6, |v1|, v6
	v_log_f32_e32 v6, v6
	v_mov_b32_e32 v5, 0x3daaaaab
	v_fmac_f32_e32 v5, v8, v3
	v_mov_b32_e32 v3, 0x3ed67f1d
	v_fmac_f32_e32 v3, v4, v5
	s_mov_b32 s0, 0x3f317217
	v_mul_f32_e32 v5, 0x3f317217, v6
	v_fma_f32 v8, v6, s0, -v5
	v_fmac_f32_e32 v8, 0x3377d1cf, v6
	s_mov_b32 s0, 0x7f800000
	v_add_f32_e32 v5, v5, v8
	v_cmp_lt_f32_e64 s[0:1], |v6|, s0
	v_cndmask_b32_e64 v5, v6, v5, s[0:1]
	v_mov_b32_e32 v6, 0x41b17218
	v_cndmask_b32_e32 v6, 0, v6, vcc
	v_sub_f32_e32 v5, v5, v6
	v_add_f32_e64 v4, |v1|, -0.5
	v_add_f32_e32 v5, -1.0, v5
	v_fmac_f32_e32 v3, v4, v5
.LBB162_768:
	s_or_b64 exec, exec, s[8:9]
.LBB162_769:
	s_andn2_saveexec_b64 s[6:7], s[6:7]
	s_cbranch_execz .LBB162_771
; %bb.770:
	v_cvt_i32_f32_e32 v3, v2
	v_mov_b32_e32 v4, 0x3af135b4
	v_mov_b32_e32 v5, 0x3cda40e4
	;; [unrolled: 1-line block ×3, first 2 shown]
	v_cvt_f32_i32_e32 v8, v3
	v_mov_b32_e32 v9, 0x3ea6cc7a
	v_mov_b32_e32 v10, 0x3e5c245a
	v_cmp_lt_i32_e32 vcc, 2, v3
	v_sub_f32_e64 v8, |v1|, v8
	v_fmac_f32_e32 v4, 0x3805ff67, v8
	v_fmac_f32_e32 v5, v8, v4
	;; [unrolled: 1-line block ×3, first 2 shown]
	v_mov_b32_e32 v5, 0x3a4beed6
	v_fmac_f32_e32 v9, v8, v6
	v_fmac_f32_e32 v5, 0x36f5d7bd, v8
	v_mov_b32_e32 v6, 0x3c98bf54
	v_fmac_f32_e32 v6, v8, v5
	v_mov_b32_e32 v5, 0x3e300f6e
	;; [unrolled: 2-line block ×4, first 2 shown]
	v_fmac_f32_e32 v5, v8, v6
	v_add_f32_e32 v6, 2.0, v8
	v_mov_b32_e32 v11, 0xbd9e233f
	v_fmac_f32_e32 v10, v8, v9
	v_add_f32_e32 v9, 0x40400000, v8
	v_cndmask_b32_e32 v6, 1.0, v6, vcc
	v_cmp_lt_i32_e32 vcc, 3, v3
	v_fmac_f32_e32 v11, v8, v10
	v_add_f32_e32 v10, 4.0, v8
	v_cndmask_b32_e32 v9, 1.0, v9, vcc
	v_cmp_lt_i32_e32 vcc, 4, v3
	v_mul_f32_e32 v4, v8, v11
	v_add_f32_e32 v11, 0x40a00000, v8
	v_mul_f32_e32 v6, v6, v9
	v_cndmask_b32_e32 v9, 1.0, v10, vcc
	v_cmp_lt_i32_e32 vcc, 5, v3
	v_add_f32_e32 v12, 0x40c00000, v8
	v_mul_f32_e32 v6, v9, v6
	v_cndmask_b32_e32 v9, 1.0, v11, vcc
	v_cmp_lt_i32_e32 vcc, 6, v3
	v_mul_f32_e32 v6, v9, v6
	v_cndmask_b32_e32 v3, 1.0, v12, vcc
	v_mul_f32_e32 v3, v3, v6
	s_mov_b32 s0, 0x800000
	v_cmp_gt_f32_e32 vcc, s0, v3
	v_cndmask_b32_e64 v6, 0, 32, vcc
	v_fma_f32 v5, v8, v5, 1.0
	v_ldexp_f32 v3, v3, v6
	v_rcp_f32_e32 v5, v5
	v_log_f32_e32 v3, v3
	s_mov_b32 s0, 0x3f317217
	v_mul_f32_e32 v4, v4, v5
	v_mul_f32_e32 v5, 0x3f317217, v3
	v_fma_f32 v6, v3, s0, -v5
	v_fmac_f32_e32 v6, 0x3377d1cf, v3
	s_mov_b32 s0, 0x7f800000
	v_add_f32_e32 v5, v5, v6
	v_cmp_lt_f32_e64 s[0:1], |v3|, s0
	v_cndmask_b32_e64 v3, v3, v5, s[0:1]
	v_mov_b32_e32 v5, 0x41b17218
	v_cndmask_b32_e32 v5, 0, v5, vcc
	v_fmac_f32_e32 v4, 0.5, v8
	v_sub_f32_e32 v3, v3, v5
	v_add_f32_e32 v3, v3, v4
.LBB162_771:
	s_or_b64 exec, exec, s[6:7]
.LBB162_772:
	s_andn2_saveexec_b64 s[4:5], s[4:5]
	s_cbranch_execz .LBB162_790
; %bb.773:
	s_mov_b32 s0, 0x3f666666
	v_cmp_le_f32_e64 s[0:1], |v1|, s0
                                        ; implicit-def: $vgpr3
                                        ; implicit-def: $vgpr5
                                        ; implicit-def: $vgpr4
	s_and_saveexec_b64 s[6:7], s[0:1]
	s_xor_b64 s[6:7], exec, s[6:7]
	s_cbranch_execz .LBB162_775
; %bb.774:
	s_mov_b32 s0, 0x800000
	v_cmp_lt_f32_e64 vcc, |v1|, s0
	v_cndmask_b32_e64 v3, 0, 32, vcc
	v_ldexp_f32 v3, |v1|, v3
	v_log_f32_e32 v3, v3
	s_mov_b32 s0, 0x3f317217
	s_mov_b32 s1, 0x7f800000
	v_mul_f32_e32 v4, 0x3f317217, v3
	v_fma_f32 v5, v3, s0, -v4
	v_fmac_f32_e32 v5, 0x3377d1cf, v3
	v_add_f32_e32 v4, v4, v5
	v_cmp_lt_f32_e64 s[0:1], |v3|, s1
	v_cndmask_b32_e64 v3, v3, v4, s[0:1]
	v_mov_b32_e32 v4, 0x41b17218
	v_cndmask_b32_e32 v4, 0, v4, vcc
	s_mov_b32 s0, 0x3f3b4a23
	s_mov_b32 s1, 0xbeec5b0c
	v_sub_f32_e32 v3, v3, v4
	v_sub_f32_e64 v4, 1.0, |v1|
	v_add_f32_e64 v5, |v1|, s1
	v_cmp_lt_f32_e64 vcc, |v1|, s0
	s_mov_b32 s0, 0x3e6d3309
	v_cndmask_b32_e32 v4, v4, v5, vcc
	v_cndmask_b32_e64 v5, 0, 1, vcc
	v_cmp_lt_f32_e64 s[0:1], |v1|, s0
	v_xor_b32_e32 v3, 0x80000000, v3
	v_cndmask_b32_e64 v4, v4, |v1|, s[0:1]
	v_cndmask_b32_e64 v5, v5, 2, s[0:1]
.LBB162_775:
	s_andn2_saveexec_b64 s[0:1], s[6:7]
	s_cbranch_execz .LBB162_777
; %bb.776:
	s_mov_b32 s6, 0x3fdda512
	s_mov_b32 s7, 0xbfbb16c3
	v_sub_f32_e64 v3, 2.0, |v1|
	v_add_f32_e64 v4, |v1|, s7
	v_cmp_lt_f32_e64 vcc, |v1|, s6
	v_cndmask_b32_e32 v4, v3, v4, vcc
	v_cndmask_b32_e64 v3, v3, 1.0, vcc
	v_cvt_i32_f32_e32 v3, v3
	s_mov_b32 s6, 0x3f9d70a4
	v_add_f32_e64 v5, |v1|, -1.0
	v_cmp_lt_f32_e64 vcc, |v1|, s6
	v_cndmask_b32_e32 v4, v4, v5, vcc
	v_cndmask_b32_e64 v5, v3, 2, vcc
	v_mov_b32_e32 v3, 0
.LBB162_777:
	s_or_b64 exec, exec, s[0:1]
	v_cmp_lt_i32_e32 vcc, 0, v5
	s_and_saveexec_b64 s[0:1], vcc
	s_xor_b64 s[0:1], exec, s[0:1]
	s_cbranch_execz .LBB162_785
; %bb.778:
	v_cmp_lt_i32_e32 vcc, 1, v5
	s_and_saveexec_b64 s[6:7], vcc
	s_xor_b64 s[6:7], exec, s[6:7]
	s_cbranch_execz .LBB162_782
; %bb.779:
	v_cmp_eq_u32_e32 vcc, 2, v5
	s_and_saveexec_b64 s[8:9], vcc
	s_cbranch_execz .LBB162_781
; %bb.780:
	v_mov_b32_e32 v5, 0x3e6a7578
	v_fmac_f32_e32 v5, 0x3c5b3c5e, v4
	v_mov_b32_e32 v6, 0x3f7a4bb2
	v_fmac_f32_e32 v6, v4, v5
	;; [unrolled: 2-line block ×8, first 2 shown]
	v_fma_f32 v5, v4, v8, 1.0
	v_rcp_f32_e32 v5, v5
	v_mov_b32_e32 v8, 0xbd9e233f
	v_fmac_f32_e32 v8, v4, v6
	v_mul_f32_e32 v6, v4, v8
	v_mul_f32_e32 v5, v6, v5
	v_fmac_f32_e32 v5, -0.5, v4
	v_add_f32_e32 v3, v3, v5
.LBB162_781:
	s_or_b64 exec, exec, s[8:9]
                                        ; implicit-def: $vgpr4
.LBB162_782:
	s_andn2_saveexec_b64 s[6:7], s[6:7]
	s_cbranch_execz .LBB162_784
; %bb.783:
	v_mul_f32_e32 v5, v4, v4
	v_mul_f32_e32 v6, v4, v5
	v_mov_b32_e32 v8, 0xbab7f476
	v_fmac_f32_e32 v8, 0x39a57b6b, v6
	v_mov_b32_e32 v9, 0x3bc7e707
	v_fmac_f32_e32 v9, v6, v8
	;; [unrolled: 2-line block ×12, first 2 shown]
	v_fmac_f32_e32 v10, v4, v11
	s_mov_b32 s8, 0xa2863e55
	v_fma_f32 v4, v6, -v10, s8
	v_fma_f32 v4, v5, v9, -v4
	v_add_f32_e32 v4, 0xbdf8cdce, v4
	v_add_f32_e32 v3, v3, v4
.LBB162_784:
	s_or_b64 exec, exec, s[6:7]
                                        ; implicit-def: $vgpr5
                                        ; implicit-def: $vgpr4
.LBB162_785:
	s_andn2_saveexec_b64 s[0:1], s[0:1]
	s_cbranch_execz .LBB162_789
; %bb.786:
	v_cmp_eq_u32_e32 vcc, 0, v5
	s_and_saveexec_b64 s[6:7], vcc
	s_cbranch_execz .LBB162_788
; %bb.787:
	v_mul_f32_e32 v5, v4, v4
	v_mov_b32_e32 v6, 0x39679767
	v_fmac_f32_e32 v6, 0x37d383a2, v5
	v_mov_b32_e32 v8, 0x3a9c54a1
	v_fmac_f32_e32 v8, v5, v6
	;; [unrolled: 2-line block ×10, first 2 shown]
	v_mul_f32_e32 v5, v5, v8
	v_fmac_f32_e32 v5, v4, v6
	v_fmac_f32_e32 v5, -0.5, v4
	v_add_f32_e32 v3, v3, v5
.LBB162_788:
	s_or_b64 exec, exec, s[6:7]
.LBB162_789:
	s_or_b64 exec, exec, s[0:1]
.LBB162_790:
	s_or_b64 exec, exec, s[4:5]
.LBB162_791:
	s_andn2_saveexec_b64 s[2:3], s[2:3]
	s_cbranch_execz .LBB162_793
; %bb.792:
	s_mov_b32 s0, 0x3e8a8991
	v_mov_b32_e32 v3, 0xbecd26ab
	v_fma_f32 v3, |v1|, s0, v3
	s_mov_b32 s0, 0x3f528d33
	v_fma_f32 v3, |v1|, v3, s0
	s_mov_b32 s0, 0x800000
	v_cmp_lt_f32_e64 vcc, |v1|, s0
	v_cndmask_b32_e64 v4, 0, 32, vcc
	v_ldexp_f32 v4, |v1|, v4
	v_log_f32_e32 v4, v4
	s_mov_b32 s0, 0xbf13c468
	v_fma_f32 v3, |v1|, v3, s0
	s_mov_b32 s0, 0x3f317217
	v_mul_f32_e32 v5, 0x3f317217, v4
	v_fma_f32 v6, v4, s0, -v5
	v_fmac_f32_e32 v6, 0x3377d1cf, v4
	s_mov_b32 s0, 0x7f800000
	v_add_f32_e32 v5, v5, v6
	v_cmp_lt_f32_e64 s[0:1], |v4|, s0
	v_cndmask_b32_e64 v4, v4, v5, s[0:1]
	v_mov_b32_e32 v5, 0x41b17218
	v_cndmask_b32_e32 v5, 0, v5, vcc
	v_sub_f32_e32 v4, v4, v5
	v_fma_f32 v3, |v1|, v3, -v4
.LBB162_793:
	s_or_b64 exec, exec, s[2:3]
	v_cmp_le_f32_e32 vcc, 0, v1
	v_cmp_nle_f32_e64 s[0:1], 0, v1
	s_and_saveexec_b64 s[2:3], s[0:1]
	s_xor_b64 s[4:5], exec, s[2:3]
	s_cbranch_execz .LBB162_797
; %bb.794:
	s_mov_b32 s0, 0x4b000000
	s_mov_b32 s2, 0x35000000
	v_cmp_lt_f32_e64 s[0:1], |v1|, s0
	v_cmp_gt_f32_e64 s[2:3], |v1|, s2
	s_and_b64 s[0:1], s[0:1], s[2:3]
	s_and_saveexec_b64 s[6:7], s[0:1]
	s_cbranch_execz .LBB162_796
; %bb.795:
	v_mul_f32_e64 v4, |v1|, 0.5
	v_floor_f32_e32 v5, v4
	v_sub_f32_e32 v5, v4, v5
	v_min_f32_e32 v5, 0x3f7fffff, v5
	s_mov_b32 s2, 0x7f800000
	v_add_f32_e32 v5, v5, v5
	v_cmp_neq_f32_e64 s[0:1], s2, v4
	v_cndmask_b32_e64 v4, 0, v5, s[0:1]
	v_cmp_gt_f32_e64 s[0:1], |v1|, 1.0
	v_cndmask_b32_e64 v4, |v1|, v4, s[0:1]
	v_add_f32_e32 v5, v4, v4
	v_rndne_f32_e32 v5, v5
	v_fmac_f32_e32 v4, -0.5, v5
	v_mul_f32_e32 v6, v4, v4
	v_mov_b32_e32 v8, 0xbf1f24be
	v_fmac_f32_e32 v8, 0x3e75aa41, v6
	v_mov_b32_e32 v9, 0x40234736
	v_fmac_f32_e32 v9, v6, v8
	;; [unrolled: 2-line block ×3, first 2 shown]
	v_mul_f32_e32 v9, v4, v6
	v_mul_f32_e32 v8, v9, v8
	v_fmac_f32_e32 v8, 0x40490fdb, v4
	v_mov_b32_e32 v4, 0x3e642e9d
	v_cvt_i32_f32_e32 v5, v5
	v_fmac_f32_e32 v4, 0x3d4be544, v6
	v_mov_b32_e32 v9, 0xbfaad1da
	v_fmac_f32_e32 v9, v6, v4
	v_mov_b32_e32 v4, 0x4081e0d3
	;; [unrolled: 2-line block ×3, first 2 shown]
	v_fmac_f32_e32 v9, v6, v4
	v_fma_f32 v4, v6, v9, 1.0
	v_and_b32_e32 v6, 1, v5
	v_cmp_eq_u32_e64 s[0:1], 0, v6
	v_cndmask_b32_e64 v4, v4, v8, s[0:1]
	v_lshlrev_b32_e32 v5, 30, v5
	s_brev_b32 s0, 1
	v_and_or_b32 v2, v5, s0, v2
	v_xor_b32_e32 v2, v2, v4
	v_xor_b32_e32 v2, v2, v1
	v_mul_f32_e32 v2, v1, v2
	v_frexp_mant_f32_e64 v4, |v2|
	v_rcp_f32_e32 v4, v4
	v_frexp_exp_i32_f32_e32 v2, v2
	v_sub_u32_e32 v2, 2, v2
	s_mov_b32 s0, 0x800000
	v_mul_f32_e32 v4, 0x3f490fdb, v4
	v_ldexp_f32 v2, v4, v2
	v_cmp_gt_f32_e64 s[0:1], s0, v2
	v_cndmask_b32_e64 v4, 0, 32, s[0:1]
	v_ldexp_f32 v2, v2, v4
	v_log_f32_e32 v2, v2
	s_mov_b32 s3, 0x3f317217
	v_mul_f32_e32 v4, 0x3f317217, v2
	v_fma_f32 v5, v2, s3, -v4
	v_fmac_f32_e32 v5, 0x3377d1cf, v2
	v_add_f32_e32 v4, v4, v5
	v_cmp_lt_f32_e64 s[2:3], |v2|, s2
	v_cndmask_b32_e64 v2, v2, v4, s[2:3]
	v_mov_b32_e32 v4, 0x41b17218
	v_cndmask_b32_e64 v4, 0, v4, s[0:1]
	v_sub_f32_e32 v2, v2, v4
	v_sub_f32_e32 v2, v2, v3
	v_floor_f32_e32 v3, v1
	v_sub_f32_e32 v3, v1, v3
	v_min_f32_e32 v3, 0x3f7fffff, v3
	v_mov_b32_e32 v4, 0x7f800000
	v_cmp_neq_f32_e64 s[0:1], 0, v3
	v_cndmask_b32_e64 v3, v4, v2, s[0:1]
.LBB162_796:
	s_or_b64 exec, exec, s[6:7]
.LBB162_797:
	s_andn2_saveexec_b64 s[4:5], s[4:5]
; %bb.798:
	v_cmp_eq_f32_e64 s[0:1], 1.0, v1
	v_cmp_eq_f32_e64 s[2:3], 2.0, v1
	s_or_b64 s[0:1], s[0:1], s[2:3]
	v_cndmask_b32_e64 v3, v3, 0, s[0:1]
; %bb.799:
	s_or_b64 exec, exec, s[4:5]
	s_mov_b32 s0, 0x4b000000
	v_cmp_lt_f32_e64 s[0:1], |v1|, s0
	v_mov_b32_e32 v2, 0x264
	v_mov_b32_e32 v4, 0x7f800000
	s_or_b64 vcc, vcc, s[0:1]
	v_cndmask_b32_e32 v3, v4, v3, vcc
	v_cmp_class_f32_e32 vcc, v1, v2
	v_cndmask_b32_e32 v2, v3, v4, vcc
	v_cmp_u_f32_e32 vcc, v1, v1
	v_cndmask_b32_e32 v1, v2, v1, vcc
	v_bfe_u32 v2, v1, 16, 1
	s_movk_i32 s0, 0x7fff
	v_add3_u32 v2, v1, v2, s0
	v_cmp_o_f32_e32 vcc, v1, v1
	v_mov_b32_e32 v1, 0x7fc0
	v_cndmask_b32_sdwa v1, v1, v2, vcc dst_sel:DWORD dst_unused:UNUSED_PAD src0_sel:DWORD src1_sel:WORD_1
	v_add_u32_e32 v7, 0x80, v7
	global_store_short v0, v1, s[16:17]
	s_or_b64 exec, exec, s[48:49]
	v_cmp_gt_i32_e32 vcc, s55, v7
	s_and_saveexec_b64 s[48:49], vcc
	s_cbranch_execz .LBB162_752
.LBB162_800:
	s_andn2_b64 vcc, exec, s[36:37]
	s_cbranch_vccnz .LBB162_805
; %bb.801:
	s_andn2_b64 vcc, exec, s[46:47]
	s_cbranch_vccnz .LBB162_806
; %bb.802:
	s_add_i32 s56, s56, 1
	s_cmp_eq_u32 s54, 2
	s_cbranch_scc1 .LBB162_807
; %bb.803:
	s_and_b32 s50, s56, 28
	v_mov_b32_e32 v2, 0
	s_mov_b32 s51, 0
	s_mov_b64 s[46:47], s[34:35]
	v_mov_b32_e32 v0, 0
	v_mov_b32_e32 v1, v7
.LBB162_804:                            ; =>This Inner Loop Header: Depth=1
	s_load_dwordx8 s[8:15], s[46:47], 0x4
	s_load_dwordx4 s[28:31], s[46:47], 0x24
	s_load_dwordx8 s[0:7], s[44:45], 0x0
	s_add_u32 s46, s46, 48
	s_addc_u32 s47, s47, 0
	s_waitcnt lgkmcnt(0)
	v_mul_hi_u32 v3, s9, v1
	s_add_i32 s51, s51, 4
	s_add_u32 s44, s44, 32
	s_addc_u32 s45, s45, 0
	v_add_u32_e32 v3, v1, v3
	v_lshrrev_b32_e32 v3, s10, v3
	v_mul_lo_u32 v4, v3, s8
	v_mul_hi_u32 v5, s12, v3
	s_cmp_eq_u32 s50, s51
	v_sub_u32_e32 v1, v1, v4
	v_add_u32_e32 v4, v3, v5
	v_mul_lo_u32 v5, v1, s0
	v_mul_lo_u32 v6, v1, s1
	v_lshrrev_b32_e32 v1, s13, v4
	v_mul_lo_u32 v4, v1, s11
	v_mul_hi_u32 v8, s15, v1
	v_sub_u32_e32 v3, v3, v4
	v_add_u32_e32 v4, v1, v8
	v_lshrrev_b32_e32 v4, s28, v4
	v_mul_hi_u32 v9, s30, v4
	v_mul_lo_u32 v10, v4, s14
	v_mul_lo_u32 v8, v3, s2
	;; [unrolled: 1-line block ×3, first 2 shown]
	v_sub_u32_e32 v10, v1, v10
	v_add_u32_e32 v1, v4, v9
	v_lshrrev_b32_e32 v1, s31, v1
	v_mul_lo_u32 v9, v1, s29
	v_mul_lo_u32 v11, v10, s4
	;; [unrolled: 1-line block ×3, first 2 shown]
	v_add3_u32 v0, v5, v0, v8
	v_sub_u32_e32 v4, v4, v9
	v_mul_lo_u32 v9, v4, s6
	v_mul_lo_u32 v4, v4, s7
	v_add3_u32 v2, v6, v2, v3
	v_add3_u32 v0, v11, v0, v9
	;; [unrolled: 1-line block ×3, first 2 shown]
	s_cbranch_scc0 .LBB162_804
	s_branch .LBB162_808
.LBB162_805:
                                        ; implicit-def: $vgpr0
                                        ; implicit-def: $vgpr2
	s_branch .LBB162_812
.LBB162_806:
	v_mov_b32_e32 v0, 0
	v_mov_b32_e32 v2, 0
	s_branch .LBB162_811
.LBB162_807:
	s_mov_b32 s50, 0
	v_mov_b32_e32 v0, 0
	v_mov_b32_e32 v2, 0
	;; [unrolled: 1-line block ×3, first 2 shown]
.LBB162_808:
	s_and_b32 s4, s56, 3
	s_cmp_eq_u32 s4, 0
	s_cbranch_scc1 .LBB162_811
; %bb.809:
	s_lshl_b32 s0, s50, 3
	s_add_u32 s0, s34, s0
	s_addc_u32 s1, s35, 0
	s_add_u32 s0, s0, 0xc4
	s_addc_u32 s1, s1, 0
	s_mul_i32 s2, s50, 12
	s_add_u32 s2, s34, s2
	s_addc_u32 s3, s35, 0
.LBB162_810:                            ; =>This Inner Loop Header: Depth=1
	s_load_dwordx2 s[6:7], s[2:3], 0x4
	s_load_dword s5, s[2:3], 0xc
	s_load_dwordx2 s[8:9], s[0:1], 0x0
	s_add_u32 s2, s2, 12
	s_addc_u32 s3, s3, 0
	s_waitcnt lgkmcnt(0)
	v_mul_hi_u32 v3, s7, v1
	s_add_u32 s0, s0, 8
	s_addc_u32 s1, s1, 0
	s_add_i32 s4, s4, -1
	v_add_u32_e32 v3, v1, v3
	v_lshrrev_b32_e32 v4, s5, v3
	v_mul_lo_u32 v3, v4, s6
	s_cmp_lg_u32 s4, 0
	v_sub_u32_e32 v3, v1, v3
	v_mad_u64_u32 v[0:1], s[6:7], v3, s8, v[0:1]
	v_mad_u64_u32 v[2:3], s[6:7], v3, s9, v[2:3]
	v_mov_b32_e32 v1, v4
	s_cbranch_scc1 .LBB162_810
.LBB162_811:
	s_cbranch_execnz .LBB162_814
.LBB162_812:
	s_waitcnt lgkmcnt(0)
	v_mul_hi_u32 v0, s25, v7
	s_andn2_b64 vcc, exec, s[42:43]
	v_add_u32_e32 v0, v7, v0
	v_lshrrev_b32_e32 v1, s26, v0
	v_mul_lo_u32 v0, v1, s24
	v_sub_u32_e32 v2, v7, v0
	v_mul_lo_u32 v0, v2, s20
	v_mul_lo_u32 v2, v2, s21
	s_cbranch_vccnz .LBB162_814
; %bb.813:
	v_mul_hi_u32 v3, s40, v1
	v_add_u32_e32 v3, v1, v3
	v_lshrrev_b32_e32 v3, s41, v3
	v_mul_lo_u32 v3, v3, s27
	v_sub_u32_e32 v3, v1, v3
	v_mad_u64_u32 v[0:1], s[0:1], v3, s22, v[0:1]
	v_mad_u64_u32 v[2:3], s[0:1], v3, s23, v[2:3]
.LBB162_814:
	s_waitcnt lgkmcnt(0)
	global_load_ushort v1, v2, s[18:19]
	s_mov_b32 s0, 0x3c800000
                                        ; implicit-def: $vgpr3
	s_waitcnt vmcnt(0)
	v_lshlrev_b32_e32 v1, 16, v1
	v_and_b32_e32 v2, 0x7fffffff, v1
	v_cmp_nlt_f32_e64 s[0:1], |v1|, s0
	s_and_saveexec_b64 s[2:3], s[0:1]
	s_xor_b64 s[2:3], exec, s[2:3]
	s_cbranch_execz .LBB162_844
; %bb.815:
	v_cmp_nlt_f32_e64 s[0:1], |v1|, 2.0
                                        ; implicit-def: $vgpr3
	s_and_saveexec_b64 s[4:5], s[0:1]
	s_xor_b64 s[4:5], exec, s[4:5]
	s_cbranch_execz .LBB162_825
; %bb.816:
	s_mov_b32 s0, 0x41000000
	v_cmp_nlt_f32_e64 s[0:1], |v1|, s0
                                        ; implicit-def: $vgpr3
	s_and_saveexec_b64 s[6:7], s[0:1]
	s_xor_b64 s[6:7], exec, s[6:7]
	s_cbranch_execz .LBB162_822
; %bb.817:
	s_mov_b32 s0, 0x5c800000
	v_cmp_nlt_f32_e64 s[0:1], |v1|, s0
                                        ; implicit-def: $vgpr3
	s_and_saveexec_b64 s[8:9], s[0:1]
	s_xor_b64 s[8:9], exec, s[8:9]
	s_cbranch_execz .LBB162_819
; %bb.818:
	s_mov_b32 s0, 0x800000
	v_cmp_lt_f32_e64 vcc, |v1|, s0
	v_cndmask_b32_e64 v3, 0, 32, vcc
	v_ldexp_f32 v3, |v1|, v3
	v_log_f32_e32 v3, v3
	s_mov_b32 s0, 0x3f317217
	s_mov_b32 s1, 0x7f800000
	v_mul_f32_e32 v4, 0x3f317217, v3
	v_fma_f32 v5, v3, s0, -v4
	v_fmac_f32_e32 v5, 0x3377d1cf, v3
	v_add_f32_e32 v4, v4, v5
	v_cmp_lt_f32_e64 s[0:1], |v3|, s1
	v_cndmask_b32_e64 v3, v3, v4, s[0:1]
	v_mov_b32_e32 v4, 0x41b17218
	v_cndmask_b32_e32 v4, 0, v4, vcc
	v_sub_f32_e32 v3, v3, v4
	v_fma_f32 v3, |v1|, v3, -|v1|
.LBB162_819:
	s_andn2_saveexec_b64 s[8:9], s[8:9]
	s_cbranch_execz .LBB162_821
; %bb.820:
	v_rcp_f32_e64 v4, |v1|
	v_mov_b32_e32 v3, 0x3a5b3dd2
	v_mov_b32_e32 v5, 0xba1c065c
	;; [unrolled: 1-line block ×3, first 2 shown]
	v_mul_f32_e32 v7, v4, v4
	v_fmac_f32_e32 v3, 0xbad5c4e8, v7
	v_fmac_f32_e32 v5, v7, v3
	s_mov_b32 s0, 0x800000
	v_fmac_f32_e32 v6, v7, v5
	v_mov_b32_e32 v3, 0xbb360b61
	v_cmp_lt_f32_e64 vcc, |v1|, s0
	v_fmac_f32_e32 v3, v7, v6
	v_cndmask_b32_e64 v6, 0, 32, vcc
	v_ldexp_f32 v6, |v1|, v6
	v_log_f32_e32 v6, v6
	v_mov_b32_e32 v5, 0x3daaaaab
	v_fmac_f32_e32 v5, v7, v3
	v_mov_b32_e32 v3, 0x3ed67f1d
	v_fmac_f32_e32 v3, v4, v5
	s_mov_b32 s0, 0x3f317217
	v_mul_f32_e32 v5, 0x3f317217, v6
	v_fma_f32 v7, v6, s0, -v5
	v_fmac_f32_e32 v7, 0x3377d1cf, v6
	s_mov_b32 s0, 0x7f800000
	v_add_f32_e32 v5, v5, v7
	v_cmp_lt_f32_e64 s[0:1], |v6|, s0
	v_cndmask_b32_e64 v5, v6, v5, s[0:1]
	v_mov_b32_e32 v6, 0x41b17218
	v_cndmask_b32_e32 v6, 0, v6, vcc
	v_sub_f32_e32 v5, v5, v6
	v_add_f32_e64 v4, |v1|, -0.5
	v_add_f32_e32 v5, -1.0, v5
	v_fmac_f32_e32 v3, v4, v5
.LBB162_821:
	s_or_b64 exec, exec, s[8:9]
.LBB162_822:
	s_andn2_saveexec_b64 s[6:7], s[6:7]
	s_cbranch_execz .LBB162_824
; %bb.823:
	v_cvt_i32_f32_e32 v3, v2
	v_mov_b32_e32 v4, 0x3af135b4
	v_mov_b32_e32 v5, 0x3cda40e4
	;; [unrolled: 1-line block ×3, first 2 shown]
	v_cvt_f32_i32_e32 v7, v3
	v_mov_b32_e32 v8, 0x3ea6cc7a
	v_mov_b32_e32 v9, 0x3e5c245a
	v_cmp_lt_i32_e32 vcc, 2, v3
	v_sub_f32_e64 v7, |v1|, v7
	v_fmac_f32_e32 v4, 0x3805ff67, v7
	v_fmac_f32_e32 v5, v7, v4
	;; [unrolled: 1-line block ×3, first 2 shown]
	v_mov_b32_e32 v5, 0x3a4beed6
	v_fmac_f32_e32 v8, v7, v6
	v_fmac_f32_e32 v5, 0x36f5d7bd, v7
	v_mov_b32_e32 v6, 0x3c98bf54
	v_fmac_f32_e32 v6, v7, v5
	v_mov_b32_e32 v5, 0x3e300f6e
	;; [unrolled: 2-line block ×4, first 2 shown]
	v_fmac_f32_e32 v5, v7, v6
	v_add_f32_e32 v6, 2.0, v7
	v_mov_b32_e32 v10, 0xbd9e233f
	v_fmac_f32_e32 v9, v7, v8
	v_add_f32_e32 v8, 0x40400000, v7
	v_cndmask_b32_e32 v6, 1.0, v6, vcc
	v_cmp_lt_i32_e32 vcc, 3, v3
	v_fmac_f32_e32 v10, v7, v9
	v_add_f32_e32 v9, 4.0, v7
	v_cndmask_b32_e32 v8, 1.0, v8, vcc
	v_cmp_lt_i32_e32 vcc, 4, v3
	v_mul_f32_e32 v4, v7, v10
	v_add_f32_e32 v10, 0x40a00000, v7
	v_mul_f32_e32 v6, v6, v8
	v_cndmask_b32_e32 v8, 1.0, v9, vcc
	v_cmp_lt_i32_e32 vcc, 5, v3
	v_add_f32_e32 v11, 0x40c00000, v7
	v_mul_f32_e32 v6, v8, v6
	v_cndmask_b32_e32 v8, 1.0, v10, vcc
	v_cmp_lt_i32_e32 vcc, 6, v3
	v_mul_f32_e32 v6, v8, v6
	v_cndmask_b32_e32 v3, 1.0, v11, vcc
	v_mul_f32_e32 v3, v3, v6
	s_mov_b32 s0, 0x800000
	v_cmp_gt_f32_e32 vcc, s0, v3
	v_cndmask_b32_e64 v6, 0, 32, vcc
	v_fma_f32 v5, v7, v5, 1.0
	v_ldexp_f32 v3, v3, v6
	v_rcp_f32_e32 v5, v5
	v_log_f32_e32 v3, v3
	s_mov_b32 s0, 0x3f317217
	v_mul_f32_e32 v4, v4, v5
	v_mul_f32_e32 v5, 0x3f317217, v3
	v_fma_f32 v6, v3, s0, -v5
	v_fmac_f32_e32 v6, 0x3377d1cf, v3
	s_mov_b32 s0, 0x7f800000
	v_add_f32_e32 v5, v5, v6
	v_cmp_lt_f32_e64 s[0:1], |v3|, s0
	v_cndmask_b32_e64 v3, v3, v5, s[0:1]
	v_mov_b32_e32 v5, 0x41b17218
	v_cndmask_b32_e32 v5, 0, v5, vcc
	v_fmac_f32_e32 v4, 0.5, v7
	v_sub_f32_e32 v3, v3, v5
	v_add_f32_e32 v3, v3, v4
.LBB162_824:
	s_or_b64 exec, exec, s[6:7]
.LBB162_825:
	s_andn2_saveexec_b64 s[4:5], s[4:5]
	s_cbranch_execz .LBB162_843
; %bb.826:
	s_mov_b32 s0, 0x3f666666
	v_cmp_le_f32_e64 s[0:1], |v1|, s0
                                        ; implicit-def: $vgpr3
                                        ; implicit-def: $vgpr5
                                        ; implicit-def: $vgpr4
	s_and_saveexec_b64 s[6:7], s[0:1]
	s_xor_b64 s[6:7], exec, s[6:7]
	s_cbranch_execz .LBB162_828
; %bb.827:
	s_mov_b32 s0, 0x800000
	v_cmp_lt_f32_e64 vcc, |v1|, s0
	v_cndmask_b32_e64 v3, 0, 32, vcc
	v_ldexp_f32 v3, |v1|, v3
	v_log_f32_e32 v3, v3
	s_mov_b32 s0, 0x3f317217
	s_mov_b32 s1, 0x7f800000
	v_mul_f32_e32 v4, 0x3f317217, v3
	v_fma_f32 v5, v3, s0, -v4
	v_fmac_f32_e32 v5, 0x3377d1cf, v3
	v_add_f32_e32 v4, v4, v5
	v_cmp_lt_f32_e64 s[0:1], |v3|, s1
	v_cndmask_b32_e64 v3, v3, v4, s[0:1]
	v_mov_b32_e32 v4, 0x41b17218
	v_cndmask_b32_e32 v4, 0, v4, vcc
	s_mov_b32 s0, 0x3f3b4a23
	s_mov_b32 s1, 0xbeec5b0c
	v_sub_f32_e32 v3, v3, v4
	v_sub_f32_e64 v4, 1.0, |v1|
	v_add_f32_e64 v5, |v1|, s1
	v_cmp_lt_f32_e64 vcc, |v1|, s0
	s_mov_b32 s0, 0x3e6d3309
	v_cndmask_b32_e32 v4, v4, v5, vcc
	v_cndmask_b32_e64 v5, 0, 1, vcc
	v_cmp_lt_f32_e64 s[0:1], |v1|, s0
	v_xor_b32_e32 v3, 0x80000000, v3
	v_cndmask_b32_e64 v4, v4, |v1|, s[0:1]
	v_cndmask_b32_e64 v5, v5, 2, s[0:1]
.LBB162_828:
	s_andn2_saveexec_b64 s[0:1], s[6:7]
	s_cbranch_execz .LBB162_830
; %bb.829:
	s_mov_b32 s6, 0x3fdda512
	s_mov_b32 s7, 0xbfbb16c3
	v_sub_f32_e64 v3, 2.0, |v1|
	v_add_f32_e64 v4, |v1|, s7
	v_cmp_lt_f32_e64 vcc, |v1|, s6
	v_cndmask_b32_e32 v4, v3, v4, vcc
	v_cndmask_b32_e64 v3, v3, 1.0, vcc
	v_cvt_i32_f32_e32 v3, v3
	s_mov_b32 s6, 0x3f9d70a4
	v_add_f32_e64 v5, |v1|, -1.0
	v_cmp_lt_f32_e64 vcc, |v1|, s6
	v_cndmask_b32_e32 v4, v4, v5, vcc
	v_cndmask_b32_e64 v5, v3, 2, vcc
	v_mov_b32_e32 v3, 0
.LBB162_830:
	s_or_b64 exec, exec, s[0:1]
	v_cmp_lt_i32_e32 vcc, 0, v5
	s_and_saveexec_b64 s[0:1], vcc
	s_xor_b64 s[0:1], exec, s[0:1]
	s_cbranch_execz .LBB162_838
; %bb.831:
	v_cmp_lt_i32_e32 vcc, 1, v5
	s_and_saveexec_b64 s[6:7], vcc
	s_xor_b64 s[6:7], exec, s[6:7]
	s_cbranch_execz .LBB162_835
; %bb.832:
	v_cmp_eq_u32_e32 vcc, 2, v5
	s_and_saveexec_b64 s[8:9], vcc
	s_cbranch_execz .LBB162_834
; %bb.833:
	v_mov_b32_e32 v5, 0x3e6a7578
	v_fmac_f32_e32 v5, 0x3c5b3c5e, v4
	v_mov_b32_e32 v6, 0x3f7a4bb2
	v_fmac_f32_e32 v6, v4, v5
	;; [unrolled: 2-line block ×8, first 2 shown]
	v_fma_f32 v5, v4, v7, 1.0
	v_rcp_f32_e32 v5, v5
	v_mov_b32_e32 v7, 0xbd9e233f
	v_fmac_f32_e32 v7, v4, v6
	v_mul_f32_e32 v6, v4, v7
	v_mul_f32_e32 v5, v6, v5
	v_fmac_f32_e32 v5, -0.5, v4
	v_add_f32_e32 v3, v3, v5
.LBB162_834:
	s_or_b64 exec, exec, s[8:9]
                                        ; implicit-def: $vgpr4
.LBB162_835:
	s_andn2_saveexec_b64 s[6:7], s[6:7]
	s_cbranch_execz .LBB162_837
; %bb.836:
	v_mul_f32_e32 v5, v4, v4
	v_mul_f32_e32 v6, v4, v5
	v_mov_b32_e32 v7, 0xbab7f476
	v_fmac_f32_e32 v7, 0x39a57b6b, v6
	v_mov_b32_e32 v8, 0x3bc7e707
	v_fmac_f32_e32 v8, v6, v7
	;; [unrolled: 2-line block ×12, first 2 shown]
	v_fmac_f32_e32 v9, v4, v10
	s_mov_b32 s8, 0xa2863e55
	v_fma_f32 v4, v6, -v9, s8
	v_fma_f32 v4, v5, v8, -v4
	v_add_f32_e32 v4, 0xbdf8cdce, v4
	v_add_f32_e32 v3, v3, v4
.LBB162_837:
	s_or_b64 exec, exec, s[6:7]
                                        ; implicit-def: $vgpr5
                                        ; implicit-def: $vgpr4
.LBB162_838:
	s_andn2_saveexec_b64 s[0:1], s[0:1]
	s_cbranch_execz .LBB162_842
; %bb.839:
	v_cmp_eq_u32_e32 vcc, 0, v5
	s_and_saveexec_b64 s[6:7], vcc
	s_cbranch_execz .LBB162_841
; %bb.840:
	v_mul_f32_e32 v5, v4, v4
	v_mov_b32_e32 v6, 0x39679767
	v_fmac_f32_e32 v6, 0x37d383a2, v5
	v_mov_b32_e32 v7, 0x3a9c54a1
	v_fmac_f32_e32 v7, v5, v6
	;; [unrolled: 2-line block ×10, first 2 shown]
	v_mul_f32_e32 v5, v5, v7
	v_fmac_f32_e32 v5, v4, v6
	v_fmac_f32_e32 v5, -0.5, v4
	v_add_f32_e32 v3, v3, v5
.LBB162_841:
	s_or_b64 exec, exec, s[6:7]
.LBB162_842:
	s_or_b64 exec, exec, s[0:1]
.LBB162_843:
	s_or_b64 exec, exec, s[4:5]
.LBB162_844:
	s_andn2_saveexec_b64 s[2:3], s[2:3]
	s_cbranch_execz .LBB162_846
; %bb.845:
	s_mov_b32 s0, 0x3e8a8991
	v_mov_b32_e32 v3, 0xbecd26ab
	v_fma_f32 v3, |v1|, s0, v3
	s_mov_b32 s0, 0x3f528d33
	v_fma_f32 v3, |v1|, v3, s0
	s_mov_b32 s0, 0x800000
	v_cmp_lt_f32_e64 vcc, |v1|, s0
	v_cndmask_b32_e64 v4, 0, 32, vcc
	v_ldexp_f32 v4, |v1|, v4
	v_log_f32_e32 v4, v4
	s_mov_b32 s0, 0xbf13c468
	v_fma_f32 v3, |v1|, v3, s0
	s_mov_b32 s0, 0x3f317217
	v_mul_f32_e32 v5, 0x3f317217, v4
	v_fma_f32 v6, v4, s0, -v5
	v_fmac_f32_e32 v6, 0x3377d1cf, v4
	s_mov_b32 s0, 0x7f800000
	v_add_f32_e32 v5, v5, v6
	v_cmp_lt_f32_e64 s[0:1], |v4|, s0
	v_cndmask_b32_e64 v4, v4, v5, s[0:1]
	v_mov_b32_e32 v5, 0x41b17218
	v_cndmask_b32_e32 v5, 0, v5, vcc
	v_sub_f32_e32 v4, v4, v5
	v_fma_f32 v3, |v1|, v3, -v4
.LBB162_846:
	s_or_b64 exec, exec, s[2:3]
	v_cmp_le_f32_e32 vcc, 0, v1
	v_cmp_nle_f32_e64 s[0:1], 0, v1
	s_and_saveexec_b64 s[2:3], s[0:1]
	s_xor_b64 s[4:5], exec, s[2:3]
	s_cbranch_execz .LBB162_850
; %bb.847:
	s_mov_b32 s0, 0x4b000000
	s_mov_b32 s2, 0x35000000
	v_cmp_lt_f32_e64 s[0:1], |v1|, s0
	v_cmp_gt_f32_e64 s[2:3], |v1|, s2
	s_and_b64 s[0:1], s[0:1], s[2:3]
	s_and_saveexec_b64 s[6:7], s[0:1]
	s_cbranch_execz .LBB162_849
; %bb.848:
	v_mul_f32_e64 v4, |v1|, 0.5
	v_floor_f32_e32 v5, v4
	v_sub_f32_e32 v5, v4, v5
	v_min_f32_e32 v5, 0x3f7fffff, v5
	s_mov_b32 s2, 0x7f800000
	v_add_f32_e32 v5, v5, v5
	v_cmp_neq_f32_e64 s[0:1], s2, v4
	v_cndmask_b32_e64 v4, 0, v5, s[0:1]
	v_cmp_gt_f32_e64 s[0:1], |v1|, 1.0
	v_cndmask_b32_e64 v4, |v1|, v4, s[0:1]
	v_add_f32_e32 v5, v4, v4
	v_rndne_f32_e32 v5, v5
	v_fmac_f32_e32 v4, -0.5, v5
	v_mul_f32_e32 v6, v4, v4
	v_mov_b32_e32 v7, 0xbf1f24be
	v_fmac_f32_e32 v7, 0x3e75aa41, v6
	v_mov_b32_e32 v8, 0x40234736
	v_fmac_f32_e32 v8, v6, v7
	;; [unrolled: 2-line block ×3, first 2 shown]
	v_mul_f32_e32 v8, v4, v6
	v_mul_f32_e32 v7, v8, v7
	v_fmac_f32_e32 v7, 0x40490fdb, v4
	v_mov_b32_e32 v4, 0x3e642e9d
	v_cvt_i32_f32_e32 v5, v5
	v_fmac_f32_e32 v4, 0x3d4be544, v6
	v_mov_b32_e32 v8, 0xbfaad1da
	v_fmac_f32_e32 v8, v6, v4
	v_mov_b32_e32 v4, 0x4081e0d3
	;; [unrolled: 2-line block ×3, first 2 shown]
	v_fmac_f32_e32 v8, v6, v4
	v_fma_f32 v4, v6, v8, 1.0
	v_and_b32_e32 v6, 1, v5
	v_cmp_eq_u32_e64 s[0:1], 0, v6
	v_cndmask_b32_e64 v4, v4, v7, s[0:1]
	v_lshlrev_b32_e32 v5, 30, v5
	s_brev_b32 s0, 1
	v_and_or_b32 v2, v5, s0, v2
	v_xor_b32_e32 v2, v2, v4
	v_xor_b32_e32 v2, v2, v1
	v_mul_f32_e32 v2, v1, v2
	v_frexp_mant_f32_e64 v4, |v2|
	v_rcp_f32_e32 v4, v4
	v_frexp_exp_i32_f32_e32 v2, v2
	v_sub_u32_e32 v2, 2, v2
	s_mov_b32 s0, 0x800000
	v_mul_f32_e32 v4, 0x3f490fdb, v4
	v_ldexp_f32 v2, v4, v2
	v_cmp_gt_f32_e64 s[0:1], s0, v2
	v_cndmask_b32_e64 v4, 0, 32, s[0:1]
	v_ldexp_f32 v2, v2, v4
	v_log_f32_e32 v2, v2
	s_mov_b32 s3, 0x3f317217
	v_mul_f32_e32 v4, 0x3f317217, v2
	v_fma_f32 v5, v2, s3, -v4
	v_fmac_f32_e32 v5, 0x3377d1cf, v2
	v_add_f32_e32 v4, v4, v5
	v_cmp_lt_f32_e64 s[2:3], |v2|, s2
	v_cndmask_b32_e64 v2, v2, v4, s[2:3]
	v_mov_b32_e32 v4, 0x41b17218
	v_cndmask_b32_e64 v4, 0, v4, s[0:1]
	v_sub_f32_e32 v2, v2, v4
	v_sub_f32_e32 v2, v2, v3
	v_floor_f32_e32 v3, v1
	v_sub_f32_e32 v3, v1, v3
	v_min_f32_e32 v3, 0x3f7fffff, v3
	v_mov_b32_e32 v4, 0x7f800000
	v_cmp_neq_f32_e64 s[0:1], 0, v3
	v_cndmask_b32_e64 v3, v4, v2, s[0:1]
.LBB162_849:
	s_or_b64 exec, exec, s[6:7]
.LBB162_850:
	s_andn2_saveexec_b64 s[4:5], s[4:5]
; %bb.851:
	v_cmp_eq_f32_e64 s[0:1], 1.0, v1
	v_cmp_eq_f32_e64 s[2:3], 2.0, v1
	s_or_b64 s[0:1], s[0:1], s[2:3]
	v_cndmask_b32_e64 v3, v3, 0, s[0:1]
; %bb.852:
	s_or_b64 exec, exec, s[4:5]
	s_mov_b32 s0, 0x4b000000
	v_cmp_lt_f32_e64 s[0:1], |v1|, s0
	v_mov_b32_e32 v2, 0x264
	v_mov_b32_e32 v4, 0x7f800000
	s_or_b64 vcc, vcc, s[0:1]
	v_cndmask_b32_e32 v3, v4, v3, vcc
	v_cmp_class_f32_e32 vcc, v1, v2
	v_cndmask_b32_e32 v2, v3, v4, vcc
	v_cmp_u_f32_e32 vcc, v1, v1
	v_cndmask_b32_e32 v1, v2, v1, vcc
	v_bfe_u32 v2, v1, 16, 1
	s_movk_i32 s0, 0x7fff
	v_add3_u32 v2, v1, v2, s0
	v_cmp_o_f32_e32 vcc, v1, v1
	v_mov_b32_e32 v1, 0x7fc0
	v_cndmask_b32_sdwa v1, v1, v2, vcc dst_sel:DWORD dst_unused:UNUSED_PAD src0_sel:DWORD src1_sel:WORD_1
	global_store_short v0, v1, s[16:17]
	s_or_b64 exec, exec, s[48:49]
                                        ; implicit-def: $vgpr25
                                        ; implicit-def: $vgpr7
	s_andn2_saveexec_b64 s[0:1], s[38:39]
	s_cbranch_execz .LBB162_753
	s_branch .LBB162_8
	.section	.rodata,"a",@progbits
	.p2align	6, 0x0
	.amdhsa_kernel _ZN2at6native32elementwise_kernel_manual_unrollILi128ELi8EZNS0_22gpu_kernel_impl_nocastIZZZNS0_18lgamma_kernel_cudaERNS_18TensorIteratorBaseEENKUlvE_clEvENKUlvE2_clEvEUlN3c108BFloat16EE_EEvS4_RKT_EUlibE_EEviT1_
		.amdhsa_group_segment_fixed_size 0
		.amdhsa_private_segment_fixed_size 0
		.amdhsa_kernarg_size 360
		.amdhsa_user_sgpr_count 6
		.amdhsa_user_sgpr_private_segment_buffer 1
		.amdhsa_user_sgpr_dispatch_ptr 0
		.amdhsa_user_sgpr_queue_ptr 0
		.amdhsa_user_sgpr_kernarg_segment_ptr 1
		.amdhsa_user_sgpr_dispatch_id 0
		.amdhsa_user_sgpr_flat_scratch_init 0
		.amdhsa_user_sgpr_private_segment_size 0
		.amdhsa_uses_dynamic_stack 0
		.amdhsa_system_sgpr_private_segment_wavefront_offset 0
		.amdhsa_system_sgpr_workgroup_id_x 1
		.amdhsa_system_sgpr_workgroup_id_y 0
		.amdhsa_system_sgpr_workgroup_id_z 0
		.amdhsa_system_sgpr_workgroup_info 0
		.amdhsa_system_vgpr_workitem_id 0
		.amdhsa_next_free_vgpr 33
		.amdhsa_next_free_sgpr 60
		.amdhsa_reserve_vcc 1
		.amdhsa_reserve_flat_scratch 0
		.amdhsa_float_round_mode_32 0
		.amdhsa_float_round_mode_16_64 0
		.amdhsa_float_denorm_mode_32 3
		.amdhsa_float_denorm_mode_16_64 3
		.amdhsa_dx10_clamp 1
		.amdhsa_ieee_mode 1
		.amdhsa_fp16_overflow 0
		.amdhsa_exception_fp_ieee_invalid_op 0
		.amdhsa_exception_fp_denorm_src 0
		.amdhsa_exception_fp_ieee_div_zero 0
		.amdhsa_exception_fp_ieee_overflow 0
		.amdhsa_exception_fp_ieee_underflow 0
		.amdhsa_exception_fp_ieee_inexact 0
		.amdhsa_exception_int_div_zero 0
	.end_amdhsa_kernel
	.section	.text._ZN2at6native32elementwise_kernel_manual_unrollILi128ELi8EZNS0_22gpu_kernel_impl_nocastIZZZNS0_18lgamma_kernel_cudaERNS_18TensorIteratorBaseEENKUlvE_clEvENKUlvE2_clEvEUlN3c108BFloat16EE_EEvS4_RKT_EUlibE_EEviT1_,"axG",@progbits,_ZN2at6native32elementwise_kernel_manual_unrollILi128ELi8EZNS0_22gpu_kernel_impl_nocastIZZZNS0_18lgamma_kernel_cudaERNS_18TensorIteratorBaseEENKUlvE_clEvENKUlvE2_clEvEUlN3c108BFloat16EE_EEvS4_RKT_EUlibE_EEviT1_,comdat
.Lfunc_end162:
	.size	_ZN2at6native32elementwise_kernel_manual_unrollILi128ELi8EZNS0_22gpu_kernel_impl_nocastIZZZNS0_18lgamma_kernel_cudaERNS_18TensorIteratorBaseEENKUlvE_clEvENKUlvE2_clEvEUlN3c108BFloat16EE_EEvS4_RKT_EUlibE_EEviT1_, .Lfunc_end162-_ZN2at6native32elementwise_kernel_manual_unrollILi128ELi8EZNS0_22gpu_kernel_impl_nocastIZZZNS0_18lgamma_kernel_cudaERNS_18TensorIteratorBaseEENKUlvE_clEvENKUlvE2_clEvEUlN3c108BFloat16EE_EEvS4_RKT_EUlibE_EEviT1_
                                        ; -- End function
	.set _ZN2at6native32elementwise_kernel_manual_unrollILi128ELi8EZNS0_22gpu_kernel_impl_nocastIZZZNS0_18lgamma_kernel_cudaERNS_18TensorIteratorBaseEENKUlvE_clEvENKUlvE2_clEvEUlN3c108BFloat16EE_EEvS4_RKT_EUlibE_EEviT1_.num_vgpr, 33
	.set _ZN2at6native32elementwise_kernel_manual_unrollILi128ELi8EZNS0_22gpu_kernel_impl_nocastIZZZNS0_18lgamma_kernel_cudaERNS_18TensorIteratorBaseEENKUlvE_clEvENKUlvE2_clEvEUlN3c108BFloat16EE_EEvS4_RKT_EUlibE_EEviT1_.num_agpr, 0
	.set _ZN2at6native32elementwise_kernel_manual_unrollILi128ELi8EZNS0_22gpu_kernel_impl_nocastIZZZNS0_18lgamma_kernel_cudaERNS_18TensorIteratorBaseEENKUlvE_clEvENKUlvE2_clEvEUlN3c108BFloat16EE_EEvS4_RKT_EUlibE_EEviT1_.numbered_sgpr, 60
	.set _ZN2at6native32elementwise_kernel_manual_unrollILi128ELi8EZNS0_22gpu_kernel_impl_nocastIZZZNS0_18lgamma_kernel_cudaERNS_18TensorIteratorBaseEENKUlvE_clEvENKUlvE2_clEvEUlN3c108BFloat16EE_EEvS4_RKT_EUlibE_EEviT1_.num_named_barrier, 0
	.set _ZN2at6native32elementwise_kernel_manual_unrollILi128ELi8EZNS0_22gpu_kernel_impl_nocastIZZZNS0_18lgamma_kernel_cudaERNS_18TensorIteratorBaseEENKUlvE_clEvENKUlvE2_clEvEUlN3c108BFloat16EE_EEvS4_RKT_EUlibE_EEviT1_.private_seg_size, 0
	.set _ZN2at6native32elementwise_kernel_manual_unrollILi128ELi8EZNS0_22gpu_kernel_impl_nocastIZZZNS0_18lgamma_kernel_cudaERNS_18TensorIteratorBaseEENKUlvE_clEvENKUlvE2_clEvEUlN3c108BFloat16EE_EEvS4_RKT_EUlibE_EEviT1_.uses_vcc, 1
	.set _ZN2at6native32elementwise_kernel_manual_unrollILi128ELi8EZNS0_22gpu_kernel_impl_nocastIZZZNS0_18lgamma_kernel_cudaERNS_18TensorIteratorBaseEENKUlvE_clEvENKUlvE2_clEvEUlN3c108BFloat16EE_EEvS4_RKT_EUlibE_EEviT1_.uses_flat_scratch, 0
	.set _ZN2at6native32elementwise_kernel_manual_unrollILi128ELi8EZNS0_22gpu_kernel_impl_nocastIZZZNS0_18lgamma_kernel_cudaERNS_18TensorIteratorBaseEENKUlvE_clEvENKUlvE2_clEvEUlN3c108BFloat16EE_EEvS4_RKT_EUlibE_EEviT1_.has_dyn_sized_stack, 0
	.set _ZN2at6native32elementwise_kernel_manual_unrollILi128ELi8EZNS0_22gpu_kernel_impl_nocastIZZZNS0_18lgamma_kernel_cudaERNS_18TensorIteratorBaseEENKUlvE_clEvENKUlvE2_clEvEUlN3c108BFloat16EE_EEvS4_RKT_EUlibE_EEviT1_.has_recursion, 0
	.set _ZN2at6native32elementwise_kernel_manual_unrollILi128ELi8EZNS0_22gpu_kernel_impl_nocastIZZZNS0_18lgamma_kernel_cudaERNS_18TensorIteratorBaseEENKUlvE_clEvENKUlvE2_clEvEUlN3c108BFloat16EE_EEvS4_RKT_EUlibE_EEviT1_.has_indirect_call, 0
	.section	.AMDGPU.csdata,"",@progbits
; Kernel info:
; codeLenInByte = 53776
; TotalNumSgprs: 64
; NumVgprs: 33
; ScratchSize: 0
; MemoryBound: 0
; FloatMode: 240
; IeeeMode: 1
; LDSByteSize: 0 bytes/workgroup (compile time only)
; SGPRBlocks: 7
; VGPRBlocks: 8
; NumSGPRsForWavesPerEU: 64
; NumVGPRsForWavesPerEU: 33
; Occupancy: 7
; WaveLimiterHint : 1
; COMPUTE_PGM_RSRC2:SCRATCH_EN: 0
; COMPUTE_PGM_RSRC2:USER_SGPR: 6
; COMPUTE_PGM_RSRC2:TRAP_HANDLER: 0
; COMPUTE_PGM_RSRC2:TGID_X_EN: 1
; COMPUTE_PGM_RSRC2:TGID_Y_EN: 0
; COMPUTE_PGM_RSRC2:TGID_Z_EN: 0
; COMPUTE_PGM_RSRC2:TIDIG_COMP_CNT: 0
	.section	.text._ZN2at6native32elementwise_kernel_manual_unrollILi128ELi4EZNS0_15gpu_kernel_implIZZZNS0_18lgamma_kernel_cudaERNS_18TensorIteratorBaseEENKUlvE_clEvENKUlvE2_clEvEUlN3c108BFloat16EE_EEvS4_RKT_EUlibE_EEviT1_,"axG",@progbits,_ZN2at6native32elementwise_kernel_manual_unrollILi128ELi4EZNS0_15gpu_kernel_implIZZZNS0_18lgamma_kernel_cudaERNS_18TensorIteratorBaseEENKUlvE_clEvENKUlvE2_clEvEUlN3c108BFloat16EE_EEvS4_RKT_EUlibE_EEviT1_,comdat
	.globl	_ZN2at6native32elementwise_kernel_manual_unrollILi128ELi4EZNS0_15gpu_kernel_implIZZZNS0_18lgamma_kernel_cudaERNS_18TensorIteratorBaseEENKUlvE_clEvENKUlvE2_clEvEUlN3c108BFloat16EE_EEvS4_RKT_EUlibE_EEviT1_ ; -- Begin function _ZN2at6native32elementwise_kernel_manual_unrollILi128ELi4EZNS0_15gpu_kernel_implIZZZNS0_18lgamma_kernel_cudaERNS_18TensorIteratorBaseEENKUlvE_clEvENKUlvE2_clEvEUlN3c108BFloat16EE_EEvS4_RKT_EUlibE_EEviT1_
	.p2align	8
	.type	_ZN2at6native32elementwise_kernel_manual_unrollILi128ELi4EZNS0_15gpu_kernel_implIZZZNS0_18lgamma_kernel_cudaERNS_18TensorIteratorBaseEENKUlvE_clEvENKUlvE2_clEvEUlN3c108BFloat16EE_EEvS4_RKT_EUlibE_EEviT1_,@function
_ZN2at6native32elementwise_kernel_manual_unrollILi128ELi4EZNS0_15gpu_kernel_implIZZZNS0_18lgamma_kernel_cudaERNS_18TensorIteratorBaseEENKUlvE_clEvENKUlvE2_clEvEUlN3c108BFloat16EE_EEvS4_RKT_EUlibE_EEviT1_: ; @_ZN2at6native32elementwise_kernel_manual_unrollILi128ELi4EZNS0_15gpu_kernel_implIZZZNS0_18lgamma_kernel_cudaERNS_18TensorIteratorBaseEENKUlvE_clEvENKUlvE2_clEvEUlN3c108BFloat16EE_EEvS4_RKT_EUlibE_EEviT1_
; %bb.0:
	v_mov_b32_e32 v1, 0
	global_load_ushort v1, v1, s[4:5] offset:33
	s_load_dwordx4 s[12:15], s[4:5], 0x8
	s_load_dwordx2 s[10:11], s[4:5], 0x18
	s_load_dword s38, s[4:5], 0x0
	v_lshl_or_b32 v2, s6, 9, v0
	v_or_b32_e32 v0, 0x180, v2
	s_mov_b64 s[8:9], 0
	s_mov_b64 s[16:17], 0
	s_waitcnt lgkmcnt(0)
	v_cmp_le_i32_e32 vcc, s38, v0
	s_waitcnt vmcnt(0)
	v_readfirstlane_b32 s33, v1
	s_and_b32 s0, 0xffff, s33
	s_lshr_b32 s42, s0, 8
	s_and_saveexec_b64 s[0:1], vcc
	s_xor_b64 s[4:5], exec, s[0:1]
	s_cbranch_execz .LBB163_1178
; %bb.1:
	v_cmp_gt_i32_e32 vcc, s38, v2
	s_mov_b64 s[2:3], -1
	s_mov_b64 s[22:23], 0
	s_mov_b64 s[6:7], 0
	s_and_saveexec_b64 s[18:19], vcc
	s_cbranch_execz .LBB163_289
; %bb.2:
	v_mul_lo_u32 v0, v2, s11
	v_mov_b32_e32 v1, s15
	s_and_b32 s20, 0xffff, s42
	s_cmp_lt_i32 s20, 11
	v_ashrrev_i32_e32 v3, 31, v0
	v_add_co_u32_e32 v0, vcc, s14, v0
	v_addc_co_u32_e32 v1, vcc, v1, v3, vcc
	s_cbranch_scc1 .LBB163_9
; %bb.3:
	s_cmp_gt_i32 s20, 25
	s_cbranch_scc0 .LBB163_56
; %bb.4:
	s_cmp_gt_i32 s20, 28
	s_cbranch_scc0 .LBB163_60
	;; [unrolled: 3-line block ×4, first 2 shown]
; %bb.7:
	s_cmp_eq_u32 s20, 46
	s_mov_b64 s[2:3], 0
	s_cbranch_scc0 .LBB163_65
; %bb.8:
	global_load_dword v3, v[0:1], off
	s_mov_b64 s[0:1], -1
	s_branch .LBB163_67
.LBB163_9:
                                        ; implicit-def: $vgpr3
	s_mov_b64 s[0:1], 0
	s_and_b64 vcc, exec, s[2:3]
	s_cbranch_vccnz .LBB163_240
.LBB163_10:
	s_andn2_b64 vcc, exec, s[0:1]
	s_cbranch_vccnz .LBB163_287
.LBB163_11:
	s_waitcnt vmcnt(0)
	v_lshlrev_b32_e32 v0, 16, v3
	s_mov_b32 s0, 0x3c800000
	v_and_b32_e32 v1, 0x7fffffff, v0
	v_cmp_nlt_f32_e64 s[0:1], |v0|, s0
                                        ; implicit-def: $vgpr3
	s_and_saveexec_b64 s[2:3], s[0:1]
	s_xor_b64 s[2:3], exec, s[2:3]
	s_cbranch_execz .LBB163_41
; %bb.12:
	v_cmp_nlt_f32_e64 s[0:1], |v0|, 2.0
                                        ; implicit-def: $vgpr3
	s_and_saveexec_b64 s[6:7], s[0:1]
	s_xor_b64 s[6:7], exec, s[6:7]
	s_cbranch_execz .LBB163_22
; %bb.13:
	s_mov_b32 s0, 0x41000000
	v_cmp_nlt_f32_e64 s[0:1], |v0|, s0
                                        ; implicit-def: $vgpr3
	s_and_saveexec_b64 s[20:21], s[0:1]
	s_xor_b64 s[20:21], exec, s[20:21]
	s_cbranch_execz .LBB163_19
; %bb.14:
	s_mov_b32 s0, 0x5c800000
	v_cmp_nlt_f32_e64 s[0:1], |v0|, s0
                                        ; implicit-def: $vgpr3
	s_and_saveexec_b64 s[24:25], s[0:1]
	s_xor_b64 s[24:25], exec, s[24:25]
	s_cbranch_execz .LBB163_16
; %bb.15:
	s_mov_b32 s0, 0x800000
	v_cmp_lt_f32_e64 vcc, |v0|, s0
	v_cndmask_b32_e64 v3, 0, 32, vcc
	v_ldexp_f32 v3, |v0|, v3
	v_log_f32_e32 v3, v3
	s_mov_b32 s0, 0x3f317217
	s_mov_b32 s1, 0x7f800000
	v_mul_f32_e32 v4, 0x3f317217, v3
	v_fma_f32 v5, v3, s0, -v4
	v_fmac_f32_e32 v5, 0x3377d1cf, v3
	v_add_f32_e32 v4, v4, v5
	v_cmp_lt_f32_e64 s[0:1], |v3|, s1
	v_cndmask_b32_e64 v3, v3, v4, s[0:1]
	v_mov_b32_e32 v4, 0x41b17218
	v_cndmask_b32_e32 v4, 0, v4, vcc
	v_sub_f32_e32 v3, v3, v4
	v_fma_f32 v3, |v0|, v3, -|v0|
.LBB163_16:
	s_andn2_saveexec_b64 s[24:25], s[24:25]
	s_cbranch_execz .LBB163_18
; %bb.17:
	v_rcp_f32_e64 v4, |v0|
	v_mov_b32_e32 v3, 0x3a5b3dd2
	v_mov_b32_e32 v5, 0xba1c065c
	;; [unrolled: 1-line block ×3, first 2 shown]
	v_mul_f32_e32 v7, v4, v4
	v_fmac_f32_e32 v3, 0xbad5c4e8, v7
	v_fmac_f32_e32 v5, v7, v3
	s_mov_b32 s0, 0x800000
	v_fmac_f32_e32 v6, v7, v5
	v_mov_b32_e32 v3, 0xbb360b61
	v_cmp_lt_f32_e64 vcc, |v0|, s0
	v_fmac_f32_e32 v3, v7, v6
	v_cndmask_b32_e64 v6, 0, 32, vcc
	v_ldexp_f32 v6, |v0|, v6
	v_log_f32_e32 v6, v6
	v_mov_b32_e32 v5, 0x3daaaaab
	v_fmac_f32_e32 v5, v7, v3
	v_mov_b32_e32 v3, 0x3ed67f1d
	v_fmac_f32_e32 v3, v4, v5
	s_mov_b32 s0, 0x3f317217
	v_mul_f32_e32 v5, 0x3f317217, v6
	v_fma_f32 v7, v6, s0, -v5
	v_fmac_f32_e32 v7, 0x3377d1cf, v6
	s_mov_b32 s0, 0x7f800000
	v_add_f32_e32 v5, v5, v7
	v_cmp_lt_f32_e64 s[0:1], |v6|, s0
	v_cndmask_b32_e64 v5, v6, v5, s[0:1]
	v_mov_b32_e32 v6, 0x41b17218
	v_cndmask_b32_e32 v6, 0, v6, vcc
	v_sub_f32_e32 v5, v5, v6
	v_add_f32_e64 v4, |v0|, -0.5
	v_add_f32_e32 v5, -1.0, v5
	v_fmac_f32_e32 v3, v4, v5
.LBB163_18:
	s_or_b64 exec, exec, s[24:25]
.LBB163_19:
	s_andn2_saveexec_b64 s[20:21], s[20:21]
	s_cbranch_execz .LBB163_21
; %bb.20:
	v_cvt_i32_f32_e32 v3, v1
	v_mov_b32_e32 v4, 0x3af135b4
	v_mov_b32_e32 v5, 0x3cda40e4
	v_mov_b32_e32 v6, 0x3e15dce6
	v_cvt_f32_i32_e32 v7, v3
	v_mov_b32_e32 v8, 0x3ea6cc7a
	v_mov_b32_e32 v9, 0x3e5c245a
	v_cmp_lt_i32_e32 vcc, 2, v3
	v_sub_f32_e64 v7, |v0|, v7
	v_fmac_f32_e32 v4, 0x3805ff67, v7
	v_fmac_f32_e32 v5, v7, v4
	;; [unrolled: 1-line block ×3, first 2 shown]
	v_mov_b32_e32 v5, 0x3a4beed6
	v_fmac_f32_e32 v8, v7, v6
	v_fmac_f32_e32 v5, 0x36f5d7bd, v7
	v_mov_b32_e32 v6, 0x3c98bf54
	v_fmac_f32_e32 v6, v7, v5
	v_mov_b32_e32 v5, 0x3e300f6e
	;; [unrolled: 2-line block ×4, first 2 shown]
	v_fmac_f32_e32 v5, v7, v6
	v_add_f32_e32 v6, 2.0, v7
	v_mov_b32_e32 v10, 0xbd9e233f
	v_fmac_f32_e32 v9, v7, v8
	v_add_f32_e32 v8, 0x40400000, v7
	v_cndmask_b32_e32 v6, 1.0, v6, vcc
	v_cmp_lt_i32_e32 vcc, 3, v3
	v_fmac_f32_e32 v10, v7, v9
	v_add_f32_e32 v9, 4.0, v7
	v_cndmask_b32_e32 v8, 1.0, v8, vcc
	v_cmp_lt_i32_e32 vcc, 4, v3
	v_mul_f32_e32 v4, v7, v10
	v_add_f32_e32 v10, 0x40a00000, v7
	v_mul_f32_e32 v6, v6, v8
	v_cndmask_b32_e32 v8, 1.0, v9, vcc
	v_cmp_lt_i32_e32 vcc, 5, v3
	v_add_f32_e32 v11, 0x40c00000, v7
	v_mul_f32_e32 v6, v8, v6
	v_cndmask_b32_e32 v8, 1.0, v10, vcc
	v_cmp_lt_i32_e32 vcc, 6, v3
	v_mul_f32_e32 v6, v8, v6
	v_cndmask_b32_e32 v3, 1.0, v11, vcc
	v_mul_f32_e32 v3, v3, v6
	s_mov_b32 s0, 0x800000
	v_cmp_gt_f32_e32 vcc, s0, v3
	v_cndmask_b32_e64 v6, 0, 32, vcc
	v_fma_f32 v5, v7, v5, 1.0
	v_ldexp_f32 v3, v3, v6
	v_rcp_f32_e32 v5, v5
	v_log_f32_e32 v3, v3
	s_mov_b32 s0, 0x3f317217
	v_mul_f32_e32 v4, v4, v5
	v_mul_f32_e32 v5, 0x3f317217, v3
	v_fma_f32 v6, v3, s0, -v5
	v_fmac_f32_e32 v6, 0x3377d1cf, v3
	s_mov_b32 s0, 0x7f800000
	v_add_f32_e32 v5, v5, v6
	v_cmp_lt_f32_e64 s[0:1], |v3|, s0
	v_cndmask_b32_e64 v3, v3, v5, s[0:1]
	v_mov_b32_e32 v5, 0x41b17218
	v_cndmask_b32_e32 v5, 0, v5, vcc
	v_fmac_f32_e32 v4, 0.5, v7
	v_sub_f32_e32 v3, v3, v5
	v_add_f32_e32 v3, v3, v4
.LBB163_21:
	s_or_b64 exec, exec, s[20:21]
.LBB163_22:
	s_andn2_saveexec_b64 s[6:7], s[6:7]
	s_cbranch_execz .LBB163_40
; %bb.23:
	s_mov_b32 s0, 0x3f666666
	v_cmp_le_f32_e64 s[0:1], |v0|, s0
                                        ; implicit-def: $vgpr3
                                        ; implicit-def: $vgpr5
                                        ; implicit-def: $vgpr4
	s_and_saveexec_b64 s[20:21], s[0:1]
	s_xor_b64 s[20:21], exec, s[20:21]
	s_cbranch_execz .LBB163_25
; %bb.24:
	s_mov_b32 s0, 0x800000
	v_cmp_lt_f32_e64 vcc, |v0|, s0
	v_cndmask_b32_e64 v3, 0, 32, vcc
	v_ldexp_f32 v3, |v0|, v3
	v_log_f32_e32 v3, v3
	s_mov_b32 s0, 0x3f317217
	s_mov_b32 s1, 0x7f800000
	v_mul_f32_e32 v4, 0x3f317217, v3
	v_fma_f32 v5, v3, s0, -v4
	v_fmac_f32_e32 v5, 0x3377d1cf, v3
	v_add_f32_e32 v4, v4, v5
	v_cmp_lt_f32_e64 s[0:1], |v3|, s1
	v_cndmask_b32_e64 v3, v3, v4, s[0:1]
	v_mov_b32_e32 v4, 0x41b17218
	v_cndmask_b32_e32 v4, 0, v4, vcc
	s_mov_b32 s0, 0x3f3b4a23
	s_mov_b32 s1, 0xbeec5b0c
	v_sub_f32_e32 v3, v3, v4
	v_sub_f32_e64 v4, 1.0, |v0|
	v_add_f32_e64 v5, |v0|, s1
	v_cmp_lt_f32_e64 vcc, |v0|, s0
	s_mov_b32 s0, 0x3e6d3309
	v_cndmask_b32_e32 v4, v4, v5, vcc
	v_cndmask_b32_e64 v5, 0, 1, vcc
	v_cmp_lt_f32_e64 s[0:1], |v0|, s0
	v_xor_b32_e32 v3, 0x80000000, v3
	v_cndmask_b32_e64 v4, v4, |v0|, s[0:1]
	v_cndmask_b32_e64 v5, v5, 2, s[0:1]
.LBB163_25:
	s_andn2_saveexec_b64 s[0:1], s[20:21]
	s_cbranch_execz .LBB163_27
; %bb.26:
	s_mov_b32 s20, 0x3fdda512
	s_mov_b32 s21, 0xbfbb16c3
	v_sub_f32_e64 v3, 2.0, |v0|
	v_add_f32_e64 v4, |v0|, s21
	v_cmp_lt_f32_e64 vcc, |v0|, s20
	v_cndmask_b32_e32 v4, v3, v4, vcc
	v_cndmask_b32_e64 v3, v3, 1.0, vcc
	v_cvt_i32_f32_e32 v3, v3
	s_mov_b32 s20, 0x3f9d70a4
	v_add_f32_e64 v5, |v0|, -1.0
	v_cmp_lt_f32_e64 vcc, |v0|, s20
	v_cndmask_b32_e32 v4, v4, v5, vcc
	v_cndmask_b32_e64 v5, v3, 2, vcc
	v_mov_b32_e32 v3, 0
.LBB163_27:
	s_or_b64 exec, exec, s[0:1]
	v_cmp_lt_i32_e32 vcc, 0, v5
	s_and_saveexec_b64 s[0:1], vcc
	s_xor_b64 s[0:1], exec, s[0:1]
	s_cbranch_execz .LBB163_35
; %bb.28:
	v_cmp_lt_i32_e32 vcc, 1, v5
	s_and_saveexec_b64 s[20:21], vcc
	s_xor_b64 s[20:21], exec, s[20:21]
	s_cbranch_execz .LBB163_32
; %bb.29:
	v_cmp_eq_u32_e32 vcc, 2, v5
	s_and_saveexec_b64 s[24:25], vcc
	s_cbranch_execz .LBB163_31
; %bb.30:
	v_mov_b32_e32 v5, 0x3e6a7578
	v_fmac_f32_e32 v5, 0x3c5b3c5e, v4
	v_mov_b32_e32 v6, 0x3f7a4bb2
	v_fmac_f32_e32 v6, v4, v5
	;; [unrolled: 2-line block ×8, first 2 shown]
	v_fma_f32 v5, v4, v7, 1.0
	v_rcp_f32_e32 v5, v5
	v_mov_b32_e32 v7, 0xbd9e233f
	v_fmac_f32_e32 v7, v4, v6
	v_mul_f32_e32 v6, v4, v7
	v_mul_f32_e32 v5, v6, v5
	v_fmac_f32_e32 v5, -0.5, v4
	v_add_f32_e32 v3, v3, v5
.LBB163_31:
	s_or_b64 exec, exec, s[24:25]
                                        ; implicit-def: $vgpr4
.LBB163_32:
	s_andn2_saveexec_b64 s[20:21], s[20:21]
	s_cbranch_execz .LBB163_34
; %bb.33:
	v_mul_f32_e32 v5, v4, v4
	v_mul_f32_e32 v6, v4, v5
	v_mov_b32_e32 v7, 0xbab7f476
	v_fmac_f32_e32 v7, 0x39a57b6b, v6
	v_mov_b32_e32 v8, 0x3bc7e707
	v_fmac_f32_e32 v8, v6, v7
	;; [unrolled: 2-line block ×12, first 2 shown]
	v_fmac_f32_e32 v9, v4, v10
	s_mov_b32 s24, 0xa2863e55
	v_fma_f32 v4, v6, -v9, s24
	v_fma_f32 v4, v5, v8, -v4
	v_add_f32_e32 v4, 0xbdf8cdce, v4
	v_add_f32_e32 v3, v3, v4
.LBB163_34:
	s_or_b64 exec, exec, s[20:21]
                                        ; implicit-def: $vgpr5
                                        ; implicit-def: $vgpr4
.LBB163_35:
	s_andn2_saveexec_b64 s[0:1], s[0:1]
	s_cbranch_execz .LBB163_39
; %bb.36:
	v_cmp_eq_u32_e32 vcc, 0, v5
	s_and_saveexec_b64 s[20:21], vcc
	s_cbranch_execz .LBB163_38
; %bb.37:
	v_mul_f32_e32 v5, v4, v4
	v_mov_b32_e32 v6, 0x39679767
	v_fmac_f32_e32 v6, 0x37d383a2, v5
	v_mov_b32_e32 v7, 0x3a9c54a1
	v_fmac_f32_e32 v7, v5, v6
	;; [unrolled: 2-line block ×10, first 2 shown]
	v_mul_f32_e32 v5, v5, v7
	v_fmac_f32_e32 v5, v4, v6
	v_fmac_f32_e32 v5, -0.5, v4
	v_add_f32_e32 v3, v3, v5
.LBB163_38:
	s_or_b64 exec, exec, s[20:21]
.LBB163_39:
	s_or_b64 exec, exec, s[0:1]
.LBB163_40:
	s_or_b64 exec, exec, s[6:7]
.LBB163_41:
	s_andn2_saveexec_b64 s[2:3], s[2:3]
	s_cbranch_execz .LBB163_43
; %bb.42:
	s_mov_b32 s0, 0x3e8a8991
	v_mov_b32_e32 v3, 0xbecd26ab
	v_fma_f32 v3, |v0|, s0, v3
	s_mov_b32 s0, 0x3f528d33
	v_fma_f32 v3, |v0|, v3, s0
	s_mov_b32 s0, 0x800000
	v_cmp_lt_f32_e64 vcc, |v0|, s0
	v_cndmask_b32_e64 v4, 0, 32, vcc
	v_ldexp_f32 v4, |v0|, v4
	v_log_f32_e32 v4, v4
	s_mov_b32 s0, 0xbf13c468
	v_fma_f32 v3, |v0|, v3, s0
	s_mov_b32 s0, 0x3f317217
	v_mul_f32_e32 v5, 0x3f317217, v4
	v_fma_f32 v6, v4, s0, -v5
	v_fmac_f32_e32 v6, 0x3377d1cf, v4
	s_mov_b32 s0, 0x7f800000
	v_add_f32_e32 v5, v5, v6
	v_cmp_lt_f32_e64 s[0:1], |v4|, s0
	v_cndmask_b32_e64 v4, v4, v5, s[0:1]
	v_mov_b32_e32 v5, 0x41b17218
	v_cndmask_b32_e32 v5, 0, v5, vcc
	v_sub_f32_e32 v4, v4, v5
	v_fma_f32 v3, |v0|, v3, -v4
.LBB163_43:
	s_or_b64 exec, exec, s[2:3]
	v_cmp_le_f32_e32 vcc, 0, v0
	v_cmp_nle_f32_e64 s[0:1], 0, v0
	s_and_saveexec_b64 s[2:3], s[0:1]
	s_xor_b64 s[6:7], exec, s[2:3]
	s_cbranch_execz .LBB163_47
; %bb.44:
	s_mov_b32 s0, 0x4b000000
	s_mov_b32 s2, 0x35000000
	v_cmp_lt_f32_e64 s[0:1], |v0|, s0
	v_cmp_gt_f32_e64 s[2:3], |v0|, s2
	s_and_b64 s[0:1], s[0:1], s[2:3]
	s_and_saveexec_b64 s[20:21], s[0:1]
	s_cbranch_execz .LBB163_46
; %bb.45:
	v_mul_f32_e64 v4, |v0|, 0.5
	v_floor_f32_e32 v5, v4
	v_sub_f32_e32 v5, v4, v5
	v_min_f32_e32 v5, 0x3f7fffff, v5
	s_mov_b32 s2, 0x7f800000
	v_add_f32_e32 v5, v5, v5
	v_cmp_neq_f32_e64 s[0:1], s2, v4
	v_cndmask_b32_e64 v4, 0, v5, s[0:1]
	v_cmp_gt_f32_e64 s[0:1], |v0|, 1.0
	v_cndmask_b32_e64 v4, |v0|, v4, s[0:1]
	v_add_f32_e32 v5, v4, v4
	v_rndne_f32_e32 v5, v5
	v_fmac_f32_e32 v4, -0.5, v5
	v_mul_f32_e32 v6, v4, v4
	v_mov_b32_e32 v7, 0xbf1f24be
	v_fmac_f32_e32 v7, 0x3e75aa41, v6
	v_mov_b32_e32 v8, 0x40234736
	v_fmac_f32_e32 v8, v6, v7
	;; [unrolled: 2-line block ×3, first 2 shown]
	v_mul_f32_e32 v8, v4, v6
	v_mul_f32_e32 v7, v8, v7
	v_fmac_f32_e32 v7, 0x40490fdb, v4
	v_mov_b32_e32 v4, 0x3e642e9d
	v_cvt_i32_f32_e32 v5, v5
	v_fmac_f32_e32 v4, 0x3d4be544, v6
	v_mov_b32_e32 v8, 0xbfaad1da
	v_fmac_f32_e32 v8, v6, v4
	v_mov_b32_e32 v4, 0x4081e0d3
	;; [unrolled: 2-line block ×3, first 2 shown]
	v_fmac_f32_e32 v8, v6, v4
	v_fma_f32 v4, v6, v8, 1.0
	v_and_b32_e32 v6, 1, v5
	v_cmp_eq_u32_e64 s[0:1], 0, v6
	v_cndmask_b32_e64 v4, v4, v7, s[0:1]
	v_lshlrev_b32_e32 v5, 30, v5
	s_brev_b32 s0, 1
	v_and_or_b32 v1, v5, s0, v1
	v_xor_b32_e32 v1, v1, v4
	v_xor_b32_e32 v1, v1, v0
	v_mul_f32_e32 v1, v0, v1
	v_frexp_mant_f32_e64 v4, |v1|
	v_rcp_f32_e32 v4, v4
	v_frexp_exp_i32_f32_e32 v1, v1
	v_sub_u32_e32 v1, 2, v1
	s_mov_b32 s0, 0x800000
	v_mul_f32_e32 v4, 0x3f490fdb, v4
	v_ldexp_f32 v1, v4, v1
	v_cmp_gt_f32_e64 s[0:1], s0, v1
	v_cndmask_b32_e64 v4, 0, 32, s[0:1]
	v_ldexp_f32 v1, v1, v4
	v_log_f32_e32 v1, v1
	s_mov_b32 s3, 0x3f317217
	v_mul_f32_e32 v4, 0x3f317217, v1
	v_fma_f32 v5, v1, s3, -v4
	v_fmac_f32_e32 v5, 0x3377d1cf, v1
	v_add_f32_e32 v4, v4, v5
	v_cmp_lt_f32_e64 s[2:3], |v1|, s2
	v_cndmask_b32_e64 v1, v1, v4, s[2:3]
	v_mov_b32_e32 v4, 0x41b17218
	v_cndmask_b32_e64 v4, 0, v4, s[0:1]
	v_sub_f32_e32 v1, v1, v4
	v_sub_f32_e32 v1, v1, v3
	v_floor_f32_e32 v3, v0
	v_sub_f32_e32 v3, v0, v3
	v_min_f32_e32 v3, 0x3f7fffff, v3
	v_mov_b32_e32 v4, 0x7f800000
	v_cmp_neq_f32_e64 s[0:1], 0, v3
	v_cndmask_b32_e64 v3, v4, v1, s[0:1]
.LBB163_46:
	s_or_b64 exec, exec, s[20:21]
.LBB163_47:
	s_andn2_saveexec_b64 s[6:7], s[6:7]
; %bb.48:
	v_cmp_eq_f32_e64 s[0:1], 1.0, v0
	v_cmp_eq_f32_e64 s[2:3], 2.0, v0
	s_or_b64 s[0:1], s[0:1], s[2:3]
	v_cndmask_b32_e64 v3, v3, 0, s[0:1]
; %bb.49:
	s_or_b64 exec, exec, s[6:7]
	s_mov_b32 s0, 0x4b000000
	v_cmp_lt_f32_e64 s[0:1], |v0|, s0
	v_mov_b32_e32 v1, 0x264
	v_mov_b32_e32 v4, 0x7f800000
	s_or_b64 vcc, vcc, s[0:1]
	v_cndmask_b32_e32 v3, v4, v3, vcc
	v_cmp_class_f32_e32 vcc, v0, v1
	v_cndmask_b32_e32 v1, v3, v4, vcc
	v_cmp_u_f32_e32 vcc, v0, v0
	v_cndmask_b32_e32 v0, v1, v0, vcc
	v_bfe_u32 v1, v0, 16, 1
	s_movk_i32 s0, 0x7fff
	v_add3_u32 v1, v0, v1, s0
	v_cmp_o_f32_e32 vcc, v0, v0
	v_mul_lo_u32 v0, v2, s10
	v_mov_b32_e32 v3, 0x7fc0
	v_cndmask_b32_sdwa v3, v3, v1, vcc dst_sel:DWORD dst_unused:UNUSED_PAD src0_sel:DWORD src1_sel:WORD_1
	v_mov_b32_e32 v4, s13
	v_ashrrev_i32_e32 v1, 31, v0
	s_and_b32 s24, s33, 0xff
	v_add_co_u32_e32 v0, vcc, s12, v0
	s_cmp_lt_i32 s24, 11
	v_addc_co_u32_e32 v1, vcc, v4, v1, vcc
	s_cbranch_scc1 .LBB163_57
; %bb.50:
	s_and_b32 s25, 0xffff, s24
	s_cmp_gt_i32 s25, 25
	s_cbranch_scc0 .LBB163_61
; %bb.51:
	s_cmp_gt_i32 s25, 28
	s_cbranch_scc0 .LBB163_63
; %bb.52:
	;; [unrolled: 3-line block ×4, first 2 shown]
	s_mov_b64 s[6:7], 0
	s_mov_b64 s[0:1], -1
	s_cmp_eq_u32 s25, 46
	s_mov_b64 s[2:3], 0
	s_cbranch_scc0 .LBB163_71
; %bb.55:
	v_and_b32_e32 v4, 0xffff, v3
	global_store_dword v[0:1], v4, off
	s_mov_b64 s[2:3], -1
	s_mov_b64 s[0:1], 0
	s_branch .LBB163_71
.LBB163_56:
	s_mov_b64 s[0:1], 0
                                        ; implicit-def: $vgpr3
	s_and_b64 vcc, exec, s[2:3]
	s_cbranch_vccnz .LBB163_205
	s_branch .LBB163_239
.LBB163_57:
	s_mov_b64 s[0:1], 0
	s_mov_b64 s[2:3], 0
	s_cbranch_execnz .LBB163_140
.LBB163_58:
	s_andn2_b64 vcc, exec, s[2:3]
	s_cbranch_vccnz .LBB163_178
.LBB163_59:
	v_add_u32_e32 v2, 0x80, v2
	s_mov_b64 s[2:3], -1
	s_branch .LBB163_288
.LBB163_60:
	s_mov_b64 s[0:1], 0
                                        ; implicit-def: $vgpr3
	s_branch .LBB163_186
.LBB163_61:
	s_mov_b64 s[6:7], -1
	s_mov_b64 s[0:1], 0
	s_mov_b64 s[2:3], 0
	s_branch .LBB163_98
.LBB163_62:
	s_mov_b64 s[0:1], 0
                                        ; implicit-def: $vgpr3
	s_branch .LBB163_181
.LBB163_63:
	s_mov_b64 s[6:7], -1
	s_mov_b64 s[0:1], 0
	s_mov_b64 s[2:3], 0
	s_branch .LBB163_81
.LBB163_64:
	s_mov_b64 s[6:7], -1
	s_mov_b64 s[0:1], 0
	s_mov_b64 s[2:3], 0
	s_branch .LBB163_77
.LBB163_65:
	s_mov_b64 s[16:17], -1
.LBB163_66:
	s_mov_b64 s[0:1], 0
                                        ; implicit-def: $vgpr3
.LBB163_67:
	s_and_b64 vcc, exec, s[2:3]
	s_cbranch_vccz .LBB163_180
; %bb.68:
	s_cmp_eq_u32 s20, 44
	s_cbranch_scc0 .LBB163_179
; %bb.69:
	global_load_ubyte v3, v[0:1], off
	s_movk_i32 s2, 0xff
	v_mov_b32_e32 v4, 0x7f800001
	v_mov_b32_e32 v5, 0x400000
	;; [unrolled: 1-line block ×3, first 2 shown]
	s_mov_b64 s[0:1], -1
	s_mov_b64 s[16:17], 0
	s_waitcnt vmcnt(0)
	v_lshlrev_b32_e32 v7, 23, v3
	v_cmp_ne_u32_e32 vcc, s2, v3
	v_cndmask_b32_e32 v4, v4, v7, vcc
	v_cmp_ne_u32_e32 vcc, 0, v3
	v_cndmask_b32_e32 v3, v5, v4, vcc
	v_add_u32_e32 v4, 0x7fff, v3
	v_cmp_o_f32_e32 vcc, v3, v3
	v_cndmask_b32_sdwa v3, v6, v4, vcc dst_sel:DWORD dst_unused:UNUSED_PAD src0_sel:DWORD src1_sel:WORD_1
	s_branch .LBB163_180
.LBB163_70:
	s_mov_b64 s[6:7], -1
	s_mov_b64 s[0:1], 0
	s_mov_b64 s[2:3], 0
.LBB163_71:
	s_and_b64 vcc, exec, s[6:7]
	s_cbranch_vccz .LBB163_76
; %bb.72:
	s_cmp_eq_u32 s25, 44
	s_mov_b64 s[0:1], -1
	s_cbranch_scc0 .LBB163_76
; %bb.73:
	v_and_b32_e32 v5, 0xffff, v3
	v_bfe_u32 v4, v5, 7, 8
	s_movk_i32 s0, 0xff
	v_cmp_ne_u32_e32 vcc, s0, v4
	v_mov_b32_e32 v6, 0xff
	s_and_saveexec_b64 s[2:3], vcc
	s_cbranch_execz .LBB163_75
; %bb.74:
	v_lshlrev_b32_e32 v7, 16, v5
	s_mov_b32 s0, 0x3f0000
	v_lshrrev_b32_e32 v6, 7, v5
	v_and_b32_e32 v5, 64, v5
	v_and_or_b32 v4, v7, s0, v4
	v_cmp_ne_u32_e32 vcc, 0, v5
	v_cmp_ne_u32_e64 s[0:1], 0, v4
	s_and_b64 s[0:1], vcc, s[0:1]
	v_cndmask_b32_e64 v4, 0, 1, s[0:1]
	v_add_u32_e32 v6, v6, v4
.LBB163_75:
	s_or_b64 exec, exec, s[2:3]
	s_mov_b64 s[2:3], -1
	s_mov_b64 s[0:1], 0
	global_store_byte v[0:1], v6, off
.LBB163_76:
	s_mov_b64 s[6:7], 0
.LBB163_77:
	s_and_b64 vcc, exec, s[6:7]
	s_cbranch_vccz .LBB163_80
; %bb.78:
	s_cmp_eq_u32 s25, 29
	s_mov_b64 s[0:1], -1
	s_cbranch_scc0 .LBB163_80
; %bb.79:
	v_lshlrev_b32_e32 v4, 16, v3
	v_trunc_f32_e32 v4, v4
	v_mul_f32_e32 v5, 0x2f800000, v4
	v_floor_f32_e32 v6, v5
	v_fmac_f32_e32 v4, 0xcf800000, v6
	v_cvt_u32_f32_e32 v5, v6
	v_cvt_u32_f32_e32 v4, v4
	s_mov_b64 s[2:3], -1
	s_mov_b64 s[0:1], 0
	s_mov_b64 s[6:7], 0
	global_store_dwordx2 v[0:1], v[4:5], off
	s_branch .LBB163_81
.LBB163_80:
	s_mov_b64 s[6:7], 0
.LBB163_81:
	s_and_b64 vcc, exec, s[6:7]
	s_cbranch_vccz .LBB163_97
; %bb.82:
	s_cmp_lt_i32 s25, 27
	s_mov_b64 s[2:3], -1
	s_cbranch_scc1 .LBB163_88
; %bb.83:
	s_cmp_gt_i32 s25, 27
	s_cbranch_scc0 .LBB163_85
; %bb.84:
	v_lshlrev_b32_e32 v4, 16, v3
	v_cvt_u32_f32_e32 v4, v4
	s_mov_b64 s[2:3], 0
	global_store_dword v[0:1], v4, off
.LBB163_85:
	s_andn2_b64 vcc, exec, s[2:3]
	s_cbranch_vccnz .LBB163_87
; %bb.86:
	v_lshlrev_b32_e32 v4, 16, v3
	v_cvt_u32_f32_e32 v4, v4
	global_store_short v[0:1], v4, off
.LBB163_87:
	s_mov_b64 s[2:3], 0
.LBB163_88:
	s_andn2_b64 vcc, exec, s[2:3]
	s_cbranch_vccnz .LBB163_96
; %bb.89:
	v_lshlrev_b32_e32 v6, 16, v3
	v_and_b32_e32 v5, 0x7fffffff, v6
	s_mov_b32 s2, 0x43800000
	v_cmp_gt_u32_e32 vcc, s2, v5
	v_mov_b32_e32 v7, 0x80
	s_and_saveexec_b64 s[2:3], vcc
	s_cbranch_execz .LBB163_95
; %bb.90:
	s_mov_b32 s6, 0x3bffffff
	v_and_b32_e32 v4, 0xffff, v3
	v_cmp_lt_u32_e32 vcc, s6, v5
	s_mov_b64 s[6:7], 0
                                        ; implicit-def: $vgpr5
	s_and_saveexec_b64 s[20:21], vcc
	s_xor_b64 s[20:21], exec, s[20:21]
	s_cbranch_execz .LBB163_354
; %bb.91:
	v_bfe_u32 v5, v4, 4, 1
	s_mov_b32 s26, 0x487ffff
	v_add3_u32 v5, v6, v5, s26
	s_mov_b64 s[6:7], exec
	v_lshrrev_b32_e32 v5, 20, v5
                                        ; implicit-def: $vgpr6
	s_andn2_saveexec_b64 s[20:21], s[20:21]
	s_cbranch_execnz .LBB163_355
.LBB163_92:
	s_or_b64 exec, exec, s[20:21]
	v_mov_b32_e32 v7, 0
	s_and_saveexec_b64 s[20:21], s[6:7]
.LBB163_93:
	v_lshrrev_b32_e32 v4, 8, v4
	s_movk_i32 s6, 0x80
	v_and_or_b32 v7, v4, s6, v5
.LBB163_94:
	s_or_b64 exec, exec, s[20:21]
.LBB163_95:
	s_or_b64 exec, exec, s[2:3]
	global_store_byte v[0:1], v7, off
.LBB163_96:
	s_mov_b64 s[2:3], -1
.LBB163_97:
	s_mov_b64 s[6:7], 0
.LBB163_98:
	s_and_b64 vcc, exec, s[6:7]
	s_cbranch_vccz .LBB163_139
; %bb.99:
	s_cmp_gt_i32 s25, 22
	s_mov_b64 s[6:7], -1
	s_cbranch_scc0 .LBB163_131
; %bb.100:
	s_cmp_lt_i32 s25, 24
	s_mov_b64 s[2:3], -1
	s_cbranch_scc1 .LBB163_120
; %bb.101:
	s_cmp_gt_i32 s25, 24
	s_cbranch_scc0 .LBB163_109
; %bb.102:
	v_lshlrev_b32_e32 v6, 16, v3
	v_and_b32_e32 v5, 0x7fffffff, v6
	s_mov_b32 s2, 0x47800000
	v_cmp_gt_u32_e32 vcc, s2, v5
	v_mov_b32_e32 v7, 0x80
	s_and_saveexec_b64 s[2:3], vcc
	s_cbranch_execz .LBB163_108
; %bb.103:
	s_mov_b32 s6, 0x37ffffff
	v_and_b32_e32 v4, 0xffff, v3
	v_cmp_lt_u32_e32 vcc, s6, v5
	s_mov_b64 s[6:7], 0
                                        ; implicit-def: $vgpr5
	s_and_saveexec_b64 s[20:21], vcc
	s_xor_b64 s[20:21], exec, s[20:21]
	s_cbranch_execz .LBB163_358
; %bb.104:
	v_bfe_u32 v5, v4, 5, 1
	s_mov_b32 s26, 0x88fffff
	v_add3_u32 v5, v6, v5, s26
	s_mov_b64 s[6:7], exec
	v_lshrrev_b32_e32 v5, 21, v5
                                        ; implicit-def: $vgpr6
	s_andn2_saveexec_b64 s[20:21], s[20:21]
	s_cbranch_execnz .LBB163_359
.LBB163_105:
	s_or_b64 exec, exec, s[20:21]
	v_mov_b32_e32 v7, 0
	s_and_saveexec_b64 s[20:21], s[6:7]
.LBB163_106:
	v_lshrrev_b32_e32 v4, 8, v4
	s_movk_i32 s6, 0x80
	v_and_or_b32 v7, v4, s6, v5
.LBB163_107:
	s_or_b64 exec, exec, s[20:21]
.LBB163_108:
	s_or_b64 exec, exec, s[2:3]
	s_mov_b64 s[2:3], 0
	global_store_byte v[0:1], v7, off
.LBB163_109:
	s_and_b64 vcc, exec, s[2:3]
	s_cbranch_vccz .LBB163_119
; %bb.110:
	v_lshlrev_b32_e32 v6, 16, v3
	v_and_b32_e32 v7, 0x7fffffff, v6
	s_mov_b32 s2, 0x43f00000
	v_and_b32_e32 v4, 0xffff, v3
	v_cmp_gt_u32_e32 vcc, s2, v7
                                        ; implicit-def: $vgpr5
	s_and_saveexec_b64 s[2:3], vcc
	s_xor_b64 s[2:3], exec, s[2:3]
	s_cbranch_execz .LBB163_116
; %bb.111:
	s_mov_b32 s6, 0x3c7fffff
	v_cmp_lt_u32_e32 vcc, s6, v7
                                        ; implicit-def: $vgpr5
	s_and_saveexec_b64 s[6:7], vcc
	s_xor_b64 s[6:7], exec, s[6:7]
; %bb.112:
	v_bfe_u32 v5, v4, 4, 1
	s_mov_b32 s20, 0x407ffff
	v_add3_u32 v5, v6, v5, s20
	v_lshrrev_b32_e32 v6, 20, v5
	v_and_b32_e32 v5, 0xff00000, v5
	s_mov_b32 s20, 0x7f00000
	v_mov_b32_e32 v7, 0x7e
	v_cmp_ne_u32_e32 vcc, s20, v5
	v_cndmask_b32_e32 v5, v7, v6, vcc
                                        ; implicit-def: $vgpr6
; %bb.113:
	s_andn2_saveexec_b64 s[6:7], s[6:7]
; %bb.114:
	s_mov_b32 s20, 0x46800000
	v_add_f32_e64 v5, |v6|, s20
; %bb.115:
	s_or_b64 exec, exec, s[6:7]
                                        ; implicit-def: $vgpr7
.LBB163_116:
	s_andn2_saveexec_b64 s[2:3], s[2:3]
; %bb.117:
	s_mov_b32 s6, 0x7f800000
	v_mov_b32_e32 v5, 0x7e
	v_mov_b32_e32 v6, 0x7f
	v_cmp_lt_u32_e32 vcc, s6, v7
	v_cndmask_b32_e32 v5, v5, v6, vcc
; %bb.118:
	s_or_b64 exec, exec, s[2:3]
	v_lshrrev_b32_e32 v4, 8, v4
	s_movk_i32 s2, 0x80
	v_and_or_b32 v4, v4, s2, v5
	global_store_byte v[0:1], v4, off
.LBB163_119:
	s_mov_b64 s[2:3], 0
.LBB163_120:
	s_andn2_b64 vcc, exec, s[2:3]
	s_cbranch_vccnz .LBB163_130
; %bb.121:
	v_lshlrev_b32_e32 v6, 16, v3
	v_and_b32_e32 v7, 0x7fffffff, v6
	s_mov_b32 s2, 0x47800000
	v_and_b32_e32 v4, 0xffff, v3
	v_cmp_gt_u32_e32 vcc, s2, v7
                                        ; implicit-def: $vgpr5
	s_and_saveexec_b64 s[2:3], vcc
	s_xor_b64 s[2:3], exec, s[2:3]
	s_cbranch_execz .LBB163_127
; %bb.122:
	s_mov_b32 s6, 0x387fffff
	v_cmp_lt_u32_e32 vcc, s6, v7
                                        ; implicit-def: $vgpr5
	s_and_saveexec_b64 s[6:7], vcc
	s_xor_b64 s[6:7], exec, s[6:7]
; %bb.123:
	v_bfe_u32 v5, v4, 5, 1
	s_mov_b32 s20, 0x80fffff
	v_add3_u32 v5, v6, v5, s20
	v_lshrrev_b32_e32 v5, 21, v5
                                        ; implicit-def: $vgpr6
; %bb.124:
	s_andn2_saveexec_b64 s[6:7], s[6:7]
; %bb.125:
	s_mov_b32 s20, 0x43000000
	v_add_f32_e64 v5, |v6|, s20
; %bb.126:
	s_or_b64 exec, exec, s[6:7]
                                        ; implicit-def: $vgpr7
.LBB163_127:
	s_andn2_saveexec_b64 s[2:3], s[2:3]
; %bb.128:
	s_mov_b32 s6, 0x7f800000
	v_mov_b32_e32 v5, 0x7c
	v_mov_b32_e32 v6, 0x7f
	v_cmp_lt_u32_e32 vcc, s6, v7
	v_cndmask_b32_e32 v5, v5, v6, vcc
; %bb.129:
	s_or_b64 exec, exec, s[2:3]
	v_lshrrev_b32_e32 v4, 8, v4
	s_movk_i32 s2, 0x80
	v_and_or_b32 v4, v4, s2, v5
	global_store_byte v[0:1], v4, off
.LBB163_130:
	s_mov_b64 s[6:7], 0
	s_mov_b64 s[2:3], -1
.LBB163_131:
	s_andn2_b64 vcc, exec, s[6:7]
	s_cbranch_vccnz .LBB163_139
; %bb.132:
	s_cmp_gt_i32 s25, 14
	s_mov_b64 s[6:7], -1
	s_cbranch_scc0 .LBB163_136
; %bb.133:
	s_cmp_eq_u32 s25, 15
	s_mov_b64 s[0:1], -1
	s_cbranch_scc0 .LBB163_135
; %bb.134:
	global_store_short v[0:1], v3, off
	s_mov_b64 s[2:3], -1
	s_mov_b64 s[0:1], 0
.LBB163_135:
	s_mov_b64 s[6:7], 0
.LBB163_136:
	s_and_b64 vcc, exec, s[6:7]
	s_cbranch_vccz .LBB163_139
; %bb.137:
	s_cmp_eq_u32 s25, 11
	s_mov_b64 s[0:1], -1
	s_cbranch_scc0 .LBB163_139
; %bb.138:
	v_and_b32_e32 v4, 0x7fff, v3
	v_cmp_ne_u16_e32 vcc, 0, v4
	v_cndmask_b32_e64 v4, 0, 1, vcc
	s_mov_b64 s[2:3], -1
	s_mov_b64 s[0:1], 0
	global_store_byte v[0:1], v4, off
.LBB163_139:
	s_branch .LBB163_58
.LBB163_140:
	s_and_b32 s6, 0xffff, s24
	s_cmp_lt_i32 s6, 5
	s_mov_b64 s[2:3], -1
	s_cbranch_scc1 .LBB163_161
; %bb.141:
	s_cmp_lt_i32 s6, 8
	s_cbranch_scc1 .LBB163_151
; %bb.142:
	s_cmp_lt_i32 s6, 9
	s_cbranch_scc1 .LBB163_148
; %bb.143:
	s_cmp_gt_i32 s6, 9
	s_cbranch_scc0 .LBB163_145
; %bb.144:
	v_lshlrev_b32_e32 v4, 16, v3
	v_cvt_f64_f32_e32 v[4:5], v4
	v_mov_b32_e32 v6, 0
	v_mov_b32_e32 v7, v6
	s_mov_b64 s[2:3], 0
	global_store_dwordx4 v[0:1], v[4:7], off
.LBB163_145:
	s_andn2_b64 vcc, exec, s[2:3]
	s_cbranch_vccnz .LBB163_147
; %bb.146:
	v_lshlrev_b32_e32 v4, 16, v3
	v_mov_b32_e32 v5, 0
	global_store_dwordx2 v[0:1], v[4:5], off
.LBB163_147:
	s_mov_b64 s[2:3], 0
.LBB163_148:
	s_andn2_b64 vcc, exec, s[2:3]
	s_cbranch_vccnz .LBB163_150
; %bb.149:
	v_lshlrev_b32_e32 v4, 16, v3
	v_cvt_f16_f32_e32 v4, v4
	global_store_dword v[0:1], v4, off
.LBB163_150:
	s_mov_b64 s[2:3], 0
.LBB163_151:
	s_andn2_b64 vcc, exec, s[2:3]
	s_cbranch_vccnz .LBB163_160
; %bb.152:
	s_cmp_lt_i32 s6, 6
	s_mov_b64 s[2:3], -1
	s_cbranch_scc1 .LBB163_158
; %bb.153:
	s_cmp_gt_i32 s6, 6
	s_cbranch_scc0 .LBB163_155
; %bb.154:
	v_lshlrev_b32_e32 v4, 16, v3
	v_cvt_f64_f32_e32 v[4:5], v4
	s_mov_b64 s[2:3], 0
	global_store_dwordx2 v[0:1], v[4:5], off
.LBB163_155:
	s_andn2_b64 vcc, exec, s[2:3]
	s_cbranch_vccnz .LBB163_157
; %bb.156:
	v_lshlrev_b32_e32 v4, 16, v3
	global_store_dword v[0:1], v4, off
.LBB163_157:
	s_mov_b64 s[2:3], 0
.LBB163_158:
	s_andn2_b64 vcc, exec, s[2:3]
	s_cbranch_vccnz .LBB163_160
; %bb.159:
	v_lshlrev_b32_e32 v4, 16, v3
	v_cvt_f16_f32_e32 v4, v4
	global_store_short v[0:1], v4, off
.LBB163_160:
	s_mov_b64 s[2:3], 0
.LBB163_161:
	s_andn2_b64 vcc, exec, s[2:3]
	s_cbranch_vccnz .LBB163_177
; %bb.162:
	s_cmp_lt_i32 s6, 2
	s_mov_b64 s[2:3], -1
	s_cbranch_scc1 .LBB163_172
; %bb.163:
	s_cmp_lt_i32 s6, 3
	s_cbranch_scc1 .LBB163_169
; %bb.164:
	s_cmp_gt_i32 s6, 3
	s_cbranch_scc0 .LBB163_166
; %bb.165:
	v_lshlrev_b32_e32 v4, 16, v3
	v_trunc_f32_e32 v4, v4
	s_mov_b32 s2, 0x2f800000
	v_mul_f32_e64 v5, |v4|, s2
	v_floor_f32_e32 v5, v5
	s_mov_b32 s2, 0xcf800000
	v_cvt_u32_f32_e32 v6, v5
	v_fma_f32 v5, v5, s2, |v4|
	v_cvt_u32_f32_e32 v5, v5
	v_ashrrev_i32_e32 v7, 31, v4
	v_xor_b32_e32 v6, v6, v7
	s_mov_b64 s[2:3], 0
	v_xor_b32_e32 v4, v5, v7
	v_sub_co_u32_e32 v4, vcc, v4, v7
	v_subb_co_u32_e32 v5, vcc, v6, v7, vcc
	global_store_dwordx2 v[0:1], v[4:5], off
.LBB163_166:
	s_andn2_b64 vcc, exec, s[2:3]
	s_cbranch_vccnz .LBB163_168
; %bb.167:
	v_lshlrev_b32_e32 v4, 16, v3
	v_cvt_i32_f32_e32 v4, v4
	global_store_dword v[0:1], v4, off
.LBB163_168:
	s_mov_b64 s[2:3], 0
.LBB163_169:
	s_andn2_b64 vcc, exec, s[2:3]
	s_cbranch_vccnz .LBB163_171
; %bb.170:
	v_lshlrev_b32_e32 v4, 16, v3
	v_cvt_i32_f32_e32 v4, v4
	global_store_short v[0:1], v4, off
.LBB163_171:
	s_mov_b64 s[2:3], 0
.LBB163_172:
	s_andn2_b64 vcc, exec, s[2:3]
	s_cbranch_vccnz .LBB163_177
; %bb.173:
	s_mov_b64 s[2:3], -1
	s_cmp_gt_i32 s6, 0
	v_lshlrev_b32_e32 v3, 16, v3
	s_cbranch_scc0 .LBB163_175
; %bb.174:
	v_cvt_i32_f32_e32 v4, v3
	s_mov_b64 s[2:3], 0
	global_store_byte v[0:1], v4, off
.LBB163_175:
	s_andn2_b64 vcc, exec, s[2:3]
	s_cbranch_vccnz .LBB163_177
; %bb.176:
	v_trunc_f32_e32 v3, v3
	s_mov_b32 s2, 0x2f800000
	v_mul_f32_e64 v4, |v3|, s2
	v_floor_f32_e32 v4, v4
	s_mov_b32 s2, 0xcf800000
	v_fma_f32 v4, v4, s2, |v3|
	v_cvt_u32_f32_e32 v4, v4
	v_ashrrev_i32_e32 v3, 31, v3
	v_xor_b32_e32 v4, v4, v3
	v_sub_u32_e32 v3, v4, v3
	global_store_byte v[0:1], v3, off
.LBB163_177:
	s_branch .LBB163_59
.LBB163_178:
	s_mov_b64 s[2:3], 0
                                        ; implicit-def: $vgpr2
	s_branch .LBB163_288
.LBB163_179:
	s_mov_b64 s[16:17], -1
                                        ; implicit-def: $vgpr3
.LBB163_180:
	s_mov_b64 s[2:3], 0
.LBB163_181:
	s_and_b64 vcc, exec, s[2:3]
	s_cbranch_vccz .LBB163_185
; %bb.182:
	s_cmp_eq_u32 s20, 29
	s_cbranch_scc0 .LBB163_184
; %bb.183:
	global_load_dwordx2 v[3:4], v[0:1], off
	s_movk_i32 s2, 0x7fff
	s_mov_b64 s[0:1], -1
	s_mov_b64 s[16:17], 0
	s_waitcnt vmcnt(0)
	v_ffbh_u32_e32 v5, v4
	v_min_u32_e32 v5, 32, v5
	v_lshlrev_b64 v[3:4], v5, v[3:4]
	v_min_u32_e32 v3, 1, v3
	v_or_b32_e32 v3, v4, v3
	v_cvt_f32_u32_e32 v3, v3
	v_sub_u32_e32 v4, 32, v5
	v_ldexp_f32 v3, v3, v4
	v_bfe_u32 v4, v3, 16, 1
	v_add3_u32 v3, v3, v4, s2
	v_lshrrev_b32_e32 v3, 16, v3
	s_branch .LBB163_185
.LBB163_184:
	s_mov_b64 s[16:17], -1
                                        ; implicit-def: $vgpr3
.LBB163_185:
	s_mov_b64 s[2:3], 0
.LBB163_186:
	s_and_b64 vcc, exec, s[2:3]
	s_cbranch_vccz .LBB163_204
; %bb.187:
	s_cmp_lt_i32 s20, 27
	s_cbranch_scc1 .LBB163_190
; %bb.188:
	s_cmp_gt_i32 s20, 27
	s_cbranch_scc0 .LBB163_191
; %bb.189:
	global_load_dword v3, v[0:1], off
	s_movk_i32 s0, 0x7fff
	s_waitcnt vmcnt(0)
	v_cvt_f32_u32_e32 v3, v3
	v_bfe_u32 v4, v3, 16, 1
	v_add3_u32 v3, v3, v4, s0
	v_lshrrev_b32_e32 v3, 16, v3
	s_mov_b64 s[0:1], 0
	s_branch .LBB163_192
.LBB163_190:
	s_mov_b64 s[0:1], -1
                                        ; implicit-def: $vgpr3
	s_branch .LBB163_195
.LBB163_191:
	s_mov_b64 s[0:1], -1
                                        ; implicit-def: $vgpr3
.LBB163_192:
	s_andn2_b64 vcc, exec, s[0:1]
	s_cbranch_vccnz .LBB163_194
; %bb.193:
	global_load_ushort v3, v[0:1], off
	s_movk_i32 s0, 0x7fff
	s_waitcnt vmcnt(0)
	v_cvt_f32_u32_e32 v3, v3
	v_bfe_u32 v4, v3, 16, 1
	v_add3_u32 v3, v3, v4, s0
	v_lshrrev_b32_e32 v3, 16, v3
.LBB163_194:
	s_mov_b64 s[0:1], 0
.LBB163_195:
	s_andn2_b64 vcc, exec, s[0:1]
	s_cbranch_vccnz .LBB163_203
; %bb.196:
	global_load_ubyte v3, v[0:1], off
	s_movk_i32 s0, 0x7f
	s_waitcnt vmcnt(0)
	v_cmp_lt_i16_e32 vcc, s0, v3
	s_mov_b64 s[0:1], 0
	s_and_saveexec_b64 s[2:3], vcc
	s_xor_b64 s[2:3], exec, s[2:3]
	s_cbranch_execz .LBB163_216
; %bb.197:
	s_movk_i32 s0, 0x80
	v_cmp_eq_u16_e32 vcc, s0, v3
	s_mov_b64 s[0:1], -1
	s_and_saveexec_b64 s[6:7], vcc
; %bb.198:
	s_xor_b64 s[0:1], exec, -1
; %bb.199:
	s_or_b64 exec, exec, s[6:7]
	s_and_b64 s[0:1], s[0:1], exec
	s_or_saveexec_b64 s[2:3], s[2:3]
	v_mov_b32_e32 v4, 0x7f800001
	s_xor_b64 exec, exec, s[2:3]
	s_cbranch_execnz .LBB163_217
.LBB163_200:
	s_or_b64 exec, exec, s[2:3]
	s_and_saveexec_b64 s[2:3], s[0:1]
	s_cbranch_execz .LBB163_202
.LBB163_201:
	v_lshlrev_b32_e32 v4, 24, v3
	v_and_b32_e32 v3, 0xffff, v3
	v_and_b32_e32 v5, 7, v3
	v_ffbh_u32_e32 v7, v5
	v_min_u32_e32 v7, 32, v7
	v_subrev_u32_e32 v8, 28, v7
	v_bfe_u32 v6, v3, 3, 4
	v_lshlrev_b32_e32 v3, v8, v3
	v_sub_u32_e32 v7, 29, v7
	v_and_b32_e32 v3, 7, v3
	v_cmp_eq_u32_e32 vcc, 0, v6
	v_cndmask_b32_e32 v6, v6, v7, vcc
	v_cndmask_b32_e32 v3, v5, v3, vcc
	v_mov_b32_e32 v5, 0x3b800000
	v_lshlrev_b32_e32 v3, 20, v3
	v_and_b32_e32 v4, 0x80000000, v4
	v_lshl_add_u32 v5, v6, 23, v5
	v_or3_b32 v4, v4, v5, v3
.LBB163_202:
	s_or_b64 exec, exec, s[2:3]
	v_bfe_u32 v3, v4, 16, 1
	s_movk_i32 s0, 0x7fff
	v_add3_u32 v3, v4, v3, s0
	v_cmp_o_f32_e32 vcc, v4, v4
	v_mov_b32_e32 v4, 0x7fc0
	v_cndmask_b32_sdwa v3, v4, v3, vcc dst_sel:DWORD dst_unused:UNUSED_PAD src0_sel:DWORD src1_sel:WORD_1
.LBB163_203:
	s_mov_b64 s[0:1], -1
.LBB163_204:
	s_branch .LBB163_239
.LBB163_205:
	s_cmp_gt_i32 s20, 22
	s_cbranch_scc0 .LBB163_215
; %bb.206:
	s_cmp_lt_i32 s20, 24
	s_cbranch_scc1 .LBB163_218
; %bb.207:
	s_cmp_gt_i32 s20, 24
	s_cbranch_scc0 .LBB163_219
; %bb.208:
	global_load_ubyte v3, v[0:1], off
	s_movk_i32 s0, 0x7f
	s_waitcnt vmcnt(0)
	v_cmp_lt_i16_e32 vcc, s0, v3
	s_mov_b64 s[0:1], 0
	s_and_saveexec_b64 s[2:3], vcc
	s_xor_b64 s[2:3], exec, s[2:3]
	s_cbranch_execz .LBB163_231
; %bb.209:
	s_movk_i32 s0, 0x80
	v_cmp_eq_u16_e32 vcc, s0, v3
	s_mov_b64 s[0:1], -1
	s_and_saveexec_b64 s[6:7], vcc
; %bb.210:
	s_xor_b64 s[0:1], exec, -1
; %bb.211:
	s_or_b64 exec, exec, s[6:7]
	s_and_b64 s[0:1], s[0:1], exec
	s_or_saveexec_b64 s[2:3], s[2:3]
	v_mov_b32_e32 v4, 0x7f800001
	s_xor_b64 exec, exec, s[2:3]
	s_cbranch_execnz .LBB163_232
.LBB163_212:
	s_or_b64 exec, exec, s[2:3]
	s_and_saveexec_b64 s[2:3], s[0:1]
	s_cbranch_execz .LBB163_214
.LBB163_213:
	v_lshlrev_b32_e32 v4, 24, v3
	v_and_b32_e32 v3, 0xffff, v3
	v_and_b32_e32 v5, 3, v3
	v_ffbh_u32_e32 v7, v5
	v_min_u32_e32 v7, 32, v7
	v_subrev_u32_e32 v8, 29, v7
	v_bfe_u32 v6, v3, 2, 5
	v_lshlrev_b32_e32 v3, v8, v3
	v_sub_u32_e32 v7, 30, v7
	v_and_b32_e32 v3, 3, v3
	v_cmp_eq_u32_e32 vcc, 0, v6
	v_cndmask_b32_e32 v6, v6, v7, vcc
	v_cndmask_b32_e32 v3, v5, v3, vcc
	v_mov_b32_e32 v5, 0x37800000
	v_lshlrev_b32_e32 v3, 21, v3
	v_and_b32_e32 v4, 0x80000000, v4
	v_lshl_add_u32 v5, v6, 23, v5
	v_or3_b32 v4, v4, v5, v3
.LBB163_214:
	s_or_b64 exec, exec, s[2:3]
	v_bfe_u32 v3, v4, 16, 1
	s_movk_i32 s0, 0x7fff
	v_add3_u32 v3, v4, v3, s0
	v_cmp_o_f32_e32 vcc, v4, v4
	v_mov_b32_e32 v4, 0x7fc0
	v_cndmask_b32_sdwa v3, v4, v3, vcc dst_sel:DWORD dst_unused:UNUSED_PAD src0_sel:DWORD src1_sel:WORD_1
	s_mov_b64 s[0:1], 0
	s_branch .LBB163_220
.LBB163_215:
	s_mov_b64 s[2:3], -1
                                        ; implicit-def: $vgpr3
	s_branch .LBB163_226
.LBB163_216:
	s_or_saveexec_b64 s[2:3], s[2:3]
	v_mov_b32_e32 v4, 0x7f800001
	s_xor_b64 exec, exec, s[2:3]
	s_cbranch_execz .LBB163_200
.LBB163_217:
	v_cmp_ne_u16_e32 vcc, 0, v3
	s_andn2_b64 s[0:1], s[0:1], exec
	s_and_b64 s[6:7], vcc, exec
	v_mov_b32_e32 v4, 0
	s_or_b64 s[0:1], s[0:1], s[6:7]
	s_or_b64 exec, exec, s[2:3]
	s_and_saveexec_b64 s[2:3], s[0:1]
	s_cbranch_execnz .LBB163_201
	s_branch .LBB163_202
.LBB163_218:
	s_mov_b64 s[0:1], -1
                                        ; implicit-def: $vgpr3
	s_branch .LBB163_223
.LBB163_219:
	s_mov_b64 s[0:1], -1
                                        ; implicit-def: $vgpr3
.LBB163_220:
	s_and_b64 vcc, exec, s[0:1]
	s_cbranch_vccz .LBB163_222
; %bb.221:
	global_load_ubyte v3, v[0:1], off
	s_mov_b32 s0, 0x7f800000
	s_brev_b32 s1, 1
	s_movk_i32 s2, 0x7fff
	s_waitcnt vmcnt(0)
	v_lshlrev_b32_e32 v3, 24, v3
	v_and_b32_e32 v4, 0x7f000000, v3
	v_ffbh_u32_e32 v5, v4
	v_min_u32_e32 v5, 32, v5
	v_sub_u32_e64 v5, v5, 4 clamp
	v_lshlrev_b32_e32 v7, v5, v4
	v_lshlrev_b32_e32 v5, 23, v5
	v_lshrrev_b32_e32 v7, 4, v7
	v_add_u32_e32 v6, 0x1000000, v4
	v_sub_u32_e32 v5, v7, v5
	v_ashrrev_i32_e32 v6, 8, v6
	v_add_u32_e32 v5, 0x3c000000, v5
	v_and_or_b32 v5, v6, s0, v5
	v_cmp_ne_u32_e32 vcc, 0, v4
	v_cndmask_b32_e32 v4, 0, v5, vcc
	v_and_or_b32 v3, v3, s1, v4
	v_bfe_u32 v4, v4, 16, 1
	v_add3_u32 v4, v3, v4, s2
	v_cmp_o_f32_e32 vcc, v3, v3
	v_mov_b32_e32 v3, 0x7fc0
	v_cndmask_b32_sdwa v3, v3, v4, vcc dst_sel:DWORD dst_unused:UNUSED_PAD src0_sel:DWORD src1_sel:WORD_1
.LBB163_222:
	s_mov_b64 s[0:1], 0
.LBB163_223:
	s_andn2_b64 vcc, exec, s[0:1]
	s_cbranch_vccnz .LBB163_225
; %bb.224:
	global_load_ubyte v3, v[0:1], off
	s_movk_i32 s0, 0x7f00
	s_brev_b32 s1, 16
	s_brev_b32 s2, 1
	s_movk_i32 s3, 0x7fff
	s_waitcnt vmcnt(0)
	v_lshlrev_b16_e32 v4, 8, v3
	v_lshlrev_b32_e32 v3, 25, v3
	v_lshrrev_b32_e32 v5, 4, v3
	v_and_or_b32 v6, v4, s0, 0.5
	v_or_b32_e32 v5, 0x70000000, v5
	v_add_f32_e32 v6, -0.5, v6
	v_mul_f32_e32 v5, 0x7800000, v5
	v_cmp_gt_u32_e32 vcc, s1, v3
	v_bfe_i32 v4, v4, 0, 16
	v_cndmask_b32_e32 v3, v5, v6, vcc
	v_and_or_b32 v4, v4, s2, v3
	v_bfe_u32 v3, v3, 16, 1
	v_add3_u32 v3, v4, v3, s3
	v_cmp_o_f32_e32 vcc, v4, v4
	v_mov_b32_e32 v4, 0x7fc0
	v_cndmask_b32_sdwa v3, v4, v3, vcc dst_sel:DWORD dst_unused:UNUSED_PAD src0_sel:DWORD src1_sel:WORD_1
.LBB163_225:
	s_mov_b64 s[2:3], 0
	s_mov_b64 s[0:1], -1
.LBB163_226:
	s_andn2_b64 vcc, exec, s[2:3]
	s_cbranch_vccnz .LBB163_239
; %bb.227:
	s_cmp_gt_i32 s20, 14
	s_cbranch_scc0 .LBB163_230
; %bb.228:
	s_cmp_eq_u32 s20, 15
	s_cbranch_scc0 .LBB163_233
; %bb.229:
	global_load_ushort v3, v[0:1], off
	s_mov_b64 s[0:1], -1
	s_mov_b64 s[16:17], 0
	s_branch .LBB163_234
.LBB163_230:
	s_mov_b64 s[2:3], -1
                                        ; implicit-def: $vgpr3
	s_branch .LBB163_235
.LBB163_231:
	s_or_saveexec_b64 s[2:3], s[2:3]
	v_mov_b32_e32 v4, 0x7f800001
	s_xor_b64 exec, exec, s[2:3]
	s_cbranch_execz .LBB163_212
.LBB163_232:
	v_cmp_ne_u16_e32 vcc, 0, v3
	s_andn2_b64 s[0:1], s[0:1], exec
	s_and_b64 s[6:7], vcc, exec
	v_mov_b32_e32 v4, 0
	s_or_b64 s[0:1], s[0:1], s[6:7]
	s_or_b64 exec, exec, s[2:3]
	s_and_saveexec_b64 s[2:3], s[0:1]
	s_cbranch_execnz .LBB163_213
	s_branch .LBB163_214
.LBB163_233:
	s_mov_b64 s[16:17], -1
                                        ; implicit-def: $vgpr3
.LBB163_234:
	s_mov_b64 s[2:3], 0
.LBB163_235:
	s_and_b64 vcc, exec, s[2:3]
	s_cbranch_vccz .LBB163_239
; %bb.236:
	s_cmp_eq_u32 s20, 11
	s_cbranch_scc0 .LBB163_238
; %bb.237:
	global_load_ubyte v3, v[0:1], off
	s_mov_b64 s[0:1], -1
	s_mov_b64 s[16:17], 0
	s_waitcnt vmcnt(0)
	v_cmp_ne_u16_e32 vcc, 0, v3
	v_cndmask_b32_e64 v3, 0, 1.0, vcc
	v_lshrrev_b32_e32 v3, 16, v3
	s_branch .LBB163_239
.LBB163_238:
	s_mov_b64 s[16:17], -1
                                        ; implicit-def: $vgpr3
.LBB163_239:
	s_branch .LBB163_10
.LBB163_240:
	s_cmp_lt_i32 s20, 5
	s_cbranch_scc1 .LBB163_245
; %bb.241:
	s_cmp_lt_i32 s20, 8
	s_cbranch_scc1 .LBB163_246
; %bb.242:
	;; [unrolled: 3-line block ×3, first 2 shown]
	s_cmp_gt_i32 s20, 9
	s_cbranch_scc0 .LBB163_248
; %bb.244:
	global_load_dwordx2 v[3:4], v[0:1], off
	s_movk_i32 s0, 0x7fff
	s_waitcnt vmcnt(0)
	v_cvt_f32_f64_e32 v3, v[3:4]
	v_mov_b32_e32 v4, 0x7fc0
	v_bfe_u32 v5, v3, 16, 1
	v_cmp_o_f32_e32 vcc, v3, v3
	v_add3_u32 v3, v3, v5, s0
	v_cndmask_b32_sdwa v3, v4, v3, vcc dst_sel:DWORD dst_unused:UNUSED_PAD src0_sel:DWORD src1_sel:WORD_1
	s_mov_b64 s[0:1], 0
	s_branch .LBB163_249
.LBB163_245:
                                        ; implicit-def: $vgpr3
	s_branch .LBB163_267
.LBB163_246:
	s_mov_b64 s[0:1], -1
                                        ; implicit-def: $vgpr3
	s_branch .LBB163_255
.LBB163_247:
	s_mov_b64 s[0:1], -1
                                        ; implicit-def: $vgpr3
	s_branch .LBB163_252
.LBB163_248:
	s_mov_b64 s[0:1], -1
                                        ; implicit-def: $vgpr3
.LBB163_249:
	s_andn2_b64 vcc, exec, s[0:1]
	s_cbranch_vccnz .LBB163_251
; %bb.250:
	global_load_dword v3, v[0:1], off
	s_movk_i32 s0, 0x7fff
	v_mov_b32_e32 v4, 0x7fc0
	s_waitcnt vmcnt(0)
	v_bfe_u32 v5, v3, 16, 1
	v_cmp_o_f32_e32 vcc, v3, v3
	v_add3_u32 v3, v3, v5, s0
	v_cndmask_b32_sdwa v3, v4, v3, vcc dst_sel:DWORD dst_unused:UNUSED_PAD src0_sel:DWORD src1_sel:WORD_1
.LBB163_251:
	s_mov_b64 s[0:1], 0
.LBB163_252:
	s_andn2_b64 vcc, exec, s[0:1]
	s_cbranch_vccnz .LBB163_254
; %bb.253:
	global_load_dword v3, v[0:1], off
	s_movk_i32 s0, 0x7fff
	v_mov_b32_e32 v5, 0x7fc0
	s_waitcnt vmcnt(0)
	v_cvt_f32_f16_e32 v4, v3
	v_cmp_o_f16_e32 vcc, v3, v3
	v_bfe_u32 v3, v4, 16, 1
	v_add3_u32 v3, v4, v3, s0
	v_cndmask_b32_sdwa v3, v5, v3, vcc dst_sel:DWORD dst_unused:UNUSED_PAD src0_sel:DWORD src1_sel:WORD_1
.LBB163_254:
	s_mov_b64 s[0:1], 0
.LBB163_255:
	s_andn2_b64 vcc, exec, s[0:1]
	s_cbranch_vccnz .LBB163_266
; %bb.256:
	s_cmp_lt_i32 s20, 6
	s_cbranch_scc1 .LBB163_259
; %bb.257:
	s_cmp_gt_i32 s20, 6
	s_cbranch_scc0 .LBB163_260
; %bb.258:
	global_load_dwordx2 v[3:4], v[0:1], off
	s_movk_i32 s0, 0x7fff
	s_waitcnt vmcnt(0)
	v_cvt_f32_f64_e32 v3, v[3:4]
	v_mov_b32_e32 v4, 0x7fc0
	v_bfe_u32 v5, v3, 16, 1
	v_cmp_o_f32_e32 vcc, v3, v3
	v_add3_u32 v3, v3, v5, s0
	v_cndmask_b32_sdwa v3, v4, v3, vcc dst_sel:DWORD dst_unused:UNUSED_PAD src0_sel:DWORD src1_sel:WORD_1
	s_mov_b64 s[0:1], 0
	s_branch .LBB163_261
.LBB163_259:
	s_mov_b64 s[0:1], -1
                                        ; implicit-def: $vgpr3
	s_branch .LBB163_264
.LBB163_260:
	s_mov_b64 s[0:1], -1
                                        ; implicit-def: $vgpr3
.LBB163_261:
	s_andn2_b64 vcc, exec, s[0:1]
	s_cbranch_vccnz .LBB163_263
; %bb.262:
	global_load_dword v3, v[0:1], off
	s_movk_i32 s0, 0x7fff
	v_mov_b32_e32 v4, 0x7fc0
	s_waitcnt vmcnt(0)
	v_bfe_u32 v5, v3, 16, 1
	v_cmp_o_f32_e32 vcc, v3, v3
	v_add3_u32 v3, v3, v5, s0
	v_cndmask_b32_sdwa v3, v4, v3, vcc dst_sel:DWORD dst_unused:UNUSED_PAD src0_sel:DWORD src1_sel:WORD_1
.LBB163_263:
	s_mov_b64 s[0:1], 0
.LBB163_264:
	s_andn2_b64 vcc, exec, s[0:1]
	s_cbranch_vccnz .LBB163_266
; %bb.265:
	global_load_ushort v3, v[0:1], off
	s_movk_i32 s0, 0x7fff
	v_mov_b32_e32 v5, 0x7fc0
	s_waitcnt vmcnt(0)
	v_cvt_f32_f16_e32 v4, v3
	v_cmp_o_f16_e32 vcc, v3, v3
	v_bfe_u32 v3, v4, 16, 1
	v_add3_u32 v3, v4, v3, s0
	v_cndmask_b32_sdwa v3, v5, v3, vcc dst_sel:DWORD dst_unused:UNUSED_PAD src0_sel:DWORD src1_sel:WORD_1
.LBB163_266:
	s_cbranch_execnz .LBB163_286
.LBB163_267:
	s_cmp_lt_i32 s20, 2
	s_cbranch_scc1 .LBB163_271
; %bb.268:
	s_cmp_lt_i32 s20, 3
	s_cbranch_scc1 .LBB163_272
; %bb.269:
	s_cmp_gt_i32 s20, 3
	s_cbranch_scc0 .LBB163_273
; %bb.270:
	global_load_dwordx2 v[3:4], v[0:1], off
	s_movk_i32 s0, 0x7fff
	s_waitcnt vmcnt(0)
	v_xor_b32_e32 v6, v3, v4
	v_ffbh_i32_e32 v5, v4
	v_ashrrev_i32_e32 v6, 31, v6
	v_add_u32_e32 v5, -1, v5
	v_add_u32_e32 v6, 32, v6
	v_min_u32_e32 v5, v5, v6
	v_lshlrev_b64 v[3:4], v5, v[3:4]
	v_min_u32_e32 v3, 1, v3
	v_or_b32_e32 v3, v4, v3
	v_cvt_f32_i32_e32 v3, v3
	v_sub_u32_e32 v4, 32, v5
	v_ldexp_f32 v3, v3, v4
	v_bfe_u32 v4, v3, 16, 1
	v_add3_u32 v3, v3, v4, s0
	v_lshrrev_b32_e32 v3, 16, v3
	s_mov_b64 s[0:1], 0
	s_branch .LBB163_274
.LBB163_271:
	s_mov_b64 s[0:1], -1
                                        ; implicit-def: $vgpr3
	s_branch .LBB163_280
.LBB163_272:
	s_mov_b64 s[0:1], -1
                                        ; implicit-def: $vgpr3
	s_branch .LBB163_277
.LBB163_273:
	s_mov_b64 s[0:1], -1
                                        ; implicit-def: $vgpr3
.LBB163_274:
	s_andn2_b64 vcc, exec, s[0:1]
	s_cbranch_vccnz .LBB163_276
; %bb.275:
	global_load_dword v3, v[0:1], off
	s_movk_i32 s0, 0x7fff
	s_waitcnt vmcnt(0)
	v_cvt_f32_i32_e32 v3, v3
	v_bfe_u32 v4, v3, 16, 1
	v_add3_u32 v3, v3, v4, s0
	v_lshrrev_b32_e32 v3, 16, v3
.LBB163_276:
	s_mov_b64 s[0:1], 0
.LBB163_277:
	s_andn2_b64 vcc, exec, s[0:1]
	s_cbranch_vccnz .LBB163_279
; %bb.278:
	global_load_sshort v3, v[0:1], off
	s_movk_i32 s0, 0x7fff
	s_waitcnt vmcnt(0)
	v_cvt_f32_i32_e32 v3, v3
	v_bfe_u32 v4, v3, 16, 1
	v_add3_u32 v3, v3, v4, s0
	v_lshrrev_b32_e32 v3, 16, v3
.LBB163_279:
	s_mov_b64 s[0:1], 0
.LBB163_280:
	s_andn2_b64 vcc, exec, s[0:1]
	s_cbranch_vccnz .LBB163_286
; %bb.281:
	s_cmp_gt_i32 s20, 0
	s_cbranch_scc0 .LBB163_283
; %bb.282:
	global_load_sbyte v3, v[0:1], off
	s_movk_i32 s0, 0x7fff
	s_waitcnt vmcnt(0)
	v_cvt_f32_i32_e32 v3, v3
	v_bfe_u32 v4, v3, 16, 1
	v_add3_u32 v3, v3, v4, s0
	v_lshrrev_b32_e32 v3, 16, v3
	s_mov_b64 s[0:1], 0
	s_branch .LBB163_284
.LBB163_283:
	s_mov_b64 s[0:1], -1
                                        ; implicit-def: $vgpr3
.LBB163_284:
	s_andn2_b64 vcc, exec, s[0:1]
	s_cbranch_vccnz .LBB163_286
; %bb.285:
	global_load_ubyte v0, v[0:1], off
	s_movk_i32 s0, 0x7fff
	s_waitcnt vmcnt(0)
	v_cvt_f32_ubyte0_e32 v0, v0
	v_bfe_u32 v1, v0, 16, 1
	v_add3_u32 v0, v0, v1, s0
	v_lshrrev_b32_e32 v3, 16, v0
.LBB163_286:
	s_branch .LBB163_11
.LBB163_287:
	s_mov_b64 s[0:1], 0
                                        ; implicit-def: $vgpr2
	s_mov_b64 s[2:3], 0
.LBB163_288:
	s_and_b64 s[6:7], s[0:1], exec
	s_and_b64 s[16:17], s[16:17], exec
	s_orn2_b64 s[2:3], s[2:3], exec
.LBB163_289:
	s_or_b64 exec, exec, s[18:19]
	s_mov_b64 s[24:25], 0
	s_mov_b64 s[0:1], 0
                                        ; implicit-def: $vgpr0_vgpr1
                                        ; implicit-def: $vgpr4
	s_and_saveexec_b64 s[18:19], s[2:3]
	s_cbranch_execz .LBB163_298
; %bb.290:
	v_cmp_gt_i32_e32 vcc, s38, v2
	s_mov_b64 s[0:1], -1
	s_mov_b64 s[20:21], s[16:17]
	s_mov_b64 s[22:23], s[6:7]
	s_and_saveexec_b64 s[24:25], vcc
	s_cbranch_execz .LBB163_588
; %bb.291:
	v_mul_lo_u32 v0, v2, s11
	v_mov_b32_e32 v1, s15
	s_and_b32 s26, 0xffff, s42
	s_cmp_lt_i32 s26, 11
	s_waitcnt vmcnt(0)
	v_ashrrev_i32_e32 v3, 31, v0
	v_add_co_u32_e32 v0, vcc, s14, v0
	v_addc_co_u32_e32 v1, vcc, v1, v3, vcc
	s_cbranch_scc1 .LBB163_301
; %bb.292:
	s_cmp_gt_i32 s26, 25
	s_cbranch_scc0 .LBB163_348
; %bb.293:
	s_cmp_gt_i32 s26, 28
	s_cbranch_scc0 .LBB163_350
	;; [unrolled: 3-line block ×4, first 2 shown]
; %bb.296:
	s_cmp_eq_u32 s26, 46
	s_mov_b64 s[2:3], 0
	s_cbranch_scc0 .LBB163_360
; %bb.297:
	global_load_dword v3, v[0:1], off
	s_mov_b64 s[20:21], 0
	s_branch .LBB163_361
.LBB163_298:
	s_or_b64 exec, exec, s[18:19]
	s_mov_b64 s[18:19], 0
	s_and_saveexec_b64 s[2:3], s[16:17]
	s_cbranch_execnz .LBB163_972
.LBB163_299:
	s_or_b64 exec, exec, s[2:3]
	s_and_saveexec_b64 s[2:3], s[22:23]
	s_xor_b64 s[2:3], exec, s[2:3]
	s_cbranch_execz .LBB163_973
.LBB163_300:
	global_load_ubyte v3, v[0:1], off
	s_or_b64 s[0:1], s[0:1], exec
	s_waitcnt vmcnt(0)
	v_cmp_ne_u16_e32 vcc, 0, v3
	v_cndmask_b32_e64 v3, 0, 1.0, vcc
	v_lshrrev_b32_e32 v4, 16, v3
	s_or_b64 exec, exec, s[2:3]
	s_and_saveexec_b64 s[2:3], s[24:25]
	s_cbranch_execz .LBB163_1019
	s_branch .LBB163_974
.LBB163_301:
	s_mov_b64 s[0:1], 0
                                        ; implicit-def: $vgpr3
	s_mov_b64 s[20:21], s[16:17]
	s_cbranch_execnz .LBB163_538
.LBB163_302:
	s_andn2_b64 vcc, exec, s[0:1]
	s_cbranch_vccnz .LBB163_586
.LBB163_303:
	s_waitcnt vmcnt(0)
	v_lshlrev_b32_e32 v0, 16, v3
	s_mov_b32 s0, 0x3c800000
	v_and_b32_e32 v1, 0x7fffffff, v0
	v_cmp_nlt_f32_e64 s[0:1], |v0|, s0
                                        ; implicit-def: $vgpr3
	s_and_saveexec_b64 s[2:3], s[0:1]
	s_xor_b64 s[2:3], exec, s[2:3]
	s_cbranch_execz .LBB163_333
; %bb.304:
	v_cmp_nlt_f32_e64 s[0:1], |v0|, 2.0
                                        ; implicit-def: $vgpr3
	s_and_saveexec_b64 s[22:23], s[0:1]
	s_xor_b64 s[22:23], exec, s[22:23]
	s_cbranch_execz .LBB163_314
; %bb.305:
	s_mov_b32 s0, 0x41000000
	v_cmp_nlt_f32_e64 s[0:1], |v0|, s0
                                        ; implicit-def: $vgpr3
	s_and_saveexec_b64 s[26:27], s[0:1]
	s_xor_b64 s[26:27], exec, s[26:27]
	s_cbranch_execz .LBB163_311
; %bb.306:
	s_mov_b32 s0, 0x5c800000
	v_cmp_nlt_f32_e64 s[0:1], |v0|, s0
                                        ; implicit-def: $vgpr3
	s_and_saveexec_b64 s[28:29], s[0:1]
	s_xor_b64 s[28:29], exec, s[28:29]
	s_cbranch_execz .LBB163_308
; %bb.307:
	s_mov_b32 s0, 0x800000
	v_cmp_lt_f32_e64 vcc, |v0|, s0
	v_cndmask_b32_e64 v3, 0, 32, vcc
	v_ldexp_f32 v3, |v0|, v3
	v_log_f32_e32 v3, v3
	s_mov_b32 s0, 0x3f317217
	s_mov_b32 s1, 0x7f800000
	v_mul_f32_e32 v4, 0x3f317217, v3
	v_fma_f32 v5, v3, s0, -v4
	v_fmac_f32_e32 v5, 0x3377d1cf, v3
	v_add_f32_e32 v4, v4, v5
	v_cmp_lt_f32_e64 s[0:1], |v3|, s1
	v_cndmask_b32_e64 v3, v3, v4, s[0:1]
	v_mov_b32_e32 v4, 0x41b17218
	v_cndmask_b32_e32 v4, 0, v4, vcc
	v_sub_f32_e32 v3, v3, v4
	v_fma_f32 v3, |v0|, v3, -|v0|
.LBB163_308:
	s_andn2_saveexec_b64 s[28:29], s[28:29]
	s_cbranch_execz .LBB163_310
; %bb.309:
	v_rcp_f32_e64 v4, |v0|
	v_mov_b32_e32 v3, 0x3a5b3dd2
	v_mov_b32_e32 v5, 0xba1c065c
	;; [unrolled: 1-line block ×3, first 2 shown]
	v_mul_f32_e32 v7, v4, v4
	v_fmac_f32_e32 v3, 0xbad5c4e8, v7
	v_fmac_f32_e32 v5, v7, v3
	s_mov_b32 s0, 0x800000
	v_fmac_f32_e32 v6, v7, v5
	v_mov_b32_e32 v3, 0xbb360b61
	v_cmp_lt_f32_e64 vcc, |v0|, s0
	v_fmac_f32_e32 v3, v7, v6
	v_cndmask_b32_e64 v6, 0, 32, vcc
	v_ldexp_f32 v6, |v0|, v6
	v_log_f32_e32 v6, v6
	v_mov_b32_e32 v5, 0x3daaaaab
	v_fmac_f32_e32 v5, v7, v3
	v_mov_b32_e32 v3, 0x3ed67f1d
	v_fmac_f32_e32 v3, v4, v5
	s_mov_b32 s0, 0x3f317217
	v_mul_f32_e32 v5, 0x3f317217, v6
	v_fma_f32 v7, v6, s0, -v5
	v_fmac_f32_e32 v7, 0x3377d1cf, v6
	s_mov_b32 s0, 0x7f800000
	v_add_f32_e32 v5, v5, v7
	v_cmp_lt_f32_e64 s[0:1], |v6|, s0
	v_cndmask_b32_e64 v5, v6, v5, s[0:1]
	v_mov_b32_e32 v6, 0x41b17218
	v_cndmask_b32_e32 v6, 0, v6, vcc
	v_sub_f32_e32 v5, v5, v6
	v_add_f32_e64 v4, |v0|, -0.5
	v_add_f32_e32 v5, -1.0, v5
	v_fmac_f32_e32 v3, v4, v5
.LBB163_310:
	s_or_b64 exec, exec, s[28:29]
.LBB163_311:
	s_andn2_saveexec_b64 s[26:27], s[26:27]
	s_cbranch_execz .LBB163_313
; %bb.312:
	v_cvt_i32_f32_e32 v3, v1
	v_mov_b32_e32 v4, 0x3af135b4
	v_mov_b32_e32 v5, 0x3cda40e4
	;; [unrolled: 1-line block ×3, first 2 shown]
	v_cvt_f32_i32_e32 v7, v3
	v_mov_b32_e32 v8, 0x3ea6cc7a
	v_mov_b32_e32 v9, 0x3e5c245a
	v_cmp_lt_i32_e32 vcc, 2, v3
	v_sub_f32_e64 v7, |v0|, v7
	v_fmac_f32_e32 v4, 0x3805ff67, v7
	v_fmac_f32_e32 v5, v7, v4
	;; [unrolled: 1-line block ×3, first 2 shown]
	v_mov_b32_e32 v5, 0x3a4beed6
	v_fmac_f32_e32 v8, v7, v6
	v_fmac_f32_e32 v5, 0x36f5d7bd, v7
	v_mov_b32_e32 v6, 0x3c98bf54
	v_fmac_f32_e32 v6, v7, v5
	v_mov_b32_e32 v5, 0x3e300f6e
	;; [unrolled: 2-line block ×4, first 2 shown]
	v_fmac_f32_e32 v5, v7, v6
	v_add_f32_e32 v6, 2.0, v7
	v_mov_b32_e32 v10, 0xbd9e233f
	v_fmac_f32_e32 v9, v7, v8
	v_add_f32_e32 v8, 0x40400000, v7
	v_cndmask_b32_e32 v6, 1.0, v6, vcc
	v_cmp_lt_i32_e32 vcc, 3, v3
	v_fmac_f32_e32 v10, v7, v9
	v_add_f32_e32 v9, 4.0, v7
	v_cndmask_b32_e32 v8, 1.0, v8, vcc
	v_cmp_lt_i32_e32 vcc, 4, v3
	v_mul_f32_e32 v4, v7, v10
	v_add_f32_e32 v10, 0x40a00000, v7
	v_mul_f32_e32 v6, v6, v8
	v_cndmask_b32_e32 v8, 1.0, v9, vcc
	v_cmp_lt_i32_e32 vcc, 5, v3
	v_add_f32_e32 v11, 0x40c00000, v7
	v_mul_f32_e32 v6, v8, v6
	v_cndmask_b32_e32 v8, 1.0, v10, vcc
	v_cmp_lt_i32_e32 vcc, 6, v3
	v_mul_f32_e32 v6, v8, v6
	v_cndmask_b32_e32 v3, 1.0, v11, vcc
	v_mul_f32_e32 v3, v3, v6
	s_mov_b32 s0, 0x800000
	v_cmp_gt_f32_e32 vcc, s0, v3
	v_cndmask_b32_e64 v6, 0, 32, vcc
	v_fma_f32 v5, v7, v5, 1.0
	v_ldexp_f32 v3, v3, v6
	v_rcp_f32_e32 v5, v5
	v_log_f32_e32 v3, v3
	s_mov_b32 s0, 0x3f317217
	v_mul_f32_e32 v4, v4, v5
	v_mul_f32_e32 v5, 0x3f317217, v3
	v_fma_f32 v6, v3, s0, -v5
	v_fmac_f32_e32 v6, 0x3377d1cf, v3
	s_mov_b32 s0, 0x7f800000
	v_add_f32_e32 v5, v5, v6
	v_cmp_lt_f32_e64 s[0:1], |v3|, s0
	v_cndmask_b32_e64 v3, v3, v5, s[0:1]
	v_mov_b32_e32 v5, 0x41b17218
	v_cndmask_b32_e32 v5, 0, v5, vcc
	v_fmac_f32_e32 v4, 0.5, v7
	v_sub_f32_e32 v3, v3, v5
	v_add_f32_e32 v3, v3, v4
.LBB163_313:
	s_or_b64 exec, exec, s[26:27]
.LBB163_314:
	s_andn2_saveexec_b64 s[22:23], s[22:23]
	s_cbranch_execz .LBB163_332
; %bb.315:
	s_mov_b32 s0, 0x3f666666
	v_cmp_le_f32_e64 s[0:1], |v0|, s0
                                        ; implicit-def: $vgpr3
                                        ; implicit-def: $vgpr5
                                        ; implicit-def: $vgpr4
	s_and_saveexec_b64 s[26:27], s[0:1]
	s_xor_b64 s[26:27], exec, s[26:27]
	s_cbranch_execz .LBB163_317
; %bb.316:
	s_mov_b32 s0, 0x800000
	v_cmp_lt_f32_e64 vcc, |v0|, s0
	v_cndmask_b32_e64 v3, 0, 32, vcc
	v_ldexp_f32 v3, |v0|, v3
	v_log_f32_e32 v3, v3
	s_mov_b32 s0, 0x3f317217
	s_mov_b32 s1, 0x7f800000
	v_mul_f32_e32 v4, 0x3f317217, v3
	v_fma_f32 v5, v3, s0, -v4
	v_fmac_f32_e32 v5, 0x3377d1cf, v3
	v_add_f32_e32 v4, v4, v5
	v_cmp_lt_f32_e64 s[0:1], |v3|, s1
	v_cndmask_b32_e64 v3, v3, v4, s[0:1]
	v_mov_b32_e32 v4, 0x41b17218
	v_cndmask_b32_e32 v4, 0, v4, vcc
	s_mov_b32 s0, 0x3f3b4a23
	s_mov_b32 s1, 0xbeec5b0c
	v_sub_f32_e32 v3, v3, v4
	v_sub_f32_e64 v4, 1.0, |v0|
	v_add_f32_e64 v5, |v0|, s1
	v_cmp_lt_f32_e64 vcc, |v0|, s0
	s_mov_b32 s0, 0x3e6d3309
	v_cndmask_b32_e32 v4, v4, v5, vcc
	v_cndmask_b32_e64 v5, 0, 1, vcc
	v_cmp_lt_f32_e64 s[0:1], |v0|, s0
	v_xor_b32_e32 v3, 0x80000000, v3
	v_cndmask_b32_e64 v4, v4, |v0|, s[0:1]
	v_cndmask_b32_e64 v5, v5, 2, s[0:1]
.LBB163_317:
	s_andn2_saveexec_b64 s[0:1], s[26:27]
	s_cbranch_execz .LBB163_319
; %bb.318:
	s_mov_b32 s26, 0x3fdda512
	s_mov_b32 s27, 0xbfbb16c3
	v_sub_f32_e64 v3, 2.0, |v0|
	v_add_f32_e64 v4, |v0|, s27
	v_cmp_lt_f32_e64 vcc, |v0|, s26
	v_cndmask_b32_e32 v4, v3, v4, vcc
	v_cndmask_b32_e64 v3, v3, 1.0, vcc
	v_cvt_i32_f32_e32 v3, v3
	s_mov_b32 s26, 0x3f9d70a4
	v_add_f32_e64 v5, |v0|, -1.0
	v_cmp_lt_f32_e64 vcc, |v0|, s26
	v_cndmask_b32_e32 v4, v4, v5, vcc
	v_cndmask_b32_e64 v5, v3, 2, vcc
	v_mov_b32_e32 v3, 0
.LBB163_319:
	s_or_b64 exec, exec, s[0:1]
	v_cmp_lt_i32_e32 vcc, 0, v5
	s_and_saveexec_b64 s[0:1], vcc
	s_xor_b64 s[0:1], exec, s[0:1]
	s_cbranch_execz .LBB163_327
; %bb.320:
	v_cmp_lt_i32_e32 vcc, 1, v5
	s_and_saveexec_b64 s[26:27], vcc
	s_xor_b64 s[26:27], exec, s[26:27]
	s_cbranch_execz .LBB163_324
; %bb.321:
	v_cmp_eq_u32_e32 vcc, 2, v5
	s_and_saveexec_b64 s[28:29], vcc
	s_cbranch_execz .LBB163_323
; %bb.322:
	v_mov_b32_e32 v5, 0x3e6a7578
	v_fmac_f32_e32 v5, 0x3c5b3c5e, v4
	v_mov_b32_e32 v6, 0x3f7a4bb2
	v_fmac_f32_e32 v6, v4, v5
	;; [unrolled: 2-line block ×8, first 2 shown]
	v_fma_f32 v5, v4, v7, 1.0
	v_rcp_f32_e32 v5, v5
	v_mov_b32_e32 v7, 0xbd9e233f
	v_fmac_f32_e32 v7, v4, v6
	v_mul_f32_e32 v6, v4, v7
	v_mul_f32_e32 v5, v6, v5
	v_fmac_f32_e32 v5, -0.5, v4
	v_add_f32_e32 v3, v3, v5
.LBB163_323:
	s_or_b64 exec, exec, s[28:29]
                                        ; implicit-def: $vgpr4
.LBB163_324:
	s_andn2_saveexec_b64 s[26:27], s[26:27]
	s_cbranch_execz .LBB163_326
; %bb.325:
	v_mul_f32_e32 v5, v4, v4
	v_mul_f32_e32 v6, v4, v5
	v_mov_b32_e32 v7, 0xbab7f476
	v_fmac_f32_e32 v7, 0x39a57b6b, v6
	v_mov_b32_e32 v8, 0x3bc7e707
	v_fmac_f32_e32 v8, v6, v7
	;; [unrolled: 2-line block ×12, first 2 shown]
	v_fmac_f32_e32 v9, v4, v10
	s_mov_b32 s28, 0xa2863e55
	v_fma_f32 v4, v6, -v9, s28
	v_fma_f32 v4, v5, v8, -v4
	v_add_f32_e32 v4, 0xbdf8cdce, v4
	v_add_f32_e32 v3, v3, v4
.LBB163_326:
	s_or_b64 exec, exec, s[26:27]
                                        ; implicit-def: $vgpr5
                                        ; implicit-def: $vgpr4
.LBB163_327:
	s_andn2_saveexec_b64 s[0:1], s[0:1]
	s_cbranch_execz .LBB163_331
; %bb.328:
	v_cmp_eq_u32_e32 vcc, 0, v5
	s_and_saveexec_b64 s[26:27], vcc
	s_cbranch_execz .LBB163_330
; %bb.329:
	v_mul_f32_e32 v5, v4, v4
	v_mov_b32_e32 v6, 0x39679767
	v_fmac_f32_e32 v6, 0x37d383a2, v5
	v_mov_b32_e32 v7, 0x3a9c54a1
	v_fmac_f32_e32 v7, v5, v6
	;; [unrolled: 2-line block ×10, first 2 shown]
	v_mul_f32_e32 v5, v5, v7
	v_fmac_f32_e32 v5, v4, v6
	v_fmac_f32_e32 v5, -0.5, v4
	v_add_f32_e32 v3, v3, v5
.LBB163_330:
	s_or_b64 exec, exec, s[26:27]
.LBB163_331:
	s_or_b64 exec, exec, s[0:1]
.LBB163_332:
	s_or_b64 exec, exec, s[22:23]
.LBB163_333:
	s_andn2_saveexec_b64 s[2:3], s[2:3]
	s_cbranch_execz .LBB163_335
; %bb.334:
	s_mov_b32 s0, 0x3e8a8991
	v_mov_b32_e32 v3, 0xbecd26ab
	v_fma_f32 v3, |v0|, s0, v3
	s_mov_b32 s0, 0x3f528d33
	v_fma_f32 v3, |v0|, v3, s0
	s_mov_b32 s0, 0x800000
	v_cmp_lt_f32_e64 vcc, |v0|, s0
	v_cndmask_b32_e64 v4, 0, 32, vcc
	v_ldexp_f32 v4, |v0|, v4
	v_log_f32_e32 v4, v4
	s_mov_b32 s0, 0xbf13c468
	v_fma_f32 v3, |v0|, v3, s0
	s_mov_b32 s0, 0x3f317217
	v_mul_f32_e32 v5, 0x3f317217, v4
	v_fma_f32 v6, v4, s0, -v5
	v_fmac_f32_e32 v6, 0x3377d1cf, v4
	s_mov_b32 s0, 0x7f800000
	v_add_f32_e32 v5, v5, v6
	v_cmp_lt_f32_e64 s[0:1], |v4|, s0
	v_cndmask_b32_e64 v4, v4, v5, s[0:1]
	v_mov_b32_e32 v5, 0x41b17218
	v_cndmask_b32_e32 v5, 0, v5, vcc
	v_sub_f32_e32 v4, v4, v5
	v_fma_f32 v3, |v0|, v3, -v4
.LBB163_335:
	s_or_b64 exec, exec, s[2:3]
	v_cmp_le_f32_e32 vcc, 0, v0
	v_cmp_nle_f32_e64 s[0:1], 0, v0
	s_and_saveexec_b64 s[2:3], s[0:1]
	s_xor_b64 s[22:23], exec, s[2:3]
	s_cbranch_execz .LBB163_339
; %bb.336:
	s_mov_b32 s0, 0x4b000000
	s_mov_b32 s2, 0x35000000
	v_cmp_lt_f32_e64 s[0:1], |v0|, s0
	v_cmp_gt_f32_e64 s[2:3], |v0|, s2
	s_and_b64 s[0:1], s[0:1], s[2:3]
	s_and_saveexec_b64 s[26:27], s[0:1]
	s_cbranch_execz .LBB163_338
; %bb.337:
	v_mul_f32_e64 v4, |v0|, 0.5
	v_floor_f32_e32 v5, v4
	v_sub_f32_e32 v5, v4, v5
	v_min_f32_e32 v5, 0x3f7fffff, v5
	s_mov_b32 s2, 0x7f800000
	v_add_f32_e32 v5, v5, v5
	v_cmp_neq_f32_e64 s[0:1], s2, v4
	v_cndmask_b32_e64 v4, 0, v5, s[0:1]
	v_cmp_gt_f32_e64 s[0:1], |v0|, 1.0
	v_cndmask_b32_e64 v4, |v0|, v4, s[0:1]
	v_add_f32_e32 v5, v4, v4
	v_rndne_f32_e32 v5, v5
	v_fmac_f32_e32 v4, -0.5, v5
	v_mul_f32_e32 v6, v4, v4
	v_mov_b32_e32 v7, 0xbf1f24be
	v_fmac_f32_e32 v7, 0x3e75aa41, v6
	v_mov_b32_e32 v8, 0x40234736
	v_fmac_f32_e32 v8, v6, v7
	;; [unrolled: 2-line block ×3, first 2 shown]
	v_mul_f32_e32 v8, v4, v6
	v_mul_f32_e32 v7, v8, v7
	v_fmac_f32_e32 v7, 0x40490fdb, v4
	v_mov_b32_e32 v4, 0x3e642e9d
	v_cvt_i32_f32_e32 v5, v5
	v_fmac_f32_e32 v4, 0x3d4be544, v6
	v_mov_b32_e32 v8, 0xbfaad1da
	v_fmac_f32_e32 v8, v6, v4
	v_mov_b32_e32 v4, 0x4081e0d3
	;; [unrolled: 2-line block ×3, first 2 shown]
	v_fmac_f32_e32 v8, v6, v4
	v_fma_f32 v4, v6, v8, 1.0
	v_and_b32_e32 v6, 1, v5
	v_cmp_eq_u32_e64 s[0:1], 0, v6
	v_cndmask_b32_e64 v4, v4, v7, s[0:1]
	v_lshlrev_b32_e32 v5, 30, v5
	s_brev_b32 s0, 1
	v_and_or_b32 v1, v5, s0, v1
	v_xor_b32_e32 v1, v1, v4
	v_xor_b32_e32 v1, v1, v0
	v_mul_f32_e32 v1, v0, v1
	v_frexp_mant_f32_e64 v4, |v1|
	v_rcp_f32_e32 v4, v4
	v_frexp_exp_i32_f32_e32 v1, v1
	v_sub_u32_e32 v1, 2, v1
	s_mov_b32 s0, 0x800000
	v_mul_f32_e32 v4, 0x3f490fdb, v4
	v_ldexp_f32 v1, v4, v1
	v_cmp_gt_f32_e64 s[0:1], s0, v1
	v_cndmask_b32_e64 v4, 0, 32, s[0:1]
	v_ldexp_f32 v1, v1, v4
	v_log_f32_e32 v1, v1
	s_mov_b32 s3, 0x3f317217
	v_mul_f32_e32 v4, 0x3f317217, v1
	v_fma_f32 v5, v1, s3, -v4
	v_fmac_f32_e32 v5, 0x3377d1cf, v1
	v_add_f32_e32 v4, v4, v5
	v_cmp_lt_f32_e64 s[2:3], |v1|, s2
	v_cndmask_b32_e64 v1, v1, v4, s[2:3]
	v_mov_b32_e32 v4, 0x41b17218
	v_cndmask_b32_e64 v4, 0, v4, s[0:1]
	v_sub_f32_e32 v1, v1, v4
	v_sub_f32_e32 v1, v1, v3
	v_floor_f32_e32 v3, v0
	v_sub_f32_e32 v3, v0, v3
	v_min_f32_e32 v3, 0x3f7fffff, v3
	v_mov_b32_e32 v4, 0x7f800000
	v_cmp_neq_f32_e64 s[0:1], 0, v3
	v_cndmask_b32_e64 v3, v4, v1, s[0:1]
.LBB163_338:
	s_or_b64 exec, exec, s[26:27]
.LBB163_339:
	s_andn2_saveexec_b64 s[22:23], s[22:23]
; %bb.340:
	v_cmp_eq_f32_e64 s[0:1], 1.0, v0
	v_cmp_eq_f32_e64 s[2:3], 2.0, v0
	s_or_b64 s[0:1], s[0:1], s[2:3]
	v_cndmask_b32_e64 v3, v3, 0, s[0:1]
; %bb.341:
	s_or_b64 exec, exec, s[22:23]
	s_mov_b32 s0, 0x4b000000
	v_cmp_lt_f32_e64 s[0:1], |v0|, s0
	v_mov_b32_e32 v1, 0x264
	v_mov_b32_e32 v4, 0x7f800000
	s_or_b64 vcc, vcc, s[0:1]
	v_cndmask_b32_e32 v3, v4, v3, vcc
	v_cmp_class_f32_e32 vcc, v0, v1
	v_cndmask_b32_e32 v1, v3, v4, vcc
	v_cmp_u_f32_e32 vcc, v0, v0
	v_cndmask_b32_e32 v0, v1, v0, vcc
	v_bfe_u32 v1, v0, 16, 1
	s_movk_i32 s0, 0x7fff
	v_add3_u32 v1, v0, v1, s0
	v_cmp_o_f32_e32 vcc, v0, v0
	v_mul_lo_u32 v0, v2, s10
	v_mov_b32_e32 v3, 0x7fc0
	v_cndmask_b32_sdwa v3, v3, v1, vcc dst_sel:DWORD dst_unused:UNUSED_PAD src0_sel:DWORD src1_sel:WORD_1
	v_mov_b32_e32 v4, s13
	v_ashrrev_i32_e32 v1, 31, v0
	s_and_b32 s28, s33, 0xff
	v_add_co_u32_e32 v0, vcc, s12, v0
	s_cmp_lt_i32 s28, 11
	v_addc_co_u32_e32 v1, vcc, v4, v1, vcc
	s_cbranch_scc1 .LBB163_349
; %bb.342:
	s_and_b32 s29, 0xffff, s28
	s_cmp_gt_i32 s29, 25
	s_cbranch_scc0 .LBB163_351
; %bb.343:
	s_cmp_gt_i32 s29, 28
	s_cbranch_scc0 .LBB163_353
; %bb.344:
	;; [unrolled: 3-line block ×4, first 2 shown]
	s_mov_b64 s[22:23], 0
	s_mov_b64 s[0:1], -1
	s_cmp_eq_u32 s29, 46
	s_mov_b64 s[2:3], 0
	s_cbranch_scc0 .LBB163_365
; %bb.347:
	v_and_b32_e32 v4, 0xffff, v3
	global_store_dword v[0:1], v4, off
	s_mov_b64 s[2:3], -1
	s_mov_b64 s[0:1], 0
	s_branch .LBB163_365
.LBB163_348:
	s_mov_b64 s[2:3], -1
	s_mov_b64 s[0:1], 0
	s_mov_b64 s[20:21], s[16:17]
                                        ; implicit-def: $vgpr3
	s_branch .LBB163_502
.LBB163_349:
	s_mov_b64 s[22:23], -1
	s_mov_b64 s[2:3], 0
	s_mov_b64 s[0:1], s[6:7]
	s_branch .LBB163_434
.LBB163_350:
	s_mov_b64 s[2:3], -1
	s_mov_b64 s[0:1], 0
	s_mov_b64 s[20:21], s[16:17]
                                        ; implicit-def: $vgpr3
	s_branch .LBB163_483
.LBB163_351:
	s_mov_b64 s[22:23], -1
	s_mov_b64 s[2:3], 0
	s_mov_b64 s[0:1], s[6:7]
	s_branch .LBB163_392
.LBB163_352:
	s_mov_b64 s[2:3], -1
	s_mov_b64 s[0:1], 0
	s_mov_b64 s[20:21], s[16:17]
                                        ; implicit-def: $vgpr3
	s_branch .LBB163_478
.LBB163_353:
	s_mov_b64 s[22:23], -1
	s_mov_b64 s[2:3], 0
	s_mov_b64 s[0:1], s[6:7]
	s_branch .LBB163_375
.LBB163_354:
	s_andn2_saveexec_b64 s[20:21], s[20:21]
	s_cbranch_execz .LBB163_92
.LBB163_355:
	s_mov_b32 s26, 0x46000000
	v_add_f32_e64 v5, |v6|, s26
	v_and_b32_e32 v5, 0xff, v5
	v_cmp_ne_u32_e32 vcc, 0, v5
	s_andn2_b64 s[6:7], s[6:7], exec
	s_and_b64 s[26:27], vcc, exec
	s_or_b64 s[6:7], s[6:7], s[26:27]
	s_or_b64 exec, exec, s[20:21]
	v_mov_b32_e32 v7, 0
	s_and_saveexec_b64 s[20:21], s[6:7]
	s_cbranch_execnz .LBB163_93
	s_branch .LBB163_94
.LBB163_356:
	s_mov_b64 s[2:3], -1
	s_mov_b64 s[0:1], 0
	s_mov_b64 s[20:21], s[16:17]
                                        ; implicit-def: $vgpr3
	s_branch .LBB163_361
.LBB163_357:
	s_mov_b64 s[22:23], -1
	s_mov_b64 s[2:3], 0
	s_mov_b64 s[0:1], s[6:7]
	s_branch .LBB163_371
.LBB163_358:
	s_andn2_saveexec_b64 s[20:21], s[20:21]
	s_cbranch_execz .LBB163_105
.LBB163_359:
	s_mov_b32 s26, 0x42800000
	v_add_f32_e64 v5, |v6|, s26
	v_and_b32_e32 v5, 0xff, v5
	v_cmp_ne_u32_e32 vcc, 0, v5
	s_andn2_b64 s[6:7], s[6:7], exec
	s_and_b64 s[26:27], vcc, exec
	s_or_b64 s[6:7], s[6:7], s[26:27]
	s_or_b64 exec, exec, s[20:21]
	v_mov_b32_e32 v7, 0
	s_and_saveexec_b64 s[20:21], s[6:7]
	s_cbranch_execnz .LBB163_106
	s_branch .LBB163_107
.LBB163_360:
	s_mov_b64 s[20:21], -1
                                        ; implicit-def: $vgpr3
	s_mov_b64 s[0:1], 0
.LBB163_361:
	s_and_b64 vcc, exec, s[2:3]
	s_cbranch_vccz .LBB163_477
; %bb.362:
	s_cmp_eq_u32 s26, 44
	s_cbranch_scc0 .LBB163_476
; %bb.363:
	global_load_ubyte v3, v[0:1], off
	s_movk_i32 s2, 0xff
	v_mov_b32_e32 v4, 0x7f800001
	v_mov_b32_e32 v5, 0x400000
	;; [unrolled: 1-line block ×3, first 2 shown]
	s_mov_b64 s[0:1], -1
	s_mov_b64 s[20:21], 0
	s_waitcnt vmcnt(0)
	v_lshlrev_b32_e32 v7, 23, v3
	v_cmp_ne_u32_e32 vcc, s2, v3
	v_cndmask_b32_e32 v4, v4, v7, vcc
	v_cmp_ne_u32_e32 vcc, 0, v3
	v_cndmask_b32_e32 v3, v5, v4, vcc
	v_add_u32_e32 v4, 0x7fff, v3
	v_cmp_o_f32_e32 vcc, v3, v3
	v_cndmask_b32_sdwa v3, v6, v4, vcc dst_sel:DWORD dst_unused:UNUSED_PAD src0_sel:DWORD src1_sel:WORD_1
	s_branch .LBB163_477
.LBB163_364:
	s_mov_b64 s[22:23], -1
	s_mov_b64 s[2:3], 0
	s_mov_b64 s[0:1], s[6:7]
.LBB163_365:
	s_and_b64 vcc, exec, s[22:23]
	s_cbranch_vccz .LBB163_370
; %bb.366:
	s_cmp_eq_u32 s29, 44
	s_mov_b64 s[0:1], -1
	s_cbranch_scc0 .LBB163_370
; %bb.367:
	v_and_b32_e32 v5, 0xffff, v3
	v_bfe_u32 v4, v5, 7, 8
	s_movk_i32 s0, 0xff
	v_cmp_ne_u32_e32 vcc, s0, v4
	v_mov_b32_e32 v6, 0xff
	s_and_saveexec_b64 s[2:3], vcc
	s_cbranch_execz .LBB163_369
; %bb.368:
	v_lshlrev_b32_e32 v7, 16, v5
	s_mov_b32 s0, 0x3f0000
	v_lshrrev_b32_e32 v6, 7, v5
	v_and_b32_e32 v5, 64, v5
	v_and_or_b32 v4, v7, s0, v4
	v_cmp_ne_u32_e32 vcc, 0, v5
	v_cmp_ne_u32_e64 s[0:1], 0, v4
	s_and_b64 s[0:1], vcc, s[0:1]
	v_cndmask_b32_e64 v4, 0, 1, s[0:1]
	v_add_u32_e32 v6, v6, v4
.LBB163_369:
	s_or_b64 exec, exec, s[2:3]
	s_mov_b64 s[2:3], -1
	s_mov_b64 s[0:1], 0
	global_store_byte v[0:1], v6, off
.LBB163_370:
	s_mov_b64 s[22:23], 0
.LBB163_371:
	s_and_b64 vcc, exec, s[22:23]
	s_cbranch_vccz .LBB163_374
; %bb.372:
	s_cmp_eq_u32 s29, 29
	s_mov_b64 s[0:1], -1
	s_cbranch_scc0 .LBB163_374
; %bb.373:
	v_lshlrev_b32_e32 v4, 16, v3
	v_trunc_f32_e32 v4, v4
	v_mul_f32_e32 v5, 0x2f800000, v4
	v_floor_f32_e32 v6, v5
	v_fmac_f32_e32 v4, 0xcf800000, v6
	v_cvt_u32_f32_e32 v5, v6
	v_cvt_u32_f32_e32 v4, v4
	s_mov_b64 s[2:3], -1
	s_mov_b64 s[0:1], 0
	s_mov_b64 s[22:23], 0
	global_store_dwordx2 v[0:1], v[4:5], off
	s_branch .LBB163_375
.LBB163_374:
	s_mov_b64 s[22:23], 0
.LBB163_375:
	s_and_b64 vcc, exec, s[22:23]
	s_cbranch_vccz .LBB163_391
; %bb.376:
	s_cmp_lt_i32 s29, 27
	s_mov_b64 s[2:3], -1
	s_cbranch_scc1 .LBB163_382
; %bb.377:
	s_cmp_gt_i32 s29, 27
	s_cbranch_scc0 .LBB163_379
; %bb.378:
	v_lshlrev_b32_e32 v4, 16, v3
	v_cvt_u32_f32_e32 v4, v4
	s_mov_b64 s[2:3], 0
	global_store_dword v[0:1], v4, off
.LBB163_379:
	s_andn2_b64 vcc, exec, s[2:3]
	s_cbranch_vccnz .LBB163_381
; %bb.380:
	v_lshlrev_b32_e32 v4, 16, v3
	v_cvt_u32_f32_e32 v4, v4
	global_store_short v[0:1], v4, off
.LBB163_381:
	s_mov_b64 s[2:3], 0
.LBB163_382:
	s_andn2_b64 vcc, exec, s[2:3]
	s_cbranch_vccnz .LBB163_390
; %bb.383:
	v_lshlrev_b32_e32 v6, 16, v3
	v_and_b32_e32 v5, 0x7fffffff, v6
	s_mov_b32 s2, 0x43800000
	v_cmp_gt_u32_e32 vcc, s2, v5
	v_mov_b32_e32 v7, 0x80
	s_and_saveexec_b64 s[2:3], vcc
	s_cbranch_execz .LBB163_389
; %bb.384:
	s_mov_b32 s22, 0x3bffffff
	v_and_b32_e32 v4, 0xffff, v3
	v_cmp_lt_u32_e32 vcc, s22, v5
	s_mov_b64 s[22:23], 0
                                        ; implicit-def: $vgpr5
	s_and_saveexec_b64 s[26:27], vcc
	s_xor_b64 s[26:27], exec, s[26:27]
	s_cbranch_execz .LBB163_601
; %bb.385:
	v_bfe_u32 v5, v4, 4, 1
	s_mov_b32 s30, 0x487ffff
	v_add3_u32 v5, v6, v5, s30
	s_mov_b64 s[22:23], exec
	v_lshrrev_b32_e32 v5, 20, v5
                                        ; implicit-def: $vgpr6
	s_andn2_saveexec_b64 s[26:27], s[26:27]
	s_cbranch_execnz .LBB163_602
.LBB163_386:
	s_or_b64 exec, exec, s[26:27]
	v_mov_b32_e32 v7, 0
	s_and_saveexec_b64 s[26:27], s[22:23]
.LBB163_387:
	v_lshrrev_b32_e32 v4, 8, v4
	s_movk_i32 s22, 0x80
	v_and_or_b32 v7, v4, s22, v5
.LBB163_388:
	s_or_b64 exec, exec, s[26:27]
.LBB163_389:
	s_or_b64 exec, exec, s[2:3]
	global_store_byte v[0:1], v7, off
.LBB163_390:
	s_mov_b64 s[2:3], -1
.LBB163_391:
	s_mov_b64 s[22:23], 0
.LBB163_392:
	s_and_b64 vcc, exec, s[22:23]
	s_cbranch_vccz .LBB163_433
; %bb.393:
	s_cmp_gt_i32 s29, 22
	s_mov_b64 s[22:23], -1
	s_cbranch_scc0 .LBB163_425
; %bb.394:
	s_cmp_lt_i32 s29, 24
	s_mov_b64 s[2:3], -1
	s_cbranch_scc1 .LBB163_414
; %bb.395:
	s_cmp_gt_i32 s29, 24
	s_cbranch_scc0 .LBB163_403
; %bb.396:
	v_lshlrev_b32_e32 v6, 16, v3
	v_and_b32_e32 v5, 0x7fffffff, v6
	s_mov_b32 s2, 0x47800000
	v_cmp_gt_u32_e32 vcc, s2, v5
	v_mov_b32_e32 v7, 0x80
	s_and_saveexec_b64 s[2:3], vcc
	s_cbranch_execz .LBB163_402
; %bb.397:
	s_mov_b32 s22, 0x37ffffff
	v_and_b32_e32 v4, 0xffff, v3
	v_cmp_lt_u32_e32 vcc, s22, v5
	s_mov_b64 s[22:23], 0
                                        ; implicit-def: $vgpr5
	s_and_saveexec_b64 s[26:27], vcc
	s_xor_b64 s[26:27], exec, s[26:27]
	s_cbranch_execz .LBB163_604
; %bb.398:
	v_bfe_u32 v5, v4, 5, 1
	s_mov_b32 s30, 0x88fffff
	v_add3_u32 v5, v6, v5, s30
	s_mov_b64 s[22:23], exec
	v_lshrrev_b32_e32 v5, 21, v5
                                        ; implicit-def: $vgpr6
	s_andn2_saveexec_b64 s[26:27], s[26:27]
	s_cbranch_execnz .LBB163_605
.LBB163_399:
	s_or_b64 exec, exec, s[26:27]
	v_mov_b32_e32 v7, 0
	s_and_saveexec_b64 s[26:27], s[22:23]
.LBB163_400:
	v_lshrrev_b32_e32 v4, 8, v4
	s_movk_i32 s22, 0x80
	v_and_or_b32 v7, v4, s22, v5
.LBB163_401:
	s_or_b64 exec, exec, s[26:27]
.LBB163_402:
	s_or_b64 exec, exec, s[2:3]
	s_mov_b64 s[2:3], 0
	global_store_byte v[0:1], v7, off
.LBB163_403:
	s_and_b64 vcc, exec, s[2:3]
	s_cbranch_vccz .LBB163_413
; %bb.404:
	v_lshlrev_b32_e32 v6, 16, v3
	v_and_b32_e32 v7, 0x7fffffff, v6
	s_mov_b32 s2, 0x43f00000
	v_and_b32_e32 v4, 0xffff, v3
	v_cmp_gt_u32_e32 vcc, s2, v7
                                        ; implicit-def: $vgpr5
	s_and_saveexec_b64 s[2:3], vcc
	s_xor_b64 s[2:3], exec, s[2:3]
	s_cbranch_execz .LBB163_410
; %bb.405:
	s_mov_b32 s22, 0x3c7fffff
	v_cmp_lt_u32_e32 vcc, s22, v7
                                        ; implicit-def: $vgpr5
	s_and_saveexec_b64 s[22:23], vcc
	s_xor_b64 s[22:23], exec, s[22:23]
; %bb.406:
	v_bfe_u32 v5, v4, 4, 1
	s_mov_b32 s26, 0x407ffff
	v_add3_u32 v5, v6, v5, s26
	v_lshrrev_b32_e32 v6, 20, v5
	v_and_b32_e32 v5, 0xff00000, v5
	s_mov_b32 s26, 0x7f00000
	v_mov_b32_e32 v7, 0x7e
	v_cmp_ne_u32_e32 vcc, s26, v5
	v_cndmask_b32_e32 v5, v7, v6, vcc
                                        ; implicit-def: $vgpr6
; %bb.407:
	s_andn2_saveexec_b64 s[22:23], s[22:23]
; %bb.408:
	s_mov_b32 s26, 0x46800000
	v_add_f32_e64 v5, |v6|, s26
; %bb.409:
	s_or_b64 exec, exec, s[22:23]
                                        ; implicit-def: $vgpr7
.LBB163_410:
	s_andn2_saveexec_b64 s[2:3], s[2:3]
; %bb.411:
	s_mov_b32 s22, 0x7f800000
	v_mov_b32_e32 v5, 0x7e
	v_mov_b32_e32 v6, 0x7f
	v_cmp_lt_u32_e32 vcc, s22, v7
	v_cndmask_b32_e32 v5, v5, v6, vcc
; %bb.412:
	s_or_b64 exec, exec, s[2:3]
	v_lshrrev_b32_e32 v4, 8, v4
	s_movk_i32 s2, 0x80
	v_and_or_b32 v4, v4, s2, v5
	global_store_byte v[0:1], v4, off
.LBB163_413:
	s_mov_b64 s[2:3], 0
.LBB163_414:
	s_andn2_b64 vcc, exec, s[2:3]
	s_cbranch_vccnz .LBB163_424
; %bb.415:
	v_lshlrev_b32_e32 v6, 16, v3
	v_and_b32_e32 v7, 0x7fffffff, v6
	s_mov_b32 s2, 0x47800000
	v_and_b32_e32 v4, 0xffff, v3
	v_cmp_gt_u32_e32 vcc, s2, v7
                                        ; implicit-def: $vgpr5
	s_and_saveexec_b64 s[2:3], vcc
	s_xor_b64 s[2:3], exec, s[2:3]
	s_cbranch_execz .LBB163_421
; %bb.416:
	s_mov_b32 s22, 0x387fffff
	v_cmp_lt_u32_e32 vcc, s22, v7
                                        ; implicit-def: $vgpr5
	s_and_saveexec_b64 s[22:23], vcc
	s_xor_b64 s[22:23], exec, s[22:23]
; %bb.417:
	v_bfe_u32 v5, v4, 5, 1
	s_mov_b32 s26, 0x80fffff
	v_add3_u32 v5, v6, v5, s26
	v_lshrrev_b32_e32 v5, 21, v5
                                        ; implicit-def: $vgpr6
; %bb.418:
	s_andn2_saveexec_b64 s[22:23], s[22:23]
; %bb.419:
	s_mov_b32 s26, 0x43000000
	v_add_f32_e64 v5, |v6|, s26
; %bb.420:
	s_or_b64 exec, exec, s[22:23]
                                        ; implicit-def: $vgpr7
.LBB163_421:
	s_andn2_saveexec_b64 s[2:3], s[2:3]
; %bb.422:
	s_mov_b32 s22, 0x7f800000
	v_mov_b32_e32 v5, 0x7c
	v_mov_b32_e32 v6, 0x7f
	v_cmp_lt_u32_e32 vcc, s22, v7
	v_cndmask_b32_e32 v5, v5, v6, vcc
; %bb.423:
	s_or_b64 exec, exec, s[2:3]
	v_lshrrev_b32_e32 v4, 8, v4
	s_movk_i32 s2, 0x80
	v_and_or_b32 v4, v4, s2, v5
	global_store_byte v[0:1], v4, off
.LBB163_424:
	s_mov_b64 s[22:23], 0
	s_mov_b64 s[2:3], -1
.LBB163_425:
	s_andn2_b64 vcc, exec, s[22:23]
	s_cbranch_vccnz .LBB163_433
; %bb.426:
	s_cmp_gt_i32 s29, 14
	s_mov_b64 s[22:23], -1
	s_cbranch_scc0 .LBB163_430
; %bb.427:
	s_cmp_eq_u32 s29, 15
	s_mov_b64 s[0:1], -1
	s_cbranch_scc0 .LBB163_429
; %bb.428:
	global_store_short v[0:1], v3, off
	s_mov_b64 s[2:3], -1
	s_mov_b64 s[0:1], 0
.LBB163_429:
	s_mov_b64 s[22:23], 0
.LBB163_430:
	s_and_b64 vcc, exec, s[22:23]
	s_cbranch_vccz .LBB163_433
; %bb.431:
	s_cmp_eq_u32 s29, 11
	s_mov_b64 s[0:1], -1
	s_cbranch_scc0 .LBB163_433
; %bb.432:
	v_and_b32_e32 v4, 0x7fff, v3
	v_cmp_ne_u16_e32 vcc, 0, v4
	v_cndmask_b32_e64 v4, 0, 1, vcc
	s_mov_b64 s[2:3], -1
	s_mov_b64 s[0:1], 0
	global_store_byte v[0:1], v4, off
.LBB163_433:
	s_mov_b64 s[22:23], 0
.LBB163_434:
	s_and_b64 vcc, exec, s[22:23]
	s_cbranch_vccz .LBB163_473
; %bb.435:
	s_and_b32 s22, 0xffff, s28
	s_cmp_lt_i32 s22, 5
	s_mov_b64 s[2:3], -1
	s_cbranch_scc1 .LBB163_456
; %bb.436:
	s_cmp_lt_i32 s22, 8
	s_cbranch_scc1 .LBB163_446
; %bb.437:
	s_cmp_lt_i32 s22, 9
	s_cbranch_scc1 .LBB163_443
; %bb.438:
	s_cmp_gt_i32 s22, 9
	s_cbranch_scc0 .LBB163_440
; %bb.439:
	v_lshlrev_b32_e32 v4, 16, v3
	v_cvt_f64_f32_e32 v[4:5], v4
	v_mov_b32_e32 v6, 0
	v_mov_b32_e32 v7, v6
	s_mov_b64 s[2:3], 0
	global_store_dwordx4 v[0:1], v[4:7], off
.LBB163_440:
	s_andn2_b64 vcc, exec, s[2:3]
	s_cbranch_vccnz .LBB163_442
; %bb.441:
	v_lshlrev_b32_e32 v4, 16, v3
	v_mov_b32_e32 v5, 0
	global_store_dwordx2 v[0:1], v[4:5], off
.LBB163_442:
	s_mov_b64 s[2:3], 0
.LBB163_443:
	s_andn2_b64 vcc, exec, s[2:3]
	s_cbranch_vccnz .LBB163_445
; %bb.444:
	v_lshlrev_b32_e32 v4, 16, v3
	v_cvt_f16_f32_e32 v4, v4
	global_store_dword v[0:1], v4, off
.LBB163_445:
	s_mov_b64 s[2:3], 0
.LBB163_446:
	s_andn2_b64 vcc, exec, s[2:3]
	s_cbranch_vccnz .LBB163_455
; %bb.447:
	s_cmp_lt_i32 s22, 6
	s_mov_b64 s[2:3], -1
	s_cbranch_scc1 .LBB163_453
; %bb.448:
	s_cmp_gt_i32 s22, 6
	s_cbranch_scc0 .LBB163_450
; %bb.449:
	v_lshlrev_b32_e32 v4, 16, v3
	v_cvt_f64_f32_e32 v[4:5], v4
	s_mov_b64 s[2:3], 0
	global_store_dwordx2 v[0:1], v[4:5], off
.LBB163_450:
	s_andn2_b64 vcc, exec, s[2:3]
	s_cbranch_vccnz .LBB163_452
; %bb.451:
	v_lshlrev_b32_e32 v4, 16, v3
	global_store_dword v[0:1], v4, off
.LBB163_452:
	s_mov_b64 s[2:3], 0
.LBB163_453:
	s_andn2_b64 vcc, exec, s[2:3]
	s_cbranch_vccnz .LBB163_455
; %bb.454:
	v_lshlrev_b32_e32 v4, 16, v3
	v_cvt_f16_f32_e32 v4, v4
	global_store_short v[0:1], v4, off
.LBB163_455:
	s_mov_b64 s[2:3], 0
.LBB163_456:
	s_andn2_b64 vcc, exec, s[2:3]
	s_cbranch_vccnz .LBB163_472
; %bb.457:
	s_cmp_lt_i32 s22, 2
	s_mov_b64 s[2:3], -1
	s_cbranch_scc1 .LBB163_467
; %bb.458:
	s_cmp_lt_i32 s22, 3
	s_cbranch_scc1 .LBB163_464
; %bb.459:
	s_cmp_gt_i32 s22, 3
	s_cbranch_scc0 .LBB163_461
; %bb.460:
	v_lshlrev_b32_e32 v4, 16, v3
	v_trunc_f32_e32 v4, v4
	s_mov_b32 s2, 0x2f800000
	v_mul_f32_e64 v5, |v4|, s2
	v_floor_f32_e32 v5, v5
	s_mov_b32 s2, 0xcf800000
	v_cvt_u32_f32_e32 v6, v5
	v_fma_f32 v5, v5, s2, |v4|
	v_cvt_u32_f32_e32 v5, v5
	v_ashrrev_i32_e32 v7, 31, v4
	v_xor_b32_e32 v6, v6, v7
	s_mov_b64 s[2:3], 0
	v_xor_b32_e32 v4, v5, v7
	v_sub_co_u32_e32 v4, vcc, v4, v7
	v_subb_co_u32_e32 v5, vcc, v6, v7, vcc
	global_store_dwordx2 v[0:1], v[4:5], off
.LBB163_461:
	s_andn2_b64 vcc, exec, s[2:3]
	s_cbranch_vccnz .LBB163_463
; %bb.462:
	v_lshlrev_b32_e32 v4, 16, v3
	v_cvt_i32_f32_e32 v4, v4
	global_store_dword v[0:1], v4, off
.LBB163_463:
	s_mov_b64 s[2:3], 0
.LBB163_464:
	s_andn2_b64 vcc, exec, s[2:3]
	s_cbranch_vccnz .LBB163_466
; %bb.465:
	v_lshlrev_b32_e32 v4, 16, v3
	v_cvt_i32_f32_e32 v4, v4
	global_store_short v[0:1], v4, off
.LBB163_466:
	s_mov_b64 s[2:3], 0
.LBB163_467:
	s_andn2_b64 vcc, exec, s[2:3]
	s_cbranch_vccnz .LBB163_472
; %bb.468:
	s_mov_b64 s[2:3], -1
	s_cmp_gt_i32 s22, 0
	v_lshlrev_b32_e32 v3, 16, v3
	s_cbranch_scc0 .LBB163_470
; %bb.469:
	v_cvt_i32_f32_e32 v4, v3
	s_mov_b64 s[2:3], 0
	global_store_byte v[0:1], v4, off
.LBB163_470:
	s_andn2_b64 vcc, exec, s[2:3]
	s_cbranch_vccnz .LBB163_472
; %bb.471:
	v_trunc_f32_e32 v3, v3
	s_mov_b32 s2, 0x2f800000
	v_mul_f32_e64 v4, |v3|, s2
	v_floor_f32_e32 v4, v4
	s_mov_b32 s2, 0xcf800000
	v_fma_f32 v4, v4, s2, |v3|
	v_cvt_u32_f32_e32 v4, v4
	v_ashrrev_i32_e32 v3, 31, v3
	v_xor_b32_e32 v4, v4, v3
	v_sub_u32_e32 v3, v4, v3
	global_store_byte v[0:1], v3, off
.LBB163_472:
	s_mov_b64 s[2:3], -1
.LBB163_473:
	s_andn2_b64 vcc, exec, s[2:3]
	s_cbranch_vccnz .LBB163_475
; %bb.474:
	v_add_u32_e32 v2, 0x80, v2
	s_mov_b64 s[2:3], -1
	s_branch .LBB163_587
.LBB163_475:
	s_mov_b64 s[2:3], 0
                                        ; implicit-def: $vgpr2
	s_branch .LBB163_587
.LBB163_476:
	s_mov_b64 s[20:21], -1
                                        ; implicit-def: $vgpr3
.LBB163_477:
	s_mov_b64 s[2:3], 0
.LBB163_478:
	s_and_b64 vcc, exec, s[2:3]
	s_cbranch_vccz .LBB163_482
; %bb.479:
	s_cmp_eq_u32 s26, 29
	s_cbranch_scc0 .LBB163_481
; %bb.480:
	global_load_dwordx2 v[3:4], v[0:1], off
	s_movk_i32 s2, 0x7fff
	s_mov_b64 s[0:1], -1
	s_mov_b64 s[20:21], 0
	s_waitcnt vmcnt(0)
	v_ffbh_u32_e32 v5, v4
	v_min_u32_e32 v5, 32, v5
	v_lshlrev_b64 v[3:4], v5, v[3:4]
	v_min_u32_e32 v3, 1, v3
	v_or_b32_e32 v3, v4, v3
	v_cvt_f32_u32_e32 v3, v3
	v_sub_u32_e32 v4, 32, v5
	v_ldexp_f32 v3, v3, v4
	v_bfe_u32 v4, v3, 16, 1
	v_add3_u32 v3, v3, v4, s2
	v_lshrrev_b32_e32 v3, 16, v3
	s_branch .LBB163_482
.LBB163_481:
	s_mov_b64 s[20:21], -1
                                        ; implicit-def: $vgpr3
.LBB163_482:
	s_mov_b64 s[2:3], 0
.LBB163_483:
	s_and_b64 vcc, exec, s[2:3]
	s_cbranch_vccz .LBB163_501
; %bb.484:
	s_cmp_lt_i32 s26, 27
	s_cbranch_scc1 .LBB163_487
; %bb.485:
	s_cmp_gt_i32 s26, 27
	s_cbranch_scc0 .LBB163_488
; %bb.486:
	global_load_dword v3, v[0:1], off
	s_movk_i32 s0, 0x7fff
	s_waitcnt vmcnt(0)
	v_cvt_f32_u32_e32 v3, v3
	v_bfe_u32 v4, v3, 16, 1
	v_add3_u32 v3, v3, v4, s0
	v_lshrrev_b32_e32 v3, 16, v3
	s_mov_b64 s[0:1], 0
	s_branch .LBB163_489
.LBB163_487:
	s_mov_b64 s[0:1], -1
                                        ; implicit-def: $vgpr3
	s_branch .LBB163_492
.LBB163_488:
	s_mov_b64 s[0:1], -1
                                        ; implicit-def: $vgpr3
.LBB163_489:
	s_andn2_b64 vcc, exec, s[0:1]
	s_cbranch_vccnz .LBB163_491
; %bb.490:
	global_load_ushort v3, v[0:1], off
	s_movk_i32 s0, 0x7fff
	s_waitcnt vmcnt(0)
	v_cvt_f32_u32_e32 v3, v3
	v_bfe_u32 v4, v3, 16, 1
	v_add3_u32 v3, v3, v4, s0
	v_lshrrev_b32_e32 v3, 16, v3
.LBB163_491:
	s_mov_b64 s[0:1], 0
.LBB163_492:
	s_andn2_b64 vcc, exec, s[0:1]
	s_cbranch_vccnz .LBB163_500
; %bb.493:
	global_load_ubyte v3, v[0:1], off
	s_movk_i32 s0, 0x7f
	s_waitcnt vmcnt(0)
	v_cmp_lt_i16_e32 vcc, s0, v3
	s_mov_b64 s[0:1], 0
	s_and_saveexec_b64 s[2:3], vcc
	s_xor_b64 s[2:3], exec, s[2:3]
	s_cbranch_execz .LBB163_514
; %bb.494:
	s_movk_i32 s0, 0x80
	v_cmp_eq_u16_e32 vcc, s0, v3
	s_mov_b64 s[0:1], -1
	s_and_saveexec_b64 s[22:23], vcc
; %bb.495:
	s_xor_b64 s[0:1], exec, -1
; %bb.496:
	s_or_b64 exec, exec, s[22:23]
	s_and_b64 s[0:1], s[0:1], exec
	s_or_saveexec_b64 s[2:3], s[2:3]
	v_mov_b32_e32 v4, 0x7f800001
	s_xor_b64 exec, exec, s[2:3]
	s_cbranch_execnz .LBB163_515
.LBB163_497:
	s_or_b64 exec, exec, s[2:3]
	s_and_saveexec_b64 s[2:3], s[0:1]
	s_cbranch_execz .LBB163_499
.LBB163_498:
	v_lshlrev_b32_e32 v4, 24, v3
	v_and_b32_e32 v3, 0xffff, v3
	v_and_b32_e32 v5, 7, v3
	v_ffbh_u32_e32 v7, v5
	v_min_u32_e32 v7, 32, v7
	v_subrev_u32_e32 v8, 28, v7
	v_bfe_u32 v6, v3, 3, 4
	v_lshlrev_b32_e32 v3, v8, v3
	v_sub_u32_e32 v7, 29, v7
	v_and_b32_e32 v3, 7, v3
	v_cmp_eq_u32_e32 vcc, 0, v6
	v_cndmask_b32_e32 v6, v6, v7, vcc
	v_cndmask_b32_e32 v3, v5, v3, vcc
	v_mov_b32_e32 v5, 0x3b800000
	v_lshlrev_b32_e32 v3, 20, v3
	v_and_b32_e32 v4, 0x80000000, v4
	v_lshl_add_u32 v5, v6, 23, v5
	v_or3_b32 v4, v4, v5, v3
.LBB163_499:
	s_or_b64 exec, exec, s[2:3]
	v_bfe_u32 v3, v4, 16, 1
	s_movk_i32 s0, 0x7fff
	v_add3_u32 v3, v4, v3, s0
	v_cmp_o_f32_e32 vcc, v4, v4
	v_mov_b32_e32 v4, 0x7fc0
	v_cndmask_b32_sdwa v3, v4, v3, vcc dst_sel:DWORD dst_unused:UNUSED_PAD src0_sel:DWORD src1_sel:WORD_1
.LBB163_500:
	s_mov_b64 s[0:1], -1
.LBB163_501:
	s_mov_b64 s[2:3], 0
.LBB163_502:
	s_and_b64 vcc, exec, s[2:3]
	s_cbranch_vccz .LBB163_537
; %bb.503:
	s_cmp_gt_i32 s26, 22
	s_cbranch_scc0 .LBB163_513
; %bb.504:
	s_cmp_lt_i32 s26, 24
	s_cbranch_scc1 .LBB163_516
; %bb.505:
	s_cmp_gt_i32 s26, 24
	s_cbranch_scc0 .LBB163_517
; %bb.506:
	global_load_ubyte v3, v[0:1], off
	s_movk_i32 s0, 0x7f
	s_waitcnt vmcnt(0)
	v_cmp_lt_i16_e32 vcc, s0, v3
	s_mov_b64 s[0:1], 0
	s_and_saveexec_b64 s[2:3], vcc
	s_xor_b64 s[2:3], exec, s[2:3]
	s_cbranch_execz .LBB163_529
; %bb.507:
	s_movk_i32 s0, 0x80
	v_cmp_eq_u16_e32 vcc, s0, v3
	s_mov_b64 s[0:1], -1
	s_and_saveexec_b64 s[22:23], vcc
; %bb.508:
	s_xor_b64 s[0:1], exec, -1
; %bb.509:
	s_or_b64 exec, exec, s[22:23]
	s_and_b64 s[0:1], s[0:1], exec
	s_or_saveexec_b64 s[2:3], s[2:3]
	v_mov_b32_e32 v4, 0x7f800001
	s_xor_b64 exec, exec, s[2:3]
	s_cbranch_execnz .LBB163_530
.LBB163_510:
	s_or_b64 exec, exec, s[2:3]
	s_and_saveexec_b64 s[2:3], s[0:1]
	s_cbranch_execz .LBB163_512
.LBB163_511:
	v_lshlrev_b32_e32 v4, 24, v3
	v_and_b32_e32 v3, 0xffff, v3
	v_and_b32_e32 v5, 3, v3
	v_ffbh_u32_e32 v7, v5
	v_min_u32_e32 v7, 32, v7
	v_subrev_u32_e32 v8, 29, v7
	v_bfe_u32 v6, v3, 2, 5
	v_lshlrev_b32_e32 v3, v8, v3
	v_sub_u32_e32 v7, 30, v7
	v_and_b32_e32 v3, 3, v3
	v_cmp_eq_u32_e32 vcc, 0, v6
	v_cndmask_b32_e32 v6, v6, v7, vcc
	v_cndmask_b32_e32 v3, v5, v3, vcc
	v_mov_b32_e32 v5, 0x37800000
	v_lshlrev_b32_e32 v3, 21, v3
	v_and_b32_e32 v4, 0x80000000, v4
	v_lshl_add_u32 v5, v6, 23, v5
	v_or3_b32 v4, v4, v5, v3
.LBB163_512:
	s_or_b64 exec, exec, s[2:3]
	v_bfe_u32 v3, v4, 16, 1
	s_movk_i32 s0, 0x7fff
	v_add3_u32 v3, v4, v3, s0
	v_cmp_o_f32_e32 vcc, v4, v4
	v_mov_b32_e32 v4, 0x7fc0
	v_cndmask_b32_sdwa v3, v4, v3, vcc dst_sel:DWORD dst_unused:UNUSED_PAD src0_sel:DWORD src1_sel:WORD_1
	s_mov_b64 s[0:1], 0
	s_branch .LBB163_518
.LBB163_513:
	s_mov_b64 s[2:3], -1
                                        ; implicit-def: $vgpr3
	s_branch .LBB163_524
.LBB163_514:
	s_or_saveexec_b64 s[2:3], s[2:3]
	v_mov_b32_e32 v4, 0x7f800001
	s_xor_b64 exec, exec, s[2:3]
	s_cbranch_execz .LBB163_497
.LBB163_515:
	v_cmp_ne_u16_e32 vcc, 0, v3
	s_andn2_b64 s[0:1], s[0:1], exec
	s_and_b64 s[22:23], vcc, exec
	v_mov_b32_e32 v4, 0
	s_or_b64 s[0:1], s[0:1], s[22:23]
	s_or_b64 exec, exec, s[2:3]
	s_and_saveexec_b64 s[2:3], s[0:1]
	s_cbranch_execnz .LBB163_498
	s_branch .LBB163_499
.LBB163_516:
	s_mov_b64 s[0:1], -1
                                        ; implicit-def: $vgpr3
	s_branch .LBB163_521
.LBB163_517:
	s_mov_b64 s[0:1], -1
                                        ; implicit-def: $vgpr3
.LBB163_518:
	s_and_b64 vcc, exec, s[0:1]
	s_cbranch_vccz .LBB163_520
; %bb.519:
	global_load_ubyte v3, v[0:1], off
	s_mov_b32 s0, 0x7f800000
	s_brev_b32 s1, 1
	s_movk_i32 s2, 0x7fff
	s_waitcnt vmcnt(0)
	v_lshlrev_b32_e32 v3, 24, v3
	v_and_b32_e32 v4, 0x7f000000, v3
	v_ffbh_u32_e32 v5, v4
	v_min_u32_e32 v5, 32, v5
	v_sub_u32_e64 v5, v5, 4 clamp
	v_lshlrev_b32_e32 v7, v5, v4
	v_lshlrev_b32_e32 v5, 23, v5
	v_lshrrev_b32_e32 v7, 4, v7
	v_add_u32_e32 v6, 0x1000000, v4
	v_sub_u32_e32 v5, v7, v5
	v_ashrrev_i32_e32 v6, 8, v6
	v_add_u32_e32 v5, 0x3c000000, v5
	v_and_or_b32 v5, v6, s0, v5
	v_cmp_ne_u32_e32 vcc, 0, v4
	v_cndmask_b32_e32 v4, 0, v5, vcc
	v_and_or_b32 v3, v3, s1, v4
	v_bfe_u32 v4, v4, 16, 1
	v_add3_u32 v4, v3, v4, s2
	v_cmp_o_f32_e32 vcc, v3, v3
	v_mov_b32_e32 v3, 0x7fc0
	v_cndmask_b32_sdwa v3, v3, v4, vcc dst_sel:DWORD dst_unused:UNUSED_PAD src0_sel:DWORD src1_sel:WORD_1
.LBB163_520:
	s_mov_b64 s[0:1], 0
.LBB163_521:
	s_andn2_b64 vcc, exec, s[0:1]
	s_cbranch_vccnz .LBB163_523
; %bb.522:
	global_load_ubyte v3, v[0:1], off
	s_movk_i32 s0, 0x7f00
	s_brev_b32 s1, 16
	s_brev_b32 s2, 1
	s_movk_i32 s3, 0x7fff
	s_waitcnt vmcnt(0)
	v_lshlrev_b16_e32 v4, 8, v3
	v_lshlrev_b32_e32 v3, 25, v3
	v_lshrrev_b32_e32 v5, 4, v3
	v_and_or_b32 v6, v4, s0, 0.5
	v_or_b32_e32 v5, 0x70000000, v5
	v_add_f32_e32 v6, -0.5, v6
	v_mul_f32_e32 v5, 0x7800000, v5
	v_cmp_gt_u32_e32 vcc, s1, v3
	v_bfe_i32 v4, v4, 0, 16
	v_cndmask_b32_e32 v3, v5, v6, vcc
	v_and_or_b32 v4, v4, s2, v3
	v_bfe_u32 v3, v3, 16, 1
	v_add3_u32 v3, v4, v3, s3
	v_cmp_o_f32_e32 vcc, v4, v4
	v_mov_b32_e32 v4, 0x7fc0
	v_cndmask_b32_sdwa v3, v4, v3, vcc dst_sel:DWORD dst_unused:UNUSED_PAD src0_sel:DWORD src1_sel:WORD_1
.LBB163_523:
	s_mov_b64 s[2:3], 0
	s_mov_b64 s[0:1], -1
.LBB163_524:
	s_andn2_b64 vcc, exec, s[2:3]
	s_cbranch_vccnz .LBB163_537
; %bb.525:
	s_cmp_gt_i32 s26, 14
	s_cbranch_scc0 .LBB163_528
; %bb.526:
	s_cmp_eq_u32 s26, 15
	s_cbranch_scc0 .LBB163_531
; %bb.527:
	global_load_ushort v3, v[0:1], off
	s_mov_b64 s[0:1], -1
	s_mov_b64 s[20:21], 0
	s_branch .LBB163_532
.LBB163_528:
	s_mov_b64 s[2:3], -1
                                        ; implicit-def: $vgpr3
	s_branch .LBB163_533
.LBB163_529:
	s_or_saveexec_b64 s[2:3], s[2:3]
	v_mov_b32_e32 v4, 0x7f800001
	s_xor_b64 exec, exec, s[2:3]
	s_cbranch_execz .LBB163_510
.LBB163_530:
	v_cmp_ne_u16_e32 vcc, 0, v3
	s_andn2_b64 s[0:1], s[0:1], exec
	s_and_b64 s[22:23], vcc, exec
	v_mov_b32_e32 v4, 0
	s_or_b64 s[0:1], s[0:1], s[22:23]
	s_or_b64 exec, exec, s[2:3]
	s_and_saveexec_b64 s[2:3], s[0:1]
	s_cbranch_execnz .LBB163_511
	s_branch .LBB163_512
.LBB163_531:
	s_mov_b64 s[20:21], -1
                                        ; implicit-def: $vgpr3
.LBB163_532:
	s_mov_b64 s[2:3], 0
.LBB163_533:
	s_and_b64 vcc, exec, s[2:3]
	s_cbranch_vccz .LBB163_537
; %bb.534:
	s_cmp_eq_u32 s26, 11
	s_cbranch_scc0 .LBB163_536
; %bb.535:
	global_load_ubyte v3, v[0:1], off
	s_mov_b64 s[0:1], -1
	s_mov_b64 s[20:21], 0
	s_waitcnt vmcnt(0)
	v_cmp_ne_u16_e32 vcc, 0, v3
	v_cndmask_b32_e64 v3, 0, 1.0, vcc
	v_lshrrev_b32_e32 v3, 16, v3
	s_branch .LBB163_537
.LBB163_536:
	s_mov_b64 s[20:21], -1
                                        ; implicit-def: $vgpr3
.LBB163_537:
	s_branch .LBB163_302
.LBB163_538:
	s_cmp_lt_i32 s26, 5
	s_cbranch_scc1 .LBB163_543
; %bb.539:
	s_cmp_lt_i32 s26, 8
	s_cbranch_scc1 .LBB163_544
; %bb.540:
	;; [unrolled: 3-line block ×3, first 2 shown]
	s_cmp_gt_i32 s26, 9
	s_cbranch_scc0 .LBB163_546
; %bb.542:
	global_load_dwordx2 v[3:4], v[0:1], off
	s_movk_i32 s0, 0x7fff
	s_waitcnt vmcnt(0)
	v_cvt_f32_f64_e32 v3, v[3:4]
	v_mov_b32_e32 v4, 0x7fc0
	v_bfe_u32 v5, v3, 16, 1
	v_cmp_o_f32_e32 vcc, v3, v3
	v_add3_u32 v3, v3, v5, s0
	v_cndmask_b32_sdwa v3, v4, v3, vcc dst_sel:DWORD dst_unused:UNUSED_PAD src0_sel:DWORD src1_sel:WORD_1
	s_mov_b64 s[0:1], 0
	s_branch .LBB163_547
.LBB163_543:
	s_mov_b64 s[0:1], -1
                                        ; implicit-def: $vgpr3
	s_branch .LBB163_565
.LBB163_544:
	s_mov_b64 s[0:1], -1
                                        ; implicit-def: $vgpr3
	s_branch .LBB163_553
.LBB163_545:
	s_mov_b64 s[0:1], -1
                                        ; implicit-def: $vgpr3
	s_branch .LBB163_550
.LBB163_546:
	s_mov_b64 s[0:1], -1
                                        ; implicit-def: $vgpr3
.LBB163_547:
	s_andn2_b64 vcc, exec, s[0:1]
	s_cbranch_vccnz .LBB163_549
; %bb.548:
	global_load_dword v3, v[0:1], off
	s_movk_i32 s0, 0x7fff
	v_mov_b32_e32 v4, 0x7fc0
	s_waitcnt vmcnt(0)
	v_bfe_u32 v5, v3, 16, 1
	v_cmp_o_f32_e32 vcc, v3, v3
	v_add3_u32 v3, v3, v5, s0
	v_cndmask_b32_sdwa v3, v4, v3, vcc dst_sel:DWORD dst_unused:UNUSED_PAD src0_sel:DWORD src1_sel:WORD_1
.LBB163_549:
	s_mov_b64 s[0:1], 0
.LBB163_550:
	s_andn2_b64 vcc, exec, s[0:1]
	s_cbranch_vccnz .LBB163_552
; %bb.551:
	global_load_dword v3, v[0:1], off
	s_movk_i32 s0, 0x7fff
	v_mov_b32_e32 v5, 0x7fc0
	s_waitcnt vmcnt(0)
	v_cvt_f32_f16_e32 v4, v3
	v_cmp_o_f16_e32 vcc, v3, v3
	v_bfe_u32 v3, v4, 16, 1
	v_add3_u32 v3, v4, v3, s0
	v_cndmask_b32_sdwa v3, v5, v3, vcc dst_sel:DWORD dst_unused:UNUSED_PAD src0_sel:DWORD src1_sel:WORD_1
.LBB163_552:
	s_mov_b64 s[0:1], 0
.LBB163_553:
	s_andn2_b64 vcc, exec, s[0:1]
	s_cbranch_vccnz .LBB163_564
; %bb.554:
	s_cmp_lt_i32 s26, 6
	s_cbranch_scc1 .LBB163_557
; %bb.555:
	s_cmp_gt_i32 s26, 6
	s_cbranch_scc0 .LBB163_558
; %bb.556:
	global_load_dwordx2 v[3:4], v[0:1], off
	s_movk_i32 s0, 0x7fff
	s_waitcnt vmcnt(0)
	v_cvt_f32_f64_e32 v3, v[3:4]
	v_mov_b32_e32 v4, 0x7fc0
	v_bfe_u32 v5, v3, 16, 1
	v_cmp_o_f32_e32 vcc, v3, v3
	v_add3_u32 v3, v3, v5, s0
	v_cndmask_b32_sdwa v3, v4, v3, vcc dst_sel:DWORD dst_unused:UNUSED_PAD src0_sel:DWORD src1_sel:WORD_1
	s_mov_b64 s[0:1], 0
	s_branch .LBB163_559
.LBB163_557:
	s_mov_b64 s[0:1], -1
                                        ; implicit-def: $vgpr3
	s_branch .LBB163_562
.LBB163_558:
	s_mov_b64 s[0:1], -1
                                        ; implicit-def: $vgpr3
.LBB163_559:
	s_andn2_b64 vcc, exec, s[0:1]
	s_cbranch_vccnz .LBB163_561
; %bb.560:
	global_load_dword v3, v[0:1], off
	s_movk_i32 s0, 0x7fff
	v_mov_b32_e32 v4, 0x7fc0
	s_waitcnt vmcnt(0)
	v_bfe_u32 v5, v3, 16, 1
	v_cmp_o_f32_e32 vcc, v3, v3
	v_add3_u32 v3, v3, v5, s0
	v_cndmask_b32_sdwa v3, v4, v3, vcc dst_sel:DWORD dst_unused:UNUSED_PAD src0_sel:DWORD src1_sel:WORD_1
.LBB163_561:
	s_mov_b64 s[0:1], 0
.LBB163_562:
	s_andn2_b64 vcc, exec, s[0:1]
	s_cbranch_vccnz .LBB163_564
; %bb.563:
	global_load_ushort v3, v[0:1], off
	s_movk_i32 s0, 0x7fff
	v_mov_b32_e32 v5, 0x7fc0
	s_waitcnt vmcnt(0)
	v_cvt_f32_f16_e32 v4, v3
	v_cmp_o_f16_e32 vcc, v3, v3
	v_bfe_u32 v3, v4, 16, 1
	v_add3_u32 v3, v4, v3, s0
	v_cndmask_b32_sdwa v3, v5, v3, vcc dst_sel:DWORD dst_unused:UNUSED_PAD src0_sel:DWORD src1_sel:WORD_1
.LBB163_564:
	s_mov_b64 s[0:1], 0
.LBB163_565:
	s_andn2_b64 vcc, exec, s[0:1]
	s_cbranch_vccnz .LBB163_585
; %bb.566:
	s_cmp_lt_i32 s26, 2
	s_cbranch_scc1 .LBB163_570
; %bb.567:
	s_cmp_lt_i32 s26, 3
	s_cbranch_scc1 .LBB163_571
; %bb.568:
	s_cmp_gt_i32 s26, 3
	s_cbranch_scc0 .LBB163_572
; %bb.569:
	global_load_dwordx2 v[3:4], v[0:1], off
	s_movk_i32 s0, 0x7fff
	s_waitcnt vmcnt(0)
	v_xor_b32_e32 v6, v3, v4
	v_ffbh_i32_e32 v5, v4
	v_ashrrev_i32_e32 v6, 31, v6
	v_add_u32_e32 v5, -1, v5
	v_add_u32_e32 v6, 32, v6
	v_min_u32_e32 v5, v5, v6
	v_lshlrev_b64 v[3:4], v5, v[3:4]
	v_min_u32_e32 v3, 1, v3
	v_or_b32_e32 v3, v4, v3
	v_cvt_f32_i32_e32 v3, v3
	v_sub_u32_e32 v4, 32, v5
	v_ldexp_f32 v3, v3, v4
	v_bfe_u32 v4, v3, 16, 1
	v_add3_u32 v3, v3, v4, s0
	v_lshrrev_b32_e32 v3, 16, v3
	s_mov_b64 s[0:1], 0
	s_branch .LBB163_573
.LBB163_570:
	s_mov_b64 s[0:1], -1
                                        ; implicit-def: $vgpr3
	s_branch .LBB163_579
.LBB163_571:
	s_mov_b64 s[0:1], -1
                                        ; implicit-def: $vgpr3
	s_branch .LBB163_576
.LBB163_572:
	s_mov_b64 s[0:1], -1
                                        ; implicit-def: $vgpr3
.LBB163_573:
	s_andn2_b64 vcc, exec, s[0:1]
	s_cbranch_vccnz .LBB163_575
; %bb.574:
	global_load_dword v3, v[0:1], off
	s_movk_i32 s0, 0x7fff
	s_waitcnt vmcnt(0)
	v_cvt_f32_i32_e32 v3, v3
	v_bfe_u32 v4, v3, 16, 1
	v_add3_u32 v3, v3, v4, s0
	v_lshrrev_b32_e32 v3, 16, v3
.LBB163_575:
	s_mov_b64 s[0:1], 0
.LBB163_576:
	s_andn2_b64 vcc, exec, s[0:1]
	s_cbranch_vccnz .LBB163_578
; %bb.577:
	global_load_sshort v3, v[0:1], off
	s_movk_i32 s0, 0x7fff
	s_waitcnt vmcnt(0)
	v_cvt_f32_i32_e32 v3, v3
	v_bfe_u32 v4, v3, 16, 1
	v_add3_u32 v3, v3, v4, s0
	v_lshrrev_b32_e32 v3, 16, v3
.LBB163_578:
	s_mov_b64 s[0:1], 0
.LBB163_579:
	s_andn2_b64 vcc, exec, s[0:1]
	s_cbranch_vccnz .LBB163_585
; %bb.580:
	s_cmp_gt_i32 s26, 0
	s_cbranch_scc0 .LBB163_582
; %bb.581:
	global_load_sbyte v3, v[0:1], off
	s_movk_i32 s0, 0x7fff
	s_waitcnt vmcnt(0)
	v_cvt_f32_i32_e32 v3, v3
	v_bfe_u32 v4, v3, 16, 1
	v_add3_u32 v3, v3, v4, s0
	v_lshrrev_b32_e32 v3, 16, v3
	s_mov_b64 s[0:1], 0
	s_branch .LBB163_583
.LBB163_582:
	s_mov_b64 s[0:1], -1
                                        ; implicit-def: $vgpr3
.LBB163_583:
	s_andn2_b64 vcc, exec, s[0:1]
	s_cbranch_vccnz .LBB163_585
; %bb.584:
	global_load_ubyte v0, v[0:1], off
	s_movk_i32 s0, 0x7fff
	s_waitcnt vmcnt(0)
	v_cvt_f32_ubyte0_e32 v0, v0
	v_bfe_u32 v1, v0, 16, 1
	v_add3_u32 v0, v0, v1, s0
	v_lshrrev_b32_e32 v3, 16, v0
.LBB163_585:
	s_branch .LBB163_303
.LBB163_586:
	s_mov_b64 s[2:3], 0
                                        ; implicit-def: $vgpr2
	s_mov_b64 s[0:1], s[6:7]
.LBB163_587:
	s_andn2_b64 s[22:23], s[6:7], exec
	s_and_b64 s[0:1], s[0:1], exec
	s_or_b64 s[22:23], s[22:23], s[0:1]
	s_andn2_b64 s[0:1], s[16:17], exec
	s_and_b64 s[20:21], s[20:21], exec
	s_or_b64 s[20:21], s[0:1], s[20:21]
	s_orn2_b64 s[0:1], s[2:3], exec
.LBB163_588:
	s_or_b64 exec, exec, s[24:25]
	s_mov_b64 s[2:3], 0
	s_mov_b64 s[26:27], 0
	s_mov_b64 s[28:29], 0
                                        ; implicit-def: $vgpr0_vgpr1
                                        ; implicit-def: $vgpr4
	s_and_saveexec_b64 s[24:25], s[0:1]
	s_cbranch_execz .LBB163_971
; %bb.589:
	v_cmp_gt_i32_e32 vcc, s38, v2
	s_mov_b64 s[34:35], -1
	s_mov_b64 s[0:1], s[20:21]
	s_mov_b64 s[2:3], s[22:23]
	s_and_saveexec_b64 s[26:27], vcc
	s_cbranch_execz .LBB163_885
; %bb.590:
	v_mul_lo_u32 v0, v2, s11
	v_mov_b32_e32 v1, s15
	s_and_b32 s34, 0xffff, s42
	s_cmp_lt_i32 s34, 11
	s_waitcnt vmcnt(0)
	v_ashrrev_i32_e32 v3, 31, v0
	v_add_co_u32_e32 v0, vcc, s14, v0
	v_addc_co_u32_e32 v1, vcc, v1, v3, vcc
	s_cbranch_scc1 .LBB163_597
; %bb.591:
	s_cmp_gt_i32 s34, 25
	s_cbranch_scc0 .LBB163_598
; %bb.592:
	s_cmp_gt_i32 s34, 28
	s_cbranch_scc0 .LBB163_599
	;; [unrolled: 3-line block ×4, first 2 shown]
; %bb.595:
	s_cmp_eq_u32 s34, 46
	s_mov_b64 s[2:3], 0
	s_cbranch_scc0 .LBB163_606
; %bb.596:
	global_load_dword v3, v[0:1], off
	s_mov_b64 s[0:1], -1
	s_branch .LBB163_607
.LBB163_597:
	s_mov_b64 s[2:3], -1
	s_mov_b64 s[0:1], 0
                                        ; implicit-def: $vgpr3
	s_mov_b64 s[28:29], s[20:21]
	s_branch .LBB163_672
.LBB163_598:
	s_mov_b64 s[2:3], -1
	s_mov_b64 s[0:1], 0
	s_mov_b64 s[28:29], s[20:21]
                                        ; implicit-def: $vgpr3
	s_branch .LBB163_636
.LBB163_599:
	s_mov_b64 s[2:3], -1
	s_mov_b64 s[0:1], 0
	s_mov_b64 s[28:29], s[20:21]
                                        ; implicit-def: $vgpr3
	s_branch .LBB163_617
.LBB163_600:
	s_mov_b64 s[2:3], -1
	s_mov_b64 s[0:1], 0
	s_mov_b64 s[28:29], s[20:21]
                                        ; implicit-def: $vgpr3
	s_branch .LBB163_612
.LBB163_601:
	s_andn2_saveexec_b64 s[26:27], s[26:27]
	s_cbranch_execz .LBB163_386
.LBB163_602:
	s_mov_b32 s30, 0x46000000
	v_add_f32_e64 v5, |v6|, s30
	v_and_b32_e32 v5, 0xff, v5
	v_cmp_ne_u32_e32 vcc, 0, v5
	s_andn2_b64 s[22:23], s[22:23], exec
	s_and_b64 s[30:31], vcc, exec
	s_or_b64 s[22:23], s[22:23], s[30:31]
	s_or_b64 exec, exec, s[26:27]
	v_mov_b32_e32 v7, 0
	s_and_saveexec_b64 s[26:27], s[22:23]
	s_cbranch_execnz .LBB163_387
	s_branch .LBB163_388
.LBB163_603:
	s_mov_b64 s[2:3], -1
	s_mov_b64 s[0:1], 0
	s_mov_b64 s[28:29], s[20:21]
                                        ; implicit-def: $vgpr3
	s_branch .LBB163_607
.LBB163_604:
	s_andn2_saveexec_b64 s[26:27], s[26:27]
	s_cbranch_execz .LBB163_399
.LBB163_605:
	s_mov_b32 s30, 0x42800000
	v_add_f32_e64 v5, |v6|, s30
	v_and_b32_e32 v5, 0xff, v5
	v_cmp_ne_u32_e32 vcc, 0, v5
	s_andn2_b64 s[22:23], s[22:23], exec
	s_and_b64 s[30:31], vcc, exec
	s_or_b64 s[22:23], s[22:23], s[30:31]
	s_or_b64 exec, exec, s[26:27]
	v_mov_b32_e32 v7, 0
	s_and_saveexec_b64 s[26:27], s[22:23]
	s_cbranch_execnz .LBB163_400
	s_branch .LBB163_401
.LBB163_606:
	s_mov_b64 s[28:29], -1
                                        ; implicit-def: $vgpr3
	s_mov_b64 s[0:1], 0
.LBB163_607:
	s_and_b64 vcc, exec, s[2:3]
	s_cbranch_vccz .LBB163_611
; %bb.608:
	s_cmp_eq_u32 s34, 44
	s_cbranch_scc0 .LBB163_610
; %bb.609:
	global_load_ubyte v3, v[0:1], off
	s_movk_i32 s2, 0xff
	v_mov_b32_e32 v4, 0x7f800001
	v_mov_b32_e32 v5, 0x400000
	;; [unrolled: 1-line block ×3, first 2 shown]
	s_mov_b64 s[0:1], -1
	s_mov_b64 s[28:29], 0
	s_waitcnt vmcnt(0)
	v_lshlrev_b32_e32 v7, 23, v3
	v_cmp_ne_u32_e32 vcc, s2, v3
	v_cndmask_b32_e32 v4, v4, v7, vcc
	v_cmp_ne_u32_e32 vcc, 0, v3
	v_cndmask_b32_e32 v3, v5, v4, vcc
	v_add_u32_e32 v4, 0x7fff, v3
	v_cmp_o_f32_e32 vcc, v3, v3
	v_cndmask_b32_sdwa v3, v6, v4, vcc dst_sel:DWORD dst_unused:UNUSED_PAD src0_sel:DWORD src1_sel:WORD_1
	s_branch .LBB163_611
.LBB163_610:
	s_mov_b64 s[28:29], -1
                                        ; implicit-def: $vgpr3
.LBB163_611:
	s_mov_b64 s[2:3], 0
.LBB163_612:
	s_and_b64 vcc, exec, s[2:3]
	s_cbranch_vccz .LBB163_616
; %bb.613:
	s_cmp_eq_u32 s34, 29
	s_cbranch_scc0 .LBB163_615
; %bb.614:
	global_load_dwordx2 v[3:4], v[0:1], off
	s_movk_i32 s2, 0x7fff
	s_mov_b64 s[0:1], -1
	s_mov_b64 s[28:29], 0
	s_waitcnt vmcnt(0)
	v_ffbh_u32_e32 v5, v4
	v_min_u32_e32 v5, 32, v5
	v_lshlrev_b64 v[3:4], v5, v[3:4]
	v_min_u32_e32 v3, 1, v3
	v_or_b32_e32 v3, v4, v3
	v_cvt_f32_u32_e32 v3, v3
	v_sub_u32_e32 v4, 32, v5
	v_ldexp_f32 v3, v3, v4
	v_bfe_u32 v4, v3, 16, 1
	v_add3_u32 v3, v3, v4, s2
	v_lshrrev_b32_e32 v3, 16, v3
	s_branch .LBB163_616
.LBB163_615:
	s_mov_b64 s[28:29], -1
                                        ; implicit-def: $vgpr3
.LBB163_616:
	s_mov_b64 s[2:3], 0
.LBB163_617:
	s_and_b64 vcc, exec, s[2:3]
	s_cbranch_vccz .LBB163_635
; %bb.618:
	s_cmp_lt_i32 s34, 27
	s_cbranch_scc1 .LBB163_621
; %bb.619:
	s_cmp_gt_i32 s34, 27
	s_cbranch_scc0 .LBB163_622
; %bb.620:
	global_load_dword v3, v[0:1], off
	s_movk_i32 s0, 0x7fff
	s_waitcnt vmcnt(0)
	v_cvt_f32_u32_e32 v3, v3
	v_bfe_u32 v4, v3, 16, 1
	v_add3_u32 v3, v3, v4, s0
	v_lshrrev_b32_e32 v3, 16, v3
	s_mov_b64 s[0:1], 0
	s_branch .LBB163_623
.LBB163_621:
	s_mov_b64 s[0:1], -1
                                        ; implicit-def: $vgpr3
	s_branch .LBB163_626
.LBB163_622:
	s_mov_b64 s[0:1], -1
                                        ; implicit-def: $vgpr3
.LBB163_623:
	s_andn2_b64 vcc, exec, s[0:1]
	s_cbranch_vccnz .LBB163_625
; %bb.624:
	global_load_ushort v3, v[0:1], off
	s_movk_i32 s0, 0x7fff
	s_waitcnt vmcnt(0)
	v_cvt_f32_u32_e32 v3, v3
	v_bfe_u32 v4, v3, 16, 1
	v_add3_u32 v3, v3, v4, s0
	v_lshrrev_b32_e32 v3, 16, v3
.LBB163_625:
	s_mov_b64 s[0:1], 0
.LBB163_626:
	s_andn2_b64 vcc, exec, s[0:1]
	s_cbranch_vccnz .LBB163_634
; %bb.627:
	global_load_ubyte v3, v[0:1], off
	s_movk_i32 s0, 0x7f
	s_waitcnt vmcnt(0)
	v_cmp_lt_i16_e32 vcc, s0, v3
	s_mov_b64 s[0:1], 0
	s_and_saveexec_b64 s[2:3], vcc
	s_xor_b64 s[2:3], exec, s[2:3]
	s_cbranch_execz .LBB163_648
; %bb.628:
	s_movk_i32 s0, 0x80
	v_cmp_eq_u16_e32 vcc, s0, v3
	s_mov_b64 s[0:1], -1
	s_and_saveexec_b64 s[30:31], vcc
; %bb.629:
	s_xor_b64 s[0:1], exec, -1
; %bb.630:
	s_or_b64 exec, exec, s[30:31]
	s_and_b64 s[0:1], s[0:1], exec
	s_or_saveexec_b64 s[2:3], s[2:3]
	v_mov_b32_e32 v4, 0x7f800001
	s_xor_b64 exec, exec, s[2:3]
	s_cbranch_execnz .LBB163_649
.LBB163_631:
	s_or_b64 exec, exec, s[2:3]
	s_and_saveexec_b64 s[2:3], s[0:1]
	s_cbranch_execz .LBB163_633
.LBB163_632:
	v_lshlrev_b32_e32 v4, 24, v3
	v_and_b32_e32 v3, 0xffff, v3
	v_and_b32_e32 v5, 7, v3
	v_ffbh_u32_e32 v7, v5
	v_min_u32_e32 v7, 32, v7
	v_subrev_u32_e32 v8, 28, v7
	v_bfe_u32 v6, v3, 3, 4
	v_lshlrev_b32_e32 v3, v8, v3
	v_sub_u32_e32 v7, 29, v7
	v_and_b32_e32 v3, 7, v3
	v_cmp_eq_u32_e32 vcc, 0, v6
	v_cndmask_b32_e32 v6, v6, v7, vcc
	v_cndmask_b32_e32 v3, v5, v3, vcc
	v_mov_b32_e32 v5, 0x3b800000
	v_lshlrev_b32_e32 v3, 20, v3
	v_and_b32_e32 v4, 0x80000000, v4
	v_lshl_add_u32 v5, v6, 23, v5
	v_or3_b32 v4, v4, v5, v3
.LBB163_633:
	s_or_b64 exec, exec, s[2:3]
	v_bfe_u32 v3, v4, 16, 1
	s_movk_i32 s0, 0x7fff
	v_add3_u32 v3, v4, v3, s0
	v_cmp_o_f32_e32 vcc, v4, v4
	v_mov_b32_e32 v4, 0x7fc0
	v_cndmask_b32_sdwa v3, v4, v3, vcc dst_sel:DWORD dst_unused:UNUSED_PAD src0_sel:DWORD src1_sel:WORD_1
.LBB163_634:
	s_mov_b64 s[0:1], -1
.LBB163_635:
	s_mov_b64 s[2:3], 0
.LBB163_636:
	s_and_b64 vcc, exec, s[2:3]
	s_cbranch_vccz .LBB163_671
; %bb.637:
	s_cmp_gt_i32 s34, 22
	s_cbranch_scc0 .LBB163_647
; %bb.638:
	s_cmp_lt_i32 s34, 24
	s_cbranch_scc1 .LBB163_650
; %bb.639:
	s_cmp_gt_i32 s34, 24
	s_cbranch_scc0 .LBB163_651
; %bb.640:
	global_load_ubyte v3, v[0:1], off
	s_movk_i32 s0, 0x7f
	s_waitcnt vmcnt(0)
	v_cmp_lt_i16_e32 vcc, s0, v3
	s_mov_b64 s[0:1], 0
	s_and_saveexec_b64 s[2:3], vcc
	s_xor_b64 s[2:3], exec, s[2:3]
	s_cbranch_execz .LBB163_663
; %bb.641:
	s_movk_i32 s0, 0x80
	v_cmp_eq_u16_e32 vcc, s0, v3
	s_mov_b64 s[0:1], -1
	s_and_saveexec_b64 s[30:31], vcc
; %bb.642:
	s_xor_b64 s[0:1], exec, -1
; %bb.643:
	s_or_b64 exec, exec, s[30:31]
	s_and_b64 s[0:1], s[0:1], exec
	s_or_saveexec_b64 s[2:3], s[2:3]
	v_mov_b32_e32 v4, 0x7f800001
	s_xor_b64 exec, exec, s[2:3]
	s_cbranch_execnz .LBB163_664
.LBB163_644:
	s_or_b64 exec, exec, s[2:3]
	s_and_saveexec_b64 s[2:3], s[0:1]
	s_cbranch_execz .LBB163_646
.LBB163_645:
	v_lshlrev_b32_e32 v4, 24, v3
	v_and_b32_e32 v3, 0xffff, v3
	v_and_b32_e32 v5, 3, v3
	v_ffbh_u32_e32 v7, v5
	v_min_u32_e32 v7, 32, v7
	v_subrev_u32_e32 v8, 29, v7
	v_bfe_u32 v6, v3, 2, 5
	v_lshlrev_b32_e32 v3, v8, v3
	v_sub_u32_e32 v7, 30, v7
	v_and_b32_e32 v3, 3, v3
	v_cmp_eq_u32_e32 vcc, 0, v6
	v_cndmask_b32_e32 v6, v6, v7, vcc
	v_cndmask_b32_e32 v3, v5, v3, vcc
	v_mov_b32_e32 v5, 0x37800000
	v_lshlrev_b32_e32 v3, 21, v3
	v_and_b32_e32 v4, 0x80000000, v4
	v_lshl_add_u32 v5, v6, 23, v5
	v_or3_b32 v4, v4, v5, v3
.LBB163_646:
	s_or_b64 exec, exec, s[2:3]
	v_bfe_u32 v3, v4, 16, 1
	s_movk_i32 s0, 0x7fff
	v_add3_u32 v3, v4, v3, s0
	v_cmp_o_f32_e32 vcc, v4, v4
	v_mov_b32_e32 v4, 0x7fc0
	v_cndmask_b32_sdwa v3, v4, v3, vcc dst_sel:DWORD dst_unused:UNUSED_PAD src0_sel:DWORD src1_sel:WORD_1
	s_mov_b64 s[0:1], 0
	s_branch .LBB163_652
.LBB163_647:
	s_mov_b64 s[2:3], -1
                                        ; implicit-def: $vgpr3
	s_branch .LBB163_658
.LBB163_648:
	s_or_saveexec_b64 s[2:3], s[2:3]
	v_mov_b32_e32 v4, 0x7f800001
	s_xor_b64 exec, exec, s[2:3]
	s_cbranch_execz .LBB163_631
.LBB163_649:
	v_cmp_ne_u16_e32 vcc, 0, v3
	s_andn2_b64 s[0:1], s[0:1], exec
	s_and_b64 s[30:31], vcc, exec
	v_mov_b32_e32 v4, 0
	s_or_b64 s[0:1], s[0:1], s[30:31]
	s_or_b64 exec, exec, s[2:3]
	s_and_saveexec_b64 s[2:3], s[0:1]
	s_cbranch_execnz .LBB163_632
	s_branch .LBB163_633
.LBB163_650:
	s_mov_b64 s[0:1], -1
                                        ; implicit-def: $vgpr3
	s_branch .LBB163_655
.LBB163_651:
	s_mov_b64 s[0:1], -1
                                        ; implicit-def: $vgpr3
.LBB163_652:
	s_and_b64 vcc, exec, s[0:1]
	s_cbranch_vccz .LBB163_654
; %bb.653:
	global_load_ubyte v3, v[0:1], off
	s_mov_b32 s0, 0x7f800000
	s_brev_b32 s1, 1
	s_movk_i32 s2, 0x7fff
	s_waitcnt vmcnt(0)
	v_lshlrev_b32_e32 v3, 24, v3
	v_and_b32_e32 v4, 0x7f000000, v3
	v_ffbh_u32_e32 v5, v4
	v_min_u32_e32 v5, 32, v5
	v_sub_u32_e64 v5, v5, 4 clamp
	v_lshlrev_b32_e32 v7, v5, v4
	v_lshlrev_b32_e32 v5, 23, v5
	v_lshrrev_b32_e32 v7, 4, v7
	v_add_u32_e32 v6, 0x1000000, v4
	v_sub_u32_e32 v5, v7, v5
	v_ashrrev_i32_e32 v6, 8, v6
	v_add_u32_e32 v5, 0x3c000000, v5
	v_and_or_b32 v5, v6, s0, v5
	v_cmp_ne_u32_e32 vcc, 0, v4
	v_cndmask_b32_e32 v4, 0, v5, vcc
	v_and_or_b32 v3, v3, s1, v4
	v_bfe_u32 v4, v4, 16, 1
	v_add3_u32 v4, v3, v4, s2
	v_cmp_o_f32_e32 vcc, v3, v3
	v_mov_b32_e32 v3, 0x7fc0
	v_cndmask_b32_sdwa v3, v3, v4, vcc dst_sel:DWORD dst_unused:UNUSED_PAD src0_sel:DWORD src1_sel:WORD_1
.LBB163_654:
	s_mov_b64 s[0:1], 0
.LBB163_655:
	s_andn2_b64 vcc, exec, s[0:1]
	s_cbranch_vccnz .LBB163_657
; %bb.656:
	global_load_ubyte v3, v[0:1], off
	s_movk_i32 s0, 0x7f00
	s_brev_b32 s1, 16
	s_brev_b32 s2, 1
	s_movk_i32 s3, 0x7fff
	s_waitcnt vmcnt(0)
	v_lshlrev_b16_e32 v4, 8, v3
	v_lshlrev_b32_e32 v3, 25, v3
	v_lshrrev_b32_e32 v5, 4, v3
	v_and_or_b32 v6, v4, s0, 0.5
	v_or_b32_e32 v5, 0x70000000, v5
	v_add_f32_e32 v6, -0.5, v6
	v_mul_f32_e32 v5, 0x7800000, v5
	v_cmp_gt_u32_e32 vcc, s1, v3
	v_bfe_i32 v4, v4, 0, 16
	v_cndmask_b32_e32 v3, v5, v6, vcc
	v_and_or_b32 v4, v4, s2, v3
	v_bfe_u32 v3, v3, 16, 1
	v_add3_u32 v3, v4, v3, s3
	v_cmp_o_f32_e32 vcc, v4, v4
	v_mov_b32_e32 v4, 0x7fc0
	v_cndmask_b32_sdwa v3, v4, v3, vcc dst_sel:DWORD dst_unused:UNUSED_PAD src0_sel:DWORD src1_sel:WORD_1
.LBB163_657:
	s_mov_b64 s[2:3], 0
	s_mov_b64 s[0:1], -1
.LBB163_658:
	s_andn2_b64 vcc, exec, s[2:3]
	s_cbranch_vccnz .LBB163_671
; %bb.659:
	s_cmp_gt_i32 s34, 14
	s_cbranch_scc0 .LBB163_662
; %bb.660:
	s_cmp_eq_u32 s34, 15
	s_cbranch_scc0 .LBB163_665
; %bb.661:
	global_load_ushort v3, v[0:1], off
	s_mov_b64 s[0:1], -1
	s_mov_b64 s[28:29], 0
	s_branch .LBB163_666
.LBB163_662:
	s_mov_b64 s[2:3], -1
                                        ; implicit-def: $vgpr3
	s_branch .LBB163_667
.LBB163_663:
	s_or_saveexec_b64 s[2:3], s[2:3]
	v_mov_b32_e32 v4, 0x7f800001
	s_xor_b64 exec, exec, s[2:3]
	s_cbranch_execz .LBB163_644
.LBB163_664:
	v_cmp_ne_u16_e32 vcc, 0, v3
	s_andn2_b64 s[0:1], s[0:1], exec
	s_and_b64 s[30:31], vcc, exec
	v_mov_b32_e32 v4, 0
	s_or_b64 s[0:1], s[0:1], s[30:31]
	s_or_b64 exec, exec, s[2:3]
	s_and_saveexec_b64 s[2:3], s[0:1]
	s_cbranch_execnz .LBB163_645
	s_branch .LBB163_646
.LBB163_665:
	s_mov_b64 s[28:29], -1
                                        ; implicit-def: $vgpr3
.LBB163_666:
	s_mov_b64 s[2:3], 0
.LBB163_667:
	s_and_b64 vcc, exec, s[2:3]
	s_cbranch_vccz .LBB163_671
; %bb.668:
	s_cmp_eq_u32 s34, 11
	s_cbranch_scc0 .LBB163_670
; %bb.669:
	global_load_ubyte v3, v[0:1], off
	s_mov_b64 s[0:1], -1
	s_mov_b64 s[28:29], 0
	s_waitcnt vmcnt(0)
	v_cmp_ne_u16_e32 vcc, 0, v3
	v_cndmask_b32_e64 v3, 0, 1.0, vcc
	v_lshrrev_b32_e32 v3, 16, v3
	s_branch .LBB163_671
.LBB163_670:
	s_mov_b64 s[28:29], -1
                                        ; implicit-def: $vgpr3
.LBB163_671:
	s_mov_b64 s[2:3], 0
.LBB163_672:
	s_and_b64 vcc, exec, s[2:3]
	s_cbranch_vccz .LBB163_721
; %bb.673:
	s_cmp_lt_i32 s34, 5
	s_cbranch_scc1 .LBB163_678
; %bb.674:
	s_cmp_lt_i32 s34, 8
	s_cbranch_scc1 .LBB163_679
	;; [unrolled: 3-line block ×3, first 2 shown]
; %bb.676:
	s_cmp_gt_i32 s34, 9
	s_cbranch_scc0 .LBB163_681
; %bb.677:
	global_load_dwordx2 v[3:4], v[0:1], off
	s_movk_i32 s0, 0x7fff
	s_waitcnt vmcnt(0)
	v_cvt_f32_f64_e32 v3, v[3:4]
	v_mov_b32_e32 v4, 0x7fc0
	v_bfe_u32 v5, v3, 16, 1
	v_cmp_o_f32_e32 vcc, v3, v3
	v_add3_u32 v3, v3, v5, s0
	v_cndmask_b32_sdwa v3, v4, v3, vcc dst_sel:DWORD dst_unused:UNUSED_PAD src0_sel:DWORD src1_sel:WORD_1
	s_mov_b64 s[0:1], 0
	s_branch .LBB163_682
.LBB163_678:
	s_mov_b64 s[0:1], -1
                                        ; implicit-def: $vgpr3
	s_branch .LBB163_700
.LBB163_679:
	s_mov_b64 s[0:1], -1
                                        ; implicit-def: $vgpr3
	s_branch .LBB163_688
.LBB163_680:
	s_mov_b64 s[0:1], -1
                                        ; implicit-def: $vgpr3
	s_branch .LBB163_685
.LBB163_681:
	s_mov_b64 s[0:1], -1
                                        ; implicit-def: $vgpr3
.LBB163_682:
	s_andn2_b64 vcc, exec, s[0:1]
	s_cbranch_vccnz .LBB163_684
; %bb.683:
	global_load_dword v3, v[0:1], off
	s_movk_i32 s0, 0x7fff
	v_mov_b32_e32 v4, 0x7fc0
	s_waitcnt vmcnt(0)
	v_bfe_u32 v5, v3, 16, 1
	v_cmp_o_f32_e32 vcc, v3, v3
	v_add3_u32 v3, v3, v5, s0
	v_cndmask_b32_sdwa v3, v4, v3, vcc dst_sel:DWORD dst_unused:UNUSED_PAD src0_sel:DWORD src1_sel:WORD_1
.LBB163_684:
	s_mov_b64 s[0:1], 0
.LBB163_685:
	s_andn2_b64 vcc, exec, s[0:1]
	s_cbranch_vccnz .LBB163_687
; %bb.686:
	global_load_dword v3, v[0:1], off
	s_movk_i32 s0, 0x7fff
	v_mov_b32_e32 v5, 0x7fc0
	s_waitcnt vmcnt(0)
	v_cvt_f32_f16_e32 v4, v3
	v_cmp_o_f16_e32 vcc, v3, v3
	v_bfe_u32 v3, v4, 16, 1
	v_add3_u32 v3, v4, v3, s0
	v_cndmask_b32_sdwa v3, v5, v3, vcc dst_sel:DWORD dst_unused:UNUSED_PAD src0_sel:DWORD src1_sel:WORD_1
.LBB163_687:
	s_mov_b64 s[0:1], 0
.LBB163_688:
	s_andn2_b64 vcc, exec, s[0:1]
	s_cbranch_vccnz .LBB163_699
; %bb.689:
	s_cmp_lt_i32 s34, 6
	s_cbranch_scc1 .LBB163_692
; %bb.690:
	s_cmp_gt_i32 s34, 6
	s_cbranch_scc0 .LBB163_693
; %bb.691:
	global_load_dwordx2 v[3:4], v[0:1], off
	s_movk_i32 s0, 0x7fff
	s_waitcnt vmcnt(0)
	v_cvt_f32_f64_e32 v3, v[3:4]
	v_mov_b32_e32 v4, 0x7fc0
	v_bfe_u32 v5, v3, 16, 1
	v_cmp_o_f32_e32 vcc, v3, v3
	v_add3_u32 v3, v3, v5, s0
	v_cndmask_b32_sdwa v3, v4, v3, vcc dst_sel:DWORD dst_unused:UNUSED_PAD src0_sel:DWORD src1_sel:WORD_1
	s_mov_b64 s[0:1], 0
	s_branch .LBB163_694
.LBB163_692:
	s_mov_b64 s[0:1], -1
                                        ; implicit-def: $vgpr3
	s_branch .LBB163_697
.LBB163_693:
	s_mov_b64 s[0:1], -1
                                        ; implicit-def: $vgpr3
.LBB163_694:
	s_andn2_b64 vcc, exec, s[0:1]
	s_cbranch_vccnz .LBB163_696
; %bb.695:
	global_load_dword v3, v[0:1], off
	s_movk_i32 s0, 0x7fff
	v_mov_b32_e32 v4, 0x7fc0
	s_waitcnt vmcnt(0)
	v_bfe_u32 v5, v3, 16, 1
	v_cmp_o_f32_e32 vcc, v3, v3
	v_add3_u32 v3, v3, v5, s0
	v_cndmask_b32_sdwa v3, v4, v3, vcc dst_sel:DWORD dst_unused:UNUSED_PAD src0_sel:DWORD src1_sel:WORD_1
.LBB163_696:
	s_mov_b64 s[0:1], 0
.LBB163_697:
	s_andn2_b64 vcc, exec, s[0:1]
	s_cbranch_vccnz .LBB163_699
; %bb.698:
	global_load_ushort v3, v[0:1], off
	s_movk_i32 s0, 0x7fff
	v_mov_b32_e32 v5, 0x7fc0
	s_waitcnt vmcnt(0)
	v_cvt_f32_f16_e32 v4, v3
	v_cmp_o_f16_e32 vcc, v3, v3
	v_bfe_u32 v3, v4, 16, 1
	v_add3_u32 v3, v4, v3, s0
	v_cndmask_b32_sdwa v3, v5, v3, vcc dst_sel:DWORD dst_unused:UNUSED_PAD src0_sel:DWORD src1_sel:WORD_1
.LBB163_699:
	s_mov_b64 s[0:1], 0
.LBB163_700:
	s_andn2_b64 vcc, exec, s[0:1]
	s_cbranch_vccnz .LBB163_720
; %bb.701:
	s_cmp_lt_i32 s34, 2
	s_cbranch_scc1 .LBB163_705
; %bb.702:
	s_cmp_lt_i32 s34, 3
	s_cbranch_scc1 .LBB163_706
; %bb.703:
	s_cmp_gt_i32 s34, 3
	s_cbranch_scc0 .LBB163_707
; %bb.704:
	global_load_dwordx2 v[3:4], v[0:1], off
	s_movk_i32 s0, 0x7fff
	s_waitcnt vmcnt(0)
	v_xor_b32_e32 v6, v3, v4
	v_ffbh_i32_e32 v5, v4
	v_ashrrev_i32_e32 v6, 31, v6
	v_add_u32_e32 v5, -1, v5
	v_add_u32_e32 v6, 32, v6
	v_min_u32_e32 v5, v5, v6
	v_lshlrev_b64 v[3:4], v5, v[3:4]
	v_min_u32_e32 v3, 1, v3
	v_or_b32_e32 v3, v4, v3
	v_cvt_f32_i32_e32 v3, v3
	v_sub_u32_e32 v4, 32, v5
	v_ldexp_f32 v3, v3, v4
	v_bfe_u32 v4, v3, 16, 1
	v_add3_u32 v3, v3, v4, s0
	v_lshrrev_b32_e32 v3, 16, v3
	s_mov_b64 s[0:1], 0
	s_branch .LBB163_708
.LBB163_705:
	s_mov_b64 s[0:1], -1
                                        ; implicit-def: $vgpr3
	s_branch .LBB163_714
.LBB163_706:
	s_mov_b64 s[0:1], -1
                                        ; implicit-def: $vgpr3
	s_branch .LBB163_711
.LBB163_707:
	s_mov_b64 s[0:1], -1
                                        ; implicit-def: $vgpr3
.LBB163_708:
	s_andn2_b64 vcc, exec, s[0:1]
	s_cbranch_vccnz .LBB163_710
; %bb.709:
	global_load_dword v3, v[0:1], off
	s_movk_i32 s0, 0x7fff
	s_waitcnt vmcnt(0)
	v_cvt_f32_i32_e32 v3, v3
	v_bfe_u32 v4, v3, 16, 1
	v_add3_u32 v3, v3, v4, s0
	v_lshrrev_b32_e32 v3, 16, v3
.LBB163_710:
	s_mov_b64 s[0:1], 0
.LBB163_711:
	s_andn2_b64 vcc, exec, s[0:1]
	s_cbranch_vccnz .LBB163_713
; %bb.712:
	global_load_sshort v3, v[0:1], off
	s_movk_i32 s0, 0x7fff
	s_waitcnt vmcnt(0)
	v_cvt_f32_i32_e32 v3, v3
	v_bfe_u32 v4, v3, 16, 1
	v_add3_u32 v3, v3, v4, s0
	v_lshrrev_b32_e32 v3, 16, v3
.LBB163_713:
	s_mov_b64 s[0:1], 0
.LBB163_714:
	s_andn2_b64 vcc, exec, s[0:1]
	s_cbranch_vccnz .LBB163_720
; %bb.715:
	s_cmp_gt_i32 s34, 0
	s_cbranch_scc0 .LBB163_717
; %bb.716:
	global_load_sbyte v3, v[0:1], off
	s_movk_i32 s0, 0x7fff
	s_waitcnt vmcnt(0)
	v_cvt_f32_i32_e32 v3, v3
	v_bfe_u32 v4, v3, 16, 1
	v_add3_u32 v3, v3, v4, s0
	v_lshrrev_b32_e32 v3, 16, v3
	s_mov_b64 s[0:1], 0
	s_branch .LBB163_718
.LBB163_717:
	s_mov_b64 s[0:1], -1
                                        ; implicit-def: $vgpr3
.LBB163_718:
	s_andn2_b64 vcc, exec, s[0:1]
	s_cbranch_vccnz .LBB163_720
; %bb.719:
	global_load_ubyte v0, v[0:1], off
	s_movk_i32 s0, 0x7fff
	s_waitcnt vmcnt(0)
	v_cvt_f32_ubyte0_e32 v0, v0
	v_bfe_u32 v1, v0, 16, 1
	v_add3_u32 v0, v0, v1, s0
	v_lshrrev_b32_e32 v3, 16, v0
.LBB163_720:
	s_mov_b64 s[0:1], -1
.LBB163_721:
	s_andn2_b64 vcc, exec, s[0:1]
	s_cbranch_vccnz .LBB163_767
; %bb.722:
	s_waitcnt vmcnt(0)
	v_lshlrev_b32_e32 v0, 16, v3
	s_mov_b32 s0, 0x3c800000
	v_and_b32_e32 v1, 0x7fffffff, v0
	v_cmp_nlt_f32_e64 s[0:1], |v0|, s0
                                        ; implicit-def: $vgpr3
	s_and_saveexec_b64 s[2:3], s[0:1]
	s_xor_b64 s[2:3], exec, s[2:3]
	s_cbranch_execz .LBB163_752
; %bb.723:
	v_cmp_nlt_f32_e64 s[0:1], |v0|, 2.0
                                        ; implicit-def: $vgpr3
	s_and_saveexec_b64 s[30:31], s[0:1]
	s_xor_b64 s[30:31], exec, s[30:31]
	s_cbranch_execz .LBB163_733
; %bb.724:
	s_mov_b32 s0, 0x41000000
	v_cmp_nlt_f32_e64 s[0:1], |v0|, s0
                                        ; implicit-def: $vgpr3
	s_and_saveexec_b64 s[34:35], s[0:1]
	s_xor_b64 s[34:35], exec, s[34:35]
	s_cbranch_execz .LBB163_730
; %bb.725:
	s_mov_b32 s0, 0x5c800000
	v_cmp_nlt_f32_e64 s[0:1], |v0|, s0
                                        ; implicit-def: $vgpr3
	s_and_saveexec_b64 s[36:37], s[0:1]
	s_xor_b64 s[36:37], exec, s[36:37]
	s_cbranch_execz .LBB163_727
; %bb.726:
	s_mov_b32 s0, 0x800000
	v_cmp_lt_f32_e64 vcc, |v0|, s0
	v_cndmask_b32_e64 v3, 0, 32, vcc
	v_ldexp_f32 v3, |v0|, v3
	v_log_f32_e32 v3, v3
	s_mov_b32 s0, 0x3f317217
	s_mov_b32 s1, 0x7f800000
	v_mul_f32_e32 v4, 0x3f317217, v3
	v_fma_f32 v5, v3, s0, -v4
	v_fmac_f32_e32 v5, 0x3377d1cf, v3
	v_add_f32_e32 v4, v4, v5
	v_cmp_lt_f32_e64 s[0:1], |v3|, s1
	v_cndmask_b32_e64 v3, v3, v4, s[0:1]
	v_mov_b32_e32 v4, 0x41b17218
	v_cndmask_b32_e32 v4, 0, v4, vcc
	v_sub_f32_e32 v3, v3, v4
	v_fma_f32 v3, |v0|, v3, -|v0|
.LBB163_727:
	s_andn2_saveexec_b64 s[36:37], s[36:37]
	s_cbranch_execz .LBB163_729
; %bb.728:
	v_rcp_f32_e64 v4, |v0|
	v_mov_b32_e32 v3, 0x3a5b3dd2
	v_mov_b32_e32 v5, 0xba1c065c
	v_mov_b32_e32 v6, 0x3a500cfd
	v_mul_f32_e32 v7, v4, v4
	v_fmac_f32_e32 v3, 0xbad5c4e8, v7
	v_fmac_f32_e32 v5, v7, v3
	s_mov_b32 s0, 0x800000
	v_fmac_f32_e32 v6, v7, v5
	v_mov_b32_e32 v3, 0xbb360b61
	v_cmp_lt_f32_e64 vcc, |v0|, s0
	v_fmac_f32_e32 v3, v7, v6
	v_cndmask_b32_e64 v6, 0, 32, vcc
	v_ldexp_f32 v6, |v0|, v6
	v_log_f32_e32 v6, v6
	v_mov_b32_e32 v5, 0x3daaaaab
	v_fmac_f32_e32 v5, v7, v3
	v_mov_b32_e32 v3, 0x3ed67f1d
	v_fmac_f32_e32 v3, v4, v5
	s_mov_b32 s0, 0x3f317217
	v_mul_f32_e32 v5, 0x3f317217, v6
	v_fma_f32 v7, v6, s0, -v5
	v_fmac_f32_e32 v7, 0x3377d1cf, v6
	s_mov_b32 s0, 0x7f800000
	v_add_f32_e32 v5, v5, v7
	v_cmp_lt_f32_e64 s[0:1], |v6|, s0
	v_cndmask_b32_e64 v5, v6, v5, s[0:1]
	v_mov_b32_e32 v6, 0x41b17218
	v_cndmask_b32_e32 v6, 0, v6, vcc
	v_sub_f32_e32 v5, v5, v6
	v_add_f32_e64 v4, |v0|, -0.5
	v_add_f32_e32 v5, -1.0, v5
	v_fmac_f32_e32 v3, v4, v5
.LBB163_729:
	s_or_b64 exec, exec, s[36:37]
.LBB163_730:
	s_andn2_saveexec_b64 s[34:35], s[34:35]
	s_cbranch_execz .LBB163_732
; %bb.731:
	v_cvt_i32_f32_e32 v3, v1
	v_mov_b32_e32 v4, 0x3af135b4
	v_mov_b32_e32 v5, 0x3cda40e4
	;; [unrolled: 1-line block ×3, first 2 shown]
	v_cvt_f32_i32_e32 v7, v3
	v_mov_b32_e32 v8, 0x3ea6cc7a
	v_mov_b32_e32 v9, 0x3e5c245a
	v_cmp_lt_i32_e32 vcc, 2, v3
	v_sub_f32_e64 v7, |v0|, v7
	v_fmac_f32_e32 v4, 0x3805ff67, v7
	v_fmac_f32_e32 v5, v7, v4
	;; [unrolled: 1-line block ×3, first 2 shown]
	v_mov_b32_e32 v5, 0x3a4beed6
	v_fmac_f32_e32 v8, v7, v6
	v_fmac_f32_e32 v5, 0x36f5d7bd, v7
	v_mov_b32_e32 v6, 0x3c98bf54
	v_fmac_f32_e32 v6, v7, v5
	v_mov_b32_e32 v5, 0x3e300f6e
	;; [unrolled: 2-line block ×4, first 2 shown]
	v_fmac_f32_e32 v5, v7, v6
	v_add_f32_e32 v6, 2.0, v7
	v_mov_b32_e32 v10, 0xbd9e233f
	v_fmac_f32_e32 v9, v7, v8
	v_add_f32_e32 v8, 0x40400000, v7
	v_cndmask_b32_e32 v6, 1.0, v6, vcc
	v_cmp_lt_i32_e32 vcc, 3, v3
	v_fmac_f32_e32 v10, v7, v9
	v_add_f32_e32 v9, 4.0, v7
	v_cndmask_b32_e32 v8, 1.0, v8, vcc
	v_cmp_lt_i32_e32 vcc, 4, v3
	v_mul_f32_e32 v4, v7, v10
	v_add_f32_e32 v10, 0x40a00000, v7
	v_mul_f32_e32 v6, v6, v8
	v_cndmask_b32_e32 v8, 1.0, v9, vcc
	v_cmp_lt_i32_e32 vcc, 5, v3
	v_add_f32_e32 v11, 0x40c00000, v7
	v_mul_f32_e32 v6, v8, v6
	v_cndmask_b32_e32 v8, 1.0, v10, vcc
	v_cmp_lt_i32_e32 vcc, 6, v3
	v_mul_f32_e32 v6, v8, v6
	v_cndmask_b32_e32 v3, 1.0, v11, vcc
	v_mul_f32_e32 v3, v3, v6
	s_mov_b32 s0, 0x800000
	v_cmp_gt_f32_e32 vcc, s0, v3
	v_cndmask_b32_e64 v6, 0, 32, vcc
	v_fma_f32 v5, v7, v5, 1.0
	v_ldexp_f32 v3, v3, v6
	v_rcp_f32_e32 v5, v5
	v_log_f32_e32 v3, v3
	s_mov_b32 s0, 0x3f317217
	v_mul_f32_e32 v4, v4, v5
	v_mul_f32_e32 v5, 0x3f317217, v3
	v_fma_f32 v6, v3, s0, -v5
	v_fmac_f32_e32 v6, 0x3377d1cf, v3
	s_mov_b32 s0, 0x7f800000
	v_add_f32_e32 v5, v5, v6
	v_cmp_lt_f32_e64 s[0:1], |v3|, s0
	v_cndmask_b32_e64 v3, v3, v5, s[0:1]
	v_mov_b32_e32 v5, 0x41b17218
	v_cndmask_b32_e32 v5, 0, v5, vcc
	v_fmac_f32_e32 v4, 0.5, v7
	v_sub_f32_e32 v3, v3, v5
	v_add_f32_e32 v3, v3, v4
.LBB163_732:
	s_or_b64 exec, exec, s[34:35]
.LBB163_733:
	s_andn2_saveexec_b64 s[30:31], s[30:31]
	s_cbranch_execz .LBB163_751
; %bb.734:
	s_mov_b32 s0, 0x3f666666
	v_cmp_le_f32_e64 s[0:1], |v0|, s0
                                        ; implicit-def: $vgpr3
                                        ; implicit-def: $vgpr5
                                        ; implicit-def: $vgpr4
	s_and_saveexec_b64 s[34:35], s[0:1]
	s_xor_b64 s[34:35], exec, s[34:35]
	s_cbranch_execz .LBB163_736
; %bb.735:
	s_mov_b32 s0, 0x800000
	v_cmp_lt_f32_e64 vcc, |v0|, s0
	v_cndmask_b32_e64 v3, 0, 32, vcc
	v_ldexp_f32 v3, |v0|, v3
	v_log_f32_e32 v3, v3
	s_mov_b32 s0, 0x3f317217
	s_mov_b32 s1, 0x7f800000
	v_mul_f32_e32 v4, 0x3f317217, v3
	v_fma_f32 v5, v3, s0, -v4
	v_fmac_f32_e32 v5, 0x3377d1cf, v3
	v_add_f32_e32 v4, v4, v5
	v_cmp_lt_f32_e64 s[0:1], |v3|, s1
	v_cndmask_b32_e64 v3, v3, v4, s[0:1]
	v_mov_b32_e32 v4, 0x41b17218
	v_cndmask_b32_e32 v4, 0, v4, vcc
	s_mov_b32 s0, 0x3f3b4a23
	s_mov_b32 s1, 0xbeec5b0c
	v_sub_f32_e32 v3, v3, v4
	v_sub_f32_e64 v4, 1.0, |v0|
	v_add_f32_e64 v5, |v0|, s1
	v_cmp_lt_f32_e64 vcc, |v0|, s0
	s_mov_b32 s0, 0x3e6d3309
	v_cndmask_b32_e32 v4, v4, v5, vcc
	v_cndmask_b32_e64 v5, 0, 1, vcc
	v_cmp_lt_f32_e64 s[0:1], |v0|, s0
	v_xor_b32_e32 v3, 0x80000000, v3
	v_cndmask_b32_e64 v4, v4, |v0|, s[0:1]
	v_cndmask_b32_e64 v5, v5, 2, s[0:1]
.LBB163_736:
	s_andn2_saveexec_b64 s[0:1], s[34:35]
	s_cbranch_execz .LBB163_738
; %bb.737:
	s_mov_b32 s34, 0x3fdda512
	s_mov_b32 s35, 0xbfbb16c3
	v_sub_f32_e64 v3, 2.0, |v0|
	v_add_f32_e64 v4, |v0|, s35
	v_cmp_lt_f32_e64 vcc, |v0|, s34
	v_cndmask_b32_e32 v4, v3, v4, vcc
	v_cndmask_b32_e64 v3, v3, 1.0, vcc
	v_cvt_i32_f32_e32 v3, v3
	s_mov_b32 s34, 0x3f9d70a4
	v_add_f32_e64 v5, |v0|, -1.0
	v_cmp_lt_f32_e64 vcc, |v0|, s34
	v_cndmask_b32_e32 v4, v4, v5, vcc
	v_cndmask_b32_e64 v5, v3, 2, vcc
	v_mov_b32_e32 v3, 0
.LBB163_738:
	s_or_b64 exec, exec, s[0:1]
	v_cmp_lt_i32_e32 vcc, 0, v5
	s_and_saveexec_b64 s[0:1], vcc
	s_xor_b64 s[0:1], exec, s[0:1]
	s_cbranch_execz .LBB163_746
; %bb.739:
	v_cmp_lt_i32_e32 vcc, 1, v5
	s_and_saveexec_b64 s[34:35], vcc
	s_xor_b64 s[34:35], exec, s[34:35]
	s_cbranch_execz .LBB163_743
; %bb.740:
	v_cmp_eq_u32_e32 vcc, 2, v5
	s_and_saveexec_b64 s[36:37], vcc
	s_cbranch_execz .LBB163_742
; %bb.741:
	v_mov_b32_e32 v5, 0x3e6a7578
	v_fmac_f32_e32 v5, 0x3c5b3c5e, v4
	v_mov_b32_e32 v6, 0x3f7a4bb2
	v_fmac_f32_e32 v6, v4, v5
	;; [unrolled: 2-line block ×8, first 2 shown]
	v_fma_f32 v5, v4, v7, 1.0
	v_rcp_f32_e32 v5, v5
	v_mov_b32_e32 v7, 0xbd9e233f
	v_fmac_f32_e32 v7, v4, v6
	v_mul_f32_e32 v6, v4, v7
	v_mul_f32_e32 v5, v6, v5
	v_fmac_f32_e32 v5, -0.5, v4
	v_add_f32_e32 v3, v3, v5
.LBB163_742:
	s_or_b64 exec, exec, s[36:37]
                                        ; implicit-def: $vgpr4
.LBB163_743:
	s_andn2_saveexec_b64 s[34:35], s[34:35]
	s_cbranch_execz .LBB163_745
; %bb.744:
	v_mul_f32_e32 v5, v4, v4
	v_mul_f32_e32 v6, v4, v5
	v_mov_b32_e32 v7, 0xbab7f476
	v_fmac_f32_e32 v7, 0x39a57b6b, v6
	v_mov_b32_e32 v8, 0x3bc7e707
	v_fmac_f32_e32 v8, v6, v7
	;; [unrolled: 2-line block ×12, first 2 shown]
	v_fmac_f32_e32 v9, v4, v10
	s_mov_b32 s36, 0xa2863e55
	v_fma_f32 v4, v6, -v9, s36
	v_fma_f32 v4, v5, v8, -v4
	v_add_f32_e32 v4, 0xbdf8cdce, v4
	v_add_f32_e32 v3, v3, v4
.LBB163_745:
	s_or_b64 exec, exec, s[34:35]
                                        ; implicit-def: $vgpr5
                                        ; implicit-def: $vgpr4
.LBB163_746:
	s_andn2_saveexec_b64 s[0:1], s[0:1]
	s_cbranch_execz .LBB163_750
; %bb.747:
	v_cmp_eq_u32_e32 vcc, 0, v5
	s_and_saveexec_b64 s[34:35], vcc
	s_cbranch_execz .LBB163_749
; %bb.748:
	v_mul_f32_e32 v5, v4, v4
	v_mov_b32_e32 v6, 0x39679767
	v_fmac_f32_e32 v6, 0x37d383a2, v5
	v_mov_b32_e32 v7, 0x3a9c54a1
	v_fmac_f32_e32 v7, v5, v6
	;; [unrolled: 2-line block ×10, first 2 shown]
	v_mul_f32_e32 v5, v5, v7
	v_fmac_f32_e32 v5, v4, v6
	v_fmac_f32_e32 v5, -0.5, v4
	v_add_f32_e32 v3, v3, v5
.LBB163_749:
	s_or_b64 exec, exec, s[34:35]
.LBB163_750:
	s_or_b64 exec, exec, s[0:1]
.LBB163_751:
	s_or_b64 exec, exec, s[30:31]
.LBB163_752:
	s_andn2_saveexec_b64 s[2:3], s[2:3]
	s_cbranch_execz .LBB163_754
; %bb.753:
	s_mov_b32 s0, 0x3e8a8991
	v_mov_b32_e32 v3, 0xbecd26ab
	v_fma_f32 v3, |v0|, s0, v3
	s_mov_b32 s0, 0x3f528d33
	v_fma_f32 v3, |v0|, v3, s0
	s_mov_b32 s0, 0x800000
	v_cmp_lt_f32_e64 vcc, |v0|, s0
	v_cndmask_b32_e64 v4, 0, 32, vcc
	v_ldexp_f32 v4, |v0|, v4
	v_log_f32_e32 v4, v4
	s_mov_b32 s0, 0xbf13c468
	v_fma_f32 v3, |v0|, v3, s0
	s_mov_b32 s0, 0x3f317217
	v_mul_f32_e32 v5, 0x3f317217, v4
	v_fma_f32 v6, v4, s0, -v5
	v_fmac_f32_e32 v6, 0x3377d1cf, v4
	s_mov_b32 s0, 0x7f800000
	v_add_f32_e32 v5, v5, v6
	v_cmp_lt_f32_e64 s[0:1], |v4|, s0
	v_cndmask_b32_e64 v4, v4, v5, s[0:1]
	v_mov_b32_e32 v5, 0x41b17218
	v_cndmask_b32_e32 v5, 0, v5, vcc
	v_sub_f32_e32 v4, v4, v5
	v_fma_f32 v3, |v0|, v3, -v4
.LBB163_754:
	s_or_b64 exec, exec, s[2:3]
	v_cmp_le_f32_e32 vcc, 0, v0
	v_cmp_nle_f32_e64 s[0:1], 0, v0
	s_and_saveexec_b64 s[2:3], s[0:1]
	s_xor_b64 s[30:31], exec, s[2:3]
	s_cbranch_execz .LBB163_758
; %bb.755:
	s_mov_b32 s0, 0x4b000000
	s_mov_b32 s2, 0x35000000
	v_cmp_lt_f32_e64 s[0:1], |v0|, s0
	v_cmp_gt_f32_e64 s[2:3], |v0|, s2
	s_and_b64 s[0:1], s[0:1], s[2:3]
	s_and_saveexec_b64 s[34:35], s[0:1]
	s_cbranch_execz .LBB163_757
; %bb.756:
	v_mul_f32_e64 v4, |v0|, 0.5
	v_floor_f32_e32 v5, v4
	v_sub_f32_e32 v5, v4, v5
	v_min_f32_e32 v5, 0x3f7fffff, v5
	s_mov_b32 s2, 0x7f800000
	v_add_f32_e32 v5, v5, v5
	v_cmp_neq_f32_e64 s[0:1], s2, v4
	v_cndmask_b32_e64 v4, 0, v5, s[0:1]
	v_cmp_gt_f32_e64 s[0:1], |v0|, 1.0
	v_cndmask_b32_e64 v4, |v0|, v4, s[0:1]
	v_add_f32_e32 v5, v4, v4
	v_rndne_f32_e32 v5, v5
	v_fmac_f32_e32 v4, -0.5, v5
	v_mul_f32_e32 v6, v4, v4
	v_mov_b32_e32 v7, 0xbf1f24be
	v_fmac_f32_e32 v7, 0x3e75aa41, v6
	v_mov_b32_e32 v8, 0x40234736
	v_fmac_f32_e32 v8, v6, v7
	;; [unrolled: 2-line block ×3, first 2 shown]
	v_mul_f32_e32 v8, v4, v6
	v_mul_f32_e32 v7, v8, v7
	v_fmac_f32_e32 v7, 0x40490fdb, v4
	v_mov_b32_e32 v4, 0x3e642e9d
	v_cvt_i32_f32_e32 v5, v5
	v_fmac_f32_e32 v4, 0x3d4be544, v6
	v_mov_b32_e32 v8, 0xbfaad1da
	v_fmac_f32_e32 v8, v6, v4
	v_mov_b32_e32 v4, 0x4081e0d3
	;; [unrolled: 2-line block ×3, first 2 shown]
	v_fmac_f32_e32 v8, v6, v4
	v_fma_f32 v4, v6, v8, 1.0
	v_and_b32_e32 v6, 1, v5
	v_cmp_eq_u32_e64 s[0:1], 0, v6
	v_cndmask_b32_e64 v4, v4, v7, s[0:1]
	v_lshlrev_b32_e32 v5, 30, v5
	s_brev_b32 s0, 1
	v_and_or_b32 v1, v5, s0, v1
	v_xor_b32_e32 v1, v1, v4
	v_xor_b32_e32 v1, v1, v0
	v_mul_f32_e32 v1, v0, v1
	v_frexp_mant_f32_e64 v4, |v1|
	v_rcp_f32_e32 v4, v4
	v_frexp_exp_i32_f32_e32 v1, v1
	v_sub_u32_e32 v1, 2, v1
	s_mov_b32 s0, 0x800000
	v_mul_f32_e32 v4, 0x3f490fdb, v4
	v_ldexp_f32 v1, v4, v1
	v_cmp_gt_f32_e64 s[0:1], s0, v1
	v_cndmask_b32_e64 v4, 0, 32, s[0:1]
	v_ldexp_f32 v1, v1, v4
	v_log_f32_e32 v1, v1
	s_mov_b32 s3, 0x3f317217
	v_mul_f32_e32 v4, 0x3f317217, v1
	v_fma_f32 v5, v1, s3, -v4
	v_fmac_f32_e32 v5, 0x3377d1cf, v1
	v_add_f32_e32 v4, v4, v5
	v_cmp_lt_f32_e64 s[2:3], |v1|, s2
	v_cndmask_b32_e64 v1, v1, v4, s[2:3]
	v_mov_b32_e32 v4, 0x41b17218
	v_cndmask_b32_e64 v4, 0, v4, s[0:1]
	v_sub_f32_e32 v1, v1, v4
	v_sub_f32_e32 v1, v1, v3
	v_floor_f32_e32 v3, v0
	v_sub_f32_e32 v3, v0, v3
	v_min_f32_e32 v3, 0x3f7fffff, v3
	v_mov_b32_e32 v4, 0x7f800000
	v_cmp_neq_f32_e64 s[0:1], 0, v3
	v_cndmask_b32_e64 v3, v4, v1, s[0:1]
.LBB163_757:
	s_or_b64 exec, exec, s[34:35]
.LBB163_758:
	s_andn2_saveexec_b64 s[30:31], s[30:31]
; %bb.759:
	v_cmp_eq_f32_e64 s[0:1], 1.0, v0
	v_cmp_eq_f32_e64 s[2:3], 2.0, v0
	s_or_b64 s[0:1], s[0:1], s[2:3]
	v_cndmask_b32_e64 v3, v3, 0, s[0:1]
; %bb.760:
	s_or_b64 exec, exec, s[30:31]
	s_mov_b32 s0, 0x4b000000
	v_cmp_lt_f32_e64 s[0:1], |v0|, s0
	v_mov_b32_e32 v1, 0x264
	v_mov_b32_e32 v4, 0x7f800000
	s_or_b64 vcc, vcc, s[0:1]
	v_cndmask_b32_e32 v3, v4, v3, vcc
	v_cmp_class_f32_e32 vcc, v0, v1
	v_cndmask_b32_e32 v1, v3, v4, vcc
	v_cmp_u_f32_e32 vcc, v0, v0
	v_cndmask_b32_e32 v0, v1, v0, vcc
	v_bfe_u32 v1, v0, 16, 1
	s_movk_i32 s0, 0x7fff
	v_add3_u32 v1, v0, v1, s0
	v_cmp_o_f32_e32 vcc, v0, v0
	v_mul_lo_u32 v0, v2, s10
	v_mov_b32_e32 v3, 0x7fc0
	v_cndmask_b32_sdwa v3, v3, v1, vcc dst_sel:DWORD dst_unused:UNUSED_PAD src0_sel:DWORD src1_sel:WORD_1
	v_mov_b32_e32 v4, s13
	v_ashrrev_i32_e32 v1, 31, v0
	s_and_b32 s36, s33, 0xff
	v_add_co_u32_e32 v0, vcc, s12, v0
	s_cmp_lt_i32 s36, 11
	v_addc_co_u32_e32 v1, vcc, v4, v1, vcc
	s_cbranch_scc1 .LBB163_768
; %bb.761:
	s_and_b32 s37, 0xffff, s36
	s_cmp_gt_i32 s37, 25
	s_cbranch_scc0 .LBB163_769
; %bb.762:
	s_cmp_gt_i32 s37, 28
	s_cbranch_scc0 .LBB163_770
; %bb.763:
	;; [unrolled: 3-line block ×4, first 2 shown]
	s_mov_b64 s[30:31], 0
	s_mov_b64 s[0:1], -1
	s_cmp_eq_u32 s37, 46
	s_mov_b64 s[2:3], 0
	s_cbranch_scc0 .LBB163_773
; %bb.766:
	v_and_b32_e32 v4, 0xffff, v3
	global_store_dword v[0:1], v4, off
	s_mov_b64 s[2:3], -1
	s_mov_b64 s[0:1], 0
	s_branch .LBB163_773
.LBB163_767:
	s_mov_b64 s[30:31], 0
                                        ; implicit-def: $vgpr2
	s_mov_b64 s[0:1], s[22:23]
	s_branch .LBB163_884
.LBB163_768:
	s_mov_b64 s[30:31], -1
	s_mov_b64 s[2:3], 0
	s_mov_b64 s[0:1], s[22:23]
	s_branch .LBB163_842
.LBB163_769:
	s_mov_b64 s[30:31], -1
	s_mov_b64 s[2:3], 0
	s_mov_b64 s[0:1], s[22:23]
	s_branch .LBB163_800
.LBB163_770:
	s_mov_b64 s[30:31], -1
	s_mov_b64 s[2:3], 0
	s_mov_b64 s[0:1], s[22:23]
	s_branch .LBB163_783
.LBB163_771:
	s_mov_b64 s[30:31], -1
	s_mov_b64 s[2:3], 0
	s_mov_b64 s[0:1], s[22:23]
	s_branch .LBB163_779
.LBB163_772:
	s_mov_b64 s[30:31], -1
	s_mov_b64 s[2:3], 0
	s_mov_b64 s[0:1], s[22:23]
.LBB163_773:
	s_and_b64 vcc, exec, s[30:31]
	s_cbranch_vccz .LBB163_778
; %bb.774:
	s_cmp_eq_u32 s37, 44
	s_mov_b64 s[0:1], -1
	s_cbranch_scc0 .LBB163_778
; %bb.775:
	v_and_b32_e32 v5, 0xffff, v3
	v_bfe_u32 v4, v5, 7, 8
	s_movk_i32 s0, 0xff
	v_cmp_ne_u32_e32 vcc, s0, v4
	v_mov_b32_e32 v6, 0xff
	s_and_saveexec_b64 s[2:3], vcc
	s_cbranch_execz .LBB163_777
; %bb.776:
	v_lshlrev_b32_e32 v7, 16, v5
	s_mov_b32 s0, 0x3f0000
	v_lshrrev_b32_e32 v6, 7, v5
	v_and_b32_e32 v5, 64, v5
	v_and_or_b32 v4, v7, s0, v4
	v_cmp_ne_u32_e32 vcc, 0, v5
	v_cmp_ne_u32_e64 s[0:1], 0, v4
	s_and_b64 s[0:1], vcc, s[0:1]
	v_cndmask_b32_e64 v4, 0, 1, s[0:1]
	v_add_u32_e32 v6, v6, v4
.LBB163_777:
	s_or_b64 exec, exec, s[2:3]
	s_mov_b64 s[2:3], -1
	s_mov_b64 s[0:1], 0
	global_store_byte v[0:1], v6, off
.LBB163_778:
	s_mov_b64 s[30:31], 0
.LBB163_779:
	s_and_b64 vcc, exec, s[30:31]
	s_cbranch_vccz .LBB163_782
; %bb.780:
	s_cmp_eq_u32 s37, 29
	s_mov_b64 s[0:1], -1
	s_cbranch_scc0 .LBB163_782
; %bb.781:
	v_lshlrev_b32_e32 v4, 16, v3
	v_trunc_f32_e32 v4, v4
	v_mul_f32_e32 v5, 0x2f800000, v4
	v_floor_f32_e32 v6, v5
	v_fmac_f32_e32 v4, 0xcf800000, v6
	v_cvt_u32_f32_e32 v5, v6
	v_cvt_u32_f32_e32 v4, v4
	s_mov_b64 s[2:3], -1
	s_mov_b64 s[0:1], 0
	s_mov_b64 s[30:31], 0
	global_store_dwordx2 v[0:1], v[4:5], off
	s_branch .LBB163_783
.LBB163_782:
	s_mov_b64 s[30:31], 0
.LBB163_783:
	s_and_b64 vcc, exec, s[30:31]
	s_cbranch_vccz .LBB163_799
; %bb.784:
	s_cmp_lt_i32 s37, 27
	s_mov_b64 s[2:3], -1
	s_cbranch_scc1 .LBB163_790
; %bb.785:
	s_cmp_gt_i32 s37, 27
	s_cbranch_scc0 .LBB163_787
; %bb.786:
	v_lshlrev_b32_e32 v4, 16, v3
	v_cvt_u32_f32_e32 v4, v4
	s_mov_b64 s[2:3], 0
	global_store_dword v[0:1], v4, off
.LBB163_787:
	s_andn2_b64 vcc, exec, s[2:3]
	s_cbranch_vccnz .LBB163_789
; %bb.788:
	v_lshlrev_b32_e32 v4, 16, v3
	v_cvt_u32_f32_e32 v4, v4
	global_store_short v[0:1], v4, off
.LBB163_789:
	s_mov_b64 s[2:3], 0
.LBB163_790:
	s_andn2_b64 vcc, exec, s[2:3]
	s_cbranch_vccnz .LBB163_798
; %bb.791:
	v_lshlrev_b32_e32 v6, 16, v3
	v_and_b32_e32 v5, 0x7fffffff, v6
	s_mov_b32 s2, 0x43800000
	v_cmp_gt_u32_e32 vcc, s2, v5
	v_mov_b32_e32 v7, 0x80
	s_and_saveexec_b64 s[2:3], vcc
	s_cbranch_execz .LBB163_797
; %bb.792:
	s_mov_b32 s30, 0x3bffffff
	v_and_b32_e32 v4, 0xffff, v3
	v_cmp_lt_u32_e32 vcc, s30, v5
	s_mov_b64 s[30:31], 0
                                        ; implicit-def: $vgpr5
	s_and_saveexec_b64 s[34:35], vcc
	s_xor_b64 s[34:35], exec, s[34:35]
	s_cbranch_execz .LBB163_898
; %bb.793:
	v_bfe_u32 v5, v4, 4, 1
	s_mov_b32 s39, 0x487ffff
	v_add3_u32 v5, v6, v5, s39
	s_mov_b64 s[30:31], exec
	v_lshrrev_b32_e32 v5, 20, v5
                                        ; implicit-def: $vgpr6
	s_andn2_saveexec_b64 s[34:35], s[34:35]
	s_cbranch_execnz .LBB163_899
.LBB163_794:
	s_or_b64 exec, exec, s[34:35]
	v_mov_b32_e32 v7, 0
	s_and_saveexec_b64 s[34:35], s[30:31]
.LBB163_795:
	v_lshrrev_b32_e32 v4, 8, v4
	s_movk_i32 s30, 0x80
	v_and_or_b32 v7, v4, s30, v5
.LBB163_796:
	s_or_b64 exec, exec, s[34:35]
.LBB163_797:
	s_or_b64 exec, exec, s[2:3]
	global_store_byte v[0:1], v7, off
.LBB163_798:
	s_mov_b64 s[2:3], -1
.LBB163_799:
	s_mov_b64 s[30:31], 0
.LBB163_800:
	s_and_b64 vcc, exec, s[30:31]
	s_cbranch_vccz .LBB163_841
; %bb.801:
	s_cmp_gt_i32 s37, 22
	s_mov_b64 s[30:31], -1
	s_cbranch_scc0 .LBB163_833
; %bb.802:
	s_cmp_lt_i32 s37, 24
	s_mov_b64 s[2:3], -1
	s_cbranch_scc1 .LBB163_822
; %bb.803:
	s_cmp_gt_i32 s37, 24
	s_cbranch_scc0 .LBB163_811
; %bb.804:
	v_lshlrev_b32_e32 v6, 16, v3
	v_and_b32_e32 v5, 0x7fffffff, v6
	s_mov_b32 s2, 0x47800000
	v_cmp_gt_u32_e32 vcc, s2, v5
	v_mov_b32_e32 v7, 0x80
	s_and_saveexec_b64 s[2:3], vcc
	s_cbranch_execz .LBB163_810
; %bb.805:
	s_mov_b32 s30, 0x37ffffff
	v_and_b32_e32 v4, 0xffff, v3
	v_cmp_lt_u32_e32 vcc, s30, v5
	s_mov_b64 s[30:31], 0
                                        ; implicit-def: $vgpr5
	s_and_saveexec_b64 s[34:35], vcc
	s_xor_b64 s[34:35], exec, s[34:35]
	s_cbranch_execz .LBB163_901
; %bb.806:
	v_bfe_u32 v5, v4, 5, 1
	s_mov_b32 s39, 0x88fffff
	v_add3_u32 v5, v6, v5, s39
	s_mov_b64 s[30:31], exec
	v_lshrrev_b32_e32 v5, 21, v5
                                        ; implicit-def: $vgpr6
	s_andn2_saveexec_b64 s[34:35], s[34:35]
	s_cbranch_execnz .LBB163_902
.LBB163_807:
	s_or_b64 exec, exec, s[34:35]
	v_mov_b32_e32 v7, 0
	s_and_saveexec_b64 s[34:35], s[30:31]
.LBB163_808:
	v_lshrrev_b32_e32 v4, 8, v4
	s_movk_i32 s30, 0x80
	v_and_or_b32 v7, v4, s30, v5
.LBB163_809:
	s_or_b64 exec, exec, s[34:35]
.LBB163_810:
	s_or_b64 exec, exec, s[2:3]
	s_mov_b64 s[2:3], 0
	global_store_byte v[0:1], v7, off
.LBB163_811:
	s_and_b64 vcc, exec, s[2:3]
	s_cbranch_vccz .LBB163_821
; %bb.812:
	v_lshlrev_b32_e32 v6, 16, v3
	v_and_b32_e32 v7, 0x7fffffff, v6
	s_mov_b32 s2, 0x43f00000
	v_and_b32_e32 v4, 0xffff, v3
	v_cmp_gt_u32_e32 vcc, s2, v7
                                        ; implicit-def: $vgpr5
	s_and_saveexec_b64 s[2:3], vcc
	s_xor_b64 s[2:3], exec, s[2:3]
	s_cbranch_execz .LBB163_818
; %bb.813:
	s_mov_b32 s30, 0x3c7fffff
	v_cmp_lt_u32_e32 vcc, s30, v7
                                        ; implicit-def: $vgpr5
	s_and_saveexec_b64 s[30:31], vcc
	s_xor_b64 s[30:31], exec, s[30:31]
; %bb.814:
	v_bfe_u32 v5, v4, 4, 1
	s_mov_b32 s34, 0x407ffff
	v_add3_u32 v5, v6, v5, s34
	v_lshrrev_b32_e32 v6, 20, v5
	v_and_b32_e32 v5, 0xff00000, v5
	s_mov_b32 s34, 0x7f00000
	v_mov_b32_e32 v7, 0x7e
	v_cmp_ne_u32_e32 vcc, s34, v5
	v_cndmask_b32_e32 v5, v7, v6, vcc
                                        ; implicit-def: $vgpr6
; %bb.815:
	s_andn2_saveexec_b64 s[30:31], s[30:31]
; %bb.816:
	s_mov_b32 s34, 0x46800000
	v_add_f32_e64 v5, |v6|, s34
; %bb.817:
	s_or_b64 exec, exec, s[30:31]
                                        ; implicit-def: $vgpr7
.LBB163_818:
	s_andn2_saveexec_b64 s[2:3], s[2:3]
; %bb.819:
	s_mov_b32 s30, 0x7f800000
	v_mov_b32_e32 v5, 0x7e
	v_mov_b32_e32 v6, 0x7f
	v_cmp_lt_u32_e32 vcc, s30, v7
	v_cndmask_b32_e32 v5, v5, v6, vcc
; %bb.820:
	s_or_b64 exec, exec, s[2:3]
	v_lshrrev_b32_e32 v4, 8, v4
	s_movk_i32 s2, 0x80
	v_and_or_b32 v4, v4, s2, v5
	global_store_byte v[0:1], v4, off
.LBB163_821:
	s_mov_b64 s[2:3], 0
.LBB163_822:
	s_andn2_b64 vcc, exec, s[2:3]
	s_cbranch_vccnz .LBB163_832
; %bb.823:
	v_lshlrev_b32_e32 v6, 16, v3
	v_and_b32_e32 v7, 0x7fffffff, v6
	s_mov_b32 s2, 0x47800000
	v_and_b32_e32 v4, 0xffff, v3
	v_cmp_gt_u32_e32 vcc, s2, v7
                                        ; implicit-def: $vgpr5
	s_and_saveexec_b64 s[2:3], vcc
	s_xor_b64 s[2:3], exec, s[2:3]
	s_cbranch_execz .LBB163_829
; %bb.824:
	s_mov_b32 s30, 0x387fffff
	v_cmp_lt_u32_e32 vcc, s30, v7
                                        ; implicit-def: $vgpr5
	s_and_saveexec_b64 s[30:31], vcc
	s_xor_b64 s[30:31], exec, s[30:31]
; %bb.825:
	v_bfe_u32 v5, v4, 5, 1
	s_mov_b32 s34, 0x80fffff
	v_add3_u32 v5, v6, v5, s34
	v_lshrrev_b32_e32 v5, 21, v5
                                        ; implicit-def: $vgpr6
; %bb.826:
	s_andn2_saveexec_b64 s[30:31], s[30:31]
; %bb.827:
	s_mov_b32 s34, 0x43000000
	v_add_f32_e64 v5, |v6|, s34
; %bb.828:
	s_or_b64 exec, exec, s[30:31]
                                        ; implicit-def: $vgpr7
.LBB163_829:
	s_andn2_saveexec_b64 s[2:3], s[2:3]
; %bb.830:
	s_mov_b32 s30, 0x7f800000
	v_mov_b32_e32 v5, 0x7c
	v_mov_b32_e32 v6, 0x7f
	v_cmp_lt_u32_e32 vcc, s30, v7
	v_cndmask_b32_e32 v5, v5, v6, vcc
; %bb.831:
	s_or_b64 exec, exec, s[2:3]
	v_lshrrev_b32_e32 v4, 8, v4
	s_movk_i32 s2, 0x80
	v_and_or_b32 v4, v4, s2, v5
	global_store_byte v[0:1], v4, off
.LBB163_832:
	s_mov_b64 s[30:31], 0
	s_mov_b64 s[2:3], -1
.LBB163_833:
	s_andn2_b64 vcc, exec, s[30:31]
	s_cbranch_vccnz .LBB163_841
; %bb.834:
	s_cmp_gt_i32 s37, 14
	s_mov_b64 s[30:31], -1
	s_cbranch_scc0 .LBB163_838
; %bb.835:
	s_cmp_eq_u32 s37, 15
	s_mov_b64 s[0:1], -1
	s_cbranch_scc0 .LBB163_837
; %bb.836:
	global_store_short v[0:1], v3, off
	s_mov_b64 s[2:3], -1
	s_mov_b64 s[0:1], 0
.LBB163_837:
	s_mov_b64 s[30:31], 0
.LBB163_838:
	s_and_b64 vcc, exec, s[30:31]
	s_cbranch_vccz .LBB163_841
; %bb.839:
	s_cmp_eq_u32 s37, 11
	s_mov_b64 s[0:1], -1
	s_cbranch_scc0 .LBB163_841
; %bb.840:
	v_and_b32_e32 v4, 0x7fff, v3
	v_cmp_ne_u16_e32 vcc, 0, v4
	v_cndmask_b32_e64 v4, 0, 1, vcc
	s_mov_b64 s[2:3], -1
	s_mov_b64 s[0:1], 0
	global_store_byte v[0:1], v4, off
.LBB163_841:
	s_mov_b64 s[30:31], 0
.LBB163_842:
	s_and_b64 vcc, exec, s[30:31]
	s_cbranch_vccz .LBB163_881
; %bb.843:
	s_and_b32 s30, 0xffff, s36
	s_cmp_lt_i32 s30, 5
	s_mov_b64 s[2:3], -1
	s_cbranch_scc1 .LBB163_864
; %bb.844:
	s_cmp_lt_i32 s30, 8
	s_cbranch_scc1 .LBB163_854
; %bb.845:
	s_cmp_lt_i32 s30, 9
	s_cbranch_scc1 .LBB163_851
; %bb.846:
	s_cmp_gt_i32 s30, 9
	s_cbranch_scc0 .LBB163_848
; %bb.847:
	v_lshlrev_b32_e32 v4, 16, v3
	v_cvt_f64_f32_e32 v[4:5], v4
	v_mov_b32_e32 v6, 0
	v_mov_b32_e32 v7, v6
	s_mov_b64 s[2:3], 0
	global_store_dwordx4 v[0:1], v[4:7], off
.LBB163_848:
	s_andn2_b64 vcc, exec, s[2:3]
	s_cbranch_vccnz .LBB163_850
; %bb.849:
	v_lshlrev_b32_e32 v4, 16, v3
	v_mov_b32_e32 v5, 0
	global_store_dwordx2 v[0:1], v[4:5], off
.LBB163_850:
	s_mov_b64 s[2:3], 0
.LBB163_851:
	s_andn2_b64 vcc, exec, s[2:3]
	s_cbranch_vccnz .LBB163_853
; %bb.852:
	v_lshlrev_b32_e32 v4, 16, v3
	v_cvt_f16_f32_e32 v4, v4
	global_store_dword v[0:1], v4, off
.LBB163_853:
	s_mov_b64 s[2:3], 0
.LBB163_854:
	s_andn2_b64 vcc, exec, s[2:3]
	s_cbranch_vccnz .LBB163_863
; %bb.855:
	s_cmp_lt_i32 s30, 6
	s_mov_b64 s[2:3], -1
	s_cbranch_scc1 .LBB163_861
; %bb.856:
	s_cmp_gt_i32 s30, 6
	s_cbranch_scc0 .LBB163_858
; %bb.857:
	v_lshlrev_b32_e32 v4, 16, v3
	v_cvt_f64_f32_e32 v[4:5], v4
	s_mov_b64 s[2:3], 0
	global_store_dwordx2 v[0:1], v[4:5], off
.LBB163_858:
	s_andn2_b64 vcc, exec, s[2:3]
	s_cbranch_vccnz .LBB163_860
; %bb.859:
	v_lshlrev_b32_e32 v4, 16, v3
	global_store_dword v[0:1], v4, off
.LBB163_860:
	s_mov_b64 s[2:3], 0
.LBB163_861:
	s_andn2_b64 vcc, exec, s[2:3]
	s_cbranch_vccnz .LBB163_863
; %bb.862:
	v_lshlrev_b32_e32 v4, 16, v3
	v_cvt_f16_f32_e32 v4, v4
	global_store_short v[0:1], v4, off
.LBB163_863:
	s_mov_b64 s[2:3], 0
.LBB163_864:
	s_andn2_b64 vcc, exec, s[2:3]
	s_cbranch_vccnz .LBB163_880
; %bb.865:
	s_cmp_lt_i32 s30, 2
	s_mov_b64 s[2:3], -1
	s_cbranch_scc1 .LBB163_875
; %bb.866:
	s_cmp_lt_i32 s30, 3
	s_cbranch_scc1 .LBB163_872
; %bb.867:
	s_cmp_gt_i32 s30, 3
	s_cbranch_scc0 .LBB163_869
; %bb.868:
	v_lshlrev_b32_e32 v4, 16, v3
	v_trunc_f32_e32 v4, v4
	s_mov_b32 s2, 0x2f800000
	v_mul_f32_e64 v5, |v4|, s2
	v_floor_f32_e32 v5, v5
	s_mov_b32 s2, 0xcf800000
	v_cvt_u32_f32_e32 v6, v5
	v_fma_f32 v5, v5, s2, |v4|
	v_cvt_u32_f32_e32 v5, v5
	v_ashrrev_i32_e32 v7, 31, v4
	v_xor_b32_e32 v6, v6, v7
	s_mov_b64 s[2:3], 0
	v_xor_b32_e32 v4, v5, v7
	v_sub_co_u32_e32 v4, vcc, v4, v7
	v_subb_co_u32_e32 v5, vcc, v6, v7, vcc
	global_store_dwordx2 v[0:1], v[4:5], off
.LBB163_869:
	s_andn2_b64 vcc, exec, s[2:3]
	s_cbranch_vccnz .LBB163_871
; %bb.870:
	v_lshlrev_b32_e32 v4, 16, v3
	v_cvt_i32_f32_e32 v4, v4
	global_store_dword v[0:1], v4, off
.LBB163_871:
	s_mov_b64 s[2:3], 0
.LBB163_872:
	s_andn2_b64 vcc, exec, s[2:3]
	s_cbranch_vccnz .LBB163_874
; %bb.873:
	v_lshlrev_b32_e32 v4, 16, v3
	v_cvt_i32_f32_e32 v4, v4
	global_store_short v[0:1], v4, off
.LBB163_874:
	s_mov_b64 s[2:3], 0
.LBB163_875:
	s_andn2_b64 vcc, exec, s[2:3]
	s_cbranch_vccnz .LBB163_880
; %bb.876:
	s_mov_b64 s[2:3], -1
	s_cmp_gt_i32 s30, 0
	v_lshlrev_b32_e32 v3, 16, v3
	s_cbranch_scc0 .LBB163_878
; %bb.877:
	v_cvt_i32_f32_e32 v4, v3
	s_mov_b64 s[2:3], 0
	global_store_byte v[0:1], v4, off
.LBB163_878:
	s_andn2_b64 vcc, exec, s[2:3]
	s_cbranch_vccnz .LBB163_880
; %bb.879:
	v_trunc_f32_e32 v3, v3
	s_mov_b32 s2, 0x2f800000
	v_mul_f32_e64 v4, |v3|, s2
	v_floor_f32_e32 v4, v4
	s_mov_b32 s2, 0xcf800000
	v_fma_f32 v4, v4, s2, |v3|
	v_cvt_u32_f32_e32 v4, v4
	v_ashrrev_i32_e32 v3, 31, v3
	v_xor_b32_e32 v4, v4, v3
	v_sub_u32_e32 v3, v4, v3
	global_store_byte v[0:1], v3, off
.LBB163_880:
	s_mov_b64 s[2:3], -1
.LBB163_881:
	s_andn2_b64 vcc, exec, s[2:3]
	s_cbranch_vccnz .LBB163_883
; %bb.882:
	v_add_u32_e32 v2, 0x80, v2
	s_mov_b64 s[30:31], -1
	s_branch .LBB163_884
.LBB163_883:
	s_mov_b64 s[30:31], 0
                                        ; implicit-def: $vgpr2
.LBB163_884:
	s_andn2_b64 s[2:3], s[22:23], exec
	s_and_b64 s[0:1], s[0:1], exec
	s_or_b64 s[2:3], s[2:3], s[0:1]
	s_andn2_b64 s[0:1], s[20:21], exec
	s_and_b64 s[28:29], s[28:29], exec
	s_or_b64 s[0:1], s[0:1], s[28:29]
	s_orn2_b64 s[34:35], s[30:31], exec
.LBB163_885:
	s_or_b64 exec, exec, s[26:27]
	s_mov_b64 s[30:31], 0
	s_mov_b64 s[36:37], 0
	;; [unrolled: 1-line block ×3, first 2 shown]
                                        ; implicit-def: $vgpr0_vgpr1
                                        ; implicit-def: $vgpr4
	s_and_saveexec_b64 s[26:27], s[34:35]
	s_cbranch_execz .LBB163_970
; %bb.886:
	v_cmp_gt_i32_e32 vcc, s38, v2
	s_mov_b64 s[34:35], 0
	s_mov_b64 s[38:39], s[0:1]
	;; [unrolled: 1-line block ×3, first 2 shown]
                                        ; implicit-def: $vgpr0_vgpr1
                                        ; implicit-def: $vgpr4
	s_and_saveexec_b64 s[28:29], vcc
	s_cbranch_execz .LBB163_969
; %bb.887:
	v_mul_lo_u32 v0, v2, s11
	v_mov_b32_e32 v1, s15
	s_and_b32 s43, 0xffff, s42
	s_cmp_lt_i32 s43, 11
	s_waitcnt vmcnt(0)
	v_ashrrev_i32_e32 v3, 31, v0
	v_add_co_u32_e32 v0, vcc, s14, v0
	v_addc_co_u32_e32 v1, vcc, v1, v3, vcc
	s_cbranch_scc1 .LBB163_894
; %bb.888:
	s_cmp_gt_i32 s43, 25
	s_cbranch_scc0 .LBB163_895
; %bb.889:
	s_cmp_gt_i32 s43, 28
	s_cbranch_scc0 .LBB163_896
	;; [unrolled: 3-line block ×4, first 2 shown]
; %bb.892:
	s_cmp_eq_u32 s43, 46
	s_mov_b64 s[38:39], 0
	s_cbranch_scc0 .LBB163_903
; %bb.893:
	global_load_dword v4, v[0:1], off
	s_mov_b64 s[36:37], -1
	s_branch .LBB163_905
.LBB163_894:
	s_mov_b64 s[38:39], -1
                                        ; implicit-def: $vgpr4
	s_mov_b64 s[30:31], s[0:1]
	s_branch .LBB163_968
.LBB163_895:
	s_mov_b64 s[38:39], -1
	s_mov_b64 s[30:31], s[0:1]
                                        ; implicit-def: $vgpr4
	s_branch .LBB163_934
.LBB163_896:
	s_mov_b64 s[38:39], -1
	s_mov_b64 s[30:31], s[0:1]
                                        ; implicit-def: $vgpr4
	s_branch .LBB163_915
.LBB163_897:
	s_mov_b64 s[38:39], -1
	s_mov_b64 s[30:31], s[0:1]
                                        ; implicit-def: $vgpr4
	s_branch .LBB163_910
.LBB163_898:
	s_andn2_saveexec_b64 s[34:35], s[34:35]
	s_cbranch_execz .LBB163_794
.LBB163_899:
	s_mov_b32 s39, 0x46000000
	v_add_f32_e64 v5, |v6|, s39
	v_and_b32_e32 v5, 0xff, v5
	v_cmp_ne_u32_e32 vcc, 0, v5
	s_andn2_b64 s[30:31], s[30:31], exec
	s_and_b64 s[40:41], vcc, exec
	s_or_b64 s[30:31], s[30:31], s[40:41]
	s_or_b64 exec, exec, s[34:35]
	v_mov_b32_e32 v7, 0
	s_and_saveexec_b64 s[34:35], s[30:31]
	s_cbranch_execnz .LBB163_795
	s_branch .LBB163_796
.LBB163_900:
	s_mov_b64 s[38:39], -1
	s_mov_b64 s[30:31], s[0:1]
	s_branch .LBB163_904
.LBB163_901:
	s_andn2_saveexec_b64 s[34:35], s[34:35]
	s_cbranch_execz .LBB163_807
.LBB163_902:
	s_mov_b32 s39, 0x42800000
	v_add_f32_e64 v5, |v6|, s39
	v_and_b32_e32 v5, 0xff, v5
	v_cmp_ne_u32_e32 vcc, 0, v5
	s_andn2_b64 s[30:31], s[30:31], exec
	s_and_b64 s[40:41], vcc, exec
	s_or_b64 s[30:31], s[30:31], s[40:41]
	s_or_b64 exec, exec, s[34:35]
	v_mov_b32_e32 v7, 0
	s_and_saveexec_b64 s[34:35], s[30:31]
	s_cbranch_execnz .LBB163_808
	s_branch .LBB163_809
.LBB163_903:
	s_mov_b64 s[30:31], -1
.LBB163_904:
                                        ; implicit-def: $vgpr4
.LBB163_905:
	s_and_b64 vcc, exec, s[38:39]
	s_cbranch_vccz .LBB163_909
; %bb.906:
	s_cmp_eq_u32 s43, 44
	s_cbranch_scc0 .LBB163_908
; %bb.907:
	global_load_ubyte v3, v[0:1], off
	s_movk_i32 s36, 0xff
	s_waitcnt vmcnt(1)
	v_mov_b32_e32 v4, 0x7f800001
	v_mov_b32_e32 v5, 0x400000
	;; [unrolled: 1-line block ×3, first 2 shown]
	s_mov_b64 s[30:31], 0
	s_waitcnt vmcnt(0)
	v_lshlrev_b32_e32 v7, 23, v3
	v_cmp_ne_u32_e32 vcc, s36, v3
	v_cndmask_b32_e32 v4, v4, v7, vcc
	v_cmp_ne_u32_e32 vcc, 0, v3
	v_cndmask_b32_e32 v3, v5, v4, vcc
	v_add_u32_e32 v4, 0x7fff, v3
	v_cmp_o_f32_e32 vcc, v3, v3
	v_cndmask_b32_sdwa v4, v6, v4, vcc dst_sel:DWORD dst_unused:UNUSED_PAD src0_sel:DWORD src1_sel:WORD_1
	s_mov_b64 s[36:37], -1
	s_branch .LBB163_909
.LBB163_908:
	s_mov_b64 s[30:31], -1
                                        ; implicit-def: $vgpr4
.LBB163_909:
	s_mov_b64 s[38:39], 0
.LBB163_910:
	s_and_b64 vcc, exec, s[38:39]
	s_cbranch_vccz .LBB163_914
; %bb.911:
	s_cmp_eq_u32 s43, 29
	s_cbranch_scc0 .LBB163_913
; %bb.912:
	global_load_dwordx2 v[3:4], v[0:1], off
	s_movk_i32 s36, 0x7fff
	s_mov_b64 s[30:31], 0
	s_mov_b64 s[38:39], 0
	s_waitcnt vmcnt(0)
	v_ffbh_u32_e32 v5, v4
	v_min_u32_e32 v5, 32, v5
	v_lshlrev_b64 v[3:4], v5, v[3:4]
	v_min_u32_e32 v3, 1, v3
	v_or_b32_e32 v3, v4, v3
	v_cvt_f32_u32_e32 v3, v3
	v_sub_u32_e32 v4, 32, v5
	v_ldexp_f32 v3, v3, v4
	v_bfe_u32 v4, v3, 16, 1
	v_add3_u32 v3, v3, v4, s36
	v_lshrrev_b32_e32 v4, 16, v3
	s_mov_b64 s[36:37], -1
	s_branch .LBB163_915
.LBB163_913:
	s_mov_b64 s[30:31], -1
                                        ; implicit-def: $vgpr4
.LBB163_914:
	s_mov_b64 s[38:39], 0
.LBB163_915:
	s_and_b64 vcc, exec, s[38:39]
	s_cbranch_vccz .LBB163_933
; %bb.916:
	s_cmp_lt_i32 s43, 27
	s_cbranch_scc1 .LBB163_919
; %bb.917:
	s_cmp_gt_i32 s43, 27
	s_cbranch_scc0 .LBB163_920
; %bb.918:
	global_load_dword v3, v[0:1], off
	s_movk_i32 s36, 0x7fff
	s_waitcnt vmcnt(0)
	v_cvt_f32_u32_e32 v3, v3
	v_bfe_u32 v4, v3, 16, 1
	v_add3_u32 v3, v3, v4, s36
	v_lshrrev_b32_e32 v4, 16, v3
	s_mov_b64 s[36:37], 0
	s_branch .LBB163_921
.LBB163_919:
	s_mov_b64 s[36:37], -1
                                        ; implicit-def: $vgpr4
	s_branch .LBB163_924
.LBB163_920:
	s_mov_b64 s[36:37], -1
                                        ; implicit-def: $vgpr4
.LBB163_921:
	s_andn2_b64 vcc, exec, s[36:37]
	s_cbranch_vccnz .LBB163_923
; %bb.922:
	global_load_ushort v3, v[0:1], off
	s_movk_i32 s36, 0x7fff
	s_waitcnt vmcnt(0)
	v_cvt_f32_u32_e32 v3, v3
	v_bfe_u32 v4, v3, 16, 1
	v_add3_u32 v3, v3, v4, s36
	v_lshrrev_b32_e32 v4, 16, v3
.LBB163_923:
	s_mov_b64 s[36:37], 0
.LBB163_924:
	s_andn2_b64 vcc, exec, s[36:37]
	s_cbranch_vccnz .LBB163_932
; %bb.925:
	global_load_ubyte v3, v[0:1], off
	s_movk_i32 s36, 0x7f
	s_waitcnt vmcnt(0)
	v_cmp_lt_i16_e32 vcc, s36, v3
	s_mov_b64 s[36:37], 0
	s_and_saveexec_b64 s[38:39], vcc
	s_xor_b64 s[38:39], exec, s[38:39]
	s_cbranch_execz .LBB163_946
; %bb.926:
	s_movk_i32 s36, 0x80
	v_cmp_eq_u16_e32 vcc, s36, v3
	s_mov_b64 s[36:37], -1
	s_and_saveexec_b64 s[40:41], vcc
; %bb.927:
	s_xor_b64 s[36:37], exec, -1
; %bb.928:
	s_or_b64 exec, exec, s[40:41]
	s_and_b64 s[36:37], s[36:37], exec
	s_or_saveexec_b64 s[38:39], s[38:39]
	v_mov_b32_e32 v4, 0x7f800001
	s_xor_b64 exec, exec, s[38:39]
	s_cbranch_execnz .LBB163_947
.LBB163_929:
	s_or_b64 exec, exec, s[38:39]
	s_and_saveexec_b64 s[38:39], s[36:37]
	s_cbranch_execz .LBB163_931
.LBB163_930:
	v_lshlrev_b32_e32 v4, 24, v3
	v_and_b32_e32 v3, 0xffff, v3
	v_and_b32_e32 v5, 7, v3
	v_ffbh_u32_e32 v7, v5
	v_min_u32_e32 v7, 32, v7
	v_subrev_u32_e32 v8, 28, v7
	v_bfe_u32 v6, v3, 3, 4
	v_lshlrev_b32_e32 v3, v8, v3
	v_sub_u32_e32 v7, 29, v7
	v_and_b32_e32 v3, 7, v3
	v_cmp_eq_u32_e32 vcc, 0, v6
	v_cndmask_b32_e32 v6, v6, v7, vcc
	v_cndmask_b32_e32 v3, v5, v3, vcc
	v_mov_b32_e32 v5, 0x3b800000
	v_lshlrev_b32_e32 v3, 20, v3
	v_and_b32_e32 v4, 0x80000000, v4
	v_lshl_add_u32 v5, v6, 23, v5
	v_or3_b32 v4, v4, v5, v3
.LBB163_931:
	s_or_b64 exec, exec, s[38:39]
	v_bfe_u32 v3, v4, 16, 1
	s_movk_i32 s36, 0x7fff
	v_add3_u32 v3, v4, v3, s36
	v_cmp_o_f32_e32 vcc, v4, v4
	v_mov_b32_e32 v4, 0x7fc0
	v_cndmask_b32_sdwa v4, v4, v3, vcc dst_sel:DWORD dst_unused:UNUSED_PAD src0_sel:DWORD src1_sel:WORD_1
.LBB163_932:
	s_mov_b64 s[36:37], -1
.LBB163_933:
	s_mov_b64 s[38:39], 0
.LBB163_934:
	s_and_b64 vcc, exec, s[38:39]
	s_cbranch_vccz .LBB163_967
; %bb.935:
	s_cmp_gt_i32 s43, 22
	s_cbranch_scc0 .LBB163_945
; %bb.936:
	s_cmp_lt_i32 s43, 24
	s_cbranch_scc1 .LBB163_948
; %bb.937:
	s_cmp_gt_i32 s43, 24
	s_cbranch_scc0 .LBB163_949
; %bb.938:
	global_load_ubyte v3, v[0:1], off
	s_movk_i32 s34, 0x7f
	s_waitcnt vmcnt(0)
	v_cmp_lt_i16_e32 vcc, s34, v3
	s_mov_b64 s[34:35], 0
	s_and_saveexec_b64 s[36:37], vcc
	s_xor_b64 s[36:37], exec, s[36:37]
	s_cbranch_execz .LBB163_961
; %bb.939:
	s_movk_i32 s34, 0x80
	v_cmp_eq_u16_e32 vcc, s34, v3
	s_mov_b64 s[34:35], -1
	s_and_saveexec_b64 s[38:39], vcc
; %bb.940:
	s_xor_b64 s[34:35], exec, -1
; %bb.941:
	s_or_b64 exec, exec, s[38:39]
	s_and_b64 s[34:35], s[34:35], exec
	s_or_saveexec_b64 s[36:37], s[36:37]
	v_mov_b32_e32 v4, 0x7f800001
	s_xor_b64 exec, exec, s[36:37]
	s_cbranch_execnz .LBB163_962
.LBB163_942:
	s_or_b64 exec, exec, s[36:37]
	s_and_saveexec_b64 s[36:37], s[34:35]
	s_cbranch_execz .LBB163_944
.LBB163_943:
	v_lshlrev_b32_e32 v4, 24, v3
	v_and_b32_e32 v3, 0xffff, v3
	v_and_b32_e32 v5, 3, v3
	v_ffbh_u32_e32 v7, v5
	v_min_u32_e32 v7, 32, v7
	v_subrev_u32_e32 v8, 29, v7
	v_bfe_u32 v6, v3, 2, 5
	v_lshlrev_b32_e32 v3, v8, v3
	v_sub_u32_e32 v7, 30, v7
	v_and_b32_e32 v3, 3, v3
	v_cmp_eq_u32_e32 vcc, 0, v6
	v_cndmask_b32_e32 v6, v6, v7, vcc
	v_cndmask_b32_e32 v3, v5, v3, vcc
	v_mov_b32_e32 v5, 0x37800000
	v_lshlrev_b32_e32 v3, 21, v3
	v_and_b32_e32 v4, 0x80000000, v4
	v_lshl_add_u32 v5, v6, 23, v5
	v_or3_b32 v4, v4, v5, v3
.LBB163_944:
	s_or_b64 exec, exec, s[36:37]
	v_bfe_u32 v3, v4, 16, 1
	s_movk_i32 s34, 0x7fff
	v_add3_u32 v3, v4, v3, s34
	v_cmp_o_f32_e32 vcc, v4, v4
	v_mov_b32_e32 v4, 0x7fc0
	v_cndmask_b32_sdwa v4, v4, v3, vcc dst_sel:DWORD dst_unused:UNUSED_PAD src0_sel:DWORD src1_sel:WORD_1
	s_mov_b64 s[34:35], 0
	s_branch .LBB163_950
.LBB163_945:
	s_mov_b64 s[34:35], -1
                                        ; implicit-def: $vgpr4
	s_branch .LBB163_956
.LBB163_946:
	s_or_saveexec_b64 s[38:39], s[38:39]
	v_mov_b32_e32 v4, 0x7f800001
	s_xor_b64 exec, exec, s[38:39]
	s_cbranch_execz .LBB163_929
.LBB163_947:
	v_cmp_ne_u16_e32 vcc, 0, v3
	s_andn2_b64 s[36:37], s[36:37], exec
	s_and_b64 s[40:41], vcc, exec
	v_mov_b32_e32 v4, 0
	s_or_b64 s[36:37], s[36:37], s[40:41]
	s_or_b64 exec, exec, s[38:39]
	s_and_saveexec_b64 s[38:39], s[36:37]
	s_cbranch_execnz .LBB163_930
	s_branch .LBB163_931
.LBB163_948:
	s_mov_b64 s[34:35], -1
                                        ; implicit-def: $vgpr4
	s_branch .LBB163_953
.LBB163_949:
	s_mov_b64 s[34:35], -1
                                        ; implicit-def: $vgpr4
.LBB163_950:
	s_and_b64 vcc, exec, s[34:35]
	s_cbranch_vccz .LBB163_952
; %bb.951:
	global_load_ubyte v3, v[0:1], off
	s_mov_b32 s34, 0x7f800000
	s_brev_b32 s35, 1
	s_movk_i32 s36, 0x7fff
	s_waitcnt vmcnt(0)
	v_lshlrev_b32_e32 v3, 24, v3
	v_and_b32_e32 v4, 0x7f000000, v3
	v_ffbh_u32_e32 v5, v4
	v_min_u32_e32 v5, 32, v5
	v_sub_u32_e64 v5, v5, 4 clamp
	v_lshlrev_b32_e32 v7, v5, v4
	v_lshlrev_b32_e32 v5, 23, v5
	v_lshrrev_b32_e32 v7, 4, v7
	v_add_u32_e32 v6, 0x1000000, v4
	v_sub_u32_e32 v5, v7, v5
	v_ashrrev_i32_e32 v6, 8, v6
	v_add_u32_e32 v5, 0x3c000000, v5
	v_and_or_b32 v5, v6, s34, v5
	v_cmp_ne_u32_e32 vcc, 0, v4
	v_cndmask_b32_e32 v4, 0, v5, vcc
	v_and_or_b32 v3, v3, s35, v4
	v_bfe_u32 v4, v4, 16, 1
	v_add3_u32 v4, v3, v4, s36
	v_cmp_o_f32_e32 vcc, v3, v3
	v_mov_b32_e32 v3, 0x7fc0
	v_cndmask_b32_sdwa v4, v3, v4, vcc dst_sel:DWORD dst_unused:UNUSED_PAD src0_sel:DWORD src1_sel:WORD_1
.LBB163_952:
	s_mov_b64 s[34:35], 0
.LBB163_953:
	s_andn2_b64 vcc, exec, s[34:35]
	s_cbranch_vccnz .LBB163_955
; %bb.954:
	global_load_ubyte v3, v[0:1], off
	s_movk_i32 s34, 0x7f00
	s_brev_b32 s35, 16
	s_brev_b32 s36, 1
	s_movk_i32 s37, 0x7fff
	s_waitcnt vmcnt(0)
	v_lshlrev_b16_e32 v4, 8, v3
	v_lshlrev_b32_e32 v3, 25, v3
	v_lshrrev_b32_e32 v5, 4, v3
	v_and_or_b32 v6, v4, s34, 0.5
	v_or_b32_e32 v5, 0x70000000, v5
	v_add_f32_e32 v6, -0.5, v6
	v_mul_f32_e32 v5, 0x7800000, v5
	v_cmp_gt_u32_e32 vcc, s35, v3
	v_bfe_i32 v4, v4, 0, 16
	v_cndmask_b32_e32 v3, v5, v6, vcc
	v_and_or_b32 v4, v4, s36, v3
	v_bfe_u32 v3, v3, 16, 1
	v_add3_u32 v3, v4, v3, s37
	v_cmp_o_f32_e32 vcc, v4, v4
	v_mov_b32_e32 v4, 0x7fc0
	v_cndmask_b32_sdwa v4, v4, v3, vcc dst_sel:DWORD dst_unused:UNUSED_PAD src0_sel:DWORD src1_sel:WORD_1
.LBB163_955:
	s_mov_b64 s[34:35], 0
	s_mov_b64 s[36:37], -1
.LBB163_956:
	s_andn2_b64 vcc, exec, s[34:35]
	s_mov_b64 s[34:35], 0
	s_cbranch_vccnz .LBB163_967
; %bb.957:
	s_cmp_gt_i32 s43, 14
	s_cbranch_scc0 .LBB163_960
; %bb.958:
	s_cmp_eq_u32 s43, 15
	s_cbranch_scc0 .LBB163_963
; %bb.959:
	global_load_ushort v4, v[0:1], off
	s_mov_b64 s[30:31], 0
	s_mov_b64 s[36:37], -1
	s_branch .LBB163_964
.LBB163_960:
	s_mov_b64 s[38:39], -1
                                        ; implicit-def: $vgpr4
	s_branch .LBB163_965
.LBB163_961:
	s_or_saveexec_b64 s[36:37], s[36:37]
	v_mov_b32_e32 v4, 0x7f800001
	s_xor_b64 exec, exec, s[36:37]
	s_cbranch_execz .LBB163_942
.LBB163_962:
	v_cmp_ne_u16_e32 vcc, 0, v3
	s_andn2_b64 s[34:35], s[34:35], exec
	s_and_b64 s[38:39], vcc, exec
	v_mov_b32_e32 v4, 0
	s_or_b64 s[34:35], s[34:35], s[38:39]
	s_or_b64 exec, exec, s[36:37]
	s_and_saveexec_b64 s[36:37], s[34:35]
	s_cbranch_execnz .LBB163_943
	s_branch .LBB163_944
.LBB163_963:
	s_mov_b64 s[30:31], -1
                                        ; implicit-def: $vgpr4
.LBB163_964:
	s_mov_b64 s[38:39], 0
.LBB163_965:
	s_and_b64 vcc, exec, s[38:39]
	s_cbranch_vccz .LBB163_967
; %bb.966:
	s_cmp_lg_u32 s43, 11
	s_cselect_b64 s[38:39], -1, 0
	s_andn2_b64 s[30:31], s[30:31], exec
	s_and_b64 s[38:39], s[38:39], exec
	s_mov_b64 s[34:35], -1
	s_or_b64 s[30:31], s[30:31], s[38:39]
.LBB163_967:
	s_mov_b64 s[38:39], 0
.LBB163_968:
	s_and_b64 s[40:41], s[36:37], exec
	s_and_b64 s[36:37], s[38:39], exec
	s_andn2_b64 s[38:39], s[0:1], exec
	s_and_b64 s[30:31], s[30:31], exec
	s_and_b64 s[34:35], s[34:35], exec
	s_or_b64 s[38:39], s[38:39], s[30:31]
.LBB163_969:
	s_or_b64 exec, exec, s[28:29]
	s_and_b64 s[30:31], s[34:35], exec
	s_andn2_b64 s[0:1], s[0:1], exec
	s_and_b64 s[34:35], s[38:39], exec
	s_and_b64 s[28:29], s[40:41], exec
	;; [unrolled: 1-line block ×3, first 2 shown]
	s_or_b64 s[0:1], s[0:1], s[34:35]
.LBB163_970:
	s_or_b64 exec, exec, s[26:27]
	s_andn2_b64 s[22:23], s[22:23], exec
	s_and_b64 s[2:3], s[2:3], exec
	s_andn2_b64 s[20:21], s[20:21], exec
	s_and_b64 s[0:1], s[0:1], exec
	s_or_b64 s[22:23], s[22:23], s[2:3]
	s_and_b64 s[28:29], s[28:29], exec
	s_and_b64 s[26:27], s[36:37], exec
	s_and_b64 s[2:3], s[30:31], exec
	s_or_b64 s[20:21], s[20:21], s[0:1]
.LBB163_971:
	s_or_b64 exec, exec, s[24:25]
	s_andn2_b64 s[0:1], s[6:7], exec
	s_and_b64 s[6:7], s[22:23], exec
	s_and_b64 s[22:23], s[2:3], exec
	s_andn2_b64 s[2:3], s[16:17], exec
	s_and_b64 s[16:17], s[20:21], exec
	s_or_b64 s[6:7], s[0:1], s[6:7]
	s_and_b64 s[0:1], s[28:29], exec
	s_and_b64 s[24:25], s[26:27], exec
	s_or_b64 s[16:17], s[2:3], s[16:17]
	s_or_b64 exec, exec, s[18:19]
	s_mov_b64 s[18:19], 0
	s_and_saveexec_b64 s[2:3], s[16:17]
	s_cbranch_execz .LBB163_299
.LBB163_972:
	s_mov_b64 s[18:19], exec
	s_andn2_b64 s[22:23], s[22:23], exec
	s_trap 2
	s_or_b64 exec, exec, s[2:3]
	s_and_saveexec_b64 s[2:3], s[22:23]
	s_xor_b64 s[2:3], exec, s[2:3]
	s_cbranch_execnz .LBB163_300
.LBB163_973:
	s_or_b64 exec, exec, s[2:3]
	s_and_saveexec_b64 s[2:3], s[24:25]
	s_cbranch_execz .LBB163_1019
.LBB163_974:
	s_sext_i32_i16 s16, s42
	s_cmp_lt_i32 s16, 5
	s_cbranch_scc1 .LBB163_979
; %bb.975:
	s_cmp_lt_i32 s16, 8
	s_cbranch_scc1 .LBB163_980
; %bb.976:
	s_cmp_lt_i32 s16, 9
	s_cbranch_scc1 .LBB163_981
; %bb.977:
	s_cmp_gt_i32 s16, 9
	s_cbranch_scc0 .LBB163_982
; %bb.978:
	global_load_dwordx2 v[3:4], v[0:1], off
	s_movk_i32 s16, 0x7fff
	s_waitcnt vmcnt(0)
	v_cvt_f32_f64_e32 v3, v[3:4]
	v_mov_b32_e32 v4, 0x7fc0
	v_bfe_u32 v5, v3, 16, 1
	v_cmp_o_f32_e32 vcc, v3, v3
	v_add3_u32 v3, v3, v5, s16
	v_cndmask_b32_sdwa v4, v4, v3, vcc dst_sel:DWORD dst_unused:UNUSED_PAD src0_sel:DWORD src1_sel:WORD_1
	s_mov_b64 s[16:17], 0
	s_branch .LBB163_983
.LBB163_979:
                                        ; implicit-def: $vgpr4
	s_branch .LBB163_1000
.LBB163_980:
                                        ; implicit-def: $vgpr4
	s_branch .LBB163_989
.LBB163_981:
	s_mov_b64 s[16:17], -1
                                        ; implicit-def: $vgpr4
	s_branch .LBB163_986
.LBB163_982:
	s_mov_b64 s[16:17], -1
                                        ; implicit-def: $vgpr4
.LBB163_983:
	s_andn2_b64 vcc, exec, s[16:17]
	s_cbranch_vccnz .LBB163_985
; %bb.984:
	global_load_dword v3, v[0:1], off
	s_movk_i32 s16, 0x7fff
	s_waitcnt vmcnt(1)
	v_mov_b32_e32 v4, 0x7fc0
	s_waitcnt vmcnt(0)
	v_bfe_u32 v5, v3, 16, 1
	v_cmp_o_f32_e32 vcc, v3, v3
	v_add3_u32 v3, v3, v5, s16
	v_cndmask_b32_sdwa v4, v4, v3, vcc dst_sel:DWORD dst_unused:UNUSED_PAD src0_sel:DWORD src1_sel:WORD_1
.LBB163_985:
	s_mov_b64 s[16:17], 0
.LBB163_986:
	s_andn2_b64 vcc, exec, s[16:17]
	s_cbranch_vccnz .LBB163_988
; %bb.987:
	global_load_dword v3, v[0:1], off
	s_movk_i32 s16, 0x7fff
	v_mov_b32_e32 v5, 0x7fc0
	s_waitcnt vmcnt(0)
	v_cvt_f32_f16_e32 v4, v3
	v_cmp_o_f16_e32 vcc, v3, v3
	v_bfe_u32 v3, v4, 16, 1
	v_add3_u32 v3, v4, v3, s16
	v_cndmask_b32_sdwa v4, v5, v3, vcc dst_sel:DWORD dst_unused:UNUSED_PAD src0_sel:DWORD src1_sel:WORD_1
.LBB163_988:
	s_cbranch_execnz .LBB163_999
.LBB163_989:
	s_sext_i32_i16 s16, s42
	s_cmp_lt_i32 s16, 6
	s_cbranch_scc1 .LBB163_992
; %bb.990:
	s_cmp_gt_i32 s16, 6
	s_cbranch_scc0 .LBB163_993
; %bb.991:
	global_load_dwordx2 v[3:4], v[0:1], off
	s_movk_i32 s16, 0x7fff
	s_waitcnt vmcnt(0)
	v_cvt_f32_f64_e32 v3, v[3:4]
	v_mov_b32_e32 v4, 0x7fc0
	v_bfe_u32 v5, v3, 16, 1
	v_cmp_o_f32_e32 vcc, v3, v3
	v_add3_u32 v3, v3, v5, s16
	v_cndmask_b32_sdwa v4, v4, v3, vcc dst_sel:DWORD dst_unused:UNUSED_PAD src0_sel:DWORD src1_sel:WORD_1
	s_mov_b64 s[16:17], 0
	s_branch .LBB163_994
.LBB163_992:
	s_mov_b64 s[16:17], -1
                                        ; implicit-def: $vgpr4
	s_branch .LBB163_997
.LBB163_993:
	s_mov_b64 s[16:17], -1
                                        ; implicit-def: $vgpr4
.LBB163_994:
	s_andn2_b64 vcc, exec, s[16:17]
	s_cbranch_vccnz .LBB163_996
; %bb.995:
	global_load_dword v3, v[0:1], off
	s_movk_i32 s16, 0x7fff
	s_waitcnt vmcnt(1)
	v_mov_b32_e32 v4, 0x7fc0
	s_waitcnt vmcnt(0)
	v_bfe_u32 v5, v3, 16, 1
	v_cmp_o_f32_e32 vcc, v3, v3
	v_add3_u32 v3, v3, v5, s16
	v_cndmask_b32_sdwa v4, v4, v3, vcc dst_sel:DWORD dst_unused:UNUSED_PAD src0_sel:DWORD src1_sel:WORD_1
.LBB163_996:
	s_mov_b64 s[16:17], 0
.LBB163_997:
	s_andn2_b64 vcc, exec, s[16:17]
	s_cbranch_vccnz .LBB163_999
; %bb.998:
	global_load_ushort v3, v[0:1], off
	s_movk_i32 s16, 0x7fff
	v_mov_b32_e32 v5, 0x7fc0
	s_waitcnt vmcnt(0)
	v_cvt_f32_f16_e32 v4, v3
	v_cmp_o_f16_e32 vcc, v3, v3
	v_bfe_u32 v3, v4, 16, 1
	v_add3_u32 v3, v4, v3, s16
	v_cndmask_b32_sdwa v4, v5, v3, vcc dst_sel:DWORD dst_unused:UNUSED_PAD src0_sel:DWORD src1_sel:WORD_1
.LBB163_999:
	s_cbranch_execnz .LBB163_1018
.LBB163_1000:
	s_sext_i32_i16 s16, s42
	s_cmp_lt_i32 s16, 2
	s_cbranch_scc1 .LBB163_1004
; %bb.1001:
	s_cmp_lt_i32 s16, 3
	s_cbranch_scc1 .LBB163_1005
; %bb.1002:
	s_cmp_gt_i32 s16, 3
	s_cbranch_scc0 .LBB163_1006
; %bb.1003:
	global_load_dwordx2 v[3:4], v[0:1], off
	s_movk_i32 s16, 0x7fff
	s_waitcnt vmcnt(0)
	v_xor_b32_e32 v6, v3, v4
	v_ffbh_i32_e32 v5, v4
	v_ashrrev_i32_e32 v6, 31, v6
	v_add_u32_e32 v5, -1, v5
	v_add_u32_e32 v6, 32, v6
	v_min_u32_e32 v5, v5, v6
	v_lshlrev_b64 v[3:4], v5, v[3:4]
	v_min_u32_e32 v3, 1, v3
	v_or_b32_e32 v3, v4, v3
	v_cvt_f32_i32_e32 v3, v3
	v_sub_u32_e32 v4, 32, v5
	v_ldexp_f32 v3, v3, v4
	v_bfe_u32 v4, v3, 16, 1
	v_add3_u32 v3, v3, v4, s16
	v_lshrrev_b32_e32 v4, 16, v3
	s_mov_b64 s[16:17], 0
	s_branch .LBB163_1007
.LBB163_1004:
                                        ; implicit-def: $vgpr4
	s_branch .LBB163_1013
.LBB163_1005:
	s_mov_b64 s[16:17], -1
                                        ; implicit-def: $vgpr4
	s_branch .LBB163_1010
.LBB163_1006:
	s_mov_b64 s[16:17], -1
                                        ; implicit-def: $vgpr4
.LBB163_1007:
	s_andn2_b64 vcc, exec, s[16:17]
	s_cbranch_vccnz .LBB163_1009
; %bb.1008:
	global_load_dword v3, v[0:1], off
	s_movk_i32 s16, 0x7fff
	s_waitcnt vmcnt(0)
	v_cvt_f32_i32_e32 v3, v3
	v_bfe_u32 v4, v3, 16, 1
	v_add3_u32 v3, v3, v4, s16
	v_lshrrev_b32_e32 v4, 16, v3
.LBB163_1009:
	s_mov_b64 s[16:17], 0
.LBB163_1010:
	s_andn2_b64 vcc, exec, s[16:17]
	s_cbranch_vccnz .LBB163_1012
; %bb.1011:
	global_load_sshort v3, v[0:1], off
	s_movk_i32 s16, 0x7fff
	s_waitcnt vmcnt(0)
	v_cvt_f32_i32_e32 v3, v3
	v_bfe_u32 v4, v3, 16, 1
	v_add3_u32 v3, v3, v4, s16
	v_lshrrev_b32_e32 v4, 16, v3
.LBB163_1012:
	s_cbranch_execnz .LBB163_1018
.LBB163_1013:
	s_sext_i32_i16 s16, s42
	s_cmp_gt_i32 s16, 0
	s_cbranch_scc0 .LBB163_1015
; %bb.1014:
	global_load_sbyte v3, v[0:1], off
	s_movk_i32 s16, 0x7fff
	s_waitcnt vmcnt(0)
	v_cvt_f32_i32_e32 v3, v3
	v_bfe_u32 v4, v3, 16, 1
	v_add3_u32 v3, v3, v4, s16
	v_lshrrev_b32_e32 v4, 16, v3
	s_mov_b64 s[16:17], 0
	s_branch .LBB163_1016
.LBB163_1015:
	s_mov_b64 s[16:17], -1
                                        ; implicit-def: $vgpr4
.LBB163_1016:
	s_andn2_b64 vcc, exec, s[16:17]
	s_cbranch_vccnz .LBB163_1018
; %bb.1017:
	global_load_ubyte v0, v[0:1], off
	s_movk_i32 s16, 0x7fff
	s_waitcnt vmcnt(0)
	v_cvt_f32_ubyte0_e32 v0, v0
	v_bfe_u32 v1, v0, 16, 1
	v_add3_u32 v0, v0, v1, s16
	v_lshrrev_b32_e32 v4, 16, v0
.LBB163_1018:
	s_or_b64 s[0:1], s[0:1], exec
.LBB163_1019:
	s_or_b64 exec, exec, s[2:3]
	s_mov_b64 s[20:21], 0
	s_mov_b64 s[2:3], 0
                                        ; implicit-def: $sgpr26
                                        ; implicit-def: $vgpr0_vgpr1
                                        ; implicit-def: $vgpr3
	s_and_saveexec_b64 s[16:17], s[0:1]
	s_cbranch_execz .LBB163_1075
; %bb.1020:
	s_waitcnt vmcnt(0)
	v_lshlrev_b32_e32 v0, 16, v4
	s_mov_b32 s0, 0x3c800000
	v_and_b32_e32 v1, 0x7fffffff, v0
	v_cmp_nlt_f32_e64 s[0:1], |v0|, s0
                                        ; implicit-def: $vgpr3
	s_and_saveexec_b64 s[2:3], s[0:1]
	s_xor_b64 s[2:3], exec, s[2:3]
	s_cbranch_execz .LBB163_1050
; %bb.1021:
	v_cmp_nlt_f32_e64 s[0:1], |v0|, 2.0
                                        ; implicit-def: $vgpr3
	s_and_saveexec_b64 s[20:21], s[0:1]
	s_xor_b64 s[20:21], exec, s[20:21]
	s_cbranch_execz .LBB163_1031
; %bb.1022:
	s_mov_b32 s0, 0x41000000
	v_cmp_nlt_f32_e64 s[0:1], |v0|, s0
                                        ; implicit-def: $vgpr3
	s_and_saveexec_b64 s[22:23], s[0:1]
	s_xor_b64 s[22:23], exec, s[22:23]
	s_cbranch_execz .LBB163_1028
; %bb.1023:
	s_mov_b32 s0, 0x5c800000
	v_cmp_nlt_f32_e64 s[0:1], |v0|, s0
                                        ; implicit-def: $vgpr3
	s_and_saveexec_b64 s[24:25], s[0:1]
	s_xor_b64 s[24:25], exec, s[24:25]
	s_cbranch_execz .LBB163_1025
; %bb.1024:
	s_mov_b32 s0, 0x800000
	v_cmp_lt_f32_e64 vcc, |v0|, s0
	v_cndmask_b32_e64 v3, 0, 32, vcc
	v_ldexp_f32 v3, |v0|, v3
	v_log_f32_e32 v3, v3
	s_mov_b32 s0, 0x3f317217
	s_mov_b32 s1, 0x7f800000
	v_mul_f32_e32 v4, 0x3f317217, v3
	v_fma_f32 v5, v3, s0, -v4
	v_fmac_f32_e32 v5, 0x3377d1cf, v3
	v_add_f32_e32 v4, v4, v5
	v_cmp_lt_f32_e64 s[0:1], |v3|, s1
	v_cndmask_b32_e64 v3, v3, v4, s[0:1]
	v_mov_b32_e32 v4, 0x41b17218
	v_cndmask_b32_e32 v4, 0, v4, vcc
	v_sub_f32_e32 v3, v3, v4
	v_fma_f32 v3, |v0|, v3, -|v0|
.LBB163_1025:
	s_andn2_saveexec_b64 s[24:25], s[24:25]
	s_cbranch_execz .LBB163_1027
; %bb.1026:
	v_rcp_f32_e64 v4, |v0|
	v_mov_b32_e32 v3, 0x3a5b3dd2
	v_mov_b32_e32 v5, 0xba1c065c
	;; [unrolled: 1-line block ×3, first 2 shown]
	v_mul_f32_e32 v7, v4, v4
	v_fmac_f32_e32 v3, 0xbad5c4e8, v7
	v_fmac_f32_e32 v5, v7, v3
	s_mov_b32 s0, 0x800000
	v_fmac_f32_e32 v6, v7, v5
	v_mov_b32_e32 v3, 0xbb360b61
	v_cmp_lt_f32_e64 vcc, |v0|, s0
	v_fmac_f32_e32 v3, v7, v6
	v_cndmask_b32_e64 v6, 0, 32, vcc
	v_ldexp_f32 v6, |v0|, v6
	v_log_f32_e32 v6, v6
	v_mov_b32_e32 v5, 0x3daaaaab
	v_fmac_f32_e32 v5, v7, v3
	v_mov_b32_e32 v3, 0x3ed67f1d
	v_fmac_f32_e32 v3, v4, v5
	s_mov_b32 s0, 0x3f317217
	v_mul_f32_e32 v5, 0x3f317217, v6
	v_fma_f32 v7, v6, s0, -v5
	v_fmac_f32_e32 v7, 0x3377d1cf, v6
	s_mov_b32 s0, 0x7f800000
	v_add_f32_e32 v5, v5, v7
	v_cmp_lt_f32_e64 s[0:1], |v6|, s0
	v_cndmask_b32_e64 v5, v6, v5, s[0:1]
	v_mov_b32_e32 v6, 0x41b17218
	v_cndmask_b32_e32 v6, 0, v6, vcc
	v_sub_f32_e32 v5, v5, v6
	v_add_f32_e64 v4, |v0|, -0.5
	v_add_f32_e32 v5, -1.0, v5
	v_fmac_f32_e32 v3, v4, v5
.LBB163_1027:
	s_or_b64 exec, exec, s[24:25]
.LBB163_1028:
	s_andn2_saveexec_b64 s[22:23], s[22:23]
	s_cbranch_execz .LBB163_1030
; %bb.1029:
	v_cvt_i32_f32_e32 v3, v1
	v_mov_b32_e32 v4, 0x3af135b4
	v_mov_b32_e32 v5, 0x3cda40e4
	;; [unrolled: 1-line block ×3, first 2 shown]
	v_cvt_f32_i32_e32 v7, v3
	v_mov_b32_e32 v8, 0x3ea6cc7a
	v_mov_b32_e32 v9, 0x3e5c245a
	v_cmp_lt_i32_e32 vcc, 2, v3
	v_sub_f32_e64 v7, |v0|, v7
	v_fmac_f32_e32 v4, 0x3805ff67, v7
	v_fmac_f32_e32 v5, v7, v4
	v_fmac_f32_e32 v6, v7, v5
	v_mov_b32_e32 v5, 0x3a4beed6
	v_fmac_f32_e32 v8, v7, v6
	v_fmac_f32_e32 v5, 0x36f5d7bd, v7
	v_mov_b32_e32 v6, 0x3c98bf54
	v_fmac_f32_e32 v6, v7, v5
	v_mov_b32_e32 v5, 0x3e300f6e
	;; [unrolled: 2-line block ×4, first 2 shown]
	v_fmac_f32_e32 v5, v7, v6
	v_add_f32_e32 v6, 2.0, v7
	v_mov_b32_e32 v10, 0xbd9e233f
	v_fmac_f32_e32 v9, v7, v8
	v_add_f32_e32 v8, 0x40400000, v7
	v_cndmask_b32_e32 v6, 1.0, v6, vcc
	v_cmp_lt_i32_e32 vcc, 3, v3
	v_fmac_f32_e32 v10, v7, v9
	v_add_f32_e32 v9, 4.0, v7
	v_cndmask_b32_e32 v8, 1.0, v8, vcc
	v_cmp_lt_i32_e32 vcc, 4, v3
	v_mul_f32_e32 v4, v7, v10
	v_add_f32_e32 v10, 0x40a00000, v7
	v_mul_f32_e32 v6, v6, v8
	v_cndmask_b32_e32 v8, 1.0, v9, vcc
	v_cmp_lt_i32_e32 vcc, 5, v3
	v_add_f32_e32 v11, 0x40c00000, v7
	v_mul_f32_e32 v6, v8, v6
	v_cndmask_b32_e32 v8, 1.0, v10, vcc
	v_cmp_lt_i32_e32 vcc, 6, v3
	v_mul_f32_e32 v6, v8, v6
	v_cndmask_b32_e32 v3, 1.0, v11, vcc
	v_mul_f32_e32 v3, v3, v6
	s_mov_b32 s0, 0x800000
	v_cmp_gt_f32_e32 vcc, s0, v3
	v_cndmask_b32_e64 v6, 0, 32, vcc
	v_fma_f32 v5, v7, v5, 1.0
	v_ldexp_f32 v3, v3, v6
	v_rcp_f32_e32 v5, v5
	v_log_f32_e32 v3, v3
	s_mov_b32 s0, 0x3f317217
	v_mul_f32_e32 v4, v4, v5
	v_mul_f32_e32 v5, 0x3f317217, v3
	v_fma_f32 v6, v3, s0, -v5
	v_fmac_f32_e32 v6, 0x3377d1cf, v3
	s_mov_b32 s0, 0x7f800000
	v_add_f32_e32 v5, v5, v6
	v_cmp_lt_f32_e64 s[0:1], |v3|, s0
	v_cndmask_b32_e64 v3, v3, v5, s[0:1]
	v_mov_b32_e32 v5, 0x41b17218
	v_cndmask_b32_e32 v5, 0, v5, vcc
	v_fmac_f32_e32 v4, 0.5, v7
	v_sub_f32_e32 v3, v3, v5
	v_add_f32_e32 v3, v3, v4
.LBB163_1030:
	s_or_b64 exec, exec, s[22:23]
.LBB163_1031:
	s_andn2_saveexec_b64 s[20:21], s[20:21]
	s_cbranch_execz .LBB163_1049
; %bb.1032:
	s_mov_b32 s0, 0x3f666666
	v_cmp_le_f32_e64 s[0:1], |v0|, s0
                                        ; implicit-def: $vgpr3
                                        ; implicit-def: $vgpr5
                                        ; implicit-def: $vgpr4
	s_and_saveexec_b64 s[22:23], s[0:1]
	s_xor_b64 s[22:23], exec, s[22:23]
	s_cbranch_execz .LBB163_1034
; %bb.1033:
	s_mov_b32 s0, 0x800000
	v_cmp_lt_f32_e64 vcc, |v0|, s0
	v_cndmask_b32_e64 v3, 0, 32, vcc
	v_ldexp_f32 v3, |v0|, v3
	v_log_f32_e32 v3, v3
	s_mov_b32 s0, 0x3f317217
	s_mov_b32 s1, 0x7f800000
	v_mul_f32_e32 v4, 0x3f317217, v3
	v_fma_f32 v5, v3, s0, -v4
	v_fmac_f32_e32 v5, 0x3377d1cf, v3
	v_add_f32_e32 v4, v4, v5
	v_cmp_lt_f32_e64 s[0:1], |v3|, s1
	v_cndmask_b32_e64 v3, v3, v4, s[0:1]
	v_mov_b32_e32 v4, 0x41b17218
	v_cndmask_b32_e32 v4, 0, v4, vcc
	s_mov_b32 s0, 0x3f3b4a23
	s_mov_b32 s1, 0xbeec5b0c
	v_sub_f32_e32 v3, v3, v4
	v_sub_f32_e64 v4, 1.0, |v0|
	v_add_f32_e64 v5, |v0|, s1
	v_cmp_lt_f32_e64 vcc, |v0|, s0
	s_mov_b32 s0, 0x3e6d3309
	v_cndmask_b32_e32 v4, v4, v5, vcc
	v_cndmask_b32_e64 v5, 0, 1, vcc
	v_cmp_lt_f32_e64 s[0:1], |v0|, s0
	v_xor_b32_e32 v3, 0x80000000, v3
	v_cndmask_b32_e64 v4, v4, |v0|, s[0:1]
	v_cndmask_b32_e64 v5, v5, 2, s[0:1]
.LBB163_1034:
	s_andn2_saveexec_b64 s[0:1], s[22:23]
	s_cbranch_execz .LBB163_1036
; %bb.1035:
	s_mov_b32 s22, 0x3fdda512
	s_mov_b32 s23, 0xbfbb16c3
	v_sub_f32_e64 v3, 2.0, |v0|
	v_add_f32_e64 v4, |v0|, s23
	v_cmp_lt_f32_e64 vcc, |v0|, s22
	v_cndmask_b32_e32 v4, v3, v4, vcc
	v_cndmask_b32_e64 v3, v3, 1.0, vcc
	v_cvt_i32_f32_e32 v3, v3
	s_mov_b32 s22, 0x3f9d70a4
	v_add_f32_e64 v5, |v0|, -1.0
	v_cmp_lt_f32_e64 vcc, |v0|, s22
	v_cndmask_b32_e32 v4, v4, v5, vcc
	v_cndmask_b32_e64 v5, v3, 2, vcc
	v_mov_b32_e32 v3, 0
.LBB163_1036:
	s_or_b64 exec, exec, s[0:1]
	v_cmp_lt_i32_e32 vcc, 0, v5
	s_and_saveexec_b64 s[0:1], vcc
	s_xor_b64 s[0:1], exec, s[0:1]
	s_cbranch_execz .LBB163_1044
; %bb.1037:
	v_cmp_lt_i32_e32 vcc, 1, v5
	s_and_saveexec_b64 s[22:23], vcc
	s_xor_b64 s[22:23], exec, s[22:23]
	s_cbranch_execz .LBB163_1041
; %bb.1038:
	v_cmp_eq_u32_e32 vcc, 2, v5
	s_and_saveexec_b64 s[24:25], vcc
	s_cbranch_execz .LBB163_1040
; %bb.1039:
	v_mov_b32_e32 v5, 0x3e6a7578
	v_fmac_f32_e32 v5, 0x3c5b3c5e, v4
	v_mov_b32_e32 v6, 0x3f7a4bb2
	v_fmac_f32_e32 v6, v4, v5
	;; [unrolled: 2-line block ×8, first 2 shown]
	v_fma_f32 v5, v4, v7, 1.0
	v_rcp_f32_e32 v5, v5
	v_mov_b32_e32 v7, 0xbd9e233f
	v_fmac_f32_e32 v7, v4, v6
	v_mul_f32_e32 v6, v4, v7
	v_mul_f32_e32 v5, v6, v5
	v_fmac_f32_e32 v5, -0.5, v4
	v_add_f32_e32 v3, v3, v5
.LBB163_1040:
	s_or_b64 exec, exec, s[24:25]
                                        ; implicit-def: $vgpr4
.LBB163_1041:
	s_andn2_saveexec_b64 s[22:23], s[22:23]
	s_cbranch_execz .LBB163_1043
; %bb.1042:
	v_mul_f32_e32 v5, v4, v4
	v_mul_f32_e32 v6, v4, v5
	v_mov_b32_e32 v7, 0xbab7f476
	v_fmac_f32_e32 v7, 0x39a57b6b, v6
	v_mov_b32_e32 v8, 0x3bc7e707
	v_fmac_f32_e32 v8, v6, v7
	;; [unrolled: 2-line block ×12, first 2 shown]
	v_fmac_f32_e32 v9, v4, v10
	s_mov_b32 s24, 0xa2863e55
	v_fma_f32 v4, v6, -v9, s24
	v_fma_f32 v4, v5, v8, -v4
	v_add_f32_e32 v4, 0xbdf8cdce, v4
	v_add_f32_e32 v3, v3, v4
.LBB163_1043:
	s_or_b64 exec, exec, s[22:23]
                                        ; implicit-def: $vgpr5
                                        ; implicit-def: $vgpr4
.LBB163_1044:
	s_andn2_saveexec_b64 s[0:1], s[0:1]
	s_cbranch_execz .LBB163_1048
; %bb.1045:
	v_cmp_eq_u32_e32 vcc, 0, v5
	s_and_saveexec_b64 s[22:23], vcc
	s_cbranch_execz .LBB163_1047
; %bb.1046:
	v_mul_f32_e32 v5, v4, v4
	v_mov_b32_e32 v6, 0x39679767
	v_fmac_f32_e32 v6, 0x37d383a2, v5
	v_mov_b32_e32 v7, 0x3a9c54a1
	v_fmac_f32_e32 v7, v5, v6
	;; [unrolled: 2-line block ×10, first 2 shown]
	v_mul_f32_e32 v5, v5, v7
	v_fmac_f32_e32 v5, v4, v6
	v_fmac_f32_e32 v5, -0.5, v4
	v_add_f32_e32 v3, v3, v5
.LBB163_1047:
	s_or_b64 exec, exec, s[22:23]
.LBB163_1048:
	s_or_b64 exec, exec, s[0:1]
.LBB163_1049:
	s_or_b64 exec, exec, s[20:21]
.LBB163_1050:
	s_andn2_saveexec_b64 s[2:3], s[2:3]
	s_cbranch_execz .LBB163_1052
; %bb.1051:
	s_mov_b32 s0, 0x3e8a8991
	v_mov_b32_e32 v3, 0xbecd26ab
	v_fma_f32 v3, |v0|, s0, v3
	s_mov_b32 s0, 0x3f528d33
	v_fma_f32 v3, |v0|, v3, s0
	s_mov_b32 s0, 0x800000
	v_cmp_lt_f32_e64 vcc, |v0|, s0
	v_cndmask_b32_e64 v4, 0, 32, vcc
	v_ldexp_f32 v4, |v0|, v4
	v_log_f32_e32 v4, v4
	s_mov_b32 s0, 0xbf13c468
	v_fma_f32 v3, |v0|, v3, s0
	s_mov_b32 s0, 0x3f317217
	v_mul_f32_e32 v5, 0x3f317217, v4
	v_fma_f32 v6, v4, s0, -v5
	v_fmac_f32_e32 v6, 0x3377d1cf, v4
	s_mov_b32 s0, 0x7f800000
	v_add_f32_e32 v5, v5, v6
	v_cmp_lt_f32_e64 s[0:1], |v4|, s0
	v_cndmask_b32_e64 v4, v4, v5, s[0:1]
	v_mov_b32_e32 v5, 0x41b17218
	v_cndmask_b32_e32 v5, 0, v5, vcc
	v_sub_f32_e32 v4, v4, v5
	v_fma_f32 v3, |v0|, v3, -v4
.LBB163_1052:
	s_or_b64 exec, exec, s[2:3]
	v_cmp_le_f32_e32 vcc, 0, v0
	v_cmp_nle_f32_e64 s[0:1], 0, v0
	s_and_saveexec_b64 s[2:3], s[0:1]
	s_xor_b64 s[20:21], exec, s[2:3]
	s_cbranch_execz .LBB163_1056
; %bb.1053:
	s_mov_b32 s0, 0x4b000000
	s_mov_b32 s2, 0x35000000
	v_cmp_lt_f32_e64 s[0:1], |v0|, s0
	v_cmp_gt_f32_e64 s[2:3], |v0|, s2
	s_and_b64 s[0:1], s[0:1], s[2:3]
	s_and_saveexec_b64 s[22:23], s[0:1]
	s_cbranch_execz .LBB163_1055
; %bb.1054:
	v_mul_f32_e64 v4, |v0|, 0.5
	v_floor_f32_e32 v5, v4
	v_sub_f32_e32 v5, v4, v5
	v_min_f32_e32 v5, 0x3f7fffff, v5
	s_mov_b32 s2, 0x7f800000
	v_add_f32_e32 v5, v5, v5
	v_cmp_neq_f32_e64 s[0:1], s2, v4
	v_cndmask_b32_e64 v4, 0, v5, s[0:1]
	v_cmp_gt_f32_e64 s[0:1], |v0|, 1.0
	v_cndmask_b32_e64 v4, |v0|, v4, s[0:1]
	v_add_f32_e32 v5, v4, v4
	v_rndne_f32_e32 v5, v5
	v_fmac_f32_e32 v4, -0.5, v5
	v_mul_f32_e32 v6, v4, v4
	v_mov_b32_e32 v7, 0xbf1f24be
	v_fmac_f32_e32 v7, 0x3e75aa41, v6
	v_mov_b32_e32 v8, 0x40234736
	v_fmac_f32_e32 v8, v6, v7
	;; [unrolled: 2-line block ×3, first 2 shown]
	v_mul_f32_e32 v8, v4, v6
	v_mul_f32_e32 v7, v8, v7
	v_fmac_f32_e32 v7, 0x40490fdb, v4
	v_mov_b32_e32 v4, 0x3e642e9d
	v_cvt_i32_f32_e32 v5, v5
	v_fmac_f32_e32 v4, 0x3d4be544, v6
	v_mov_b32_e32 v8, 0xbfaad1da
	v_fmac_f32_e32 v8, v6, v4
	v_mov_b32_e32 v4, 0x4081e0d3
	;; [unrolled: 2-line block ×3, first 2 shown]
	v_fmac_f32_e32 v8, v6, v4
	v_fma_f32 v4, v6, v8, 1.0
	v_and_b32_e32 v6, 1, v5
	v_cmp_eq_u32_e64 s[0:1], 0, v6
	v_cndmask_b32_e64 v4, v4, v7, s[0:1]
	v_lshlrev_b32_e32 v5, 30, v5
	s_brev_b32 s0, 1
	v_and_or_b32 v1, v5, s0, v1
	v_xor_b32_e32 v1, v1, v4
	v_xor_b32_e32 v1, v1, v0
	v_mul_f32_e32 v1, v0, v1
	v_frexp_mant_f32_e64 v4, |v1|
	v_rcp_f32_e32 v4, v4
	v_frexp_exp_i32_f32_e32 v1, v1
	v_sub_u32_e32 v1, 2, v1
	s_mov_b32 s0, 0x800000
	v_mul_f32_e32 v4, 0x3f490fdb, v4
	v_ldexp_f32 v1, v4, v1
	v_cmp_gt_f32_e64 s[0:1], s0, v1
	v_cndmask_b32_e64 v4, 0, 32, s[0:1]
	v_ldexp_f32 v1, v1, v4
	v_log_f32_e32 v1, v1
	s_mov_b32 s3, 0x3f317217
	v_mul_f32_e32 v4, 0x3f317217, v1
	v_fma_f32 v5, v1, s3, -v4
	v_fmac_f32_e32 v5, 0x3377d1cf, v1
	v_add_f32_e32 v4, v4, v5
	v_cmp_lt_f32_e64 s[2:3], |v1|, s2
	v_cndmask_b32_e64 v1, v1, v4, s[2:3]
	v_mov_b32_e32 v4, 0x41b17218
	v_cndmask_b32_e64 v4, 0, v4, s[0:1]
	v_sub_f32_e32 v1, v1, v4
	v_sub_f32_e32 v1, v1, v3
	v_floor_f32_e32 v3, v0
	v_sub_f32_e32 v3, v0, v3
	v_min_f32_e32 v3, 0x3f7fffff, v3
	v_mov_b32_e32 v4, 0x7f800000
	v_cmp_neq_f32_e64 s[0:1], 0, v3
	v_cndmask_b32_e64 v3, v4, v1, s[0:1]
.LBB163_1055:
	s_or_b64 exec, exec, s[22:23]
.LBB163_1056:
	s_andn2_saveexec_b64 s[20:21], s[20:21]
; %bb.1057:
	v_cmp_eq_f32_e64 s[0:1], 1.0, v0
	v_cmp_eq_f32_e64 s[2:3], 2.0, v0
	s_or_b64 s[0:1], s[0:1], s[2:3]
	v_cndmask_b32_e64 v3, v3, 0, s[0:1]
; %bb.1058:
	s_or_b64 exec, exec, s[20:21]
	s_mov_b32 s0, 0x4b000000
	v_cmp_lt_f32_e64 s[0:1], |v0|, s0
	v_mov_b32_e32 v1, 0x264
	v_mov_b32_e32 v4, 0x7f800000
	s_or_b64 vcc, vcc, s[0:1]
	v_cndmask_b32_e32 v3, v4, v3, vcc
	v_cmp_class_f32_e32 vcc, v0, v1
	v_cndmask_b32_e32 v1, v3, v4, vcc
	v_cmp_u_f32_e32 vcc, v0, v0
	v_cndmask_b32_e32 v0, v1, v0, vcc
	v_bfe_u32 v1, v0, 16, 1
	s_movk_i32 s0, 0x7fff
	v_add3_u32 v1, v0, v1, s0
	v_cmp_o_f32_e32 vcc, v0, v0
	v_mul_lo_u32 v0, v2, s10
	v_mov_b32_e32 v2, 0x7fc0
	v_cndmask_b32_sdwa v3, v2, v1, vcc dst_sel:DWORD dst_unused:UNUSED_PAD src0_sel:DWORD src1_sel:WORD_1
	v_mov_b32_e32 v2, s13
	v_ashrrev_i32_e32 v1, 31, v0
	s_and_b32 s26, s33, 0xff
	v_add_co_u32_e32 v0, vcc, s12, v0
	s_cmp_lt_i32 s26, 11
	v_addc_co_u32_e32 v1, vcc, v2, v1, vcc
	s_cbranch_scc1 .LBB163_1078
; %bb.1059:
	s_and_b32 s27, 0xffff, s26
	s_mov_b64 s[20:21], -1
	s_cmp_gt_i32 s27, 25
	s_mov_b64 s[0:1], s[6:7]
	s_cbranch_scc0 .LBB163_1096
; %bb.1060:
	s_mov_b64 s[2:3], -1
	s_cmp_gt_i32 s27, 28
	s_mov_b64 s[0:1], s[6:7]
	s_cbranch_scc0 .LBB163_1080
; %bb.1061:
	s_cmp_gt_i32 s27, 43
	s_mov_b64 s[0:1], s[6:7]
	s_cbranch_scc0 .LBB163_1072
; %bb.1062:
	;; [unrolled: 4-line block ×3, first 2 shown]
	s_cmp_eq_u32 s27, 46
	s_mov_b64 s[0:1], -1
	s_cbranch_scc0 .LBB163_1065
; %bb.1064:
	v_and_b32_e32 v2, 0xffff, v3
	global_store_dword v[0:1], v2, off
	s_mov_b64 s[0:1], 0
.LBB163_1065:
	s_mov_b64 s[2:3], 0
.LBB163_1066:
	s_and_b64 vcc, exec, s[2:3]
	s_cbranch_vccz .LBB163_1071
; %bb.1067:
	s_cmp_eq_u32 s27, 44
	s_mov_b64 s[0:1], -1
	s_cbranch_scc0 .LBB163_1071
; %bb.1068:
	v_and_b32_e32 v4, 0xffff, v3
	v_bfe_u32 v2, v4, 7, 8
	s_movk_i32 s0, 0xff
	v_cmp_ne_u32_e32 vcc, s0, v2
	v_mov_b32_e32 v5, 0xff
	s_and_saveexec_b64 s[2:3], vcc
	s_cbranch_execz .LBB163_1070
; %bb.1069:
	v_lshlrev_b32_e32 v6, 16, v4
	s_mov_b32 s0, 0x3f0000
	v_lshrrev_b32_e32 v5, 7, v4
	v_and_b32_e32 v4, 64, v4
	v_and_or_b32 v2, v6, s0, v2
	v_cmp_ne_u32_e32 vcc, 0, v4
	v_cmp_ne_u32_e64 s[0:1], 0, v2
	s_and_b64 s[0:1], vcc, s[0:1]
	v_cndmask_b32_e64 v2, 0, 1, s[0:1]
	v_add_u32_e32 v5, v5, v2
.LBB163_1070:
	s_or_b64 exec, exec, s[2:3]
	s_mov_b64 s[0:1], 0
	global_store_byte v[0:1], v5, off
.LBB163_1071:
	s_mov_b64 s[2:3], 0
.LBB163_1072:
	s_and_b64 vcc, exec, s[2:3]
	s_cbranch_vccz .LBB163_1079
; %bb.1073:
	s_cmp_eq_u32 s27, 29
	s_mov_b64 s[0:1], -1
	s_cbranch_scc0 .LBB163_1079
; %bb.1074:
	v_lshlrev_b32_e32 v2, 16, v3
	v_trunc_f32_e32 v2, v2
	v_mul_f32_e32 v4, 0x2f800000, v2
	v_floor_f32_e32 v4, v4
	v_fmac_f32_e32 v2, 0xcf800000, v4
	v_cvt_u32_f32_e32 v5, v4
	v_cvt_u32_f32_e32 v4, v2
	s_mov_b64 s[0:1], 0
	s_mov_b64 s[2:3], 0
	global_store_dwordx2 v[0:1], v[4:5], off
	s_branch .LBB163_1080
.LBB163_1075:
	s_or_b64 exec, exec, s[16:17]
	s_and_saveexec_b64 s[0:1], s[6:7]
	s_cbranch_execnz .LBB163_1138
.LBB163_1076:
	s_or_b64 exec, exec, s[0:1]
	s_and_saveexec_b64 s[0:1], s[20:21]
	s_xor_b64 s[0:1], exec, s[0:1]
	s_cbranch_execz .LBB163_1139
.LBB163_1077:
	s_waitcnt vmcnt(0)
	v_and_b32_e32 v2, 0x7fff, v3
	v_cmp_ne_u16_e32 vcc, 0, v2
	v_cndmask_b32_e64 v2, 0, 1, vcc
	global_store_byte v[0:1], v2, off
	s_or_b64 exec, exec, s[0:1]
	s_and_saveexec_b64 s[0:1], s[2:3]
	s_xor_b64 s[0:1], exec, s[0:1]
	s_cbranch_execz .LBB163_1177
	s_branch .LBB163_1140
.LBB163_1078:
	s_mov_b64 s[20:21], 0
	s_mov_b64 s[2:3], -1
	s_mov_b64 s[0:1], s[6:7]
	s_branch .LBB163_1137
.LBB163_1079:
	s_mov_b64 s[2:3], 0
.LBB163_1080:
	s_and_b64 vcc, exec, s[2:3]
	s_cbranch_vccz .LBB163_1095
; %bb.1081:
	s_cmp_lt_i32 s27, 27
	s_mov_b64 s[2:3], -1
	s_cbranch_scc1 .LBB163_1087
; %bb.1082:
	s_cmp_gt_i32 s27, 27
	s_cbranch_scc0 .LBB163_1084
; %bb.1083:
	v_lshlrev_b32_e32 v2, 16, v3
	v_cvt_u32_f32_e32 v2, v2
	s_mov_b64 s[2:3], 0
	global_store_dword v[0:1], v2, off
.LBB163_1084:
	s_andn2_b64 vcc, exec, s[2:3]
	s_cbranch_vccnz .LBB163_1086
; %bb.1085:
	v_lshlrev_b32_e32 v2, 16, v3
	v_cvt_u32_f32_e32 v2, v2
	global_store_short v[0:1], v2, off
.LBB163_1086:
	s_mov_b64 s[2:3], 0
.LBB163_1087:
	s_andn2_b64 vcc, exec, s[2:3]
	s_cbranch_vccnz .LBB163_1095
; %bb.1088:
	v_lshlrev_b32_e32 v5, 16, v3
	v_and_b32_e32 v4, 0x7fffffff, v5
	s_mov_b32 s2, 0x43800000
	v_cmp_gt_u32_e32 vcc, s2, v4
	v_mov_b32_e32 v6, 0x80
	s_and_saveexec_b64 s[2:3], vcc
	s_cbranch_execz .LBB163_1094
; %bb.1089:
	s_mov_b32 s20, 0x3bffffff
	v_and_b32_e32 v2, 0xffff, v3
	v_cmp_lt_u32_e32 vcc, s20, v4
	s_mov_b64 s[20:21], 0
                                        ; implicit-def: $vgpr4
	s_and_saveexec_b64 s[22:23], vcc
	s_xor_b64 s[22:23], exec, s[22:23]
	s_cbranch_execz .LBB163_1192
; %bb.1090:
	v_bfe_u32 v4, v2, 4, 1
	s_mov_b32 s24, 0x487ffff
	v_add3_u32 v4, v5, v4, s24
	s_mov_b64 s[20:21], exec
	v_lshrrev_b32_e32 v4, 20, v4
                                        ; implicit-def: $vgpr5
	s_andn2_saveexec_b64 s[22:23], s[22:23]
	s_cbranch_execnz .LBB163_1193
.LBB163_1091:
	s_or_b64 exec, exec, s[22:23]
	v_mov_b32_e32 v6, 0
	s_and_saveexec_b64 s[22:23], s[20:21]
.LBB163_1092:
	v_lshrrev_b32_e32 v2, 8, v2
	s_movk_i32 s20, 0x80
	v_and_or_b32 v6, v2, s20, v4
.LBB163_1093:
	s_or_b64 exec, exec, s[22:23]
.LBB163_1094:
	s_or_b64 exec, exec, s[2:3]
	global_store_byte v[0:1], v6, off
.LBB163_1095:
	s_mov_b64 s[20:21], 0
.LBB163_1096:
	s_mov_b64 s[2:3], 0
	s_and_b64 vcc, exec, s[20:21]
	s_cbranch_vccz .LBB163_1136
; %bb.1097:
	s_cmp_gt_i32 s27, 22
	s_mov_b64 s[20:21], -1
	s_cbranch_scc0 .LBB163_1129
; %bb.1098:
	s_cmp_lt_i32 s27, 24
	s_cbranch_scc1 .LBB163_1118
; %bb.1099:
	s_cmp_gt_i32 s27, 24
	s_cbranch_scc0 .LBB163_1107
; %bb.1100:
	v_lshlrev_b32_e32 v5, 16, v3
	v_and_b32_e32 v4, 0x7fffffff, v5
	s_mov_b32 s20, 0x47800000
	v_cmp_gt_u32_e32 vcc, s20, v4
	v_mov_b32_e32 v6, 0x80
	s_and_saveexec_b64 s[20:21], vcc
	s_cbranch_execz .LBB163_1106
; %bb.1101:
	s_mov_b32 s22, 0x37ffffff
	v_and_b32_e32 v2, 0xffff, v3
	v_cmp_lt_u32_e32 vcc, s22, v4
	s_mov_b64 s[22:23], 0
                                        ; implicit-def: $vgpr4
	s_and_saveexec_b64 s[24:25], vcc
	s_xor_b64 s[24:25], exec, s[24:25]
	s_cbranch_execz .LBB163_1355
; %bb.1102:
	v_bfe_u32 v4, v2, 5, 1
	s_mov_b32 s28, 0x88fffff
	v_add3_u32 v4, v5, v4, s28
	s_mov_b64 s[22:23], exec
	v_lshrrev_b32_e32 v4, 21, v4
                                        ; implicit-def: $vgpr5
	s_andn2_saveexec_b64 s[24:25], s[24:25]
	s_cbranch_execnz .LBB163_1356
.LBB163_1103:
	s_or_b64 exec, exec, s[24:25]
	v_mov_b32_e32 v6, 0
	s_and_saveexec_b64 s[24:25], s[22:23]
.LBB163_1104:
	v_lshrrev_b32_e32 v2, 8, v2
	s_movk_i32 s22, 0x80
	v_and_or_b32 v6, v2, s22, v4
.LBB163_1105:
	s_or_b64 exec, exec, s[24:25]
.LBB163_1106:
	s_or_b64 exec, exec, s[20:21]
	s_mov_b64 s[20:21], 0
	global_store_byte v[0:1], v6, off
.LBB163_1107:
	s_and_b64 vcc, exec, s[20:21]
	s_cbranch_vccz .LBB163_1117
; %bb.1108:
	v_lshlrev_b32_e32 v5, 16, v3
	v_and_b32_e32 v6, 0x7fffffff, v5
	s_mov_b32 s20, 0x43f00000
	v_and_b32_e32 v2, 0xffff, v3
	v_cmp_gt_u32_e32 vcc, s20, v6
                                        ; implicit-def: $vgpr4
	s_and_saveexec_b64 s[20:21], vcc
	s_xor_b64 s[20:21], exec, s[20:21]
	s_cbranch_execz .LBB163_1114
; %bb.1109:
	s_mov_b32 s22, 0x3c7fffff
	v_cmp_lt_u32_e32 vcc, s22, v6
                                        ; implicit-def: $vgpr4
	s_and_saveexec_b64 s[22:23], vcc
	s_xor_b64 s[22:23], exec, s[22:23]
; %bb.1110:
	v_bfe_u32 v4, v2, 4, 1
	s_mov_b32 s24, 0x407ffff
	v_add3_u32 v4, v5, v4, s24
	v_lshrrev_b32_e32 v5, 20, v4
	v_and_b32_e32 v4, 0xff00000, v4
	s_mov_b32 s24, 0x7f00000
	v_mov_b32_e32 v6, 0x7e
	v_cmp_ne_u32_e32 vcc, s24, v4
	v_cndmask_b32_e32 v4, v6, v5, vcc
                                        ; implicit-def: $vgpr5
; %bb.1111:
	s_andn2_saveexec_b64 s[22:23], s[22:23]
; %bb.1112:
	s_mov_b32 s24, 0x46800000
	v_add_f32_e64 v4, |v5|, s24
; %bb.1113:
	s_or_b64 exec, exec, s[22:23]
                                        ; implicit-def: $vgpr6
.LBB163_1114:
	s_andn2_saveexec_b64 s[20:21], s[20:21]
; %bb.1115:
	s_mov_b32 s22, 0x7f800000
	v_mov_b32_e32 v4, 0x7e
	v_mov_b32_e32 v5, 0x7f
	v_cmp_lt_u32_e32 vcc, s22, v6
	v_cndmask_b32_e32 v4, v4, v5, vcc
; %bb.1116:
	s_or_b64 exec, exec, s[20:21]
	v_lshrrev_b32_e32 v2, 8, v2
	s_movk_i32 s20, 0x80
	v_and_or_b32 v2, v2, s20, v4
	global_store_byte v[0:1], v2, off
.LBB163_1117:
	s_mov_b64 s[20:21], 0
.LBB163_1118:
	s_andn2_b64 vcc, exec, s[20:21]
	s_cbranch_vccnz .LBB163_1128
; %bb.1119:
	v_lshlrev_b32_e32 v5, 16, v3
	v_and_b32_e32 v6, 0x7fffffff, v5
	s_mov_b32 s20, 0x47800000
	v_and_b32_e32 v2, 0xffff, v3
	v_cmp_gt_u32_e32 vcc, s20, v6
                                        ; implicit-def: $vgpr4
	s_and_saveexec_b64 s[20:21], vcc
	s_xor_b64 s[20:21], exec, s[20:21]
	s_cbranch_execz .LBB163_1125
; %bb.1120:
	s_mov_b32 s22, 0x387fffff
	v_cmp_lt_u32_e32 vcc, s22, v6
                                        ; implicit-def: $vgpr4
	s_and_saveexec_b64 s[22:23], vcc
	s_xor_b64 s[22:23], exec, s[22:23]
; %bb.1121:
	v_bfe_u32 v4, v2, 5, 1
	s_mov_b32 s24, 0x80fffff
	v_add3_u32 v4, v5, v4, s24
	v_lshrrev_b32_e32 v4, 21, v4
                                        ; implicit-def: $vgpr5
; %bb.1122:
	s_andn2_saveexec_b64 s[22:23], s[22:23]
; %bb.1123:
	s_mov_b32 s24, 0x43000000
	v_add_f32_e64 v4, |v5|, s24
; %bb.1124:
	s_or_b64 exec, exec, s[22:23]
                                        ; implicit-def: $vgpr6
.LBB163_1125:
	s_andn2_saveexec_b64 s[20:21], s[20:21]
; %bb.1126:
	s_mov_b32 s22, 0x7f800000
	v_mov_b32_e32 v4, 0x7c
	v_mov_b32_e32 v5, 0x7f
	v_cmp_lt_u32_e32 vcc, s22, v6
	v_cndmask_b32_e32 v4, v4, v5, vcc
; %bb.1127:
	s_or_b64 exec, exec, s[20:21]
	v_lshrrev_b32_e32 v2, 8, v2
	s_movk_i32 s20, 0x80
	v_and_or_b32 v2, v2, s20, v4
	global_store_byte v[0:1], v2, off
.LBB163_1128:
	s_mov_b64 s[20:21], 0
.LBB163_1129:
	s_andn2_b64 vcc, exec, s[20:21]
	s_mov_b64 s[20:21], 0
	s_cbranch_vccnz .LBB163_1137
; %bb.1130:
	s_cmp_gt_i32 s27, 14
	s_mov_b64 s[22:23], -1
	s_cbranch_scc0 .LBB163_1134
; %bb.1131:
	s_cmp_eq_u32 s27, 15
	s_mov_b64 s[0:1], -1
	s_cbranch_scc0 .LBB163_1133
; %bb.1132:
	global_store_short v[0:1], v3, off
	s_mov_b64 s[0:1], 0
.LBB163_1133:
	s_mov_b64 s[22:23], 0
.LBB163_1134:
	s_and_b64 vcc, exec, s[22:23]
	s_cbranch_vccz .LBB163_1137
; %bb.1135:
	s_cmp_lg_u32 s27, 11
	s_cselect_b64 s[22:23], -1, 0
	s_andn2_b64 s[0:1], s[0:1], exec
	s_and_b64 s[22:23], s[22:23], exec
	s_mov_b64 s[20:21], -1
	s_or_b64 s[0:1], s[0:1], s[22:23]
	s_branch .LBB163_1137
.LBB163_1136:
	s_mov_b64 s[20:21], 0
.LBB163_1137:
	s_andn2_b64 s[6:7], s[6:7], exec
	s_and_b64 s[0:1], s[0:1], exec
	s_and_b64 s[2:3], s[2:3], exec
	;; [unrolled: 1-line block ×3, first 2 shown]
	s_or_b64 s[6:7], s[6:7], s[0:1]
	s_or_b64 exec, exec, s[16:17]
	s_and_saveexec_b64 s[0:1], s[6:7]
	s_cbranch_execz .LBB163_1076
.LBB163_1138:
	s_or_b64 s[18:19], s[18:19], exec
	s_andn2_b64 s[20:21], s[20:21], exec
	s_trap 2
	s_or_b64 exec, exec, s[0:1]
	s_and_saveexec_b64 s[0:1], s[20:21]
	s_xor_b64 s[0:1], exec, s[0:1]
	s_cbranch_execnz .LBB163_1077
.LBB163_1139:
	s_or_b64 exec, exec, s[0:1]
	s_and_saveexec_b64 s[0:1], s[2:3]
	s_xor_b64 s[0:1], exec, s[0:1]
	s_cbranch_execz .LBB163_1177
.LBB163_1140:
	s_sext_i32_i16 s6, s26
	s_cmp_lt_i32 s6, 5
	s_mov_b64 s[2:3], -1
	s_cbranch_scc1 .LBB163_1161
; %bb.1141:
	s_cmp_lt_i32 s6, 8
	s_cbranch_scc1 .LBB163_1151
; %bb.1142:
	s_cmp_lt_i32 s6, 9
	s_cbranch_scc1 .LBB163_1148
; %bb.1143:
	s_cmp_gt_i32 s6, 9
	s_cbranch_scc0 .LBB163_1145
; %bb.1144:
	s_waitcnt vmcnt(0)
	v_lshlrev_b32_e32 v2, 16, v3
	v_cvt_f64_f32_e32 v[4:5], v2
	v_mov_b32_e32 v6, 0
	v_mov_b32_e32 v7, v6
	s_mov_b64 s[2:3], 0
	global_store_dwordx4 v[0:1], v[4:7], off
.LBB163_1145:
	s_andn2_b64 vcc, exec, s[2:3]
	s_cbranch_vccnz .LBB163_1147
; %bb.1146:
	s_waitcnt vmcnt(0)
	v_lshlrev_b32_e32 v4, 16, v3
	v_mov_b32_e32 v5, 0
	global_store_dwordx2 v[0:1], v[4:5], off
.LBB163_1147:
	s_mov_b64 s[2:3], 0
.LBB163_1148:
	s_andn2_b64 vcc, exec, s[2:3]
	s_cbranch_vccnz .LBB163_1150
; %bb.1149:
	s_waitcnt vmcnt(0)
	v_lshlrev_b32_e32 v2, 16, v3
	v_cvt_f16_f32_e32 v2, v2
	global_store_dword v[0:1], v2, off
.LBB163_1150:
	s_mov_b64 s[2:3], 0
.LBB163_1151:
	s_andn2_b64 vcc, exec, s[2:3]
	s_cbranch_vccnz .LBB163_1160
; %bb.1152:
	s_sext_i32_i16 s6, s26
	s_cmp_lt_i32 s6, 6
	s_mov_b64 s[2:3], -1
	s_cbranch_scc1 .LBB163_1158
; %bb.1153:
	s_cmp_gt_i32 s6, 6
	s_cbranch_scc0 .LBB163_1155
; %bb.1154:
	s_waitcnt vmcnt(0)
	v_lshlrev_b32_e32 v2, 16, v3
	v_cvt_f64_f32_e32 v[4:5], v2
	s_mov_b64 s[2:3], 0
	global_store_dwordx2 v[0:1], v[4:5], off
.LBB163_1155:
	s_andn2_b64 vcc, exec, s[2:3]
	s_cbranch_vccnz .LBB163_1157
; %bb.1156:
	s_waitcnt vmcnt(0)
	v_lshlrev_b32_e32 v2, 16, v3
	global_store_dword v[0:1], v2, off
.LBB163_1157:
	s_mov_b64 s[2:3], 0
.LBB163_1158:
	s_andn2_b64 vcc, exec, s[2:3]
	s_cbranch_vccnz .LBB163_1160
; %bb.1159:
	s_waitcnt vmcnt(0)
	v_lshlrev_b32_e32 v2, 16, v3
	v_cvt_f16_f32_e32 v2, v2
	global_store_short v[0:1], v2, off
.LBB163_1160:
	s_mov_b64 s[2:3], 0
.LBB163_1161:
	s_andn2_b64 vcc, exec, s[2:3]
	s_cbranch_vccnz .LBB163_1177
; %bb.1162:
	s_sext_i32_i16 s6, s26
	s_cmp_lt_i32 s6, 2
	s_mov_b64 s[2:3], -1
	s_cbranch_scc1 .LBB163_1172
; %bb.1163:
	s_cmp_lt_i32 s6, 3
	s_cbranch_scc1 .LBB163_1169
; %bb.1164:
	s_cmp_gt_i32 s6, 3
	s_cbranch_scc0 .LBB163_1166
; %bb.1165:
	s_waitcnt vmcnt(0)
	v_lshlrev_b32_e32 v2, 16, v3
	v_trunc_f32_e32 v2, v2
	s_mov_b32 s2, 0x2f800000
	v_mul_f32_e64 v4, |v2|, s2
	v_floor_f32_e32 v4, v4
	s_mov_b32 s2, 0xcf800000
	v_cvt_u32_f32_e32 v5, v4
	v_fma_f32 v4, v4, s2, |v2|
	v_cvt_u32_f32_e32 v4, v4
	v_ashrrev_i32_e32 v2, 31, v2
	v_xor_b32_e32 v5, v5, v2
	s_mov_b64 s[2:3], 0
	v_xor_b32_e32 v4, v4, v2
	v_sub_co_u32_e32 v4, vcc, v4, v2
	v_subb_co_u32_e32 v5, vcc, v5, v2, vcc
	global_store_dwordx2 v[0:1], v[4:5], off
.LBB163_1166:
	s_andn2_b64 vcc, exec, s[2:3]
	s_cbranch_vccnz .LBB163_1168
; %bb.1167:
	s_waitcnt vmcnt(0)
	v_lshlrev_b32_e32 v2, 16, v3
	v_cvt_i32_f32_e32 v2, v2
	global_store_dword v[0:1], v2, off
.LBB163_1168:
	s_mov_b64 s[2:3], 0
.LBB163_1169:
	s_andn2_b64 vcc, exec, s[2:3]
	s_cbranch_vccnz .LBB163_1171
; %bb.1170:
	s_waitcnt vmcnt(0)
	v_lshlrev_b32_e32 v2, 16, v3
	v_cvt_i32_f32_e32 v2, v2
	global_store_short v[0:1], v2, off
.LBB163_1171:
	s_mov_b64 s[2:3], 0
.LBB163_1172:
	s_andn2_b64 vcc, exec, s[2:3]
	s_cbranch_vccnz .LBB163_1177
; %bb.1173:
	s_sext_i32_i16 s6, s26
	s_mov_b64 s[2:3], -1
	s_cmp_gt_i32 s6, 0
	s_waitcnt vmcnt(0)
	v_lshlrev_b32_e32 v2, 16, v3
	s_cbranch_scc0 .LBB163_1175
; %bb.1174:
	v_cvt_i32_f32_e32 v3, v2
	s_mov_b64 s[2:3], 0
	global_store_byte v[0:1], v3, off
.LBB163_1175:
	s_andn2_b64 vcc, exec, s[2:3]
	s_cbranch_vccnz .LBB163_1177
; %bb.1176:
	v_trunc_f32_e32 v2, v2
	s_mov_b32 s2, 0x2f800000
	v_mul_f32_e64 v3, |v2|, s2
	v_floor_f32_e32 v3, v3
	s_mov_b32 s2, 0xcf800000
	v_fma_f32 v3, v3, s2, |v2|
	v_cvt_u32_f32_e32 v3, v3
	v_ashrrev_i32_e32 v2, 31, v2
	v_xor_b32_e32 v3, v3, v2
	v_sub_u32_e32 v2, v3, v2
	global_store_byte v[0:1], v2, off
.LBB163_1177:
	s_or_b64 exec, exec, s[0:1]
	s_and_b64 s[16:17], s[18:19], exec
                                        ; implicit-def: $vgpr2
.LBB163_1178:
	s_or_saveexec_b64 s[18:19], s[4:5]
	s_mov_b64 s[0:1], 0
                                        ; implicit-def: $sgpr26
                                        ; implicit-def: $vgpr0_vgpr1
                                        ; implicit-def: $vgpr3
	s_xor_b64 exec, exec, s[18:19]
	s_cbranch_execz .LBB163_2278
; %bb.1179:
	v_mul_lo_u32 v5, s11, v2
	v_mov_b32_e32 v1, s15
	s_and_b32 s26, 0xffff, s42
	s_cmp_lt_i32 s26, 11
	s_waitcnt vmcnt(0)
	v_ashrrev_i32_e32 v3, 31, v5
	v_add_co_u32_e32 v0, vcc, s14, v5
	v_addc_co_u32_e32 v1, vcc, v1, v3, vcc
	s_cbranch_scc1 .LBB163_1186
; %bb.1180:
	s_cmp_gt_i32 s26, 25
	s_mov_b64 s[2:3], 0
	s_cbranch_scc0 .LBB163_1188
; %bb.1181:
	s_cmp_gt_i32 s26, 28
	s_cbranch_scc0 .LBB163_1189
; %bb.1182:
	s_cmp_gt_i32 s26, 43
	;; [unrolled: 3-line block ×3, first 2 shown]
	s_cbranch_scc0 .LBB163_1191
; %bb.1184:
	s_cmp_eq_u32 s26, 46
	s_mov_b64 s[6:7], 0
	s_cbranch_scc0 .LBB163_1194
; %bb.1185:
	global_load_dword v3, v[0:1], off
	s_mov_b64 s[4:5], -1
	s_branch .LBB163_1195
.LBB163_1186:
	s_mov_b64 s[4:5], 0
                                        ; implicit-def: $vgpr3
	s_mov_b64 s[20:21], s[16:17]
	s_cbranch_execnz .LBB163_1258
.LBB163_1187:
	s_andn2_b64 vcc, exec, s[4:5]
	s_cbranch_vccz .LBB163_1303
	s_branch .LBB163_2276
.LBB163_1188:
	s_mov_b64 s[4:5], 0
                                        ; implicit-def: $vgpr3
	s_cbranch_execnz .LBB163_1223
	s_branch .LBB163_1254
.LBB163_1189:
	s_mov_b64 s[6:7], -1
	s_mov_b64 s[4:5], 0
                                        ; implicit-def: $vgpr3
	s_branch .LBB163_1204
.LBB163_1190:
	s_mov_b64 s[4:5], 0
                                        ; implicit-def: $vgpr3
	s_cbranch_execnz .LBB163_1200
	s_branch .LBB163_1203
.LBB163_1191:
	s_mov_b64 s[6:7], -1
	s_mov_b64 s[4:5], 0
                                        ; implicit-def: $vgpr3
	s_branch .LBB163_1195
.LBB163_1192:
	s_andn2_saveexec_b64 s[22:23], s[22:23]
	s_cbranch_execz .LBB163_1091
.LBB163_1193:
	s_mov_b32 s24, 0x46000000
	v_add_f32_e64 v4, |v5|, s24
	v_and_b32_e32 v4, 0xff, v4
	v_cmp_ne_u32_e32 vcc, 0, v4
	s_andn2_b64 s[20:21], s[20:21], exec
	s_and_b64 s[24:25], vcc, exec
	s_or_b64 s[20:21], s[20:21], s[24:25]
	s_or_b64 exec, exec, s[22:23]
	v_mov_b32_e32 v6, 0
	s_and_saveexec_b64 s[22:23], s[20:21]
	s_cbranch_execnz .LBB163_1092
	s_branch .LBB163_1093
.LBB163_1194:
	s_mov_b64 s[0:1], -1
                                        ; implicit-def: $vgpr3
	s_mov_b64 s[4:5], 0
.LBB163_1195:
	s_and_b64 vcc, exec, s[6:7]
	s_cbranch_vccz .LBB163_1198
; %bb.1196:
	s_cmp_eq_u32 s26, 44
	s_cbranch_scc0 .LBB163_1199
; %bb.1197:
	global_load_ubyte v3, v[0:1], off
	s_movk_i32 s4, 0xff
	v_mov_b32_e32 v4, 0x7f800001
	v_mov_b32_e32 v6, 0x400000
	;; [unrolled: 1-line block ×3, first 2 shown]
	s_mov_b64 s[0:1], 0
	s_waitcnt vmcnt(0)
	v_lshlrev_b32_e32 v8, 23, v3
	v_cmp_ne_u32_e32 vcc, s4, v3
	v_cndmask_b32_e32 v4, v4, v8, vcc
	v_cmp_ne_u32_e32 vcc, 0, v3
	v_cndmask_b32_e32 v3, v6, v4, vcc
	v_add_u32_e32 v4, 0x7fff, v3
	v_cmp_o_f32_e32 vcc, v3, v3
	v_cndmask_b32_sdwa v3, v7, v4, vcc dst_sel:DWORD dst_unused:UNUSED_PAD src0_sel:DWORD src1_sel:WORD_1
	s_mov_b64 s[4:5], -1
.LBB163_1198:
	s_branch .LBB163_1203
.LBB163_1199:
	s_mov_b64 s[0:1], -1
                                        ; implicit-def: $vgpr3
	s_branch .LBB163_1203
.LBB163_1200:
	s_cmp_eq_u32 s26, 29
	s_cbranch_scc0 .LBB163_1202
; %bb.1201:
	global_load_dwordx2 v[3:4], v[0:1], off
	s_movk_i32 s4, 0x7fff
	s_mov_b64 s[0:1], 0
	s_mov_b64 s[6:7], 0
	s_waitcnt vmcnt(0)
	v_ffbh_u32_e32 v6, v4
	v_min_u32_e32 v6, 32, v6
	v_lshlrev_b64 v[3:4], v6, v[3:4]
	v_min_u32_e32 v3, 1, v3
	v_or_b32_e32 v3, v4, v3
	v_cvt_f32_u32_e32 v3, v3
	v_sub_u32_e32 v4, 32, v6
	v_ldexp_f32 v3, v3, v4
	v_bfe_u32 v4, v3, 16, 1
	v_add3_u32 v3, v3, v4, s4
	v_lshrrev_b32_e32 v3, 16, v3
	s_mov_b64 s[4:5], -1
	s_branch .LBB163_1204
.LBB163_1202:
	s_mov_b64 s[0:1], -1
                                        ; implicit-def: $vgpr3
.LBB163_1203:
	s_mov_b64 s[6:7], 0
.LBB163_1204:
	s_and_b64 vcc, exec, s[6:7]
	s_cbranch_vccz .LBB163_1222
; %bb.1205:
	s_cmp_lt_i32 s26, 27
	s_cbranch_scc1 .LBB163_1208
; %bb.1206:
	s_cmp_gt_i32 s26, 27
	s_cbranch_scc0 .LBB163_1209
; %bb.1207:
	global_load_dword v3, v[0:1], off
	s_movk_i32 s4, 0x7fff
	s_waitcnt vmcnt(0)
	v_cvt_f32_u32_e32 v3, v3
	v_bfe_u32 v4, v3, 16, 1
	v_add3_u32 v3, v3, v4, s4
	v_lshrrev_b32_e32 v3, 16, v3
	s_mov_b64 s[4:5], 0
	s_branch .LBB163_1210
.LBB163_1208:
	s_mov_b64 s[4:5], -1
                                        ; implicit-def: $vgpr3
	s_branch .LBB163_1213
.LBB163_1209:
	s_mov_b64 s[4:5], -1
                                        ; implicit-def: $vgpr3
.LBB163_1210:
	s_andn2_b64 vcc, exec, s[4:5]
	s_cbranch_vccnz .LBB163_1212
; %bb.1211:
	global_load_ushort v3, v[0:1], off
	s_movk_i32 s4, 0x7fff
	s_waitcnt vmcnt(0)
	v_cvt_f32_u32_e32 v3, v3
	v_bfe_u32 v4, v3, 16, 1
	v_add3_u32 v3, v3, v4, s4
	v_lshrrev_b32_e32 v3, 16, v3
.LBB163_1212:
	s_mov_b64 s[4:5], 0
.LBB163_1213:
	s_andn2_b64 vcc, exec, s[4:5]
	s_cbranch_vccnz .LBB163_1221
; %bb.1214:
	global_load_ubyte v3, v[0:1], off
	s_movk_i32 s4, 0x7f
	s_waitcnt vmcnt(0)
	v_cmp_lt_i16_e32 vcc, s4, v3
	s_mov_b64 s[4:5], 0
	s_and_saveexec_b64 s[6:7], vcc
	s_xor_b64 s[6:7], exec, s[6:7]
	s_cbranch_execz .LBB163_1234
; %bb.1215:
	s_movk_i32 s4, 0x80
	v_cmp_eq_u16_e32 vcc, s4, v3
	s_mov_b64 s[4:5], -1
	s_and_saveexec_b64 s[8:9], vcc
; %bb.1216:
	s_xor_b64 s[4:5], exec, -1
; %bb.1217:
	s_or_b64 exec, exec, s[8:9]
	s_and_b64 s[4:5], s[4:5], exec
	s_or_saveexec_b64 s[6:7], s[6:7]
	v_mov_b32_e32 v4, 0x7f800001
	s_xor_b64 exec, exec, s[6:7]
	s_cbranch_execnz .LBB163_1235
.LBB163_1218:
	s_or_b64 exec, exec, s[6:7]
	s_and_saveexec_b64 s[6:7], s[4:5]
	s_cbranch_execz .LBB163_1220
.LBB163_1219:
	v_lshlrev_b32_e32 v4, 24, v3
	v_and_b32_e32 v3, 0xffff, v3
	v_and_b32_e32 v6, 7, v3
	v_ffbh_u32_e32 v8, v6
	v_min_u32_e32 v8, 32, v8
	v_subrev_u32_e32 v9, 28, v8
	v_bfe_u32 v7, v3, 3, 4
	v_lshlrev_b32_e32 v3, v9, v3
	v_sub_u32_e32 v8, 29, v8
	v_and_b32_e32 v3, 7, v3
	v_cmp_eq_u32_e32 vcc, 0, v7
	v_cndmask_b32_e32 v7, v7, v8, vcc
	v_cndmask_b32_e32 v3, v6, v3, vcc
	v_mov_b32_e32 v6, 0x3b800000
	v_lshlrev_b32_e32 v3, 20, v3
	v_and_b32_e32 v4, 0x80000000, v4
	v_lshl_add_u32 v6, v7, 23, v6
	v_or3_b32 v4, v4, v6, v3
.LBB163_1220:
	s_or_b64 exec, exec, s[6:7]
	v_bfe_u32 v3, v4, 16, 1
	s_movk_i32 s4, 0x7fff
	v_add3_u32 v3, v4, v3, s4
	v_cmp_o_f32_e32 vcc, v4, v4
	v_mov_b32_e32 v4, 0x7fc0
	v_cndmask_b32_sdwa v3, v4, v3, vcc dst_sel:DWORD dst_unused:UNUSED_PAD src0_sel:DWORD src1_sel:WORD_1
.LBB163_1221:
	s_mov_b64 s[4:5], -1
.LBB163_1222:
	s_branch .LBB163_1254
.LBB163_1223:
	s_cmp_gt_i32 s26, 22
	s_cbranch_scc0 .LBB163_1233
; %bb.1224:
	s_cmp_lt_i32 s26, 24
	s_cbranch_scc1 .LBB163_1236
; %bb.1225:
	s_cmp_gt_i32 s26, 24
	s_cbranch_scc0 .LBB163_1237
; %bb.1226:
	global_load_ubyte v3, v[0:1], off
	s_movk_i32 s2, 0x7f
	s_waitcnt vmcnt(0)
	v_cmp_lt_i16_e32 vcc, s2, v3
	s_mov_b64 s[2:3], 0
	s_and_saveexec_b64 s[4:5], vcc
	s_xor_b64 s[4:5], exec, s[4:5]
	s_cbranch_execz .LBB163_1248
; %bb.1227:
	s_movk_i32 s2, 0x80
	v_cmp_eq_u16_e32 vcc, s2, v3
	s_mov_b64 s[2:3], -1
	s_and_saveexec_b64 s[6:7], vcc
; %bb.1228:
	s_xor_b64 s[2:3], exec, -1
; %bb.1229:
	s_or_b64 exec, exec, s[6:7]
	s_and_b64 s[2:3], s[2:3], exec
	s_or_saveexec_b64 s[4:5], s[4:5]
	v_mov_b32_e32 v4, 0x7f800001
	s_xor_b64 exec, exec, s[4:5]
	s_cbranch_execnz .LBB163_1249
.LBB163_1230:
	s_or_b64 exec, exec, s[4:5]
	s_and_saveexec_b64 s[4:5], s[2:3]
	s_cbranch_execz .LBB163_1232
.LBB163_1231:
	v_lshlrev_b32_e32 v4, 24, v3
	v_and_b32_e32 v3, 0xffff, v3
	v_and_b32_e32 v6, 3, v3
	v_ffbh_u32_e32 v8, v6
	v_min_u32_e32 v8, 32, v8
	v_subrev_u32_e32 v9, 29, v8
	v_bfe_u32 v7, v3, 2, 5
	v_lshlrev_b32_e32 v3, v9, v3
	v_sub_u32_e32 v8, 30, v8
	v_and_b32_e32 v3, 3, v3
	v_cmp_eq_u32_e32 vcc, 0, v7
	v_cndmask_b32_e32 v7, v7, v8, vcc
	v_cndmask_b32_e32 v3, v6, v3, vcc
	v_mov_b32_e32 v6, 0x37800000
	v_lshlrev_b32_e32 v3, 21, v3
	v_and_b32_e32 v4, 0x80000000, v4
	v_lshl_add_u32 v6, v7, 23, v6
	v_or3_b32 v4, v4, v6, v3
.LBB163_1232:
	s_or_b64 exec, exec, s[4:5]
	v_bfe_u32 v3, v4, 16, 1
	s_movk_i32 s2, 0x7fff
	v_add3_u32 v3, v4, v3, s2
	v_cmp_o_f32_e32 vcc, v4, v4
	v_mov_b32_e32 v4, 0x7fc0
	v_cndmask_b32_sdwa v3, v4, v3, vcc dst_sel:DWORD dst_unused:UNUSED_PAD src0_sel:DWORD src1_sel:WORD_1
	s_mov_b64 s[2:3], 0
	s_branch .LBB163_1238
.LBB163_1233:
                                        ; implicit-def: $vgpr3
	s_mov_b64 s[2:3], 0
	s_branch .LBB163_1244
.LBB163_1234:
	s_or_saveexec_b64 s[6:7], s[6:7]
	v_mov_b32_e32 v4, 0x7f800001
	s_xor_b64 exec, exec, s[6:7]
	s_cbranch_execz .LBB163_1218
.LBB163_1235:
	v_cmp_ne_u16_e32 vcc, 0, v3
	s_andn2_b64 s[4:5], s[4:5], exec
	s_and_b64 s[8:9], vcc, exec
	v_mov_b32_e32 v4, 0
	s_or_b64 s[4:5], s[4:5], s[8:9]
	s_or_b64 exec, exec, s[6:7]
	s_and_saveexec_b64 s[6:7], s[4:5]
	s_cbranch_execnz .LBB163_1219
	s_branch .LBB163_1220
.LBB163_1236:
	s_mov_b64 s[2:3], -1
                                        ; implicit-def: $vgpr3
	s_branch .LBB163_1241
.LBB163_1237:
	s_mov_b64 s[2:3], -1
                                        ; implicit-def: $vgpr3
.LBB163_1238:
	s_and_b64 vcc, exec, s[2:3]
	s_cbranch_vccz .LBB163_1240
; %bb.1239:
	global_load_ubyte v3, v[0:1], off
	s_mov_b32 s2, 0x7f800000
	s_brev_b32 s3, 1
	s_movk_i32 s4, 0x7fff
	s_waitcnt vmcnt(0)
	v_lshlrev_b32_e32 v3, 24, v3
	v_and_b32_e32 v4, 0x7f000000, v3
	v_ffbh_u32_e32 v6, v4
	v_min_u32_e32 v6, 32, v6
	v_sub_u32_e64 v6, v6, 4 clamp
	v_lshlrev_b32_e32 v8, v6, v4
	v_lshlrev_b32_e32 v6, 23, v6
	v_lshrrev_b32_e32 v8, 4, v8
	v_add_u32_e32 v7, 0x1000000, v4
	v_sub_u32_e32 v6, v8, v6
	v_ashrrev_i32_e32 v7, 8, v7
	v_add_u32_e32 v6, 0x3c000000, v6
	v_and_or_b32 v6, v7, s2, v6
	v_cmp_ne_u32_e32 vcc, 0, v4
	v_cndmask_b32_e32 v4, 0, v6, vcc
	v_and_or_b32 v3, v3, s3, v4
	v_bfe_u32 v4, v4, 16, 1
	v_add3_u32 v4, v3, v4, s4
	v_cmp_o_f32_e32 vcc, v3, v3
	v_mov_b32_e32 v3, 0x7fc0
	v_cndmask_b32_sdwa v3, v3, v4, vcc dst_sel:DWORD dst_unused:UNUSED_PAD src0_sel:DWORD src1_sel:WORD_1
.LBB163_1240:
	s_mov_b64 s[2:3], 0
.LBB163_1241:
	s_andn2_b64 vcc, exec, s[2:3]
	s_cbranch_vccnz .LBB163_1243
; %bb.1242:
	global_load_ubyte v3, v[0:1], off
	s_movk_i32 s2, 0x7f00
	s_brev_b32 s3, 16
	s_brev_b32 s4, 1
	s_movk_i32 s5, 0x7fff
	s_waitcnt vmcnt(0)
	v_lshlrev_b16_e32 v4, 8, v3
	v_lshlrev_b32_e32 v3, 25, v3
	v_lshrrev_b32_e32 v6, 4, v3
	v_and_or_b32 v7, v4, s2, 0.5
	v_or_b32_e32 v6, 0x70000000, v6
	v_add_f32_e32 v7, -0.5, v7
	v_mul_f32_e32 v6, 0x7800000, v6
	v_cmp_gt_u32_e32 vcc, s3, v3
	v_bfe_i32 v4, v4, 0, 16
	v_cndmask_b32_e32 v3, v6, v7, vcc
	v_and_or_b32 v4, v4, s4, v3
	v_bfe_u32 v3, v3, 16, 1
	v_add3_u32 v3, v4, v3, s5
	v_cmp_o_f32_e32 vcc, v4, v4
	v_mov_b32_e32 v4, 0x7fc0
	v_cndmask_b32_sdwa v3, v4, v3, vcc dst_sel:DWORD dst_unused:UNUSED_PAD src0_sel:DWORD src1_sel:WORD_1
.LBB163_1243:
	s_mov_b64 s[4:5], -1
	s_mov_b64 s[2:3], 0
	s_cbranch_execnz .LBB163_1254
.LBB163_1244:
	s_cmp_gt_i32 s26, 14
	s_cbranch_scc0 .LBB163_1247
; %bb.1245:
	s_cmp_eq_u32 s26, 15
	s_cbranch_scc0 .LBB163_1250
; %bb.1246:
	global_load_ushort v3, v[0:1], off
	s_mov_b64 s[0:1], 0
	s_mov_b64 s[4:5], -1
	s_branch .LBB163_1251
.LBB163_1247:
	s_mov_b64 s[6:7], -1
                                        ; implicit-def: $vgpr3
	s_branch .LBB163_1252
.LBB163_1248:
	s_or_saveexec_b64 s[4:5], s[4:5]
	v_mov_b32_e32 v4, 0x7f800001
	s_xor_b64 exec, exec, s[4:5]
	s_cbranch_execz .LBB163_1230
.LBB163_1249:
	v_cmp_ne_u16_e32 vcc, 0, v3
	s_andn2_b64 s[2:3], s[2:3], exec
	s_and_b64 s[6:7], vcc, exec
	v_mov_b32_e32 v4, 0
	s_or_b64 s[2:3], s[2:3], s[6:7]
	s_or_b64 exec, exec, s[4:5]
	s_and_saveexec_b64 s[4:5], s[2:3]
	s_cbranch_execnz .LBB163_1231
	s_branch .LBB163_1232
.LBB163_1250:
	s_mov_b64 s[0:1], -1
                                        ; implicit-def: $vgpr3
.LBB163_1251:
	s_mov_b64 s[6:7], 0
.LBB163_1252:
	s_and_b64 vcc, exec, s[6:7]
	s_cbranch_vccz .LBB163_1254
; %bb.1253:
	s_cmp_lg_u32 s26, 11
	s_mov_b64 s[2:3], -1
	s_cselect_b64 s[0:1], -1, 0
.LBB163_1254:
	s_and_b64 vcc, exec, s[0:1]
	s_mov_b64 s[20:21], s[16:17]
	s_cbranch_vccnz .LBB163_1353
; %bb.1255:
	s_andn2_b64 vcc, exec, s[2:3]
	s_cbranch_vccnz .LBB163_1257
.LBB163_1256:
	global_load_ubyte v3, v[0:1], off
	s_mov_b64 s[4:5], -1
	s_waitcnt vmcnt(0)
	v_cmp_ne_u16_e32 vcc, 0, v3
	v_cndmask_b32_e64 v3, 0, 1.0, vcc
	v_lshrrev_b32_e32 v3, 16, v3
.LBB163_1257:
	s_branch .LBB163_1187
.LBB163_1258:
	s_cmp_lt_i32 s26, 5
	s_cbranch_scc1 .LBB163_1263
; %bb.1259:
	s_cmp_lt_i32 s26, 8
	s_cbranch_scc1 .LBB163_1264
; %bb.1260:
	;; [unrolled: 3-line block ×3, first 2 shown]
	s_cmp_gt_i32 s26, 9
	s_cbranch_scc0 .LBB163_1266
; %bb.1262:
	global_load_dwordx2 v[3:4], v[0:1], off
	s_movk_i32 s0, 0x7fff
	s_waitcnt vmcnt(0)
	v_cvt_f32_f64_e32 v3, v[3:4]
	v_mov_b32_e32 v4, 0x7fc0
	v_bfe_u32 v6, v3, 16, 1
	v_cmp_o_f32_e32 vcc, v3, v3
	v_add3_u32 v3, v3, v6, s0
	v_cndmask_b32_sdwa v3, v4, v3, vcc dst_sel:DWORD dst_unused:UNUSED_PAD src0_sel:DWORD src1_sel:WORD_1
	s_mov_b64 s[0:1], 0
	s_branch .LBB163_1267
.LBB163_1263:
                                        ; implicit-def: $vgpr3
	s_branch .LBB163_1284
.LBB163_1264:
                                        ; implicit-def: $vgpr3
	s_branch .LBB163_1273
.LBB163_1265:
	s_mov_b64 s[0:1], -1
                                        ; implicit-def: $vgpr3
	s_branch .LBB163_1270
.LBB163_1266:
	s_mov_b64 s[0:1], -1
                                        ; implicit-def: $vgpr3
.LBB163_1267:
	s_andn2_b64 vcc, exec, s[0:1]
	s_cbranch_vccnz .LBB163_1269
; %bb.1268:
	global_load_dword v3, v[0:1], off
	s_movk_i32 s0, 0x7fff
	v_mov_b32_e32 v4, 0x7fc0
	s_waitcnt vmcnt(0)
	v_bfe_u32 v6, v3, 16, 1
	v_cmp_o_f32_e32 vcc, v3, v3
	v_add3_u32 v3, v3, v6, s0
	v_cndmask_b32_sdwa v3, v4, v3, vcc dst_sel:DWORD dst_unused:UNUSED_PAD src0_sel:DWORD src1_sel:WORD_1
.LBB163_1269:
	s_mov_b64 s[0:1], 0
.LBB163_1270:
	s_andn2_b64 vcc, exec, s[0:1]
	s_cbranch_vccnz .LBB163_1272
; %bb.1271:
	global_load_dword v3, v[0:1], off
	s_movk_i32 s0, 0x7fff
	v_mov_b32_e32 v6, 0x7fc0
	s_waitcnt vmcnt(0)
	v_cvt_f32_f16_e32 v4, v3
	v_cmp_o_f16_e32 vcc, v3, v3
	v_bfe_u32 v3, v4, 16, 1
	v_add3_u32 v3, v4, v3, s0
	v_cndmask_b32_sdwa v3, v6, v3, vcc dst_sel:DWORD dst_unused:UNUSED_PAD src0_sel:DWORD src1_sel:WORD_1
.LBB163_1272:
	s_cbranch_execnz .LBB163_1283
.LBB163_1273:
	s_cmp_lt_i32 s26, 6
	s_cbranch_scc1 .LBB163_1276
; %bb.1274:
	s_cmp_gt_i32 s26, 6
	s_cbranch_scc0 .LBB163_1277
; %bb.1275:
	global_load_dwordx2 v[3:4], v[0:1], off
	s_movk_i32 s0, 0x7fff
	s_waitcnt vmcnt(0)
	v_cvt_f32_f64_e32 v3, v[3:4]
	v_mov_b32_e32 v4, 0x7fc0
	v_bfe_u32 v6, v3, 16, 1
	v_cmp_o_f32_e32 vcc, v3, v3
	v_add3_u32 v3, v3, v6, s0
	v_cndmask_b32_sdwa v3, v4, v3, vcc dst_sel:DWORD dst_unused:UNUSED_PAD src0_sel:DWORD src1_sel:WORD_1
	s_mov_b64 s[0:1], 0
	s_branch .LBB163_1278
.LBB163_1276:
	s_mov_b64 s[0:1], -1
                                        ; implicit-def: $vgpr3
	s_branch .LBB163_1281
.LBB163_1277:
	s_mov_b64 s[0:1], -1
                                        ; implicit-def: $vgpr3
.LBB163_1278:
	s_andn2_b64 vcc, exec, s[0:1]
	s_cbranch_vccnz .LBB163_1280
; %bb.1279:
	global_load_dword v3, v[0:1], off
	s_movk_i32 s0, 0x7fff
	v_mov_b32_e32 v4, 0x7fc0
	s_waitcnt vmcnt(0)
	v_bfe_u32 v6, v3, 16, 1
	v_cmp_o_f32_e32 vcc, v3, v3
	v_add3_u32 v3, v3, v6, s0
	v_cndmask_b32_sdwa v3, v4, v3, vcc dst_sel:DWORD dst_unused:UNUSED_PAD src0_sel:DWORD src1_sel:WORD_1
.LBB163_1280:
	s_mov_b64 s[0:1], 0
.LBB163_1281:
	s_andn2_b64 vcc, exec, s[0:1]
	s_cbranch_vccnz .LBB163_1283
; %bb.1282:
	global_load_ushort v3, v[0:1], off
	s_movk_i32 s0, 0x7fff
	v_mov_b32_e32 v6, 0x7fc0
	s_waitcnt vmcnt(0)
	v_cvt_f32_f16_e32 v4, v3
	v_cmp_o_f16_e32 vcc, v3, v3
	v_bfe_u32 v3, v4, 16, 1
	v_add3_u32 v3, v4, v3, s0
	v_cndmask_b32_sdwa v3, v6, v3, vcc dst_sel:DWORD dst_unused:UNUSED_PAD src0_sel:DWORD src1_sel:WORD_1
.LBB163_1283:
	s_cbranch_execnz .LBB163_1302
.LBB163_1284:
	s_cmp_lt_i32 s26, 2
	s_cbranch_scc1 .LBB163_1288
; %bb.1285:
	s_cmp_lt_i32 s26, 3
	s_cbranch_scc1 .LBB163_1289
; %bb.1286:
	s_cmp_gt_i32 s26, 3
	s_cbranch_scc0 .LBB163_1290
; %bb.1287:
	global_load_dwordx2 v[3:4], v[0:1], off
	s_movk_i32 s0, 0x7fff
	s_waitcnt vmcnt(0)
	v_xor_b32_e32 v7, v3, v4
	v_ffbh_i32_e32 v6, v4
	v_ashrrev_i32_e32 v7, 31, v7
	v_add_u32_e32 v6, -1, v6
	v_add_u32_e32 v7, 32, v7
	v_min_u32_e32 v6, v6, v7
	v_lshlrev_b64 v[3:4], v6, v[3:4]
	v_min_u32_e32 v3, 1, v3
	v_or_b32_e32 v3, v4, v3
	v_cvt_f32_i32_e32 v3, v3
	v_sub_u32_e32 v4, 32, v6
	v_ldexp_f32 v3, v3, v4
	v_bfe_u32 v4, v3, 16, 1
	v_add3_u32 v3, v3, v4, s0
	v_lshrrev_b32_e32 v3, 16, v3
	s_mov_b64 s[0:1], 0
	s_branch .LBB163_1291
.LBB163_1288:
                                        ; implicit-def: $vgpr3
	s_branch .LBB163_1297
.LBB163_1289:
	s_mov_b64 s[0:1], -1
                                        ; implicit-def: $vgpr3
	s_branch .LBB163_1294
.LBB163_1290:
	s_mov_b64 s[0:1], -1
                                        ; implicit-def: $vgpr3
.LBB163_1291:
	s_andn2_b64 vcc, exec, s[0:1]
	s_cbranch_vccnz .LBB163_1293
; %bb.1292:
	global_load_dword v3, v[0:1], off
	s_movk_i32 s0, 0x7fff
	s_waitcnt vmcnt(0)
	v_cvt_f32_i32_e32 v3, v3
	v_bfe_u32 v4, v3, 16, 1
	v_add3_u32 v3, v3, v4, s0
	v_lshrrev_b32_e32 v3, 16, v3
.LBB163_1293:
	s_mov_b64 s[0:1], 0
.LBB163_1294:
	s_andn2_b64 vcc, exec, s[0:1]
	s_cbranch_vccnz .LBB163_1296
; %bb.1295:
	global_load_sshort v3, v[0:1], off
	s_movk_i32 s0, 0x7fff
	s_waitcnt vmcnt(0)
	v_cvt_f32_i32_e32 v3, v3
	v_bfe_u32 v4, v3, 16, 1
	v_add3_u32 v3, v3, v4, s0
	v_lshrrev_b32_e32 v3, 16, v3
.LBB163_1296:
	s_cbranch_execnz .LBB163_1302
.LBB163_1297:
	s_cmp_gt_i32 s26, 0
	s_cbranch_scc0 .LBB163_1299
; %bb.1298:
	global_load_sbyte v3, v[0:1], off
	s_movk_i32 s0, 0x7fff
	s_waitcnt vmcnt(0)
	v_cvt_f32_i32_e32 v3, v3
	v_bfe_u32 v4, v3, 16, 1
	v_add3_u32 v3, v3, v4, s0
	v_lshrrev_b32_e32 v3, 16, v3
	s_mov_b64 s[0:1], 0
	s_branch .LBB163_1300
.LBB163_1299:
	s_mov_b64 s[0:1], -1
                                        ; implicit-def: $vgpr3
.LBB163_1300:
	s_andn2_b64 vcc, exec, s[0:1]
	s_cbranch_vccnz .LBB163_1302
; %bb.1301:
	global_load_ubyte v0, v[0:1], off
	s_movk_i32 s0, 0x7fff
	s_waitcnt vmcnt(0)
	v_cvt_f32_ubyte0_e32 v0, v0
	v_bfe_u32 v1, v0, 16, 1
	v_add3_u32 v0, v0, v1, s0
	v_lshrrev_b32_e32 v3, 16, v0
.LBB163_1302:
.LBB163_1303:
	s_waitcnt vmcnt(0)
	v_lshlrev_b32_e32 v3, 16, v3
	s_mov_b32 s0, 0x3c800000
	v_and_b32_e32 v0, 0x7fffffff, v3
	v_cmp_nlt_f32_e64 s[0:1], |v3|, s0
                                        ; implicit-def: $vgpr4
	s_and_saveexec_b64 s[2:3], s[0:1]
	s_xor_b64 s[2:3], exec, s[2:3]
	s_cbranch_execz .LBB163_1333
; %bb.1304:
	v_cmp_nlt_f32_e64 s[0:1], |v3|, 2.0
                                        ; implicit-def: $vgpr4
	s_and_saveexec_b64 s[4:5], s[0:1]
	s_xor_b64 s[4:5], exec, s[4:5]
	s_cbranch_execz .LBB163_1314
; %bb.1305:
	s_mov_b32 s0, 0x41000000
	v_cmp_nlt_f32_e64 s[0:1], |v3|, s0
                                        ; implicit-def: $vgpr4
	s_and_saveexec_b64 s[6:7], s[0:1]
	s_xor_b64 s[6:7], exec, s[6:7]
	s_cbranch_execz .LBB163_1311
; %bb.1306:
	s_mov_b32 s0, 0x5c800000
	v_cmp_nlt_f32_e64 s[0:1], |v3|, s0
                                        ; implicit-def: $vgpr4
	s_and_saveexec_b64 s[8:9], s[0:1]
	s_xor_b64 s[8:9], exec, s[8:9]
	s_cbranch_execz .LBB163_1308
; %bb.1307:
	s_mov_b32 s0, 0x800000
	v_cmp_lt_f32_e64 vcc, |v3|, s0
	v_cndmask_b32_e64 v1, 0, 32, vcc
	v_ldexp_f32 v1, |v3|, v1
	v_log_f32_e32 v1, v1
	s_mov_b32 s0, 0x3f317217
	s_mov_b32 s1, 0x7f800000
	v_mul_f32_e32 v4, 0x3f317217, v1
	v_fma_f32 v6, v1, s0, -v4
	v_fmac_f32_e32 v6, 0x3377d1cf, v1
	v_add_f32_e32 v4, v4, v6
	v_cmp_lt_f32_e64 s[0:1], |v1|, s1
	v_cndmask_b32_e64 v1, v1, v4, s[0:1]
	v_mov_b32_e32 v4, 0x41b17218
	v_cndmask_b32_e32 v4, 0, v4, vcc
	v_sub_f32_e32 v1, v1, v4
	v_fma_f32 v4, |v3|, v1, -|v3|
.LBB163_1308:
	s_andn2_saveexec_b64 s[8:9], s[8:9]
	s_cbranch_execz .LBB163_1310
; %bb.1309:
	v_rcp_f32_e64 v1, |v3|
	v_mov_b32_e32 v4, 0x3a5b3dd2
	v_mov_b32_e32 v6, 0xba1c065c
	;; [unrolled: 1-line block ×3, first 2 shown]
	v_mul_f32_e32 v8, v1, v1
	v_fmac_f32_e32 v4, 0xbad5c4e8, v8
	v_fmac_f32_e32 v6, v8, v4
	s_mov_b32 s0, 0x800000
	v_fmac_f32_e32 v7, v8, v6
	v_mov_b32_e32 v4, 0xbb360b61
	v_cmp_lt_f32_e64 vcc, |v3|, s0
	v_fmac_f32_e32 v4, v8, v7
	v_cndmask_b32_e64 v7, 0, 32, vcc
	v_ldexp_f32 v7, |v3|, v7
	v_log_f32_e32 v7, v7
	v_mov_b32_e32 v6, 0x3daaaaab
	v_fmac_f32_e32 v6, v8, v4
	v_mov_b32_e32 v4, 0x3ed67f1d
	v_fmac_f32_e32 v4, v1, v6
	s_mov_b32 s0, 0x3f317217
	v_mul_f32_e32 v6, 0x3f317217, v7
	v_fma_f32 v8, v7, s0, -v6
	v_fmac_f32_e32 v8, 0x3377d1cf, v7
	s_mov_b32 s0, 0x7f800000
	v_add_f32_e32 v6, v6, v8
	v_cmp_lt_f32_e64 s[0:1], |v7|, s0
	v_cndmask_b32_e64 v6, v7, v6, s[0:1]
	v_mov_b32_e32 v7, 0x41b17218
	v_cndmask_b32_e32 v7, 0, v7, vcc
	v_sub_f32_e32 v6, v6, v7
	v_add_f32_e64 v1, |v3|, -0.5
	v_add_f32_e32 v6, -1.0, v6
	v_fmac_f32_e32 v4, v1, v6
.LBB163_1310:
	s_or_b64 exec, exec, s[8:9]
.LBB163_1311:
	s_andn2_saveexec_b64 s[6:7], s[6:7]
	s_cbranch_execz .LBB163_1313
; %bb.1312:
	v_cvt_i32_f32_e32 v1, v0
	v_mov_b32_e32 v4, 0x3af135b4
	v_mov_b32_e32 v6, 0x3cda40e4
	;; [unrolled: 1-line block ×3, first 2 shown]
	v_cvt_f32_i32_e32 v8, v1
	v_mov_b32_e32 v9, 0x3ea6cc7a
	v_mov_b32_e32 v10, 0x3e5c245a
	v_cmp_lt_i32_e32 vcc, 2, v1
	v_sub_f32_e64 v8, |v3|, v8
	v_fmac_f32_e32 v4, 0x3805ff67, v8
	v_fmac_f32_e32 v6, v8, v4
	;; [unrolled: 1-line block ×3, first 2 shown]
	v_mov_b32_e32 v6, 0x3a4beed6
	v_fmac_f32_e32 v9, v8, v7
	v_fmac_f32_e32 v6, 0x36f5d7bd, v8
	v_mov_b32_e32 v7, 0x3c98bf54
	v_fmac_f32_e32 v7, v8, v6
	v_mov_b32_e32 v6, 0x3e300f6e
	;; [unrolled: 2-line block ×4, first 2 shown]
	v_fmac_f32_e32 v6, v8, v7
	v_add_f32_e32 v7, 2.0, v8
	v_mov_b32_e32 v11, 0xbd9e233f
	v_fmac_f32_e32 v10, v8, v9
	v_add_f32_e32 v9, 0x40400000, v8
	v_cndmask_b32_e32 v7, 1.0, v7, vcc
	v_cmp_lt_i32_e32 vcc, 3, v1
	v_fmac_f32_e32 v11, v8, v10
	v_add_f32_e32 v10, 4.0, v8
	v_cndmask_b32_e32 v9, 1.0, v9, vcc
	v_cmp_lt_i32_e32 vcc, 4, v1
	v_mul_f32_e32 v4, v8, v11
	v_add_f32_e32 v11, 0x40a00000, v8
	v_mul_f32_e32 v7, v7, v9
	v_cndmask_b32_e32 v9, 1.0, v10, vcc
	v_cmp_lt_i32_e32 vcc, 5, v1
	v_add_f32_e32 v12, 0x40c00000, v8
	v_mul_f32_e32 v7, v9, v7
	v_cndmask_b32_e32 v9, 1.0, v11, vcc
	v_cmp_lt_i32_e32 vcc, 6, v1
	v_mul_f32_e32 v7, v9, v7
	v_cndmask_b32_e32 v1, 1.0, v12, vcc
	v_mul_f32_e32 v1, v1, v7
	s_mov_b32 s0, 0x800000
	v_cmp_gt_f32_e32 vcc, s0, v1
	v_cndmask_b32_e64 v7, 0, 32, vcc
	v_fma_f32 v6, v8, v6, 1.0
	v_ldexp_f32 v1, v1, v7
	v_rcp_f32_e32 v6, v6
	v_log_f32_e32 v1, v1
	s_mov_b32 s0, 0x3f317217
	v_mul_f32_e32 v4, v4, v6
	v_mul_f32_e32 v6, 0x3f317217, v1
	v_fma_f32 v7, v1, s0, -v6
	v_fmac_f32_e32 v7, 0x3377d1cf, v1
	s_mov_b32 s0, 0x7f800000
	v_add_f32_e32 v6, v6, v7
	v_cmp_lt_f32_e64 s[0:1], |v1|, s0
	v_cndmask_b32_e64 v1, v1, v6, s[0:1]
	v_mov_b32_e32 v6, 0x41b17218
	v_cndmask_b32_e32 v6, 0, v6, vcc
	v_fmac_f32_e32 v4, 0.5, v8
	v_sub_f32_e32 v1, v1, v6
	v_add_f32_e32 v4, v1, v4
.LBB163_1313:
	s_or_b64 exec, exec, s[6:7]
.LBB163_1314:
	s_andn2_saveexec_b64 s[4:5], s[4:5]
	s_cbranch_execz .LBB163_1332
; %bb.1315:
	s_mov_b32 s0, 0x3f666666
	v_cmp_le_f32_e64 s[0:1], |v3|, s0
                                        ; implicit-def: $vgpr4
                                        ; implicit-def: $vgpr6
                                        ; implicit-def: $vgpr1
	s_and_saveexec_b64 s[6:7], s[0:1]
	s_xor_b64 s[6:7], exec, s[6:7]
	s_cbranch_execz .LBB163_1317
; %bb.1316:
	s_mov_b32 s0, 0x800000
	v_cmp_lt_f32_e64 vcc, |v3|, s0
	v_cndmask_b32_e64 v1, 0, 32, vcc
	v_ldexp_f32 v1, |v3|, v1
	v_log_f32_e32 v1, v1
	s_mov_b32 s0, 0x3f317217
	s_mov_b32 s1, 0x7f800000
	v_mul_f32_e32 v4, 0x3f317217, v1
	v_fma_f32 v6, v1, s0, -v4
	v_fmac_f32_e32 v6, 0x3377d1cf, v1
	v_add_f32_e32 v4, v4, v6
	v_cmp_lt_f32_e64 s[0:1], |v1|, s1
	v_cndmask_b32_e64 v1, v1, v4, s[0:1]
	v_mov_b32_e32 v4, 0x41b17218
	v_cndmask_b32_e32 v4, 0, v4, vcc
	v_sub_f32_e32 v1, v1, v4
	s_mov_b32 s0, 0x3f3b4a23
	s_mov_b32 s1, 0xbeec5b0c
	v_xor_b32_e32 v4, 0x80000000, v1
	v_sub_f32_e64 v1, 1.0, |v3|
	v_add_f32_e64 v6, |v3|, s1
	v_cmp_lt_f32_e64 vcc, |v3|, s0
	s_mov_b32 s0, 0x3e6d3309
	v_cndmask_b32_e32 v1, v1, v6, vcc
	v_cndmask_b32_e64 v6, 0, 1, vcc
	v_cmp_lt_f32_e64 s[0:1], |v3|, s0
	v_cndmask_b32_e64 v1, v1, |v3|, s[0:1]
	v_cndmask_b32_e64 v6, v6, 2, s[0:1]
.LBB163_1317:
	s_andn2_saveexec_b64 s[0:1], s[6:7]
	s_cbranch_execz .LBB163_1319
; %bb.1318:
	s_mov_b32 s6, 0x3fdda512
	s_mov_b32 s7, 0xbfbb16c3
	v_sub_f32_e64 v1, 2.0, |v3|
	v_add_f32_e64 v4, |v3|, s7
	v_cmp_lt_f32_e64 vcc, |v3|, s6
	v_cndmask_b32_e32 v4, v1, v4, vcc
	v_cndmask_b32_e64 v1, v1, 1.0, vcc
	v_cvt_i32_f32_e32 v6, v1
	s_mov_b32 s6, 0x3f9d70a4
	v_add_f32_e64 v1, |v3|, -1.0
	v_cmp_lt_f32_e64 vcc, |v3|, s6
	v_cndmask_b32_e32 v1, v4, v1, vcc
	v_cndmask_b32_e64 v6, v6, 2, vcc
	v_mov_b32_e32 v4, 0
.LBB163_1319:
	s_or_b64 exec, exec, s[0:1]
	v_cmp_lt_i32_e32 vcc, 0, v6
	s_and_saveexec_b64 s[0:1], vcc
	s_xor_b64 s[0:1], exec, s[0:1]
	s_cbranch_execz .LBB163_1327
; %bb.1320:
	v_cmp_lt_i32_e32 vcc, 1, v6
	s_and_saveexec_b64 s[6:7], vcc
	s_xor_b64 s[6:7], exec, s[6:7]
	s_cbranch_execz .LBB163_1324
; %bb.1321:
	v_cmp_eq_u32_e32 vcc, 2, v6
	s_and_saveexec_b64 s[8:9], vcc
	s_cbranch_execz .LBB163_1323
; %bb.1322:
	v_mov_b32_e32 v6, 0x3e6a7578
	v_fmac_f32_e32 v6, 0x3c5b3c5e, v1
	v_mov_b32_e32 v7, 0x3f7a4bb2
	v_fmac_f32_e32 v7, v1, v6
	;; [unrolled: 2-line block ×8, first 2 shown]
	v_fma_f32 v6, v1, v8, 1.0
	v_rcp_f32_e32 v6, v6
	v_mov_b32_e32 v8, 0xbd9e233f
	v_fmac_f32_e32 v8, v1, v7
	v_mul_f32_e32 v7, v1, v8
	v_mul_f32_e32 v6, v7, v6
	v_fmac_f32_e32 v6, -0.5, v1
	v_add_f32_e32 v4, v4, v6
.LBB163_1323:
	s_or_b64 exec, exec, s[8:9]
                                        ; implicit-def: $vgpr1
.LBB163_1324:
	s_andn2_saveexec_b64 s[6:7], s[6:7]
	s_cbranch_execz .LBB163_1326
; %bb.1325:
	v_mul_f32_e32 v6, v1, v1
	v_mul_f32_e32 v7, v1, v6
	v_mov_b32_e32 v8, 0xbab7f476
	v_fmac_f32_e32 v8, 0x39a57b6b, v7
	v_mov_b32_e32 v9, 0x3bc7e707
	v_fmac_f32_e32 v9, v7, v8
	;; [unrolled: 2-line block ×12, first 2 shown]
	v_fmac_f32_e32 v10, v1, v11
	s_mov_b32 s8, 0xa2863e55
	v_fma_f32 v1, v7, -v10, s8
	v_fma_f32 v1, v6, v9, -v1
	v_add_f32_e32 v1, 0xbdf8cdce, v1
	v_add_f32_e32 v4, v4, v1
.LBB163_1326:
	s_or_b64 exec, exec, s[6:7]
                                        ; implicit-def: $vgpr6
                                        ; implicit-def: $vgpr1
.LBB163_1327:
	s_andn2_saveexec_b64 s[0:1], s[0:1]
	s_cbranch_execz .LBB163_1331
; %bb.1328:
	v_cmp_eq_u32_e32 vcc, 0, v6
	s_and_saveexec_b64 s[6:7], vcc
	s_cbranch_execz .LBB163_1330
; %bb.1329:
	v_mul_f32_e32 v6, v1, v1
	v_mov_b32_e32 v7, 0x39679767
	v_fmac_f32_e32 v7, 0x37d383a2, v6
	v_mov_b32_e32 v8, 0x3a9c54a1
	v_fmac_f32_e32 v8, v6, v7
	;; [unrolled: 2-line block ×10, first 2 shown]
	v_mul_f32_e32 v6, v6, v8
	v_fmac_f32_e32 v6, v1, v7
	v_fmac_f32_e32 v6, -0.5, v1
	v_add_f32_e32 v4, v4, v6
.LBB163_1330:
	s_or_b64 exec, exec, s[6:7]
.LBB163_1331:
	s_or_b64 exec, exec, s[0:1]
.LBB163_1332:
	s_or_b64 exec, exec, s[4:5]
.LBB163_1333:
	s_andn2_saveexec_b64 s[2:3], s[2:3]
	s_cbranch_execz .LBB163_1335
; %bb.1334:
	s_mov_b32 s0, 0x3e8a8991
	v_mov_b32_e32 v1, 0xbecd26ab
	v_fma_f32 v1, |v3|, s0, v1
	s_mov_b32 s0, 0x3f528d33
	v_fma_f32 v1, |v3|, v1, s0
	s_mov_b32 s0, 0x800000
	v_cmp_lt_f32_e64 vcc, |v3|, s0
	v_cndmask_b32_e64 v4, 0, 32, vcc
	v_ldexp_f32 v4, |v3|, v4
	v_log_f32_e32 v4, v4
	s_mov_b32 s0, 0xbf13c468
	v_fma_f32 v1, |v3|, v1, s0
	s_mov_b32 s0, 0x3f317217
	v_mul_f32_e32 v6, 0x3f317217, v4
	v_fma_f32 v7, v4, s0, -v6
	v_fmac_f32_e32 v7, 0x3377d1cf, v4
	s_mov_b32 s0, 0x7f800000
	v_add_f32_e32 v6, v6, v7
	v_cmp_lt_f32_e64 s[0:1], |v4|, s0
	v_cndmask_b32_e64 v4, v4, v6, s[0:1]
	v_mov_b32_e32 v6, 0x41b17218
	v_cndmask_b32_e32 v6, 0, v6, vcc
	v_sub_f32_e32 v4, v4, v6
	v_fma_f32 v4, |v3|, v1, -v4
.LBB163_1335:
	s_or_b64 exec, exec, s[2:3]
	v_cmp_le_f32_e64 s[0:1], 0, v3
	v_cmp_nle_f32_e32 vcc, 0, v3
	s_and_saveexec_b64 s[2:3], vcc
	s_xor_b64 s[4:5], exec, s[2:3]
	s_cbranch_execz .LBB163_1339
; %bb.1336:
	s_mov_b32 s2, 0x4b000000
	s_mov_b32 s6, 0x35000000
	v_cmp_lt_f32_e64 s[2:3], |v3|, s2
	v_cmp_gt_f32_e64 s[6:7], |v3|, s6
	s_and_b64 s[2:3], s[2:3], s[6:7]
	s_and_saveexec_b64 s[6:7], s[2:3]
	s_cbranch_execz .LBB163_1338
; %bb.1337:
	v_mul_f32_e64 v1, |v3|, 0.5
	v_floor_f32_e32 v6, v1
	v_sub_f32_e32 v6, v1, v6
	v_min_f32_e32 v6, 0x3f7fffff, v6
	s_mov_b32 s8, 0x7f800000
	v_add_f32_e32 v6, v6, v6
	v_cmp_neq_f32_e32 vcc, s8, v1
	v_cndmask_b32_e32 v1, 0, v6, vcc
	v_cmp_gt_f32_e64 s[2:3], |v3|, 1.0
	v_cndmask_b32_e64 v1, |v3|, v1, s[2:3]
	v_add_f32_e32 v6, v1, v1
	v_rndne_f32_e32 v6, v6
	v_fmac_f32_e32 v1, -0.5, v6
	v_mul_f32_e32 v7, v1, v1
	v_mov_b32_e32 v8, 0xbf1f24be
	v_fmac_f32_e32 v8, 0x3e75aa41, v7
	v_mov_b32_e32 v9, 0x40234736
	v_fmac_f32_e32 v9, v7, v8
	v_mov_b32_e32 v8, 0xc0a55e0e
	v_fmac_f32_e32 v8, v7, v9
	v_mul_f32_e32 v9, v1, v7
	v_mul_f32_e32 v8, v9, v8
	v_fmac_f32_e32 v8, 0x40490fdb, v1
	v_mov_b32_e32 v1, 0x3e642e9d
	v_cvt_i32_f32_e32 v6, v6
	v_fmac_f32_e32 v1, 0x3d4be544, v7
	v_mov_b32_e32 v9, 0xbfaad1da
	v_fmac_f32_e32 v9, v7, v1
	v_mov_b32_e32 v1, 0x4081e0d3
	;; [unrolled: 2-line block ×3, first 2 shown]
	v_fmac_f32_e32 v9, v7, v1
	v_fma_f32 v1, v7, v9, 1.0
	v_and_b32_e32 v7, 1, v6
	v_cmp_eq_u32_e32 vcc, 0, v7
	v_lshlrev_b32_e32 v6, 30, v6
	s_brev_b32 s2, 1
	v_cndmask_b32_e32 v1, v1, v8, vcc
	v_and_or_b32 v0, v6, s2, v0
	v_xor_b32_e32 v0, v0, v1
	v_xor_b32_e32 v0, v0, v3
	v_mul_f32_e32 v0, v3, v0
	v_frexp_mant_f32_e64 v1, |v0|
	v_rcp_f32_e32 v1, v1
	v_frexp_exp_i32_f32_e32 v0, v0
	v_sub_u32_e32 v0, 2, v0
	s_mov_b32 s2, 0x800000
	v_mul_f32_e32 v1, 0x3f490fdb, v1
	v_ldexp_f32 v0, v1, v0
	v_cmp_gt_f32_e32 vcc, s2, v0
	v_cndmask_b32_e64 v1, 0, 32, vcc
	v_ldexp_f32 v0, v0, v1
	v_log_f32_e32 v0, v0
	s_mov_b32 s2, 0x3f317217
	v_mul_f32_e32 v1, 0x3f317217, v0
	v_fma_f32 v6, v0, s2, -v1
	v_fmac_f32_e32 v6, 0x3377d1cf, v0
	v_add_f32_e32 v1, v1, v6
	v_cmp_lt_f32_e64 s[2:3], |v0|, s8
	v_cndmask_b32_e64 v0, v0, v1, s[2:3]
	v_mov_b32_e32 v1, 0x41b17218
	v_cndmask_b32_e32 v1, 0, v1, vcc
	v_sub_f32_e32 v0, v0, v1
	v_floor_f32_e32 v1, v3
	v_sub_f32_e32 v1, v3, v1
	v_min_f32_e32 v1, 0x3f7fffff, v1
	v_sub_f32_e32 v0, v0, v4
	v_mov_b32_e32 v4, 0x7f800000
	v_cmp_neq_f32_e32 vcc, 0, v1
	v_cndmask_b32_e32 v4, v4, v0, vcc
.LBB163_1338:
	s_or_b64 exec, exec, s[6:7]
.LBB163_1339:
	s_andn2_saveexec_b64 s[4:5], s[4:5]
; %bb.1340:
	v_cmp_eq_f32_e32 vcc, 1.0, v3
	v_cmp_eq_f32_e64 s[2:3], 2.0, v3
	s_or_b64 s[2:3], vcc, s[2:3]
	v_cndmask_b32_e64 v4, v4, 0, s[2:3]
; %bb.1341:
	s_or_b64 exec, exec, s[4:5]
	s_lshl_b32 s11, s11, 7
	v_add_u32_e32 v7, s11, v5
	v_ashrrev_i32_e32 v1, 31, v7
	v_mov_b32_e32 v5, s15
	v_add_co_u32_e32 v0, vcc, s14, v7
	s_cmp_lt_i32 s26, 11
	v_addc_co_u32_e32 v1, vcc, v5, v1, vcc
	s_cbranch_scc1 .LBB163_1348
; %bb.1342:
	s_cmp_gt_i32 s26, 25
	s_mov_b64 s[4:5], 0
	s_cbranch_scc0 .LBB163_1350
; %bb.1343:
	s_cmp_gt_i32 s26, 28
	s_cbranch_scc0 .LBB163_1351
; %bb.1344:
	s_cmp_gt_i32 s26, 43
	;; [unrolled: 3-line block ×3, first 2 shown]
	s_cbranch_scc0 .LBB163_1354
; %bb.1346:
	s_cmp_eq_u32 s26, 46
	s_mov_b64 s[8:9], 0
	s_cbranch_scc0 .LBB163_1357
; %bb.1347:
	global_load_dword v5, v[0:1], off
	s_mov_b64 s[2:3], 0
	s_mov_b64 s[6:7], -1
	s_branch .LBB163_1358
.LBB163_1348:
	s_mov_b64 s[6:7], 0
                                        ; implicit-def: $vgpr5
	s_cbranch_execnz .LBB163_1423
.LBB163_1349:
	s_andn2_b64 vcc, exec, s[6:7]
	s_cbranch_vccnz .LBB163_2276
	s_branch .LBB163_1470
.LBB163_1350:
	s_mov_b64 s[6:7], 0
	s_mov_b64 s[2:3], 0
                                        ; implicit-def: $vgpr5
	s_cbranch_execnz .LBB163_1387
	s_branch .LBB163_1419
.LBB163_1351:
	s_mov_b64 s[8:9], -1
	s_mov_b64 s[6:7], 0
	s_mov_b64 s[2:3], 0
                                        ; implicit-def: $vgpr5
	s_branch .LBB163_1368
.LBB163_1352:
	s_mov_b64 s[8:9], -1
	s_mov_b64 s[6:7], 0
	s_mov_b64 s[2:3], 0
                                        ; implicit-def: $vgpr5
	s_branch .LBB163_1363
.LBB163_1353:
	s_or_b64 s[20:21], s[16:17], exec
	s_trap 2
	s_cbranch_execz .LBB163_1256
	s_branch .LBB163_1257
.LBB163_1354:
	s_mov_b64 s[8:9], -1
	s_mov_b64 s[6:7], 0
	s_mov_b64 s[2:3], 0
                                        ; implicit-def: $vgpr5
	s_branch .LBB163_1358
.LBB163_1355:
	s_andn2_saveexec_b64 s[24:25], s[24:25]
	s_cbranch_execz .LBB163_1103
.LBB163_1356:
	s_mov_b32 s28, 0x42800000
	v_add_f32_e64 v4, |v5|, s28
	v_and_b32_e32 v4, 0xff, v4
	v_cmp_ne_u32_e32 vcc, 0, v4
	s_andn2_b64 s[22:23], s[22:23], exec
	s_and_b64 s[28:29], vcc, exec
	s_or_b64 s[22:23], s[22:23], s[28:29]
	s_or_b64 exec, exec, s[24:25]
	v_mov_b32_e32 v6, 0
	s_and_saveexec_b64 s[24:25], s[22:23]
	s_cbranch_execnz .LBB163_1104
	s_branch .LBB163_1105
.LBB163_1357:
	s_mov_b64 s[2:3], -1
                                        ; implicit-def: $vgpr5
	s_mov_b64 s[6:7], 0
.LBB163_1358:
	s_and_b64 vcc, exec, s[8:9]
	s_cbranch_vccz .LBB163_1362
; %bb.1359:
	s_cmp_eq_u32 s26, 44
	s_cbranch_scc0 .LBB163_1361
; %bb.1360:
	global_load_ubyte v5, v[0:1], off
	s_movk_i32 s6, 0xff
	v_mov_b32_e32 v6, 0x7f800001
	v_mov_b32_e32 v8, 0x400000
	;; [unrolled: 1-line block ×3, first 2 shown]
	s_mov_b64 s[2:3], 0
	s_waitcnt vmcnt(0)
	v_lshlrev_b32_e32 v10, 23, v5
	v_cmp_ne_u32_e32 vcc, s6, v5
	v_cndmask_b32_e32 v6, v6, v10, vcc
	v_cmp_ne_u32_e32 vcc, 0, v5
	v_cndmask_b32_e32 v5, v8, v6, vcc
	v_add_u32_e32 v6, 0x7fff, v5
	v_cmp_o_f32_e32 vcc, v5, v5
	v_cndmask_b32_sdwa v5, v9, v6, vcc dst_sel:DWORD dst_unused:UNUSED_PAD src0_sel:DWORD src1_sel:WORD_1
	s_mov_b64 s[6:7], -1
	s_branch .LBB163_1362
.LBB163_1361:
	s_mov_b64 s[2:3], -1
                                        ; implicit-def: $vgpr5
.LBB163_1362:
	s_mov_b64 s[8:9], 0
.LBB163_1363:
	s_and_b64 vcc, exec, s[8:9]
	s_cbranch_vccz .LBB163_1367
; %bb.1364:
	s_cmp_eq_u32 s26, 29
	s_cbranch_scc0 .LBB163_1366
; %bb.1365:
	global_load_dwordx2 v[5:6], v[0:1], off
	s_movk_i32 s6, 0x7fff
	s_mov_b64 s[2:3], 0
	s_mov_b64 s[8:9], 0
	s_waitcnt vmcnt(0)
	v_ffbh_u32_e32 v8, v6
	v_min_u32_e32 v8, 32, v8
	v_lshlrev_b64 v[5:6], v8, v[5:6]
	v_min_u32_e32 v5, 1, v5
	v_or_b32_e32 v5, v6, v5
	v_cvt_f32_u32_e32 v5, v5
	v_sub_u32_e32 v6, 32, v8
	v_ldexp_f32 v5, v5, v6
	v_bfe_u32 v6, v5, 16, 1
	v_add3_u32 v5, v5, v6, s6
	v_lshrrev_b32_e32 v5, 16, v5
	s_mov_b64 s[6:7], -1
	s_branch .LBB163_1368
.LBB163_1366:
	s_mov_b64 s[2:3], -1
                                        ; implicit-def: $vgpr5
.LBB163_1367:
	s_mov_b64 s[8:9], 0
.LBB163_1368:
	s_and_b64 vcc, exec, s[8:9]
	s_cbranch_vccz .LBB163_1386
; %bb.1369:
	s_cmp_lt_i32 s26, 27
	s_cbranch_scc1 .LBB163_1372
; %bb.1370:
	s_cmp_gt_i32 s26, 27
	s_cbranch_scc0 .LBB163_1373
; %bb.1371:
	global_load_dword v5, v[0:1], off
	s_movk_i32 s6, 0x7fff
	s_waitcnt vmcnt(0)
	v_cvt_f32_u32_e32 v5, v5
	v_bfe_u32 v6, v5, 16, 1
	v_add3_u32 v5, v5, v6, s6
	v_lshrrev_b32_e32 v5, 16, v5
	s_mov_b64 s[6:7], 0
	s_branch .LBB163_1374
.LBB163_1372:
	s_mov_b64 s[6:7], -1
                                        ; implicit-def: $vgpr5
	s_branch .LBB163_1377
.LBB163_1373:
	s_mov_b64 s[6:7], -1
                                        ; implicit-def: $vgpr5
.LBB163_1374:
	s_andn2_b64 vcc, exec, s[6:7]
	s_cbranch_vccnz .LBB163_1376
; %bb.1375:
	global_load_ushort v5, v[0:1], off
	s_movk_i32 s6, 0x7fff
	s_waitcnt vmcnt(0)
	v_cvt_f32_u32_e32 v5, v5
	v_bfe_u32 v6, v5, 16, 1
	v_add3_u32 v5, v5, v6, s6
	v_lshrrev_b32_e32 v5, 16, v5
.LBB163_1376:
	s_mov_b64 s[6:7], 0
.LBB163_1377:
	s_andn2_b64 vcc, exec, s[6:7]
	s_cbranch_vccnz .LBB163_1385
; %bb.1378:
	global_load_ubyte v5, v[0:1], off
	s_movk_i32 s6, 0x7f
	s_waitcnt vmcnt(0)
	v_cmp_lt_i16_e32 vcc, s6, v5
	s_mov_b64 s[6:7], 0
	s_and_saveexec_b64 s[8:9], vcc
	s_xor_b64 s[8:9], exec, s[8:9]
	s_cbranch_execz .LBB163_1398
; %bb.1379:
	s_movk_i32 s6, 0x80
	v_cmp_eq_u16_e32 vcc, s6, v5
	s_mov_b64 s[6:7], -1
	s_and_saveexec_b64 s[22:23], vcc
; %bb.1380:
	s_xor_b64 s[6:7], exec, -1
; %bb.1381:
	s_or_b64 exec, exec, s[22:23]
	s_and_b64 s[6:7], s[6:7], exec
	s_or_saveexec_b64 s[8:9], s[8:9]
	v_mov_b32_e32 v6, 0x7f800001
	s_xor_b64 exec, exec, s[8:9]
	s_cbranch_execnz .LBB163_1399
.LBB163_1382:
	s_or_b64 exec, exec, s[8:9]
	s_and_saveexec_b64 s[8:9], s[6:7]
	s_cbranch_execz .LBB163_1384
.LBB163_1383:
	v_lshlrev_b32_e32 v6, 24, v5
	v_and_b32_e32 v5, 0xffff, v5
	v_and_b32_e32 v8, 7, v5
	v_ffbh_u32_e32 v10, v8
	v_min_u32_e32 v10, 32, v10
	v_subrev_u32_e32 v11, 28, v10
	v_bfe_u32 v9, v5, 3, 4
	v_lshlrev_b32_e32 v5, v11, v5
	v_sub_u32_e32 v10, 29, v10
	v_and_b32_e32 v5, 7, v5
	v_cmp_eq_u32_e32 vcc, 0, v9
	v_cndmask_b32_e32 v9, v9, v10, vcc
	v_cndmask_b32_e32 v5, v8, v5, vcc
	v_mov_b32_e32 v8, 0x3b800000
	v_lshlrev_b32_e32 v5, 20, v5
	v_and_b32_e32 v6, 0x80000000, v6
	v_lshl_add_u32 v8, v9, 23, v8
	v_or3_b32 v6, v6, v8, v5
.LBB163_1384:
	s_or_b64 exec, exec, s[8:9]
	v_bfe_u32 v5, v6, 16, 1
	s_movk_i32 s6, 0x7fff
	v_add3_u32 v5, v6, v5, s6
	v_cmp_o_f32_e32 vcc, v6, v6
	v_mov_b32_e32 v6, 0x7fc0
	v_cndmask_b32_sdwa v5, v6, v5, vcc dst_sel:DWORD dst_unused:UNUSED_PAD src0_sel:DWORD src1_sel:WORD_1
.LBB163_1385:
	s_mov_b64 s[6:7], -1
.LBB163_1386:
	s_branch .LBB163_1419
.LBB163_1387:
	s_cmp_gt_i32 s26, 22
	s_cbranch_scc0 .LBB163_1397
; %bb.1388:
	s_cmp_lt_i32 s26, 24
	s_cbranch_scc1 .LBB163_1400
; %bb.1389:
	s_cmp_gt_i32 s26, 24
	s_cbranch_scc0 .LBB163_1401
; %bb.1390:
	global_load_ubyte v5, v[0:1], off
	s_movk_i32 s4, 0x7f
	s_waitcnt vmcnt(0)
	v_cmp_lt_i16_e32 vcc, s4, v5
	s_mov_b64 s[4:5], 0
	s_and_saveexec_b64 s[6:7], vcc
	s_xor_b64 s[6:7], exec, s[6:7]
	s_cbranch_execz .LBB163_1413
; %bb.1391:
	s_movk_i32 s4, 0x80
	v_cmp_eq_u16_e32 vcc, s4, v5
	s_mov_b64 s[4:5], -1
	s_and_saveexec_b64 s[8:9], vcc
; %bb.1392:
	s_xor_b64 s[4:5], exec, -1
; %bb.1393:
	s_or_b64 exec, exec, s[8:9]
	s_and_b64 s[4:5], s[4:5], exec
	s_or_saveexec_b64 s[6:7], s[6:7]
	v_mov_b32_e32 v6, 0x7f800001
	s_xor_b64 exec, exec, s[6:7]
	s_cbranch_execnz .LBB163_1414
.LBB163_1394:
	s_or_b64 exec, exec, s[6:7]
	s_and_saveexec_b64 s[6:7], s[4:5]
	s_cbranch_execz .LBB163_1396
.LBB163_1395:
	v_lshlrev_b32_e32 v6, 24, v5
	v_and_b32_e32 v5, 0xffff, v5
	v_and_b32_e32 v8, 3, v5
	v_ffbh_u32_e32 v10, v8
	v_min_u32_e32 v10, 32, v10
	v_subrev_u32_e32 v11, 29, v10
	v_bfe_u32 v9, v5, 2, 5
	v_lshlrev_b32_e32 v5, v11, v5
	v_sub_u32_e32 v10, 30, v10
	v_and_b32_e32 v5, 3, v5
	v_cmp_eq_u32_e32 vcc, 0, v9
	v_cndmask_b32_e32 v9, v9, v10, vcc
	v_cndmask_b32_e32 v5, v8, v5, vcc
	v_mov_b32_e32 v8, 0x37800000
	v_lshlrev_b32_e32 v5, 21, v5
	v_and_b32_e32 v6, 0x80000000, v6
	v_lshl_add_u32 v8, v9, 23, v8
	v_or3_b32 v6, v6, v8, v5
.LBB163_1396:
	s_or_b64 exec, exec, s[6:7]
	v_bfe_u32 v5, v6, 16, 1
	s_movk_i32 s4, 0x7fff
	v_add3_u32 v5, v6, v5, s4
	v_cmp_o_f32_e32 vcc, v6, v6
	v_mov_b32_e32 v6, 0x7fc0
	v_cndmask_b32_sdwa v5, v6, v5, vcc dst_sel:DWORD dst_unused:UNUSED_PAD src0_sel:DWORD src1_sel:WORD_1
	s_mov_b64 s[4:5], 0
	s_branch .LBB163_1402
.LBB163_1397:
	s_mov_b64 s[4:5], -1
                                        ; implicit-def: $vgpr5
	s_branch .LBB163_1408
.LBB163_1398:
	s_or_saveexec_b64 s[8:9], s[8:9]
	v_mov_b32_e32 v6, 0x7f800001
	s_xor_b64 exec, exec, s[8:9]
	s_cbranch_execz .LBB163_1382
.LBB163_1399:
	v_cmp_ne_u16_e32 vcc, 0, v5
	s_andn2_b64 s[6:7], s[6:7], exec
	s_and_b64 s[22:23], vcc, exec
	v_mov_b32_e32 v6, 0
	s_or_b64 s[6:7], s[6:7], s[22:23]
	s_or_b64 exec, exec, s[8:9]
	s_and_saveexec_b64 s[8:9], s[6:7]
	s_cbranch_execnz .LBB163_1383
	s_branch .LBB163_1384
.LBB163_1400:
	s_mov_b64 s[4:5], -1
                                        ; implicit-def: $vgpr5
	s_branch .LBB163_1405
.LBB163_1401:
	s_mov_b64 s[4:5], -1
                                        ; implicit-def: $vgpr5
.LBB163_1402:
	s_and_b64 vcc, exec, s[4:5]
	s_cbranch_vccz .LBB163_1404
; %bb.1403:
	global_load_ubyte v5, v[0:1], off
	s_mov_b32 s4, 0x7f800000
	s_brev_b32 s5, 1
	s_movk_i32 s6, 0x7fff
	s_waitcnt vmcnt(0)
	v_lshlrev_b32_e32 v5, 24, v5
	v_and_b32_e32 v6, 0x7f000000, v5
	v_ffbh_u32_e32 v8, v6
	v_min_u32_e32 v8, 32, v8
	v_sub_u32_e64 v8, v8, 4 clamp
	v_lshlrev_b32_e32 v10, v8, v6
	v_lshlrev_b32_e32 v8, 23, v8
	v_lshrrev_b32_e32 v10, 4, v10
	v_add_u32_e32 v9, 0x1000000, v6
	v_sub_u32_e32 v8, v10, v8
	v_ashrrev_i32_e32 v9, 8, v9
	v_add_u32_e32 v8, 0x3c000000, v8
	v_and_or_b32 v8, v9, s4, v8
	v_cmp_ne_u32_e32 vcc, 0, v6
	v_cndmask_b32_e32 v6, 0, v8, vcc
	v_and_or_b32 v5, v5, s5, v6
	v_bfe_u32 v6, v6, 16, 1
	v_add3_u32 v6, v5, v6, s6
	v_cmp_o_f32_e32 vcc, v5, v5
	v_mov_b32_e32 v5, 0x7fc0
	v_cndmask_b32_sdwa v5, v5, v6, vcc dst_sel:DWORD dst_unused:UNUSED_PAD src0_sel:DWORD src1_sel:WORD_1
.LBB163_1404:
	s_mov_b64 s[4:5], 0
.LBB163_1405:
	s_andn2_b64 vcc, exec, s[4:5]
	s_cbranch_vccnz .LBB163_1407
; %bb.1406:
	global_load_ubyte v5, v[0:1], off
	s_movk_i32 s4, 0x7f00
	s_brev_b32 s5, 16
	s_brev_b32 s6, 1
	s_movk_i32 s7, 0x7fff
	s_waitcnt vmcnt(0)
	v_lshlrev_b16_e32 v6, 8, v5
	v_lshlrev_b32_e32 v5, 25, v5
	v_lshrrev_b32_e32 v8, 4, v5
	v_and_or_b32 v9, v6, s4, 0.5
	v_or_b32_e32 v8, 0x70000000, v8
	v_add_f32_e32 v9, -0.5, v9
	v_mul_f32_e32 v8, 0x7800000, v8
	v_cmp_gt_u32_e32 vcc, s5, v5
	v_bfe_i32 v6, v6, 0, 16
	v_cndmask_b32_e32 v5, v8, v9, vcc
	v_and_or_b32 v6, v6, s6, v5
	v_bfe_u32 v5, v5, 16, 1
	v_add3_u32 v5, v6, v5, s7
	v_cmp_o_f32_e32 vcc, v6, v6
	v_mov_b32_e32 v6, 0x7fc0
	v_cndmask_b32_sdwa v5, v6, v5, vcc dst_sel:DWORD dst_unused:UNUSED_PAD src0_sel:DWORD src1_sel:WORD_1
.LBB163_1407:
	s_mov_b64 s[4:5], 0
	s_mov_b64 s[6:7], -1
.LBB163_1408:
	s_andn2_b64 vcc, exec, s[4:5]
	s_mov_b64 s[4:5], 0
	s_cbranch_vccnz .LBB163_1419
; %bb.1409:
	s_cmp_gt_i32 s26, 14
	s_cbranch_scc0 .LBB163_1412
; %bb.1410:
	s_cmp_eq_u32 s26, 15
	s_cbranch_scc0 .LBB163_1415
; %bb.1411:
	global_load_ushort v5, v[0:1], off
	s_mov_b64 s[2:3], 0
	s_mov_b64 s[6:7], -1
	s_branch .LBB163_1416
.LBB163_1412:
	s_mov_b64 s[8:9], -1
                                        ; implicit-def: $vgpr5
	s_branch .LBB163_1417
.LBB163_1413:
	s_or_saveexec_b64 s[6:7], s[6:7]
	v_mov_b32_e32 v6, 0x7f800001
	s_xor_b64 exec, exec, s[6:7]
	s_cbranch_execz .LBB163_1394
.LBB163_1414:
	v_cmp_ne_u16_e32 vcc, 0, v5
	s_andn2_b64 s[4:5], s[4:5], exec
	s_and_b64 s[8:9], vcc, exec
	v_mov_b32_e32 v6, 0
	s_or_b64 s[4:5], s[4:5], s[8:9]
	s_or_b64 exec, exec, s[6:7]
	s_and_saveexec_b64 s[6:7], s[4:5]
	s_cbranch_execnz .LBB163_1395
	s_branch .LBB163_1396
.LBB163_1415:
	s_mov_b64 s[2:3], -1
                                        ; implicit-def: $vgpr5
.LBB163_1416:
	s_mov_b64 s[8:9], 0
.LBB163_1417:
	s_and_b64 vcc, exec, s[8:9]
	s_cbranch_vccz .LBB163_1419
; %bb.1418:
	s_cmp_lg_u32 s26, 11
	s_mov_b64 s[4:5], -1
	s_cselect_b64 s[2:3], -1, 0
.LBB163_1419:
	s_and_b64 vcc, exec, s[2:3]
	s_cbranch_vccnz .LBB163_1520
; %bb.1420:
	s_andn2_b64 vcc, exec, s[4:5]
	s_cbranch_vccnz .LBB163_1422
.LBB163_1421:
	global_load_ubyte v5, v[0:1], off
	s_mov_b64 s[6:7], -1
	s_waitcnt vmcnt(0)
	v_cmp_ne_u16_e32 vcc, 0, v5
	v_cndmask_b32_e64 v5, 0, 1.0, vcc
	v_lshrrev_b32_e32 v5, 16, v5
.LBB163_1422:
	s_branch .LBB163_1349
.LBB163_1423:
	s_cmp_lt_i32 s26, 5
	s_cbranch_scc1 .LBB163_1428
; %bb.1424:
	s_cmp_lt_i32 s26, 8
	s_cbranch_scc1 .LBB163_1429
; %bb.1425:
	;; [unrolled: 3-line block ×3, first 2 shown]
	s_cmp_gt_i32 s26, 9
	s_cbranch_scc0 .LBB163_1431
; %bb.1427:
	global_load_dwordx2 v[5:6], v[0:1], off
	s_movk_i32 s2, 0x7fff
	s_waitcnt vmcnt(0)
	v_cvt_f32_f64_e32 v5, v[5:6]
	v_mov_b32_e32 v6, 0x7fc0
	v_bfe_u32 v8, v5, 16, 1
	v_cmp_o_f32_e32 vcc, v5, v5
	v_add3_u32 v5, v5, v8, s2
	v_cndmask_b32_sdwa v5, v6, v5, vcc dst_sel:DWORD dst_unused:UNUSED_PAD src0_sel:DWORD src1_sel:WORD_1
	s_mov_b64 s[2:3], 0
	s_branch .LBB163_1432
.LBB163_1428:
                                        ; implicit-def: $vgpr5
	s_branch .LBB163_1450
.LBB163_1429:
	s_mov_b64 s[2:3], -1
                                        ; implicit-def: $vgpr5
	s_branch .LBB163_1438
.LBB163_1430:
	s_mov_b64 s[2:3], -1
                                        ; implicit-def: $vgpr5
	s_branch .LBB163_1435
.LBB163_1431:
	s_mov_b64 s[2:3], -1
                                        ; implicit-def: $vgpr5
.LBB163_1432:
	s_andn2_b64 vcc, exec, s[2:3]
	s_cbranch_vccnz .LBB163_1434
; %bb.1433:
	global_load_dword v5, v[0:1], off
	s_movk_i32 s2, 0x7fff
	v_mov_b32_e32 v6, 0x7fc0
	s_waitcnt vmcnt(0)
	v_bfe_u32 v8, v5, 16, 1
	v_cmp_o_f32_e32 vcc, v5, v5
	v_add3_u32 v5, v5, v8, s2
	v_cndmask_b32_sdwa v5, v6, v5, vcc dst_sel:DWORD dst_unused:UNUSED_PAD src0_sel:DWORD src1_sel:WORD_1
.LBB163_1434:
	s_mov_b64 s[2:3], 0
.LBB163_1435:
	s_andn2_b64 vcc, exec, s[2:3]
	s_cbranch_vccnz .LBB163_1437
; %bb.1436:
	global_load_dword v5, v[0:1], off
	s_movk_i32 s2, 0x7fff
	v_mov_b32_e32 v8, 0x7fc0
	s_waitcnt vmcnt(0)
	v_cvt_f32_f16_e32 v6, v5
	v_cmp_o_f16_e32 vcc, v5, v5
	v_bfe_u32 v5, v6, 16, 1
	v_add3_u32 v5, v6, v5, s2
	v_cndmask_b32_sdwa v5, v8, v5, vcc dst_sel:DWORD dst_unused:UNUSED_PAD src0_sel:DWORD src1_sel:WORD_1
.LBB163_1437:
	s_mov_b64 s[2:3], 0
.LBB163_1438:
	s_andn2_b64 vcc, exec, s[2:3]
	s_cbranch_vccnz .LBB163_1449
; %bb.1439:
	s_cmp_lt_i32 s26, 6
	s_cbranch_scc1 .LBB163_1442
; %bb.1440:
	s_cmp_gt_i32 s26, 6
	s_cbranch_scc0 .LBB163_1443
; %bb.1441:
	global_load_dwordx2 v[5:6], v[0:1], off
	s_movk_i32 s2, 0x7fff
	s_waitcnt vmcnt(0)
	v_cvt_f32_f64_e32 v5, v[5:6]
	v_mov_b32_e32 v6, 0x7fc0
	v_bfe_u32 v8, v5, 16, 1
	v_cmp_o_f32_e32 vcc, v5, v5
	v_add3_u32 v5, v5, v8, s2
	v_cndmask_b32_sdwa v5, v6, v5, vcc dst_sel:DWORD dst_unused:UNUSED_PAD src0_sel:DWORD src1_sel:WORD_1
	s_mov_b64 s[2:3], 0
	s_branch .LBB163_1444
.LBB163_1442:
	s_mov_b64 s[2:3], -1
                                        ; implicit-def: $vgpr5
	s_branch .LBB163_1447
.LBB163_1443:
	s_mov_b64 s[2:3], -1
                                        ; implicit-def: $vgpr5
.LBB163_1444:
	s_andn2_b64 vcc, exec, s[2:3]
	s_cbranch_vccnz .LBB163_1446
; %bb.1445:
	global_load_dword v5, v[0:1], off
	s_movk_i32 s2, 0x7fff
	v_mov_b32_e32 v6, 0x7fc0
	s_waitcnt vmcnt(0)
	v_bfe_u32 v8, v5, 16, 1
	v_cmp_o_f32_e32 vcc, v5, v5
	v_add3_u32 v5, v5, v8, s2
	v_cndmask_b32_sdwa v5, v6, v5, vcc dst_sel:DWORD dst_unused:UNUSED_PAD src0_sel:DWORD src1_sel:WORD_1
.LBB163_1446:
	s_mov_b64 s[2:3], 0
.LBB163_1447:
	s_andn2_b64 vcc, exec, s[2:3]
	s_cbranch_vccnz .LBB163_1449
; %bb.1448:
	global_load_ushort v5, v[0:1], off
	s_movk_i32 s2, 0x7fff
	v_mov_b32_e32 v8, 0x7fc0
	s_waitcnt vmcnt(0)
	v_cvt_f32_f16_e32 v6, v5
	v_cmp_o_f16_e32 vcc, v5, v5
	v_bfe_u32 v5, v6, 16, 1
	v_add3_u32 v5, v6, v5, s2
	v_cndmask_b32_sdwa v5, v8, v5, vcc dst_sel:DWORD dst_unused:UNUSED_PAD src0_sel:DWORD src1_sel:WORD_1
.LBB163_1449:
	s_cbranch_execnz .LBB163_1469
.LBB163_1450:
	s_cmp_lt_i32 s26, 2
	s_cbranch_scc1 .LBB163_1454
; %bb.1451:
	s_cmp_lt_i32 s26, 3
	s_cbranch_scc1 .LBB163_1455
; %bb.1452:
	s_cmp_gt_i32 s26, 3
	s_cbranch_scc0 .LBB163_1456
; %bb.1453:
	global_load_dwordx2 v[5:6], v[0:1], off
	s_movk_i32 s2, 0x7fff
	s_waitcnt vmcnt(0)
	v_xor_b32_e32 v9, v5, v6
	v_ffbh_i32_e32 v8, v6
	v_ashrrev_i32_e32 v9, 31, v9
	v_add_u32_e32 v8, -1, v8
	v_add_u32_e32 v9, 32, v9
	v_min_u32_e32 v8, v8, v9
	v_lshlrev_b64 v[5:6], v8, v[5:6]
	v_min_u32_e32 v5, 1, v5
	v_or_b32_e32 v5, v6, v5
	v_cvt_f32_i32_e32 v5, v5
	v_sub_u32_e32 v6, 32, v8
	v_ldexp_f32 v5, v5, v6
	v_bfe_u32 v6, v5, 16, 1
	v_add3_u32 v5, v5, v6, s2
	v_lshrrev_b32_e32 v5, 16, v5
	s_mov_b64 s[2:3], 0
	s_branch .LBB163_1457
.LBB163_1454:
	s_mov_b64 s[2:3], -1
                                        ; implicit-def: $vgpr5
	s_branch .LBB163_1463
.LBB163_1455:
	s_mov_b64 s[2:3], -1
                                        ; implicit-def: $vgpr5
	s_branch .LBB163_1460
.LBB163_1456:
	s_mov_b64 s[2:3], -1
                                        ; implicit-def: $vgpr5
.LBB163_1457:
	s_andn2_b64 vcc, exec, s[2:3]
	s_cbranch_vccnz .LBB163_1459
; %bb.1458:
	global_load_dword v5, v[0:1], off
	s_movk_i32 s2, 0x7fff
	s_waitcnt vmcnt(0)
	v_cvt_f32_i32_e32 v5, v5
	v_bfe_u32 v6, v5, 16, 1
	v_add3_u32 v5, v5, v6, s2
	v_lshrrev_b32_e32 v5, 16, v5
.LBB163_1459:
	s_mov_b64 s[2:3], 0
.LBB163_1460:
	s_andn2_b64 vcc, exec, s[2:3]
	s_cbranch_vccnz .LBB163_1462
; %bb.1461:
	global_load_sshort v5, v[0:1], off
	s_movk_i32 s2, 0x7fff
	s_waitcnt vmcnt(0)
	v_cvt_f32_i32_e32 v5, v5
	v_bfe_u32 v6, v5, 16, 1
	v_add3_u32 v5, v5, v6, s2
	v_lshrrev_b32_e32 v5, 16, v5
.LBB163_1462:
	s_mov_b64 s[2:3], 0
.LBB163_1463:
	s_andn2_b64 vcc, exec, s[2:3]
	s_cbranch_vccnz .LBB163_1469
; %bb.1464:
	s_cmp_gt_i32 s26, 0
	s_cbranch_scc0 .LBB163_1466
; %bb.1465:
	global_load_sbyte v5, v[0:1], off
	s_movk_i32 s2, 0x7fff
	s_waitcnt vmcnt(0)
	v_cvt_f32_i32_e32 v5, v5
	v_bfe_u32 v6, v5, 16, 1
	v_add3_u32 v5, v5, v6, s2
	v_lshrrev_b32_e32 v5, 16, v5
	s_mov_b64 s[2:3], 0
	s_branch .LBB163_1467
.LBB163_1466:
	s_mov_b64 s[2:3], -1
                                        ; implicit-def: $vgpr5
.LBB163_1467:
	s_andn2_b64 vcc, exec, s[2:3]
	s_cbranch_vccnz .LBB163_1469
; %bb.1468:
	global_load_ubyte v0, v[0:1], off
	s_movk_i32 s2, 0x7fff
	s_waitcnt vmcnt(0)
	v_cvt_f32_ubyte0_e32 v0, v0
	v_bfe_u32 v1, v0, 16, 1
	v_add3_u32 v0, v0, v1, s2
	v_lshrrev_b32_e32 v5, 16, v0
.LBB163_1469:
.LBB163_1470:
	s_waitcnt vmcnt(0)
	v_lshlrev_b32_e32 v5, 16, v5
	s_mov_b32 s2, 0x3c800000
	v_and_b32_e32 v0, 0x7fffffff, v5
	v_cmp_nlt_f32_e64 s[2:3], |v5|, s2
                                        ; implicit-def: $vgpr6
	s_and_saveexec_b64 s[4:5], s[2:3]
	s_xor_b64 s[4:5], exec, s[4:5]
	s_cbranch_execz .LBB163_1500
; %bb.1471:
	v_cmp_nlt_f32_e64 s[2:3], |v5|, 2.0
                                        ; implicit-def: $vgpr6
	s_and_saveexec_b64 s[6:7], s[2:3]
	s_xor_b64 s[6:7], exec, s[6:7]
	s_cbranch_execz .LBB163_1481
; %bb.1472:
	s_mov_b32 s2, 0x41000000
	v_cmp_nlt_f32_e64 s[2:3], |v5|, s2
                                        ; implicit-def: $vgpr6
	s_and_saveexec_b64 s[8:9], s[2:3]
	s_xor_b64 s[8:9], exec, s[8:9]
	s_cbranch_execz .LBB163_1478
; %bb.1473:
	s_mov_b32 s2, 0x5c800000
	v_cmp_nlt_f32_e64 s[2:3], |v5|, s2
                                        ; implicit-def: $vgpr6
	s_and_saveexec_b64 s[22:23], s[2:3]
	s_xor_b64 s[22:23], exec, s[22:23]
	s_cbranch_execz .LBB163_1475
; %bb.1474:
	s_mov_b32 s2, 0x800000
	v_cmp_lt_f32_e64 vcc, |v5|, s2
	v_cndmask_b32_e64 v1, 0, 32, vcc
	v_ldexp_f32 v1, |v5|, v1
	v_log_f32_e32 v1, v1
	s_mov_b32 s2, 0x3f317217
	s_mov_b32 s3, 0x7f800000
	v_mul_f32_e32 v6, 0x3f317217, v1
	v_fma_f32 v8, v1, s2, -v6
	v_fmac_f32_e32 v8, 0x3377d1cf, v1
	v_add_f32_e32 v6, v6, v8
	v_cmp_lt_f32_e64 s[2:3], |v1|, s3
	v_cndmask_b32_e64 v1, v1, v6, s[2:3]
	v_mov_b32_e32 v6, 0x41b17218
	v_cndmask_b32_e32 v6, 0, v6, vcc
	v_sub_f32_e32 v1, v1, v6
	v_fma_f32 v6, |v5|, v1, -|v5|
.LBB163_1475:
	s_andn2_saveexec_b64 s[22:23], s[22:23]
	s_cbranch_execz .LBB163_1477
; %bb.1476:
	v_rcp_f32_e64 v1, |v5|
	v_mov_b32_e32 v6, 0x3a5b3dd2
	v_mov_b32_e32 v8, 0xba1c065c
	;; [unrolled: 1-line block ×3, first 2 shown]
	v_mul_f32_e32 v10, v1, v1
	v_fmac_f32_e32 v6, 0xbad5c4e8, v10
	v_fmac_f32_e32 v8, v10, v6
	s_mov_b32 s2, 0x800000
	v_fmac_f32_e32 v9, v10, v8
	v_mov_b32_e32 v6, 0xbb360b61
	v_cmp_lt_f32_e64 vcc, |v5|, s2
	v_fmac_f32_e32 v6, v10, v9
	v_cndmask_b32_e64 v9, 0, 32, vcc
	v_ldexp_f32 v9, |v5|, v9
	v_log_f32_e32 v9, v9
	v_mov_b32_e32 v8, 0x3daaaaab
	v_fmac_f32_e32 v8, v10, v6
	v_mov_b32_e32 v6, 0x3ed67f1d
	v_fmac_f32_e32 v6, v1, v8
	s_mov_b32 s2, 0x3f317217
	v_mul_f32_e32 v8, 0x3f317217, v9
	v_fma_f32 v10, v9, s2, -v8
	v_fmac_f32_e32 v10, 0x3377d1cf, v9
	s_mov_b32 s2, 0x7f800000
	v_add_f32_e32 v8, v8, v10
	v_cmp_lt_f32_e64 s[2:3], |v9|, s2
	v_cndmask_b32_e64 v8, v9, v8, s[2:3]
	v_mov_b32_e32 v9, 0x41b17218
	v_cndmask_b32_e32 v9, 0, v9, vcc
	v_sub_f32_e32 v8, v8, v9
	v_add_f32_e64 v1, |v5|, -0.5
	v_add_f32_e32 v8, -1.0, v8
	v_fmac_f32_e32 v6, v1, v8
.LBB163_1477:
	s_or_b64 exec, exec, s[22:23]
.LBB163_1478:
	s_andn2_saveexec_b64 s[8:9], s[8:9]
	s_cbranch_execz .LBB163_1480
; %bb.1479:
	v_cvt_i32_f32_e32 v1, v0
	v_mov_b32_e32 v6, 0x3af135b4
	v_mov_b32_e32 v8, 0x3cda40e4
	;; [unrolled: 1-line block ×3, first 2 shown]
	v_cvt_f32_i32_e32 v10, v1
	v_mov_b32_e32 v11, 0x3ea6cc7a
	v_mov_b32_e32 v12, 0x3e5c245a
	v_cmp_lt_i32_e32 vcc, 2, v1
	v_sub_f32_e64 v10, |v5|, v10
	v_fmac_f32_e32 v6, 0x3805ff67, v10
	v_fmac_f32_e32 v8, v10, v6
	;; [unrolled: 1-line block ×3, first 2 shown]
	v_mov_b32_e32 v8, 0x3a4beed6
	v_fmac_f32_e32 v11, v10, v9
	v_fmac_f32_e32 v8, 0x36f5d7bd, v10
	v_mov_b32_e32 v9, 0x3c98bf54
	v_fmac_f32_e32 v9, v10, v8
	v_mov_b32_e32 v8, 0x3e300f6e
	;; [unrolled: 2-line block ×4, first 2 shown]
	v_fmac_f32_e32 v8, v10, v9
	v_add_f32_e32 v9, 2.0, v10
	v_mov_b32_e32 v13, 0xbd9e233f
	v_fmac_f32_e32 v12, v10, v11
	v_add_f32_e32 v11, 0x40400000, v10
	v_cndmask_b32_e32 v9, 1.0, v9, vcc
	v_cmp_lt_i32_e32 vcc, 3, v1
	v_fmac_f32_e32 v13, v10, v12
	v_add_f32_e32 v12, 4.0, v10
	v_cndmask_b32_e32 v11, 1.0, v11, vcc
	v_cmp_lt_i32_e32 vcc, 4, v1
	v_mul_f32_e32 v6, v10, v13
	v_add_f32_e32 v13, 0x40a00000, v10
	v_mul_f32_e32 v9, v9, v11
	v_cndmask_b32_e32 v11, 1.0, v12, vcc
	v_cmp_lt_i32_e32 vcc, 5, v1
	v_add_f32_e32 v14, 0x40c00000, v10
	v_mul_f32_e32 v9, v11, v9
	v_cndmask_b32_e32 v11, 1.0, v13, vcc
	v_cmp_lt_i32_e32 vcc, 6, v1
	v_mul_f32_e32 v9, v11, v9
	v_cndmask_b32_e32 v1, 1.0, v14, vcc
	v_mul_f32_e32 v1, v1, v9
	s_mov_b32 s2, 0x800000
	v_cmp_gt_f32_e32 vcc, s2, v1
	v_cndmask_b32_e64 v9, 0, 32, vcc
	v_fma_f32 v8, v10, v8, 1.0
	v_ldexp_f32 v1, v1, v9
	v_rcp_f32_e32 v8, v8
	v_log_f32_e32 v1, v1
	s_mov_b32 s2, 0x3f317217
	v_mul_f32_e32 v6, v6, v8
	v_mul_f32_e32 v8, 0x3f317217, v1
	v_fma_f32 v9, v1, s2, -v8
	v_fmac_f32_e32 v9, 0x3377d1cf, v1
	s_mov_b32 s2, 0x7f800000
	v_add_f32_e32 v8, v8, v9
	v_cmp_lt_f32_e64 s[2:3], |v1|, s2
	v_cndmask_b32_e64 v1, v1, v8, s[2:3]
	v_mov_b32_e32 v8, 0x41b17218
	v_cndmask_b32_e32 v8, 0, v8, vcc
	v_fmac_f32_e32 v6, 0.5, v10
	v_sub_f32_e32 v1, v1, v8
	v_add_f32_e32 v6, v1, v6
.LBB163_1480:
	s_or_b64 exec, exec, s[8:9]
.LBB163_1481:
	s_andn2_saveexec_b64 s[6:7], s[6:7]
	s_cbranch_execz .LBB163_1499
; %bb.1482:
	s_mov_b32 s2, 0x3f666666
	v_cmp_le_f32_e64 s[2:3], |v5|, s2
                                        ; implicit-def: $vgpr6
                                        ; implicit-def: $vgpr8
                                        ; implicit-def: $vgpr1
	s_and_saveexec_b64 s[8:9], s[2:3]
	s_xor_b64 s[8:9], exec, s[8:9]
	s_cbranch_execz .LBB163_1484
; %bb.1483:
	s_mov_b32 s2, 0x800000
	v_cmp_lt_f32_e64 vcc, |v5|, s2
	v_cndmask_b32_e64 v1, 0, 32, vcc
	v_ldexp_f32 v1, |v5|, v1
	v_log_f32_e32 v1, v1
	s_mov_b32 s2, 0x3f317217
	s_mov_b32 s3, 0x7f800000
	v_mul_f32_e32 v6, 0x3f317217, v1
	v_fma_f32 v8, v1, s2, -v6
	v_fmac_f32_e32 v8, 0x3377d1cf, v1
	v_add_f32_e32 v6, v6, v8
	v_cmp_lt_f32_e64 s[2:3], |v1|, s3
	v_cndmask_b32_e64 v1, v1, v6, s[2:3]
	v_mov_b32_e32 v6, 0x41b17218
	v_cndmask_b32_e32 v6, 0, v6, vcc
	v_sub_f32_e32 v1, v1, v6
	s_mov_b32 s2, 0x3f3b4a23
	s_mov_b32 s3, 0xbeec5b0c
	v_xor_b32_e32 v6, 0x80000000, v1
	v_sub_f32_e64 v1, 1.0, |v5|
	v_add_f32_e64 v8, |v5|, s3
	v_cmp_lt_f32_e64 vcc, |v5|, s2
	s_mov_b32 s2, 0x3e6d3309
	v_cndmask_b32_e32 v1, v1, v8, vcc
	v_cndmask_b32_e64 v8, 0, 1, vcc
	v_cmp_lt_f32_e64 s[2:3], |v5|, s2
	v_cndmask_b32_e64 v1, v1, |v5|, s[2:3]
	v_cndmask_b32_e64 v8, v8, 2, s[2:3]
.LBB163_1484:
	s_andn2_saveexec_b64 s[2:3], s[8:9]
	s_cbranch_execz .LBB163_1486
; %bb.1485:
	s_mov_b32 s8, 0x3fdda512
	s_mov_b32 s9, 0xbfbb16c3
	v_sub_f32_e64 v1, 2.0, |v5|
	v_add_f32_e64 v6, |v5|, s9
	v_cmp_lt_f32_e64 vcc, |v5|, s8
	v_cndmask_b32_e32 v6, v1, v6, vcc
	v_cndmask_b32_e64 v1, v1, 1.0, vcc
	v_cvt_i32_f32_e32 v8, v1
	s_mov_b32 s8, 0x3f9d70a4
	v_add_f32_e64 v1, |v5|, -1.0
	v_cmp_lt_f32_e64 vcc, |v5|, s8
	v_cndmask_b32_e32 v1, v6, v1, vcc
	v_cndmask_b32_e64 v8, v8, 2, vcc
	v_mov_b32_e32 v6, 0
.LBB163_1486:
	s_or_b64 exec, exec, s[2:3]
	v_cmp_lt_i32_e32 vcc, 0, v8
	s_and_saveexec_b64 s[2:3], vcc
	s_xor_b64 s[2:3], exec, s[2:3]
	s_cbranch_execz .LBB163_1494
; %bb.1487:
	v_cmp_lt_i32_e32 vcc, 1, v8
	s_and_saveexec_b64 s[8:9], vcc
	s_xor_b64 s[8:9], exec, s[8:9]
	s_cbranch_execz .LBB163_1491
; %bb.1488:
	v_cmp_eq_u32_e32 vcc, 2, v8
	s_and_saveexec_b64 s[22:23], vcc
	s_cbranch_execz .LBB163_1490
; %bb.1489:
	v_mov_b32_e32 v8, 0x3e6a7578
	v_fmac_f32_e32 v8, 0x3c5b3c5e, v1
	v_mov_b32_e32 v9, 0x3f7a4bb2
	v_fmac_f32_e32 v9, v1, v8
	;; [unrolled: 2-line block ×8, first 2 shown]
	v_fma_f32 v8, v1, v10, 1.0
	v_rcp_f32_e32 v8, v8
	v_mov_b32_e32 v10, 0xbd9e233f
	v_fmac_f32_e32 v10, v1, v9
	v_mul_f32_e32 v9, v1, v10
	v_mul_f32_e32 v8, v9, v8
	v_fmac_f32_e32 v8, -0.5, v1
	v_add_f32_e32 v6, v6, v8
.LBB163_1490:
	s_or_b64 exec, exec, s[22:23]
                                        ; implicit-def: $vgpr1
.LBB163_1491:
	s_andn2_saveexec_b64 s[8:9], s[8:9]
	s_cbranch_execz .LBB163_1493
; %bb.1492:
	v_mul_f32_e32 v8, v1, v1
	v_mul_f32_e32 v9, v1, v8
	v_mov_b32_e32 v10, 0xbab7f476
	v_fmac_f32_e32 v10, 0x39a57b6b, v9
	v_mov_b32_e32 v11, 0x3bc7e707
	v_fmac_f32_e32 v11, v9, v10
	;; [unrolled: 2-line block ×12, first 2 shown]
	v_fmac_f32_e32 v12, v1, v13
	s_mov_b32 s22, 0xa2863e55
	v_fma_f32 v1, v9, -v12, s22
	v_fma_f32 v1, v8, v11, -v1
	v_add_f32_e32 v1, 0xbdf8cdce, v1
	v_add_f32_e32 v6, v6, v1
.LBB163_1493:
	s_or_b64 exec, exec, s[8:9]
                                        ; implicit-def: $vgpr8
                                        ; implicit-def: $vgpr1
.LBB163_1494:
	s_andn2_saveexec_b64 s[2:3], s[2:3]
	s_cbranch_execz .LBB163_1498
; %bb.1495:
	v_cmp_eq_u32_e32 vcc, 0, v8
	s_and_saveexec_b64 s[8:9], vcc
	s_cbranch_execz .LBB163_1497
; %bb.1496:
	v_mul_f32_e32 v8, v1, v1
	v_mov_b32_e32 v9, 0x39679767
	v_fmac_f32_e32 v9, 0x37d383a2, v8
	v_mov_b32_e32 v10, 0x3a9c54a1
	v_fmac_f32_e32 v10, v8, v9
	;; [unrolled: 2-line block ×10, first 2 shown]
	v_mul_f32_e32 v8, v8, v10
	v_fmac_f32_e32 v8, v1, v9
	v_fmac_f32_e32 v8, -0.5, v1
	v_add_f32_e32 v6, v6, v8
.LBB163_1497:
	s_or_b64 exec, exec, s[8:9]
.LBB163_1498:
	s_or_b64 exec, exec, s[2:3]
.LBB163_1499:
	s_or_b64 exec, exec, s[6:7]
.LBB163_1500:
	s_andn2_saveexec_b64 s[4:5], s[4:5]
	s_cbranch_execz .LBB163_1502
; %bb.1501:
	s_mov_b32 s2, 0x3e8a8991
	v_mov_b32_e32 v1, 0xbecd26ab
	v_fma_f32 v1, |v5|, s2, v1
	s_mov_b32 s2, 0x3f528d33
	v_fma_f32 v1, |v5|, v1, s2
	s_mov_b32 s2, 0x800000
	v_cmp_lt_f32_e64 vcc, |v5|, s2
	v_cndmask_b32_e64 v6, 0, 32, vcc
	v_ldexp_f32 v6, |v5|, v6
	v_log_f32_e32 v6, v6
	s_mov_b32 s2, 0xbf13c468
	v_fma_f32 v1, |v5|, v1, s2
	s_mov_b32 s2, 0x3f317217
	v_mul_f32_e32 v8, 0x3f317217, v6
	v_fma_f32 v9, v6, s2, -v8
	v_fmac_f32_e32 v9, 0x3377d1cf, v6
	s_mov_b32 s2, 0x7f800000
	v_add_f32_e32 v8, v8, v9
	v_cmp_lt_f32_e64 s[2:3], |v6|, s2
	v_cndmask_b32_e64 v6, v6, v8, s[2:3]
	v_mov_b32_e32 v8, 0x41b17218
	v_cndmask_b32_e32 v8, 0, v8, vcc
	v_sub_f32_e32 v6, v6, v8
	v_fma_f32 v6, |v5|, v1, -v6
.LBB163_1502:
	s_or_b64 exec, exec, s[4:5]
	v_cmp_le_f32_e64 s[2:3], 0, v5
	v_cmp_nle_f32_e32 vcc, 0, v5
	s_and_saveexec_b64 s[4:5], vcc
	s_xor_b64 s[6:7], exec, s[4:5]
	s_cbranch_execz .LBB163_1506
; %bb.1503:
	s_mov_b32 s4, 0x4b000000
	s_mov_b32 s8, 0x35000000
	v_cmp_lt_f32_e64 s[4:5], |v5|, s4
	v_cmp_gt_f32_e64 s[8:9], |v5|, s8
	s_and_b64 s[4:5], s[4:5], s[8:9]
	s_and_saveexec_b64 s[8:9], s[4:5]
	s_cbranch_execz .LBB163_1505
; %bb.1504:
	v_mul_f32_e64 v1, |v5|, 0.5
	v_floor_f32_e32 v8, v1
	v_sub_f32_e32 v8, v1, v8
	v_min_f32_e32 v8, 0x3f7fffff, v8
	s_mov_b32 s22, 0x7f800000
	v_add_f32_e32 v8, v8, v8
	v_cmp_neq_f32_e32 vcc, s22, v1
	v_cndmask_b32_e32 v1, 0, v8, vcc
	v_cmp_gt_f32_e64 s[4:5], |v5|, 1.0
	v_cndmask_b32_e64 v1, |v5|, v1, s[4:5]
	v_add_f32_e32 v8, v1, v1
	v_rndne_f32_e32 v8, v8
	v_fmac_f32_e32 v1, -0.5, v8
	v_mul_f32_e32 v9, v1, v1
	v_mov_b32_e32 v10, 0xbf1f24be
	v_fmac_f32_e32 v10, 0x3e75aa41, v9
	v_mov_b32_e32 v11, 0x40234736
	v_fmac_f32_e32 v11, v9, v10
	;; [unrolled: 2-line block ×3, first 2 shown]
	v_mul_f32_e32 v11, v1, v9
	v_mul_f32_e32 v10, v11, v10
	v_fmac_f32_e32 v10, 0x40490fdb, v1
	v_mov_b32_e32 v1, 0x3e642e9d
	v_cvt_i32_f32_e32 v8, v8
	v_fmac_f32_e32 v1, 0x3d4be544, v9
	v_mov_b32_e32 v11, 0xbfaad1da
	v_fmac_f32_e32 v11, v9, v1
	v_mov_b32_e32 v1, 0x4081e0d3
	v_fmac_f32_e32 v1, v9, v11
	v_mov_b32_e32 v11, 0xc09de9e6
	v_fmac_f32_e32 v11, v9, v1
	v_fma_f32 v1, v9, v11, 1.0
	v_and_b32_e32 v9, 1, v8
	v_cmp_eq_u32_e32 vcc, 0, v9
	v_lshlrev_b32_e32 v8, 30, v8
	s_brev_b32 s4, 1
	v_cndmask_b32_e32 v1, v1, v10, vcc
	v_and_or_b32 v0, v8, s4, v0
	v_xor_b32_e32 v0, v0, v1
	v_xor_b32_e32 v0, v0, v5
	v_mul_f32_e32 v0, v5, v0
	v_frexp_mant_f32_e64 v1, |v0|
	v_rcp_f32_e32 v1, v1
	v_frexp_exp_i32_f32_e32 v0, v0
	v_sub_u32_e32 v0, 2, v0
	s_mov_b32 s4, 0x800000
	v_mul_f32_e32 v1, 0x3f490fdb, v1
	v_ldexp_f32 v0, v1, v0
	v_cmp_gt_f32_e32 vcc, s4, v0
	v_cndmask_b32_e64 v1, 0, 32, vcc
	v_ldexp_f32 v0, v0, v1
	v_log_f32_e32 v0, v0
	s_mov_b32 s4, 0x3f317217
	v_mul_f32_e32 v1, 0x3f317217, v0
	v_fma_f32 v8, v0, s4, -v1
	v_fmac_f32_e32 v8, 0x3377d1cf, v0
	v_add_f32_e32 v1, v1, v8
	v_cmp_lt_f32_e64 s[4:5], |v0|, s22
	v_cndmask_b32_e64 v0, v0, v1, s[4:5]
	v_mov_b32_e32 v1, 0x41b17218
	v_cndmask_b32_e32 v1, 0, v1, vcc
	v_sub_f32_e32 v0, v0, v1
	v_floor_f32_e32 v1, v5
	v_sub_f32_e32 v1, v5, v1
	v_min_f32_e32 v1, 0x3f7fffff, v1
	v_sub_f32_e32 v0, v0, v6
	v_mov_b32_e32 v6, 0x7f800000
	v_cmp_neq_f32_e32 vcc, 0, v1
	v_cndmask_b32_e32 v6, v6, v0, vcc
.LBB163_1505:
	s_or_b64 exec, exec, s[8:9]
.LBB163_1506:
	s_andn2_saveexec_b64 s[6:7], s[6:7]
; %bb.1507:
	v_cmp_eq_f32_e32 vcc, 1.0, v5
	v_cmp_eq_f32_e64 s[4:5], 2.0, v5
	s_or_b64 s[4:5], vcc, s[4:5]
	v_cndmask_b32_e64 v6, v6, 0, s[4:5]
; %bb.1508:
	s_or_b64 exec, exec, s[6:7]
	v_add_u32_e32 v9, s11, v7
	v_ashrrev_i32_e32 v1, 31, v9
	v_mov_b32_e32 v7, s15
	v_add_co_u32_e32 v0, vcc, s14, v9
	s_cmp_lt_i32 s26, 11
	v_addc_co_u32_e32 v1, vcc, v7, v1, vcc
	s_cbranch_scc1 .LBB163_1515
; %bb.1509:
	s_cmp_gt_i32 s26, 25
	s_mov_b64 s[6:7], 0
	s_cbranch_scc0 .LBB163_1517
; %bb.1510:
	s_cmp_gt_i32 s26, 28
	s_cbranch_scc0 .LBB163_1518
; %bb.1511:
	s_cmp_gt_i32 s26, 43
	;; [unrolled: 3-line block ×3, first 2 shown]
	s_cbranch_scc0 .LBB163_1521
; %bb.1513:
	s_cmp_eq_u32 s26, 46
	s_mov_b64 s[22:23], 0
	s_cbranch_scc0 .LBB163_1522
; %bb.1514:
	global_load_dword v7, v[0:1], off
	s_mov_b64 s[4:5], 0
	s_mov_b64 s[8:9], -1
	s_branch .LBB163_1523
.LBB163_1515:
	s_mov_b64 s[8:9], 0
                                        ; implicit-def: $vgpr7
	s_cbranch_execnz .LBB163_1589
.LBB163_1516:
	s_andn2_b64 vcc, exec, s[8:9]
	s_cbranch_vccnz .LBB163_2276
	s_branch .LBB163_1637
.LBB163_1517:
	s_mov_b64 s[22:23], -1
	s_mov_b64 s[8:9], 0
	s_mov_b64 s[4:5], 0
                                        ; implicit-def: $vgpr7
	s_branch .LBB163_1552
.LBB163_1518:
	s_mov_b64 s[22:23], -1
	s_mov_b64 s[8:9], 0
	s_mov_b64 s[4:5], 0
                                        ; implicit-def: $vgpr7
	s_branch .LBB163_1533
.LBB163_1519:
	s_mov_b64 s[22:23], -1
	s_mov_b64 s[8:9], 0
	s_mov_b64 s[4:5], 0
                                        ; implicit-def: $vgpr7
	s_branch .LBB163_1528
.LBB163_1520:
	s_trap 2
	s_or_b64 s[20:21], s[20:21], exec
	s_cbranch_execz .LBB163_1421
	s_branch .LBB163_1422
.LBB163_1521:
	s_mov_b64 s[22:23], -1
	s_mov_b64 s[8:9], 0
	s_mov_b64 s[4:5], 0
                                        ; implicit-def: $vgpr7
	s_branch .LBB163_1523
.LBB163_1522:
	s_mov_b64 s[4:5], -1
                                        ; implicit-def: $vgpr7
	s_mov_b64 s[8:9], 0
.LBB163_1523:
	s_and_b64 vcc, exec, s[22:23]
	s_cbranch_vccz .LBB163_1527
; %bb.1524:
	s_cmp_eq_u32 s26, 44
	s_cbranch_scc0 .LBB163_1526
; %bb.1525:
	global_load_ubyte v7, v[0:1], off
	s_movk_i32 s8, 0xff
	v_mov_b32_e32 v8, 0x7f800001
	v_mov_b32_e32 v10, 0x400000
	;; [unrolled: 1-line block ×3, first 2 shown]
	s_mov_b64 s[4:5], 0
	s_waitcnt vmcnt(0)
	v_lshlrev_b32_e32 v12, 23, v7
	v_cmp_ne_u32_e32 vcc, s8, v7
	v_cndmask_b32_e32 v8, v8, v12, vcc
	v_cmp_ne_u32_e32 vcc, 0, v7
	v_cndmask_b32_e32 v7, v10, v8, vcc
	v_add_u32_e32 v8, 0x7fff, v7
	v_cmp_o_f32_e32 vcc, v7, v7
	v_cndmask_b32_sdwa v7, v11, v8, vcc dst_sel:DWORD dst_unused:UNUSED_PAD src0_sel:DWORD src1_sel:WORD_1
	s_mov_b64 s[8:9], -1
	s_branch .LBB163_1527
.LBB163_1526:
	s_mov_b64 s[4:5], -1
                                        ; implicit-def: $vgpr7
.LBB163_1527:
	s_mov_b64 s[22:23], 0
.LBB163_1528:
	s_and_b64 vcc, exec, s[22:23]
	s_cbranch_vccz .LBB163_1532
; %bb.1529:
	s_cmp_eq_u32 s26, 29
	s_cbranch_scc0 .LBB163_1531
; %bb.1530:
	global_load_dwordx2 v[7:8], v[0:1], off
	s_movk_i32 s8, 0x7fff
	s_mov_b64 s[4:5], 0
	s_mov_b64 s[22:23], 0
	s_waitcnt vmcnt(0)
	v_ffbh_u32_e32 v10, v8
	v_min_u32_e32 v10, 32, v10
	v_lshlrev_b64 v[7:8], v10, v[7:8]
	v_min_u32_e32 v7, 1, v7
	v_or_b32_e32 v7, v8, v7
	v_cvt_f32_u32_e32 v7, v7
	v_sub_u32_e32 v8, 32, v10
	v_ldexp_f32 v7, v7, v8
	v_bfe_u32 v8, v7, 16, 1
	v_add3_u32 v7, v7, v8, s8
	v_lshrrev_b32_e32 v7, 16, v7
	s_mov_b64 s[8:9], -1
	s_branch .LBB163_1533
.LBB163_1531:
	s_mov_b64 s[4:5], -1
                                        ; implicit-def: $vgpr7
.LBB163_1532:
	s_mov_b64 s[22:23], 0
.LBB163_1533:
	s_and_b64 vcc, exec, s[22:23]
	s_cbranch_vccz .LBB163_1551
; %bb.1534:
	s_cmp_lt_i32 s26, 27
	s_cbranch_scc1 .LBB163_1537
; %bb.1535:
	s_cmp_gt_i32 s26, 27
	s_cbranch_scc0 .LBB163_1538
; %bb.1536:
	global_load_dword v7, v[0:1], off
	s_movk_i32 s8, 0x7fff
	s_waitcnt vmcnt(0)
	v_cvt_f32_u32_e32 v7, v7
	v_bfe_u32 v8, v7, 16, 1
	v_add3_u32 v7, v7, v8, s8
	v_lshrrev_b32_e32 v7, 16, v7
	s_mov_b64 s[8:9], 0
	s_branch .LBB163_1539
.LBB163_1537:
	s_mov_b64 s[8:9], -1
                                        ; implicit-def: $vgpr7
	s_branch .LBB163_1542
.LBB163_1538:
	s_mov_b64 s[8:9], -1
                                        ; implicit-def: $vgpr7
.LBB163_1539:
	s_andn2_b64 vcc, exec, s[8:9]
	s_cbranch_vccnz .LBB163_1541
; %bb.1540:
	global_load_ushort v7, v[0:1], off
	s_movk_i32 s8, 0x7fff
	s_waitcnt vmcnt(0)
	v_cvt_f32_u32_e32 v7, v7
	v_bfe_u32 v8, v7, 16, 1
	v_add3_u32 v7, v7, v8, s8
	v_lshrrev_b32_e32 v7, 16, v7
.LBB163_1541:
	s_mov_b64 s[8:9], 0
.LBB163_1542:
	s_andn2_b64 vcc, exec, s[8:9]
	s_cbranch_vccnz .LBB163_1550
; %bb.1543:
	global_load_ubyte v7, v[0:1], off
	s_movk_i32 s8, 0x7f
	s_waitcnt vmcnt(0)
	v_cmp_lt_i16_e32 vcc, s8, v7
	s_mov_b64 s[8:9], 0
	s_and_saveexec_b64 s[22:23], vcc
	s_xor_b64 s[22:23], exec, s[22:23]
	s_cbranch_execz .LBB163_1564
; %bb.1544:
	s_movk_i32 s8, 0x80
	v_cmp_eq_u16_e32 vcc, s8, v7
	s_mov_b64 s[8:9], -1
	s_and_saveexec_b64 s[24:25], vcc
; %bb.1545:
	s_xor_b64 s[8:9], exec, -1
; %bb.1546:
	s_or_b64 exec, exec, s[24:25]
	s_and_b64 s[8:9], s[8:9], exec
	s_or_saveexec_b64 s[22:23], s[22:23]
	v_mov_b32_e32 v8, 0x7f800001
	s_xor_b64 exec, exec, s[22:23]
	s_cbranch_execnz .LBB163_1565
.LBB163_1547:
	s_or_b64 exec, exec, s[22:23]
	s_and_saveexec_b64 s[22:23], s[8:9]
	s_cbranch_execz .LBB163_1549
.LBB163_1548:
	v_lshlrev_b32_e32 v8, 24, v7
	v_and_b32_e32 v7, 0xffff, v7
	v_and_b32_e32 v10, 7, v7
	v_ffbh_u32_e32 v12, v10
	v_min_u32_e32 v12, 32, v12
	v_subrev_u32_e32 v13, 28, v12
	v_bfe_u32 v11, v7, 3, 4
	v_lshlrev_b32_e32 v7, v13, v7
	v_sub_u32_e32 v12, 29, v12
	v_and_b32_e32 v7, 7, v7
	v_cmp_eq_u32_e32 vcc, 0, v11
	v_cndmask_b32_e32 v11, v11, v12, vcc
	v_cndmask_b32_e32 v7, v10, v7, vcc
	v_mov_b32_e32 v10, 0x3b800000
	v_lshlrev_b32_e32 v7, 20, v7
	v_and_b32_e32 v8, 0x80000000, v8
	v_lshl_add_u32 v10, v11, 23, v10
	v_or3_b32 v8, v8, v10, v7
.LBB163_1549:
	s_or_b64 exec, exec, s[22:23]
	v_bfe_u32 v7, v8, 16, 1
	s_movk_i32 s8, 0x7fff
	v_add3_u32 v7, v8, v7, s8
	v_cmp_o_f32_e32 vcc, v8, v8
	v_mov_b32_e32 v8, 0x7fc0
	v_cndmask_b32_sdwa v7, v8, v7, vcc dst_sel:DWORD dst_unused:UNUSED_PAD src0_sel:DWORD src1_sel:WORD_1
.LBB163_1550:
	s_mov_b64 s[8:9], -1
.LBB163_1551:
	s_mov_b64 s[22:23], 0
.LBB163_1552:
	s_and_b64 vcc, exec, s[22:23]
	s_cbranch_vccz .LBB163_1585
; %bb.1553:
	s_cmp_gt_i32 s26, 22
	s_cbranch_scc0 .LBB163_1563
; %bb.1554:
	s_cmp_lt_i32 s26, 24
	s_cbranch_scc1 .LBB163_1566
; %bb.1555:
	s_cmp_gt_i32 s26, 24
	s_cbranch_scc0 .LBB163_1567
; %bb.1556:
	global_load_ubyte v7, v[0:1], off
	s_movk_i32 s6, 0x7f
	s_waitcnt vmcnt(0)
	v_cmp_lt_i16_e32 vcc, s6, v7
	s_mov_b64 s[6:7], 0
	s_and_saveexec_b64 s[8:9], vcc
	s_xor_b64 s[8:9], exec, s[8:9]
	s_cbranch_execz .LBB163_1579
; %bb.1557:
	s_movk_i32 s6, 0x80
	v_cmp_eq_u16_e32 vcc, s6, v7
	s_mov_b64 s[6:7], -1
	s_and_saveexec_b64 s[22:23], vcc
; %bb.1558:
	s_xor_b64 s[6:7], exec, -1
; %bb.1559:
	s_or_b64 exec, exec, s[22:23]
	s_and_b64 s[6:7], s[6:7], exec
	s_or_saveexec_b64 s[8:9], s[8:9]
	v_mov_b32_e32 v8, 0x7f800001
	s_xor_b64 exec, exec, s[8:9]
	s_cbranch_execnz .LBB163_1580
.LBB163_1560:
	s_or_b64 exec, exec, s[8:9]
	s_and_saveexec_b64 s[8:9], s[6:7]
	s_cbranch_execz .LBB163_1562
.LBB163_1561:
	v_lshlrev_b32_e32 v8, 24, v7
	v_and_b32_e32 v7, 0xffff, v7
	v_and_b32_e32 v10, 3, v7
	v_ffbh_u32_e32 v12, v10
	v_min_u32_e32 v12, 32, v12
	v_subrev_u32_e32 v13, 29, v12
	v_bfe_u32 v11, v7, 2, 5
	v_lshlrev_b32_e32 v7, v13, v7
	v_sub_u32_e32 v12, 30, v12
	v_and_b32_e32 v7, 3, v7
	v_cmp_eq_u32_e32 vcc, 0, v11
	v_cndmask_b32_e32 v11, v11, v12, vcc
	v_cndmask_b32_e32 v7, v10, v7, vcc
	v_mov_b32_e32 v10, 0x37800000
	v_lshlrev_b32_e32 v7, 21, v7
	v_and_b32_e32 v8, 0x80000000, v8
	v_lshl_add_u32 v10, v11, 23, v10
	v_or3_b32 v8, v8, v10, v7
.LBB163_1562:
	s_or_b64 exec, exec, s[8:9]
	v_bfe_u32 v7, v8, 16, 1
	s_movk_i32 s6, 0x7fff
	v_add3_u32 v7, v8, v7, s6
	v_cmp_o_f32_e32 vcc, v8, v8
	v_mov_b32_e32 v8, 0x7fc0
	v_cndmask_b32_sdwa v7, v8, v7, vcc dst_sel:DWORD dst_unused:UNUSED_PAD src0_sel:DWORD src1_sel:WORD_1
	s_mov_b64 s[6:7], 0
	s_branch .LBB163_1568
.LBB163_1563:
	s_mov_b64 s[6:7], -1
                                        ; implicit-def: $vgpr7
	s_branch .LBB163_1574
.LBB163_1564:
	s_or_saveexec_b64 s[22:23], s[22:23]
	v_mov_b32_e32 v8, 0x7f800001
	s_xor_b64 exec, exec, s[22:23]
	s_cbranch_execz .LBB163_1547
.LBB163_1565:
	v_cmp_ne_u16_e32 vcc, 0, v7
	s_andn2_b64 s[8:9], s[8:9], exec
	s_and_b64 s[24:25], vcc, exec
	v_mov_b32_e32 v8, 0
	s_or_b64 s[8:9], s[8:9], s[24:25]
	s_or_b64 exec, exec, s[22:23]
	s_and_saveexec_b64 s[22:23], s[8:9]
	s_cbranch_execnz .LBB163_1548
	s_branch .LBB163_1549
.LBB163_1566:
	s_mov_b64 s[6:7], -1
                                        ; implicit-def: $vgpr7
	s_branch .LBB163_1571
.LBB163_1567:
	s_mov_b64 s[6:7], -1
                                        ; implicit-def: $vgpr7
.LBB163_1568:
	s_and_b64 vcc, exec, s[6:7]
	s_cbranch_vccz .LBB163_1570
; %bb.1569:
	global_load_ubyte v7, v[0:1], off
	s_mov_b32 s6, 0x7f800000
	s_brev_b32 s7, 1
	s_movk_i32 s8, 0x7fff
	s_waitcnt vmcnt(0)
	v_lshlrev_b32_e32 v7, 24, v7
	v_and_b32_e32 v8, 0x7f000000, v7
	v_ffbh_u32_e32 v10, v8
	v_min_u32_e32 v10, 32, v10
	v_sub_u32_e64 v10, v10, 4 clamp
	v_lshlrev_b32_e32 v12, v10, v8
	v_lshlrev_b32_e32 v10, 23, v10
	v_lshrrev_b32_e32 v12, 4, v12
	v_add_u32_e32 v11, 0x1000000, v8
	v_sub_u32_e32 v10, v12, v10
	v_ashrrev_i32_e32 v11, 8, v11
	v_add_u32_e32 v10, 0x3c000000, v10
	v_and_or_b32 v10, v11, s6, v10
	v_cmp_ne_u32_e32 vcc, 0, v8
	v_cndmask_b32_e32 v8, 0, v10, vcc
	v_and_or_b32 v7, v7, s7, v8
	v_bfe_u32 v8, v8, 16, 1
	v_add3_u32 v8, v7, v8, s8
	v_cmp_o_f32_e32 vcc, v7, v7
	v_mov_b32_e32 v7, 0x7fc0
	v_cndmask_b32_sdwa v7, v7, v8, vcc dst_sel:DWORD dst_unused:UNUSED_PAD src0_sel:DWORD src1_sel:WORD_1
.LBB163_1570:
	s_mov_b64 s[6:7], 0
.LBB163_1571:
	s_andn2_b64 vcc, exec, s[6:7]
	s_cbranch_vccnz .LBB163_1573
; %bb.1572:
	global_load_ubyte v7, v[0:1], off
	s_movk_i32 s6, 0x7f00
	s_brev_b32 s7, 16
	s_brev_b32 s8, 1
	s_movk_i32 s9, 0x7fff
	s_waitcnt vmcnt(0)
	v_lshlrev_b16_e32 v8, 8, v7
	v_lshlrev_b32_e32 v7, 25, v7
	v_lshrrev_b32_e32 v10, 4, v7
	v_and_or_b32 v11, v8, s6, 0.5
	v_or_b32_e32 v10, 0x70000000, v10
	v_add_f32_e32 v11, -0.5, v11
	v_mul_f32_e32 v10, 0x7800000, v10
	v_cmp_gt_u32_e32 vcc, s7, v7
	v_bfe_i32 v8, v8, 0, 16
	v_cndmask_b32_e32 v7, v10, v11, vcc
	v_and_or_b32 v8, v8, s8, v7
	v_bfe_u32 v7, v7, 16, 1
	v_add3_u32 v7, v8, v7, s9
	v_cmp_o_f32_e32 vcc, v8, v8
	v_mov_b32_e32 v8, 0x7fc0
	v_cndmask_b32_sdwa v7, v8, v7, vcc dst_sel:DWORD dst_unused:UNUSED_PAD src0_sel:DWORD src1_sel:WORD_1
.LBB163_1573:
	s_mov_b64 s[6:7], 0
	s_mov_b64 s[8:9], -1
.LBB163_1574:
	s_andn2_b64 vcc, exec, s[6:7]
	s_mov_b64 s[6:7], 0
	s_cbranch_vccnz .LBB163_1585
; %bb.1575:
	s_cmp_gt_i32 s26, 14
	s_cbranch_scc0 .LBB163_1578
; %bb.1576:
	s_cmp_eq_u32 s26, 15
	s_cbranch_scc0 .LBB163_1581
; %bb.1577:
	global_load_ushort v7, v[0:1], off
	s_mov_b64 s[4:5], 0
	s_mov_b64 s[8:9], -1
	s_branch .LBB163_1582
.LBB163_1578:
	s_mov_b64 s[22:23], -1
                                        ; implicit-def: $vgpr7
	s_branch .LBB163_1583
.LBB163_1579:
	s_or_saveexec_b64 s[8:9], s[8:9]
	v_mov_b32_e32 v8, 0x7f800001
	s_xor_b64 exec, exec, s[8:9]
	s_cbranch_execz .LBB163_1560
.LBB163_1580:
	v_cmp_ne_u16_e32 vcc, 0, v7
	s_andn2_b64 s[6:7], s[6:7], exec
	s_and_b64 s[22:23], vcc, exec
	v_mov_b32_e32 v8, 0
	s_or_b64 s[6:7], s[6:7], s[22:23]
	s_or_b64 exec, exec, s[8:9]
	s_and_saveexec_b64 s[8:9], s[6:7]
	s_cbranch_execnz .LBB163_1561
	s_branch .LBB163_1562
.LBB163_1581:
	s_mov_b64 s[4:5], -1
                                        ; implicit-def: $vgpr7
.LBB163_1582:
	s_mov_b64 s[22:23], 0
.LBB163_1583:
	s_and_b64 vcc, exec, s[22:23]
	s_cbranch_vccz .LBB163_1585
; %bb.1584:
	s_cmp_lg_u32 s26, 11
	s_mov_b64 s[6:7], -1
	s_cselect_b64 s[4:5], -1, 0
.LBB163_1585:
	s_and_b64 vcc, exec, s[4:5]
	s_cbranch_vccnz .LBB163_1686
; %bb.1586:
	s_andn2_b64 vcc, exec, s[6:7]
	s_cbranch_vccnz .LBB163_1588
.LBB163_1587:
	global_load_ubyte v7, v[0:1], off
	s_mov_b64 s[8:9], -1
	s_waitcnt vmcnt(0)
	v_cmp_ne_u16_e32 vcc, 0, v7
	v_cndmask_b32_e64 v7, 0, 1.0, vcc
	v_lshrrev_b32_e32 v7, 16, v7
.LBB163_1588:
	s_branch .LBB163_1516
.LBB163_1589:
	s_cmp_lt_i32 s26, 5
	s_cbranch_scc1 .LBB163_1594
; %bb.1590:
	s_cmp_lt_i32 s26, 8
	s_cbranch_scc1 .LBB163_1595
; %bb.1591:
	;; [unrolled: 3-line block ×3, first 2 shown]
	s_cmp_gt_i32 s26, 9
	s_cbranch_scc0 .LBB163_1597
; %bb.1593:
	global_load_dwordx2 v[7:8], v[0:1], off
	s_movk_i32 s4, 0x7fff
	s_waitcnt vmcnt(0)
	v_cvt_f32_f64_e32 v7, v[7:8]
	v_mov_b32_e32 v8, 0x7fc0
	v_bfe_u32 v10, v7, 16, 1
	v_cmp_o_f32_e32 vcc, v7, v7
	v_add3_u32 v7, v7, v10, s4
	v_cndmask_b32_sdwa v7, v8, v7, vcc dst_sel:DWORD dst_unused:UNUSED_PAD src0_sel:DWORD src1_sel:WORD_1
	s_mov_b64 s[4:5], 0
	s_branch .LBB163_1598
.LBB163_1594:
	s_mov_b64 s[4:5], -1
                                        ; implicit-def: $vgpr7
	s_branch .LBB163_1616
.LBB163_1595:
	s_mov_b64 s[4:5], -1
                                        ; implicit-def: $vgpr7
	s_branch .LBB163_1604
.LBB163_1596:
	s_mov_b64 s[4:5], -1
                                        ; implicit-def: $vgpr7
	s_branch .LBB163_1601
.LBB163_1597:
	s_mov_b64 s[4:5], -1
                                        ; implicit-def: $vgpr7
.LBB163_1598:
	s_andn2_b64 vcc, exec, s[4:5]
	s_cbranch_vccnz .LBB163_1600
; %bb.1599:
	global_load_dword v7, v[0:1], off
	s_movk_i32 s4, 0x7fff
	v_mov_b32_e32 v8, 0x7fc0
	s_waitcnt vmcnt(0)
	v_bfe_u32 v10, v7, 16, 1
	v_cmp_o_f32_e32 vcc, v7, v7
	v_add3_u32 v7, v7, v10, s4
	v_cndmask_b32_sdwa v7, v8, v7, vcc dst_sel:DWORD dst_unused:UNUSED_PAD src0_sel:DWORD src1_sel:WORD_1
.LBB163_1600:
	s_mov_b64 s[4:5], 0
.LBB163_1601:
	s_andn2_b64 vcc, exec, s[4:5]
	s_cbranch_vccnz .LBB163_1603
; %bb.1602:
	global_load_dword v7, v[0:1], off
	s_movk_i32 s4, 0x7fff
	v_mov_b32_e32 v10, 0x7fc0
	s_waitcnt vmcnt(0)
	v_cvt_f32_f16_e32 v8, v7
	v_cmp_o_f16_e32 vcc, v7, v7
	v_bfe_u32 v7, v8, 16, 1
	v_add3_u32 v7, v8, v7, s4
	v_cndmask_b32_sdwa v7, v10, v7, vcc dst_sel:DWORD dst_unused:UNUSED_PAD src0_sel:DWORD src1_sel:WORD_1
.LBB163_1603:
	s_mov_b64 s[4:5], 0
.LBB163_1604:
	s_andn2_b64 vcc, exec, s[4:5]
	s_cbranch_vccnz .LBB163_1615
; %bb.1605:
	s_cmp_lt_i32 s26, 6
	s_cbranch_scc1 .LBB163_1608
; %bb.1606:
	s_cmp_gt_i32 s26, 6
	s_cbranch_scc0 .LBB163_1609
; %bb.1607:
	global_load_dwordx2 v[7:8], v[0:1], off
	s_movk_i32 s4, 0x7fff
	s_waitcnt vmcnt(0)
	v_cvt_f32_f64_e32 v7, v[7:8]
	v_mov_b32_e32 v8, 0x7fc0
	v_bfe_u32 v10, v7, 16, 1
	v_cmp_o_f32_e32 vcc, v7, v7
	v_add3_u32 v7, v7, v10, s4
	v_cndmask_b32_sdwa v7, v8, v7, vcc dst_sel:DWORD dst_unused:UNUSED_PAD src0_sel:DWORD src1_sel:WORD_1
	s_mov_b64 s[4:5], 0
	s_branch .LBB163_1610
.LBB163_1608:
	s_mov_b64 s[4:5], -1
                                        ; implicit-def: $vgpr7
	s_branch .LBB163_1613
.LBB163_1609:
	s_mov_b64 s[4:5], -1
                                        ; implicit-def: $vgpr7
.LBB163_1610:
	s_andn2_b64 vcc, exec, s[4:5]
	s_cbranch_vccnz .LBB163_1612
; %bb.1611:
	global_load_dword v7, v[0:1], off
	s_movk_i32 s4, 0x7fff
	v_mov_b32_e32 v8, 0x7fc0
	s_waitcnt vmcnt(0)
	v_bfe_u32 v10, v7, 16, 1
	v_cmp_o_f32_e32 vcc, v7, v7
	v_add3_u32 v7, v7, v10, s4
	v_cndmask_b32_sdwa v7, v8, v7, vcc dst_sel:DWORD dst_unused:UNUSED_PAD src0_sel:DWORD src1_sel:WORD_1
.LBB163_1612:
	s_mov_b64 s[4:5], 0
.LBB163_1613:
	s_andn2_b64 vcc, exec, s[4:5]
	s_cbranch_vccnz .LBB163_1615
; %bb.1614:
	global_load_ushort v7, v[0:1], off
	s_movk_i32 s4, 0x7fff
	v_mov_b32_e32 v10, 0x7fc0
	s_waitcnt vmcnt(0)
	v_cvt_f32_f16_e32 v8, v7
	v_cmp_o_f16_e32 vcc, v7, v7
	v_bfe_u32 v7, v8, 16, 1
	v_add3_u32 v7, v8, v7, s4
	v_cndmask_b32_sdwa v7, v10, v7, vcc dst_sel:DWORD dst_unused:UNUSED_PAD src0_sel:DWORD src1_sel:WORD_1
.LBB163_1615:
	s_mov_b64 s[4:5], 0
.LBB163_1616:
	s_andn2_b64 vcc, exec, s[4:5]
	s_cbranch_vccnz .LBB163_1636
; %bb.1617:
	s_cmp_lt_i32 s26, 2
	s_cbranch_scc1 .LBB163_1621
; %bb.1618:
	s_cmp_lt_i32 s26, 3
	s_cbranch_scc1 .LBB163_1622
; %bb.1619:
	s_cmp_gt_i32 s26, 3
	s_cbranch_scc0 .LBB163_1623
; %bb.1620:
	global_load_dwordx2 v[7:8], v[0:1], off
	s_movk_i32 s4, 0x7fff
	s_waitcnt vmcnt(0)
	v_xor_b32_e32 v11, v7, v8
	v_ffbh_i32_e32 v10, v8
	v_ashrrev_i32_e32 v11, 31, v11
	v_add_u32_e32 v10, -1, v10
	v_add_u32_e32 v11, 32, v11
	v_min_u32_e32 v10, v10, v11
	v_lshlrev_b64 v[7:8], v10, v[7:8]
	v_min_u32_e32 v7, 1, v7
	v_or_b32_e32 v7, v8, v7
	v_cvt_f32_i32_e32 v7, v7
	v_sub_u32_e32 v8, 32, v10
	v_ldexp_f32 v7, v7, v8
	v_bfe_u32 v8, v7, 16, 1
	v_add3_u32 v7, v7, v8, s4
	v_lshrrev_b32_e32 v7, 16, v7
	s_mov_b64 s[4:5], 0
	s_branch .LBB163_1624
.LBB163_1621:
	s_mov_b64 s[4:5], -1
                                        ; implicit-def: $vgpr7
	s_branch .LBB163_1630
.LBB163_1622:
	s_mov_b64 s[4:5], -1
                                        ; implicit-def: $vgpr7
	s_branch .LBB163_1627
.LBB163_1623:
	s_mov_b64 s[4:5], -1
                                        ; implicit-def: $vgpr7
.LBB163_1624:
	s_andn2_b64 vcc, exec, s[4:5]
	s_cbranch_vccnz .LBB163_1626
; %bb.1625:
	global_load_dword v7, v[0:1], off
	s_movk_i32 s4, 0x7fff
	s_waitcnt vmcnt(0)
	v_cvt_f32_i32_e32 v7, v7
	v_bfe_u32 v8, v7, 16, 1
	v_add3_u32 v7, v7, v8, s4
	v_lshrrev_b32_e32 v7, 16, v7
.LBB163_1626:
	s_mov_b64 s[4:5], 0
.LBB163_1627:
	s_andn2_b64 vcc, exec, s[4:5]
	s_cbranch_vccnz .LBB163_1629
; %bb.1628:
	global_load_sshort v7, v[0:1], off
	s_movk_i32 s4, 0x7fff
	s_waitcnt vmcnt(0)
	v_cvt_f32_i32_e32 v7, v7
	v_bfe_u32 v8, v7, 16, 1
	v_add3_u32 v7, v7, v8, s4
	v_lshrrev_b32_e32 v7, 16, v7
.LBB163_1629:
	s_mov_b64 s[4:5], 0
.LBB163_1630:
	s_andn2_b64 vcc, exec, s[4:5]
	s_cbranch_vccnz .LBB163_1636
; %bb.1631:
	s_cmp_gt_i32 s26, 0
	s_cbranch_scc0 .LBB163_1633
; %bb.1632:
	global_load_sbyte v7, v[0:1], off
	s_movk_i32 s4, 0x7fff
	s_waitcnt vmcnt(0)
	v_cvt_f32_i32_e32 v7, v7
	v_bfe_u32 v8, v7, 16, 1
	v_add3_u32 v7, v7, v8, s4
	v_lshrrev_b32_e32 v7, 16, v7
	s_mov_b64 s[4:5], 0
	s_branch .LBB163_1634
.LBB163_1633:
	s_mov_b64 s[4:5], -1
                                        ; implicit-def: $vgpr7
.LBB163_1634:
	s_andn2_b64 vcc, exec, s[4:5]
	s_cbranch_vccnz .LBB163_1636
; %bb.1635:
	global_load_ubyte v0, v[0:1], off
	s_movk_i32 s4, 0x7fff
	s_waitcnt vmcnt(0)
	v_cvt_f32_ubyte0_e32 v0, v0
	v_bfe_u32 v1, v0, 16, 1
	v_add3_u32 v0, v0, v1, s4
	v_lshrrev_b32_e32 v7, 16, v0
.LBB163_1636:
.LBB163_1637:
	s_waitcnt vmcnt(0)
	v_lshlrev_b32_e32 v7, 16, v7
	s_mov_b32 s4, 0x3c800000
	v_and_b32_e32 v0, 0x7fffffff, v7
	v_cmp_nlt_f32_e64 s[4:5], |v7|, s4
                                        ; implicit-def: $vgpr8
	s_and_saveexec_b64 s[6:7], s[4:5]
	s_xor_b64 s[6:7], exec, s[6:7]
	s_cbranch_execz .LBB163_1667
; %bb.1638:
	v_cmp_nlt_f32_e64 s[4:5], |v7|, 2.0
                                        ; implicit-def: $vgpr8
	s_and_saveexec_b64 s[8:9], s[4:5]
	s_xor_b64 s[8:9], exec, s[8:9]
	s_cbranch_execz .LBB163_1648
; %bb.1639:
	s_mov_b32 s4, 0x41000000
	v_cmp_nlt_f32_e64 s[4:5], |v7|, s4
                                        ; implicit-def: $vgpr8
	s_and_saveexec_b64 s[22:23], s[4:5]
	s_xor_b64 s[22:23], exec, s[22:23]
	s_cbranch_execz .LBB163_1645
; %bb.1640:
	s_mov_b32 s4, 0x5c800000
	v_cmp_nlt_f32_e64 s[4:5], |v7|, s4
                                        ; implicit-def: $vgpr8
	s_and_saveexec_b64 s[24:25], s[4:5]
	s_xor_b64 s[24:25], exec, s[24:25]
	s_cbranch_execz .LBB163_1642
; %bb.1641:
	s_mov_b32 s4, 0x800000
	v_cmp_lt_f32_e64 vcc, |v7|, s4
	v_cndmask_b32_e64 v1, 0, 32, vcc
	v_ldexp_f32 v1, |v7|, v1
	v_log_f32_e32 v1, v1
	s_mov_b32 s4, 0x3f317217
	s_mov_b32 s5, 0x7f800000
	v_mul_f32_e32 v8, 0x3f317217, v1
	v_fma_f32 v10, v1, s4, -v8
	v_fmac_f32_e32 v10, 0x3377d1cf, v1
	v_add_f32_e32 v8, v8, v10
	v_cmp_lt_f32_e64 s[4:5], |v1|, s5
	v_cndmask_b32_e64 v1, v1, v8, s[4:5]
	v_mov_b32_e32 v8, 0x41b17218
	v_cndmask_b32_e32 v8, 0, v8, vcc
	v_sub_f32_e32 v1, v1, v8
	v_fma_f32 v8, |v7|, v1, -|v7|
.LBB163_1642:
	s_andn2_saveexec_b64 s[24:25], s[24:25]
	s_cbranch_execz .LBB163_1644
; %bb.1643:
	v_rcp_f32_e64 v1, |v7|
	v_mov_b32_e32 v8, 0x3a5b3dd2
	v_mov_b32_e32 v10, 0xba1c065c
	;; [unrolled: 1-line block ×3, first 2 shown]
	v_mul_f32_e32 v12, v1, v1
	v_fmac_f32_e32 v8, 0xbad5c4e8, v12
	v_fmac_f32_e32 v10, v12, v8
	s_mov_b32 s4, 0x800000
	v_fmac_f32_e32 v11, v12, v10
	v_mov_b32_e32 v8, 0xbb360b61
	v_cmp_lt_f32_e64 vcc, |v7|, s4
	v_fmac_f32_e32 v8, v12, v11
	v_cndmask_b32_e64 v11, 0, 32, vcc
	v_ldexp_f32 v11, |v7|, v11
	v_log_f32_e32 v11, v11
	v_mov_b32_e32 v10, 0x3daaaaab
	v_fmac_f32_e32 v10, v12, v8
	v_mov_b32_e32 v8, 0x3ed67f1d
	v_fmac_f32_e32 v8, v1, v10
	s_mov_b32 s4, 0x3f317217
	v_mul_f32_e32 v10, 0x3f317217, v11
	v_fma_f32 v12, v11, s4, -v10
	v_fmac_f32_e32 v12, 0x3377d1cf, v11
	s_mov_b32 s4, 0x7f800000
	v_add_f32_e32 v10, v10, v12
	v_cmp_lt_f32_e64 s[4:5], |v11|, s4
	v_cndmask_b32_e64 v10, v11, v10, s[4:5]
	v_mov_b32_e32 v11, 0x41b17218
	v_cndmask_b32_e32 v11, 0, v11, vcc
	v_sub_f32_e32 v10, v10, v11
	v_add_f32_e64 v1, |v7|, -0.5
	v_add_f32_e32 v10, -1.0, v10
	v_fmac_f32_e32 v8, v1, v10
.LBB163_1644:
	s_or_b64 exec, exec, s[24:25]
.LBB163_1645:
	s_andn2_saveexec_b64 s[22:23], s[22:23]
	s_cbranch_execz .LBB163_1647
; %bb.1646:
	v_cvt_i32_f32_e32 v1, v0
	v_mov_b32_e32 v8, 0x3af135b4
	v_mov_b32_e32 v10, 0x3cda40e4
	;; [unrolled: 1-line block ×3, first 2 shown]
	v_cvt_f32_i32_e32 v12, v1
	v_mov_b32_e32 v13, 0x3ea6cc7a
	v_mov_b32_e32 v14, 0x3e5c245a
	v_cmp_lt_i32_e32 vcc, 2, v1
	v_sub_f32_e64 v12, |v7|, v12
	v_fmac_f32_e32 v8, 0x3805ff67, v12
	v_fmac_f32_e32 v10, v12, v8
	;; [unrolled: 1-line block ×3, first 2 shown]
	v_mov_b32_e32 v10, 0x3a4beed6
	v_fmac_f32_e32 v13, v12, v11
	v_fmac_f32_e32 v10, 0x36f5d7bd, v12
	v_mov_b32_e32 v11, 0x3c98bf54
	v_fmac_f32_e32 v11, v12, v10
	v_mov_b32_e32 v10, 0x3e300f6e
	;; [unrolled: 2-line block ×4, first 2 shown]
	v_fmac_f32_e32 v10, v12, v11
	v_add_f32_e32 v11, 2.0, v12
	v_mov_b32_e32 v15, 0xbd9e233f
	v_fmac_f32_e32 v14, v12, v13
	v_add_f32_e32 v13, 0x40400000, v12
	v_cndmask_b32_e32 v11, 1.0, v11, vcc
	v_cmp_lt_i32_e32 vcc, 3, v1
	v_fmac_f32_e32 v15, v12, v14
	v_add_f32_e32 v14, 4.0, v12
	v_cndmask_b32_e32 v13, 1.0, v13, vcc
	v_cmp_lt_i32_e32 vcc, 4, v1
	v_mul_f32_e32 v8, v12, v15
	v_add_f32_e32 v15, 0x40a00000, v12
	v_mul_f32_e32 v11, v11, v13
	v_cndmask_b32_e32 v13, 1.0, v14, vcc
	v_cmp_lt_i32_e32 vcc, 5, v1
	v_add_f32_e32 v16, 0x40c00000, v12
	v_mul_f32_e32 v11, v13, v11
	v_cndmask_b32_e32 v13, 1.0, v15, vcc
	v_cmp_lt_i32_e32 vcc, 6, v1
	v_mul_f32_e32 v11, v13, v11
	v_cndmask_b32_e32 v1, 1.0, v16, vcc
	v_mul_f32_e32 v1, v1, v11
	s_mov_b32 s4, 0x800000
	v_cmp_gt_f32_e32 vcc, s4, v1
	v_cndmask_b32_e64 v11, 0, 32, vcc
	v_fma_f32 v10, v12, v10, 1.0
	v_ldexp_f32 v1, v1, v11
	v_rcp_f32_e32 v10, v10
	v_log_f32_e32 v1, v1
	s_mov_b32 s4, 0x3f317217
	v_mul_f32_e32 v8, v8, v10
	v_mul_f32_e32 v10, 0x3f317217, v1
	v_fma_f32 v11, v1, s4, -v10
	v_fmac_f32_e32 v11, 0x3377d1cf, v1
	s_mov_b32 s4, 0x7f800000
	v_add_f32_e32 v10, v10, v11
	v_cmp_lt_f32_e64 s[4:5], |v1|, s4
	v_cndmask_b32_e64 v1, v1, v10, s[4:5]
	v_mov_b32_e32 v10, 0x41b17218
	v_cndmask_b32_e32 v10, 0, v10, vcc
	v_fmac_f32_e32 v8, 0.5, v12
	v_sub_f32_e32 v1, v1, v10
	v_add_f32_e32 v8, v1, v8
.LBB163_1647:
	s_or_b64 exec, exec, s[22:23]
.LBB163_1648:
	s_andn2_saveexec_b64 s[8:9], s[8:9]
	s_cbranch_execz .LBB163_1666
; %bb.1649:
	s_mov_b32 s4, 0x3f666666
	v_cmp_le_f32_e64 s[4:5], |v7|, s4
                                        ; implicit-def: $vgpr8
                                        ; implicit-def: $vgpr10
                                        ; implicit-def: $vgpr1
	s_and_saveexec_b64 s[22:23], s[4:5]
	s_xor_b64 s[22:23], exec, s[22:23]
	s_cbranch_execz .LBB163_1651
; %bb.1650:
	s_mov_b32 s4, 0x800000
	v_cmp_lt_f32_e64 vcc, |v7|, s4
	v_cndmask_b32_e64 v1, 0, 32, vcc
	v_ldexp_f32 v1, |v7|, v1
	v_log_f32_e32 v1, v1
	s_mov_b32 s4, 0x3f317217
	s_mov_b32 s5, 0x7f800000
	v_mul_f32_e32 v8, 0x3f317217, v1
	v_fma_f32 v10, v1, s4, -v8
	v_fmac_f32_e32 v10, 0x3377d1cf, v1
	v_add_f32_e32 v8, v8, v10
	v_cmp_lt_f32_e64 s[4:5], |v1|, s5
	v_cndmask_b32_e64 v1, v1, v8, s[4:5]
	v_mov_b32_e32 v8, 0x41b17218
	v_cndmask_b32_e32 v8, 0, v8, vcc
	v_sub_f32_e32 v1, v1, v8
	s_mov_b32 s4, 0x3f3b4a23
	s_mov_b32 s5, 0xbeec5b0c
	v_xor_b32_e32 v8, 0x80000000, v1
	v_sub_f32_e64 v1, 1.0, |v7|
	v_add_f32_e64 v10, |v7|, s5
	v_cmp_lt_f32_e64 vcc, |v7|, s4
	s_mov_b32 s4, 0x3e6d3309
	v_cndmask_b32_e32 v1, v1, v10, vcc
	v_cndmask_b32_e64 v10, 0, 1, vcc
	v_cmp_lt_f32_e64 s[4:5], |v7|, s4
	v_cndmask_b32_e64 v1, v1, |v7|, s[4:5]
	v_cndmask_b32_e64 v10, v10, 2, s[4:5]
.LBB163_1651:
	s_andn2_saveexec_b64 s[4:5], s[22:23]
	s_cbranch_execz .LBB163_1653
; %bb.1652:
	s_mov_b32 s22, 0x3fdda512
	s_mov_b32 s23, 0xbfbb16c3
	v_sub_f32_e64 v1, 2.0, |v7|
	v_add_f32_e64 v8, |v7|, s23
	v_cmp_lt_f32_e64 vcc, |v7|, s22
	v_cndmask_b32_e32 v8, v1, v8, vcc
	v_cndmask_b32_e64 v1, v1, 1.0, vcc
	v_cvt_i32_f32_e32 v10, v1
	s_mov_b32 s22, 0x3f9d70a4
	v_add_f32_e64 v1, |v7|, -1.0
	v_cmp_lt_f32_e64 vcc, |v7|, s22
	v_cndmask_b32_e32 v1, v8, v1, vcc
	v_cndmask_b32_e64 v10, v10, 2, vcc
	v_mov_b32_e32 v8, 0
.LBB163_1653:
	s_or_b64 exec, exec, s[4:5]
	v_cmp_lt_i32_e32 vcc, 0, v10
	s_and_saveexec_b64 s[4:5], vcc
	s_xor_b64 s[4:5], exec, s[4:5]
	s_cbranch_execz .LBB163_1661
; %bb.1654:
	v_cmp_lt_i32_e32 vcc, 1, v10
	s_and_saveexec_b64 s[22:23], vcc
	s_xor_b64 s[22:23], exec, s[22:23]
	s_cbranch_execz .LBB163_1658
; %bb.1655:
	v_cmp_eq_u32_e32 vcc, 2, v10
	s_and_saveexec_b64 s[24:25], vcc
	s_cbranch_execz .LBB163_1657
; %bb.1656:
	v_mov_b32_e32 v10, 0x3e6a7578
	v_fmac_f32_e32 v10, 0x3c5b3c5e, v1
	v_mov_b32_e32 v11, 0x3f7a4bb2
	v_fmac_f32_e32 v11, v1, v10
	;; [unrolled: 2-line block ×8, first 2 shown]
	v_fma_f32 v10, v1, v12, 1.0
	v_rcp_f32_e32 v10, v10
	v_mov_b32_e32 v12, 0xbd9e233f
	v_fmac_f32_e32 v12, v1, v11
	v_mul_f32_e32 v11, v1, v12
	v_mul_f32_e32 v10, v11, v10
	v_fmac_f32_e32 v10, -0.5, v1
	v_add_f32_e32 v8, v8, v10
.LBB163_1657:
	s_or_b64 exec, exec, s[24:25]
                                        ; implicit-def: $vgpr1
.LBB163_1658:
	s_andn2_saveexec_b64 s[22:23], s[22:23]
	s_cbranch_execz .LBB163_1660
; %bb.1659:
	v_mul_f32_e32 v10, v1, v1
	v_mul_f32_e32 v11, v1, v10
	v_mov_b32_e32 v12, 0xbab7f476
	v_fmac_f32_e32 v12, 0x39a57b6b, v11
	v_mov_b32_e32 v13, 0x3bc7e707
	v_fmac_f32_e32 v13, v11, v12
	;; [unrolled: 2-line block ×12, first 2 shown]
	v_fmac_f32_e32 v14, v1, v15
	s_mov_b32 s24, 0xa2863e55
	v_fma_f32 v1, v11, -v14, s24
	v_fma_f32 v1, v10, v13, -v1
	v_add_f32_e32 v1, 0xbdf8cdce, v1
	v_add_f32_e32 v8, v8, v1
.LBB163_1660:
	s_or_b64 exec, exec, s[22:23]
                                        ; implicit-def: $vgpr10
                                        ; implicit-def: $vgpr1
.LBB163_1661:
	s_andn2_saveexec_b64 s[4:5], s[4:5]
	s_cbranch_execz .LBB163_1665
; %bb.1662:
	v_cmp_eq_u32_e32 vcc, 0, v10
	s_and_saveexec_b64 s[22:23], vcc
	s_cbranch_execz .LBB163_1664
; %bb.1663:
	v_mul_f32_e32 v10, v1, v1
	v_mov_b32_e32 v11, 0x39679767
	v_fmac_f32_e32 v11, 0x37d383a2, v10
	v_mov_b32_e32 v12, 0x3a9c54a1
	v_fmac_f32_e32 v12, v10, v11
	;; [unrolled: 2-line block ×10, first 2 shown]
	v_mul_f32_e32 v10, v10, v12
	v_fmac_f32_e32 v10, v1, v11
	v_fmac_f32_e32 v10, -0.5, v1
	v_add_f32_e32 v8, v8, v10
.LBB163_1664:
	s_or_b64 exec, exec, s[22:23]
.LBB163_1665:
	s_or_b64 exec, exec, s[4:5]
.LBB163_1666:
	s_or_b64 exec, exec, s[8:9]
.LBB163_1667:
	s_andn2_saveexec_b64 s[6:7], s[6:7]
	s_cbranch_execz .LBB163_1669
; %bb.1668:
	s_mov_b32 s4, 0x3e8a8991
	v_mov_b32_e32 v1, 0xbecd26ab
	v_fma_f32 v1, |v7|, s4, v1
	s_mov_b32 s4, 0x3f528d33
	v_fma_f32 v1, |v7|, v1, s4
	s_mov_b32 s4, 0x800000
	v_cmp_lt_f32_e64 vcc, |v7|, s4
	v_cndmask_b32_e64 v8, 0, 32, vcc
	v_ldexp_f32 v8, |v7|, v8
	v_log_f32_e32 v8, v8
	s_mov_b32 s4, 0xbf13c468
	v_fma_f32 v1, |v7|, v1, s4
	s_mov_b32 s4, 0x3f317217
	v_mul_f32_e32 v10, 0x3f317217, v8
	v_fma_f32 v11, v8, s4, -v10
	v_fmac_f32_e32 v11, 0x3377d1cf, v8
	s_mov_b32 s4, 0x7f800000
	v_add_f32_e32 v10, v10, v11
	v_cmp_lt_f32_e64 s[4:5], |v8|, s4
	v_cndmask_b32_e64 v8, v8, v10, s[4:5]
	v_mov_b32_e32 v10, 0x41b17218
	v_cndmask_b32_e32 v10, 0, v10, vcc
	v_sub_f32_e32 v8, v8, v10
	v_fma_f32 v8, |v7|, v1, -v8
.LBB163_1669:
	s_or_b64 exec, exec, s[6:7]
	v_cmp_le_f32_e64 s[4:5], 0, v7
	v_cmp_nle_f32_e32 vcc, 0, v7
	s_and_saveexec_b64 s[6:7], vcc
	s_xor_b64 s[8:9], exec, s[6:7]
	s_cbranch_execz .LBB163_1673
; %bb.1670:
	s_mov_b32 s6, 0x4b000000
	s_mov_b32 s22, 0x35000000
	v_cmp_lt_f32_e64 s[6:7], |v7|, s6
	v_cmp_gt_f32_e64 s[22:23], |v7|, s22
	s_and_b64 s[6:7], s[6:7], s[22:23]
	s_and_saveexec_b64 s[22:23], s[6:7]
	s_cbranch_execz .LBB163_1672
; %bb.1671:
	v_mul_f32_e64 v1, |v7|, 0.5
	v_floor_f32_e32 v10, v1
	v_sub_f32_e32 v10, v1, v10
	v_min_f32_e32 v10, 0x3f7fffff, v10
	s_mov_b32 s24, 0x7f800000
	v_add_f32_e32 v10, v10, v10
	v_cmp_neq_f32_e32 vcc, s24, v1
	v_cndmask_b32_e32 v1, 0, v10, vcc
	v_cmp_gt_f32_e64 s[6:7], |v7|, 1.0
	v_cndmask_b32_e64 v1, |v7|, v1, s[6:7]
	v_add_f32_e32 v10, v1, v1
	v_rndne_f32_e32 v10, v10
	v_fmac_f32_e32 v1, -0.5, v10
	v_mul_f32_e32 v11, v1, v1
	v_mov_b32_e32 v12, 0xbf1f24be
	v_fmac_f32_e32 v12, 0x3e75aa41, v11
	v_mov_b32_e32 v13, 0x40234736
	v_fmac_f32_e32 v13, v11, v12
	;; [unrolled: 2-line block ×3, first 2 shown]
	v_mul_f32_e32 v13, v1, v11
	v_mul_f32_e32 v12, v13, v12
	v_fmac_f32_e32 v12, 0x40490fdb, v1
	v_mov_b32_e32 v1, 0x3e642e9d
	v_cvt_i32_f32_e32 v10, v10
	v_fmac_f32_e32 v1, 0x3d4be544, v11
	v_mov_b32_e32 v13, 0xbfaad1da
	v_fmac_f32_e32 v13, v11, v1
	v_mov_b32_e32 v1, 0x4081e0d3
	;; [unrolled: 2-line block ×3, first 2 shown]
	v_fmac_f32_e32 v13, v11, v1
	v_fma_f32 v1, v11, v13, 1.0
	v_and_b32_e32 v11, 1, v10
	v_cmp_eq_u32_e32 vcc, 0, v11
	v_lshlrev_b32_e32 v10, 30, v10
	s_brev_b32 s6, 1
	v_cndmask_b32_e32 v1, v1, v12, vcc
	v_and_or_b32 v0, v10, s6, v0
	v_xor_b32_e32 v0, v0, v1
	v_xor_b32_e32 v0, v0, v7
	v_mul_f32_e32 v0, v7, v0
	v_frexp_mant_f32_e64 v1, |v0|
	v_rcp_f32_e32 v1, v1
	v_frexp_exp_i32_f32_e32 v0, v0
	v_sub_u32_e32 v0, 2, v0
	s_mov_b32 s6, 0x800000
	v_mul_f32_e32 v1, 0x3f490fdb, v1
	v_ldexp_f32 v0, v1, v0
	v_cmp_gt_f32_e32 vcc, s6, v0
	v_cndmask_b32_e64 v1, 0, 32, vcc
	v_ldexp_f32 v0, v0, v1
	v_log_f32_e32 v0, v0
	s_mov_b32 s6, 0x3f317217
	v_mul_f32_e32 v1, 0x3f317217, v0
	v_fma_f32 v10, v0, s6, -v1
	v_fmac_f32_e32 v10, 0x3377d1cf, v0
	v_add_f32_e32 v1, v1, v10
	v_cmp_lt_f32_e64 s[6:7], |v0|, s24
	v_cndmask_b32_e64 v0, v0, v1, s[6:7]
	v_mov_b32_e32 v1, 0x41b17218
	v_cndmask_b32_e32 v1, 0, v1, vcc
	v_sub_f32_e32 v0, v0, v1
	v_floor_f32_e32 v1, v7
	v_sub_f32_e32 v1, v7, v1
	v_min_f32_e32 v1, 0x3f7fffff, v1
	v_sub_f32_e32 v0, v0, v8
	v_mov_b32_e32 v8, 0x7f800000
	v_cmp_neq_f32_e32 vcc, 0, v1
	v_cndmask_b32_e32 v8, v8, v0, vcc
.LBB163_1672:
	s_or_b64 exec, exec, s[22:23]
.LBB163_1673:
	s_andn2_saveexec_b64 s[8:9], s[8:9]
; %bb.1674:
	v_cmp_eq_f32_e32 vcc, 1.0, v7
	v_cmp_eq_f32_e64 s[6:7], 2.0, v7
	s_or_b64 s[6:7], vcc, s[6:7]
	v_cndmask_b32_e64 v8, v8, 0, s[6:7]
; %bb.1675:
	s_or_b64 exec, exec, s[8:9]
	v_add_u32_e32 v0, s11, v9
	v_ashrrev_i32_e32 v1, 31, v0
	v_mov_b32_e32 v9, s15
	v_add_co_u32_e32 v0, vcc, s14, v0
	s_cmp_lt_i32 s26, 11
	v_addc_co_u32_e32 v1, vcc, v9, v1, vcc
	s_cbranch_scc1 .LBB163_1682
; %bb.1676:
	s_cmp_gt_i32 s26, 25
	s_mov_b64 s[8:9], 0
	s_cbranch_scc0 .LBB163_1683
; %bb.1677:
	s_cmp_gt_i32 s26, 28
	s_cbranch_scc0 .LBB163_1684
; %bb.1678:
	s_cmp_gt_i32 s26, 43
	;; [unrolled: 3-line block ×3, first 2 shown]
	s_cbranch_scc0 .LBB163_1687
; %bb.1680:
	s_cmp_eq_u32 s26, 46
	s_mov_b64 s[22:23], 0
	s_cbranch_scc0 .LBB163_1688
; %bb.1681:
	global_load_dword v9, v[0:1], off
	s_mov_b64 s[6:7], 0
	s_mov_b64 s[14:15], -1
	s_branch .LBB163_1689
.LBB163_1682:
	s_mov_b64 s[6:7], -1
	s_mov_b64 s[14:15], 0
                                        ; implicit-def: $vgpr9
	s_branch .LBB163_1755
.LBB163_1683:
	s_mov_b64 s[22:23], -1
	s_mov_b64 s[14:15], 0
	s_mov_b64 s[6:7], 0
                                        ; implicit-def: $vgpr9
	s_branch .LBB163_1718
.LBB163_1684:
	s_mov_b64 s[22:23], -1
	s_mov_b64 s[14:15], 0
	s_mov_b64 s[6:7], 0
                                        ; implicit-def: $vgpr9
	s_branch .LBB163_1699
.LBB163_1685:
	s_mov_b64 s[22:23], -1
	s_mov_b64 s[14:15], 0
	s_mov_b64 s[6:7], 0
                                        ; implicit-def: $vgpr9
	s_branch .LBB163_1694
.LBB163_1686:
	s_trap 2
	s_or_b64 s[20:21], s[20:21], exec
	s_cbranch_execz .LBB163_1587
	s_branch .LBB163_1588
.LBB163_1687:
	s_mov_b64 s[22:23], -1
	s_mov_b64 s[14:15], 0
	s_mov_b64 s[6:7], 0
                                        ; implicit-def: $vgpr9
	s_branch .LBB163_1689
.LBB163_1688:
	s_mov_b64 s[6:7], -1
                                        ; implicit-def: $vgpr9
	s_mov_b64 s[14:15], 0
.LBB163_1689:
	s_and_b64 vcc, exec, s[22:23]
	s_cbranch_vccz .LBB163_1693
; %bb.1690:
	s_cmp_eq_u32 s26, 44
	s_cbranch_scc0 .LBB163_1692
; %bb.1691:
	global_load_ubyte v9, v[0:1], off
	s_movk_i32 s11, 0xff
	v_mov_b32_e32 v10, 0x7f800001
	v_mov_b32_e32 v11, 0x400000
	;; [unrolled: 1-line block ×3, first 2 shown]
	s_mov_b64 s[6:7], 0
	s_mov_b64 s[14:15], -1
	s_waitcnt vmcnt(0)
	v_lshlrev_b32_e32 v13, 23, v9
	v_cmp_ne_u32_e32 vcc, s11, v9
	v_cndmask_b32_e32 v10, v10, v13, vcc
	v_cmp_ne_u32_e32 vcc, 0, v9
	v_cndmask_b32_e32 v9, v11, v10, vcc
	v_add_u32_e32 v10, 0x7fff, v9
	v_cmp_o_f32_e32 vcc, v9, v9
	v_cndmask_b32_sdwa v9, v12, v10, vcc dst_sel:DWORD dst_unused:UNUSED_PAD src0_sel:DWORD src1_sel:WORD_1
	s_branch .LBB163_1693
.LBB163_1692:
	s_mov_b64 s[6:7], -1
                                        ; implicit-def: $vgpr9
.LBB163_1693:
	s_mov_b64 s[22:23], 0
.LBB163_1694:
	s_and_b64 vcc, exec, s[22:23]
	s_cbranch_vccz .LBB163_1698
; %bb.1695:
	s_cmp_eq_u32 s26, 29
	s_cbranch_scc0 .LBB163_1697
; %bb.1696:
	global_load_dwordx2 v[9:10], v[0:1], off
	s_movk_i32 s11, 0x7fff
	s_mov_b64 s[6:7], 0
	s_mov_b64 s[14:15], -1
	s_mov_b64 s[22:23], 0
	s_waitcnt vmcnt(0)
	v_ffbh_u32_e32 v11, v10
	v_min_u32_e32 v11, 32, v11
	v_lshlrev_b64 v[9:10], v11, v[9:10]
	v_min_u32_e32 v9, 1, v9
	v_or_b32_e32 v9, v10, v9
	v_cvt_f32_u32_e32 v9, v9
	v_sub_u32_e32 v10, 32, v11
	v_ldexp_f32 v9, v9, v10
	v_bfe_u32 v10, v9, 16, 1
	v_add3_u32 v9, v9, v10, s11
	v_lshrrev_b32_e32 v9, 16, v9
	s_branch .LBB163_1699
.LBB163_1697:
	s_mov_b64 s[6:7], -1
                                        ; implicit-def: $vgpr9
.LBB163_1698:
	s_mov_b64 s[22:23], 0
.LBB163_1699:
	s_and_b64 vcc, exec, s[22:23]
	s_cbranch_vccz .LBB163_1717
; %bb.1700:
	s_cmp_lt_i32 s26, 27
	s_cbranch_scc1 .LBB163_1703
; %bb.1701:
	s_cmp_gt_i32 s26, 27
	s_cbranch_scc0 .LBB163_1704
; %bb.1702:
	global_load_dword v9, v[0:1], off
	s_movk_i32 s11, 0x7fff
	s_mov_b64 s[14:15], 0
	s_waitcnt vmcnt(0)
	v_cvt_f32_u32_e32 v9, v9
	v_bfe_u32 v10, v9, 16, 1
	v_add3_u32 v9, v9, v10, s11
	v_lshrrev_b32_e32 v9, 16, v9
	s_branch .LBB163_1705
.LBB163_1703:
	s_mov_b64 s[14:15], -1
                                        ; implicit-def: $vgpr9
	s_branch .LBB163_1708
.LBB163_1704:
	s_mov_b64 s[14:15], -1
                                        ; implicit-def: $vgpr9
.LBB163_1705:
	s_andn2_b64 vcc, exec, s[14:15]
	s_cbranch_vccnz .LBB163_1707
; %bb.1706:
	global_load_ushort v9, v[0:1], off
	s_movk_i32 s11, 0x7fff
	s_waitcnt vmcnt(0)
	v_cvt_f32_u32_e32 v9, v9
	v_bfe_u32 v10, v9, 16, 1
	v_add3_u32 v9, v9, v10, s11
	v_lshrrev_b32_e32 v9, 16, v9
.LBB163_1707:
	s_mov_b64 s[14:15], 0
.LBB163_1708:
	s_andn2_b64 vcc, exec, s[14:15]
	s_cbranch_vccnz .LBB163_1716
; %bb.1709:
	global_load_ubyte v9, v[0:1], off
	s_movk_i32 s11, 0x7f
	s_mov_b64 s[14:15], 0
	s_waitcnt vmcnt(0)
	v_cmp_lt_i16_e32 vcc, s11, v9
	s_and_saveexec_b64 s[22:23], vcc
	s_xor_b64 s[22:23], exec, s[22:23]
	s_cbranch_execz .LBB163_1730
; %bb.1710:
	s_movk_i32 s11, 0x80
	v_cmp_eq_u16_e32 vcc, s11, v9
	s_mov_b64 s[14:15], -1
	s_and_saveexec_b64 s[24:25], vcc
; %bb.1711:
	s_xor_b64 s[14:15], exec, -1
; %bb.1712:
	s_or_b64 exec, exec, s[24:25]
	s_and_b64 s[14:15], s[14:15], exec
	s_or_saveexec_b64 s[22:23], s[22:23]
	v_mov_b32_e32 v10, 0x7f800001
	s_xor_b64 exec, exec, s[22:23]
	s_cbranch_execnz .LBB163_1731
.LBB163_1713:
	s_or_b64 exec, exec, s[22:23]
	s_and_saveexec_b64 s[22:23], s[14:15]
	s_cbranch_execz .LBB163_1715
.LBB163_1714:
	v_lshlrev_b32_e32 v10, 24, v9
	v_and_b32_e32 v9, 0xffff, v9
	v_and_b32_e32 v11, 7, v9
	v_ffbh_u32_e32 v13, v11
	v_min_u32_e32 v13, 32, v13
	v_subrev_u32_e32 v14, 28, v13
	v_bfe_u32 v12, v9, 3, 4
	v_lshlrev_b32_e32 v9, v14, v9
	v_sub_u32_e32 v13, 29, v13
	v_and_b32_e32 v9, 7, v9
	v_cmp_eq_u32_e32 vcc, 0, v12
	v_cndmask_b32_e32 v12, v12, v13, vcc
	v_cndmask_b32_e32 v9, v11, v9, vcc
	v_mov_b32_e32 v11, 0x3b800000
	v_lshlrev_b32_e32 v9, 20, v9
	v_and_b32_e32 v10, 0x80000000, v10
	v_lshl_add_u32 v11, v12, 23, v11
	v_or3_b32 v10, v10, v11, v9
.LBB163_1715:
	s_or_b64 exec, exec, s[22:23]
	v_bfe_u32 v9, v10, 16, 1
	s_movk_i32 s11, 0x7fff
	v_add3_u32 v9, v10, v9, s11
	v_cmp_o_f32_e32 vcc, v10, v10
	v_mov_b32_e32 v10, 0x7fc0
	v_cndmask_b32_sdwa v9, v10, v9, vcc dst_sel:DWORD dst_unused:UNUSED_PAD src0_sel:DWORD src1_sel:WORD_1
.LBB163_1716:
	s_mov_b64 s[14:15], -1
.LBB163_1717:
	s_mov_b64 s[22:23], 0
.LBB163_1718:
	s_and_b64 vcc, exec, s[22:23]
	s_cbranch_vccz .LBB163_1751
; %bb.1719:
	s_cmp_gt_i32 s26, 22
	s_cbranch_scc0 .LBB163_1729
; %bb.1720:
	s_cmp_lt_i32 s26, 24
	s_cbranch_scc1 .LBB163_1732
; %bb.1721:
	s_cmp_gt_i32 s26, 24
	s_cbranch_scc0 .LBB163_1733
; %bb.1722:
	global_load_ubyte v9, v[0:1], off
	s_movk_i32 s8, 0x7f
	s_waitcnt vmcnt(0)
	v_cmp_lt_i16_e32 vcc, s8, v9
	s_mov_b64 s[8:9], 0
	s_and_saveexec_b64 s[14:15], vcc
	s_xor_b64 s[14:15], exec, s[14:15]
	s_cbranch_execz .LBB163_1745
; %bb.1723:
	s_movk_i32 s8, 0x80
	v_cmp_eq_u16_e32 vcc, s8, v9
	s_mov_b64 s[8:9], -1
	s_and_saveexec_b64 s[22:23], vcc
; %bb.1724:
	s_xor_b64 s[8:9], exec, -1
; %bb.1725:
	s_or_b64 exec, exec, s[22:23]
	s_and_b64 s[8:9], s[8:9], exec
	s_or_saveexec_b64 s[14:15], s[14:15]
	v_mov_b32_e32 v10, 0x7f800001
	s_xor_b64 exec, exec, s[14:15]
	s_cbranch_execnz .LBB163_1746
.LBB163_1726:
	s_or_b64 exec, exec, s[14:15]
	s_and_saveexec_b64 s[14:15], s[8:9]
	s_cbranch_execz .LBB163_1728
.LBB163_1727:
	v_lshlrev_b32_e32 v10, 24, v9
	v_and_b32_e32 v9, 0xffff, v9
	v_and_b32_e32 v11, 3, v9
	v_ffbh_u32_e32 v13, v11
	v_min_u32_e32 v13, 32, v13
	v_subrev_u32_e32 v14, 29, v13
	v_bfe_u32 v12, v9, 2, 5
	v_lshlrev_b32_e32 v9, v14, v9
	v_sub_u32_e32 v13, 30, v13
	v_and_b32_e32 v9, 3, v9
	v_cmp_eq_u32_e32 vcc, 0, v12
	v_cndmask_b32_e32 v12, v12, v13, vcc
	v_cndmask_b32_e32 v9, v11, v9, vcc
	v_mov_b32_e32 v11, 0x37800000
	v_lshlrev_b32_e32 v9, 21, v9
	v_and_b32_e32 v10, 0x80000000, v10
	v_lshl_add_u32 v11, v12, 23, v11
	v_or3_b32 v10, v10, v11, v9
.LBB163_1728:
	s_or_b64 exec, exec, s[14:15]
	v_bfe_u32 v9, v10, 16, 1
	s_movk_i32 s8, 0x7fff
	v_add3_u32 v9, v10, v9, s8
	v_cmp_o_f32_e32 vcc, v10, v10
	v_mov_b32_e32 v10, 0x7fc0
	v_cndmask_b32_sdwa v9, v10, v9, vcc dst_sel:DWORD dst_unused:UNUSED_PAD src0_sel:DWORD src1_sel:WORD_1
	s_mov_b64 s[8:9], 0
	s_branch .LBB163_1734
.LBB163_1729:
	s_mov_b64 s[8:9], -1
                                        ; implicit-def: $vgpr9
	s_branch .LBB163_1740
.LBB163_1730:
	s_or_saveexec_b64 s[22:23], s[22:23]
	v_mov_b32_e32 v10, 0x7f800001
	s_xor_b64 exec, exec, s[22:23]
	s_cbranch_execz .LBB163_1713
.LBB163_1731:
	v_cmp_ne_u16_e32 vcc, 0, v9
	s_andn2_b64 s[14:15], s[14:15], exec
	s_and_b64 s[24:25], vcc, exec
	v_mov_b32_e32 v10, 0
	s_or_b64 s[14:15], s[14:15], s[24:25]
	s_or_b64 exec, exec, s[22:23]
	s_and_saveexec_b64 s[22:23], s[14:15]
	s_cbranch_execnz .LBB163_1714
	s_branch .LBB163_1715
.LBB163_1732:
	s_mov_b64 s[8:9], -1
                                        ; implicit-def: $vgpr9
	s_branch .LBB163_1737
.LBB163_1733:
	s_mov_b64 s[8:9], -1
                                        ; implicit-def: $vgpr9
.LBB163_1734:
	s_and_b64 vcc, exec, s[8:9]
	s_cbranch_vccz .LBB163_1736
; %bb.1735:
	global_load_ubyte v9, v[0:1], off
	s_mov_b32 s8, 0x7f800000
	s_brev_b32 s9, 1
	s_movk_i32 s11, 0x7fff
	s_waitcnt vmcnt(0)
	v_lshlrev_b32_e32 v9, 24, v9
	v_and_b32_e32 v10, 0x7f000000, v9
	v_ffbh_u32_e32 v11, v10
	v_min_u32_e32 v11, 32, v11
	v_sub_u32_e64 v11, v11, 4 clamp
	v_lshlrev_b32_e32 v13, v11, v10
	v_lshlrev_b32_e32 v11, 23, v11
	v_lshrrev_b32_e32 v13, 4, v13
	v_add_u32_e32 v12, 0x1000000, v10
	v_sub_u32_e32 v11, v13, v11
	v_ashrrev_i32_e32 v12, 8, v12
	v_add_u32_e32 v11, 0x3c000000, v11
	v_and_or_b32 v11, v12, s8, v11
	v_cmp_ne_u32_e32 vcc, 0, v10
	v_cndmask_b32_e32 v10, 0, v11, vcc
	v_and_or_b32 v9, v9, s9, v10
	v_bfe_u32 v10, v10, 16, 1
	v_add3_u32 v10, v9, v10, s11
	v_cmp_o_f32_e32 vcc, v9, v9
	v_mov_b32_e32 v9, 0x7fc0
	v_cndmask_b32_sdwa v9, v9, v10, vcc dst_sel:DWORD dst_unused:UNUSED_PAD src0_sel:DWORD src1_sel:WORD_1
.LBB163_1736:
	s_mov_b64 s[8:9], 0
.LBB163_1737:
	s_andn2_b64 vcc, exec, s[8:9]
	s_cbranch_vccnz .LBB163_1739
; %bb.1738:
	global_load_ubyte v9, v[0:1], off
	s_movk_i32 s8, 0x7f00
	s_brev_b32 s9, 16
	s_brev_b32 s11, 1
	s_movk_i32 s14, 0x7fff
	s_waitcnt vmcnt(0)
	v_lshlrev_b16_e32 v10, 8, v9
	v_lshlrev_b32_e32 v9, 25, v9
	v_lshrrev_b32_e32 v11, 4, v9
	v_and_or_b32 v12, v10, s8, 0.5
	v_or_b32_e32 v11, 0x70000000, v11
	v_add_f32_e32 v12, -0.5, v12
	v_mul_f32_e32 v11, 0x7800000, v11
	v_cmp_gt_u32_e32 vcc, s9, v9
	v_bfe_i32 v10, v10, 0, 16
	v_cndmask_b32_e32 v9, v11, v12, vcc
	v_and_or_b32 v10, v10, s11, v9
	v_bfe_u32 v9, v9, 16, 1
	v_add3_u32 v9, v10, v9, s14
	v_cmp_o_f32_e32 vcc, v10, v10
	v_mov_b32_e32 v10, 0x7fc0
	v_cndmask_b32_sdwa v9, v10, v9, vcc dst_sel:DWORD dst_unused:UNUSED_PAD src0_sel:DWORD src1_sel:WORD_1
.LBB163_1739:
	s_mov_b64 s[8:9], 0
	s_mov_b64 s[14:15], -1
.LBB163_1740:
	s_andn2_b64 vcc, exec, s[8:9]
	s_mov_b64 s[8:9], 0
	s_cbranch_vccnz .LBB163_1751
; %bb.1741:
	s_cmp_gt_i32 s26, 14
	s_cbranch_scc0 .LBB163_1744
; %bb.1742:
	s_cmp_eq_u32 s26, 15
	s_cbranch_scc0 .LBB163_1747
; %bb.1743:
	global_load_ushort v9, v[0:1], off
	s_mov_b64 s[6:7], 0
	s_mov_b64 s[14:15], -1
	s_branch .LBB163_1748
.LBB163_1744:
	s_mov_b64 s[22:23], -1
                                        ; implicit-def: $vgpr9
	s_branch .LBB163_1749
.LBB163_1745:
	s_or_saveexec_b64 s[14:15], s[14:15]
	v_mov_b32_e32 v10, 0x7f800001
	s_xor_b64 exec, exec, s[14:15]
	s_cbranch_execz .LBB163_1726
.LBB163_1746:
	v_cmp_ne_u16_e32 vcc, 0, v9
	s_andn2_b64 s[8:9], s[8:9], exec
	s_and_b64 s[22:23], vcc, exec
	v_mov_b32_e32 v10, 0
	s_or_b64 s[8:9], s[8:9], s[22:23]
	s_or_b64 exec, exec, s[14:15]
	s_and_saveexec_b64 s[14:15], s[8:9]
	s_cbranch_execnz .LBB163_1727
	s_branch .LBB163_1728
.LBB163_1747:
	s_mov_b64 s[6:7], -1
                                        ; implicit-def: $vgpr9
.LBB163_1748:
	s_mov_b64 s[22:23], 0
.LBB163_1749:
	s_and_b64 vcc, exec, s[22:23]
	s_cbranch_vccz .LBB163_1751
; %bb.1750:
	s_cmp_lg_u32 s26, 11
	s_mov_b64 s[8:9], -1
	s_cselect_b64 s[6:7], -1, 0
.LBB163_1751:
	s_and_b64 vcc, exec, s[6:7]
	s_cbranch_vccnz .LBB163_2322
; %bb.1752:
	s_andn2_b64 vcc, exec, s[8:9]
	s_cbranch_vccnz .LBB163_1754
.LBB163_1753:
	global_load_ubyte v9, v[0:1], off
	s_mov_b64 s[14:15], -1
	s_waitcnt vmcnt(0)
	v_cmp_ne_u16_e32 vcc, 0, v9
	v_cndmask_b32_e64 v9, 0, 1.0, vcc
	v_lshrrev_b32_e32 v9, 16, v9
.LBB163_1754:
	s_mov_b64 s[6:7], 0
.LBB163_1755:
	s_and_b64 vcc, exec, s[6:7]
	s_cbranch_vccz .LBB163_1804
; %bb.1756:
	s_cmp_lt_i32 s26, 5
	s_cbranch_scc1 .LBB163_1761
; %bb.1757:
	s_cmp_lt_i32 s26, 8
	s_cbranch_scc1 .LBB163_1762
; %bb.1758:
	s_cmp_lt_i32 s26, 9
	s_cbranch_scc1 .LBB163_1763
; %bb.1759:
	s_cmp_gt_i32 s26, 9
	s_cbranch_scc0 .LBB163_1764
; %bb.1760:
	global_load_dwordx2 v[9:10], v[0:1], off
	s_movk_i32 s6, 0x7fff
	s_waitcnt vmcnt(0)
	v_cvt_f32_f64_e32 v9, v[9:10]
	v_mov_b32_e32 v10, 0x7fc0
	v_bfe_u32 v11, v9, 16, 1
	v_cmp_o_f32_e32 vcc, v9, v9
	v_add3_u32 v9, v9, v11, s6
	v_cndmask_b32_sdwa v9, v10, v9, vcc dst_sel:DWORD dst_unused:UNUSED_PAD src0_sel:DWORD src1_sel:WORD_1
	s_mov_b64 s[6:7], 0
	s_branch .LBB163_1765
.LBB163_1761:
	s_mov_b64 s[6:7], -1
                                        ; implicit-def: $vgpr9
	s_branch .LBB163_1783
.LBB163_1762:
	s_mov_b64 s[6:7], -1
                                        ; implicit-def: $vgpr9
	s_branch .LBB163_1771
.LBB163_1763:
	s_mov_b64 s[6:7], -1
                                        ; implicit-def: $vgpr9
	s_branch .LBB163_1768
.LBB163_1764:
	s_mov_b64 s[6:7], -1
                                        ; implicit-def: $vgpr9
.LBB163_1765:
	s_andn2_b64 vcc, exec, s[6:7]
	s_cbranch_vccnz .LBB163_1767
; %bb.1766:
	global_load_dword v9, v[0:1], off
	s_movk_i32 s6, 0x7fff
	v_mov_b32_e32 v10, 0x7fc0
	s_waitcnt vmcnt(0)
	v_bfe_u32 v11, v9, 16, 1
	v_cmp_o_f32_e32 vcc, v9, v9
	v_add3_u32 v9, v9, v11, s6
	v_cndmask_b32_sdwa v9, v10, v9, vcc dst_sel:DWORD dst_unused:UNUSED_PAD src0_sel:DWORD src1_sel:WORD_1
.LBB163_1767:
	s_mov_b64 s[6:7], 0
.LBB163_1768:
	s_andn2_b64 vcc, exec, s[6:7]
	s_cbranch_vccnz .LBB163_1770
; %bb.1769:
	global_load_dword v9, v[0:1], off
	s_movk_i32 s6, 0x7fff
	v_mov_b32_e32 v11, 0x7fc0
	s_waitcnt vmcnt(0)
	v_cvt_f32_f16_e32 v10, v9
	v_cmp_o_f16_e32 vcc, v9, v9
	v_bfe_u32 v9, v10, 16, 1
	v_add3_u32 v9, v10, v9, s6
	v_cndmask_b32_sdwa v9, v11, v9, vcc dst_sel:DWORD dst_unused:UNUSED_PAD src0_sel:DWORD src1_sel:WORD_1
.LBB163_1770:
	s_mov_b64 s[6:7], 0
.LBB163_1771:
	s_andn2_b64 vcc, exec, s[6:7]
	s_cbranch_vccnz .LBB163_1782
; %bb.1772:
	s_cmp_lt_i32 s26, 6
	s_cbranch_scc1 .LBB163_1775
; %bb.1773:
	s_cmp_gt_i32 s26, 6
	s_cbranch_scc0 .LBB163_1776
; %bb.1774:
	global_load_dwordx2 v[9:10], v[0:1], off
	s_movk_i32 s6, 0x7fff
	s_waitcnt vmcnt(0)
	v_cvt_f32_f64_e32 v9, v[9:10]
	v_mov_b32_e32 v10, 0x7fc0
	v_bfe_u32 v11, v9, 16, 1
	v_cmp_o_f32_e32 vcc, v9, v9
	v_add3_u32 v9, v9, v11, s6
	v_cndmask_b32_sdwa v9, v10, v9, vcc dst_sel:DWORD dst_unused:UNUSED_PAD src0_sel:DWORD src1_sel:WORD_1
	s_mov_b64 s[6:7], 0
	s_branch .LBB163_1777
.LBB163_1775:
	s_mov_b64 s[6:7], -1
                                        ; implicit-def: $vgpr9
	s_branch .LBB163_1780
.LBB163_1776:
	s_mov_b64 s[6:7], -1
                                        ; implicit-def: $vgpr9
.LBB163_1777:
	s_andn2_b64 vcc, exec, s[6:7]
	s_cbranch_vccnz .LBB163_1779
; %bb.1778:
	global_load_dword v9, v[0:1], off
	s_movk_i32 s6, 0x7fff
	v_mov_b32_e32 v10, 0x7fc0
	s_waitcnt vmcnt(0)
	v_bfe_u32 v11, v9, 16, 1
	v_cmp_o_f32_e32 vcc, v9, v9
	v_add3_u32 v9, v9, v11, s6
	v_cndmask_b32_sdwa v9, v10, v9, vcc dst_sel:DWORD dst_unused:UNUSED_PAD src0_sel:DWORD src1_sel:WORD_1
.LBB163_1779:
	s_mov_b64 s[6:7], 0
.LBB163_1780:
	s_andn2_b64 vcc, exec, s[6:7]
	s_cbranch_vccnz .LBB163_1782
; %bb.1781:
	global_load_ushort v9, v[0:1], off
	s_movk_i32 s6, 0x7fff
	v_mov_b32_e32 v11, 0x7fc0
	s_waitcnt vmcnt(0)
	v_cvt_f32_f16_e32 v10, v9
	v_cmp_o_f16_e32 vcc, v9, v9
	v_bfe_u32 v9, v10, 16, 1
	v_add3_u32 v9, v10, v9, s6
	v_cndmask_b32_sdwa v9, v11, v9, vcc dst_sel:DWORD dst_unused:UNUSED_PAD src0_sel:DWORD src1_sel:WORD_1
.LBB163_1782:
	s_mov_b64 s[6:7], 0
.LBB163_1783:
	s_andn2_b64 vcc, exec, s[6:7]
	s_cbranch_vccnz .LBB163_1803
; %bb.1784:
	s_cmp_lt_i32 s26, 2
	s_cbranch_scc1 .LBB163_1788
; %bb.1785:
	s_cmp_lt_i32 s26, 3
	s_cbranch_scc1 .LBB163_1789
; %bb.1786:
	s_cmp_gt_i32 s26, 3
	s_cbranch_scc0 .LBB163_1790
; %bb.1787:
	global_load_dwordx2 v[9:10], v[0:1], off
	s_movk_i32 s6, 0x7fff
	s_waitcnt vmcnt(0)
	v_xor_b32_e32 v12, v9, v10
	v_ffbh_i32_e32 v11, v10
	v_ashrrev_i32_e32 v12, 31, v12
	v_add_u32_e32 v11, -1, v11
	v_add_u32_e32 v12, 32, v12
	v_min_u32_e32 v11, v11, v12
	v_lshlrev_b64 v[9:10], v11, v[9:10]
	v_min_u32_e32 v9, 1, v9
	v_or_b32_e32 v9, v10, v9
	v_cvt_f32_i32_e32 v9, v9
	v_sub_u32_e32 v10, 32, v11
	v_ldexp_f32 v9, v9, v10
	v_bfe_u32 v10, v9, 16, 1
	v_add3_u32 v9, v9, v10, s6
	v_lshrrev_b32_e32 v9, 16, v9
	s_mov_b64 s[6:7], 0
	s_branch .LBB163_1791
.LBB163_1788:
	s_mov_b64 s[6:7], -1
                                        ; implicit-def: $vgpr9
	s_branch .LBB163_1797
.LBB163_1789:
	s_mov_b64 s[6:7], -1
                                        ; implicit-def: $vgpr9
	s_branch .LBB163_1794
.LBB163_1790:
	s_mov_b64 s[6:7], -1
                                        ; implicit-def: $vgpr9
.LBB163_1791:
	s_andn2_b64 vcc, exec, s[6:7]
	s_cbranch_vccnz .LBB163_1793
; %bb.1792:
	global_load_dword v9, v[0:1], off
	s_movk_i32 s6, 0x7fff
	s_waitcnt vmcnt(0)
	v_cvt_f32_i32_e32 v9, v9
	v_bfe_u32 v10, v9, 16, 1
	v_add3_u32 v9, v9, v10, s6
	v_lshrrev_b32_e32 v9, 16, v9
.LBB163_1793:
	s_mov_b64 s[6:7], 0
.LBB163_1794:
	s_andn2_b64 vcc, exec, s[6:7]
	s_cbranch_vccnz .LBB163_1796
; %bb.1795:
	global_load_sshort v9, v[0:1], off
	s_movk_i32 s6, 0x7fff
	s_waitcnt vmcnt(0)
	v_cvt_f32_i32_e32 v9, v9
	v_bfe_u32 v10, v9, 16, 1
	v_add3_u32 v9, v9, v10, s6
	v_lshrrev_b32_e32 v9, 16, v9
.LBB163_1796:
	s_mov_b64 s[6:7], 0
.LBB163_1797:
	s_andn2_b64 vcc, exec, s[6:7]
	s_cbranch_vccnz .LBB163_1803
; %bb.1798:
	s_cmp_gt_i32 s26, 0
	s_cbranch_scc0 .LBB163_1800
; %bb.1799:
	global_load_sbyte v9, v[0:1], off
	s_movk_i32 s6, 0x7fff
	s_waitcnt vmcnt(0)
	v_cvt_f32_i32_e32 v9, v9
	v_bfe_u32 v10, v9, 16, 1
	v_add3_u32 v9, v9, v10, s6
	v_lshrrev_b32_e32 v9, 16, v9
	s_mov_b64 s[6:7], 0
	s_branch .LBB163_1801
.LBB163_1800:
	s_mov_b64 s[6:7], -1
                                        ; implicit-def: $vgpr9
.LBB163_1801:
	s_andn2_b64 vcc, exec, s[6:7]
	s_cbranch_vccnz .LBB163_1803
; %bb.1802:
	global_load_ubyte v0, v[0:1], off
	s_movk_i32 s6, 0x7fff
	s_waitcnt vmcnt(0)
	v_cvt_f32_ubyte0_e32 v0, v0
	v_bfe_u32 v1, v0, 16, 1
	v_add3_u32 v0, v0, v1, s6
	v_lshrrev_b32_e32 v9, 16, v0
.LBB163_1803:
	s_mov_b64 s[14:15], -1
.LBB163_1804:
	s_andn2_b64 vcc, exec, s[14:15]
	s_cbranch_vccnz .LBB163_2276
; %bb.1805:
	s_waitcnt vmcnt(0)
	v_lshlrev_b32_e32 v9, 16, v9
	s_mov_b32 s6, 0x3c800000
	v_and_b32_e32 v0, 0x7fffffff, v9
	v_cmp_nlt_f32_e64 s[6:7], |v9|, s6
                                        ; implicit-def: $vgpr10
	s_and_saveexec_b64 s[8:9], s[6:7]
	s_xor_b64 s[8:9], exec, s[8:9]
	s_cbranch_execz .LBB163_1835
; %bb.1806:
	v_cmp_nlt_f32_e64 s[6:7], |v9|, 2.0
                                        ; implicit-def: $vgpr10
	s_and_saveexec_b64 s[14:15], s[6:7]
	s_xor_b64 s[14:15], exec, s[14:15]
	s_cbranch_execz .LBB163_1816
; %bb.1807:
	s_mov_b32 s6, 0x41000000
	v_cmp_nlt_f32_e64 s[6:7], |v9|, s6
                                        ; implicit-def: $vgpr10
	s_and_saveexec_b64 s[22:23], s[6:7]
	s_xor_b64 s[22:23], exec, s[22:23]
	s_cbranch_execz .LBB163_1813
; %bb.1808:
	s_mov_b32 s6, 0x5c800000
	v_cmp_nlt_f32_e64 s[6:7], |v9|, s6
                                        ; implicit-def: $vgpr10
	s_and_saveexec_b64 s[24:25], s[6:7]
	s_xor_b64 s[24:25], exec, s[24:25]
	s_cbranch_execz .LBB163_1810
; %bb.1809:
	s_mov_b32 s6, 0x800000
	v_cmp_lt_f32_e64 vcc, |v9|, s6
	v_cndmask_b32_e64 v1, 0, 32, vcc
	v_ldexp_f32 v1, |v9|, v1
	v_log_f32_e32 v1, v1
	s_mov_b32 s6, 0x3f317217
	s_mov_b32 s7, 0x7f800000
	v_mul_f32_e32 v10, 0x3f317217, v1
	v_fma_f32 v11, v1, s6, -v10
	v_fmac_f32_e32 v11, 0x3377d1cf, v1
	v_add_f32_e32 v10, v10, v11
	v_cmp_lt_f32_e64 s[6:7], |v1|, s7
	v_cndmask_b32_e64 v1, v1, v10, s[6:7]
	v_mov_b32_e32 v10, 0x41b17218
	v_cndmask_b32_e32 v10, 0, v10, vcc
	v_sub_f32_e32 v1, v1, v10
	v_fma_f32 v10, |v9|, v1, -|v9|
.LBB163_1810:
	s_andn2_saveexec_b64 s[24:25], s[24:25]
	s_cbranch_execz .LBB163_1812
; %bb.1811:
	v_rcp_f32_e64 v1, |v9|
	v_mov_b32_e32 v10, 0x3a5b3dd2
	v_mov_b32_e32 v11, 0xba1c065c
	;; [unrolled: 1-line block ×3, first 2 shown]
	v_mul_f32_e32 v13, v1, v1
	v_fmac_f32_e32 v10, 0xbad5c4e8, v13
	v_fmac_f32_e32 v11, v13, v10
	s_mov_b32 s6, 0x800000
	v_fmac_f32_e32 v12, v13, v11
	v_mov_b32_e32 v10, 0xbb360b61
	v_cmp_lt_f32_e64 vcc, |v9|, s6
	v_fmac_f32_e32 v10, v13, v12
	v_cndmask_b32_e64 v12, 0, 32, vcc
	v_ldexp_f32 v12, |v9|, v12
	v_log_f32_e32 v12, v12
	v_mov_b32_e32 v11, 0x3daaaaab
	v_fmac_f32_e32 v11, v13, v10
	v_mov_b32_e32 v10, 0x3ed67f1d
	v_fmac_f32_e32 v10, v1, v11
	s_mov_b32 s6, 0x3f317217
	v_mul_f32_e32 v11, 0x3f317217, v12
	v_fma_f32 v13, v12, s6, -v11
	v_fmac_f32_e32 v13, 0x3377d1cf, v12
	s_mov_b32 s6, 0x7f800000
	v_add_f32_e32 v11, v11, v13
	v_cmp_lt_f32_e64 s[6:7], |v12|, s6
	v_cndmask_b32_e64 v11, v12, v11, s[6:7]
	v_mov_b32_e32 v12, 0x41b17218
	v_cndmask_b32_e32 v12, 0, v12, vcc
	v_sub_f32_e32 v11, v11, v12
	v_add_f32_e64 v1, |v9|, -0.5
	v_add_f32_e32 v11, -1.0, v11
	v_fmac_f32_e32 v10, v1, v11
.LBB163_1812:
	s_or_b64 exec, exec, s[24:25]
.LBB163_1813:
	s_andn2_saveexec_b64 s[22:23], s[22:23]
	s_cbranch_execz .LBB163_1815
; %bb.1814:
	v_cvt_i32_f32_e32 v1, v0
	v_mov_b32_e32 v10, 0x3af135b4
	v_mov_b32_e32 v11, 0x3cda40e4
	v_mov_b32_e32 v12, 0x3e15dce6
	v_cvt_f32_i32_e32 v13, v1
	v_mov_b32_e32 v14, 0x3ea6cc7a
	v_mov_b32_e32 v15, 0x3e5c245a
	v_cmp_lt_i32_e32 vcc, 2, v1
	v_sub_f32_e64 v13, |v9|, v13
	v_fmac_f32_e32 v10, 0x3805ff67, v13
	v_fmac_f32_e32 v11, v13, v10
	;; [unrolled: 1-line block ×3, first 2 shown]
	v_mov_b32_e32 v11, 0x3a4beed6
	v_fmac_f32_e32 v14, v13, v12
	v_fmac_f32_e32 v11, 0x36f5d7bd, v13
	v_mov_b32_e32 v12, 0x3c98bf54
	v_fmac_f32_e32 v12, v13, v11
	v_mov_b32_e32 v11, 0x3e300f6e
	v_fmac_f32_e32 v11, v13, v12
	v_mov_b32_e32 v12, 0x3f38d0c5
	v_fmac_f32_e32 v12, v13, v11
	v_mov_b32_e32 v11, 0x3fb22d3b
	v_fmac_f32_e32 v11, v13, v12
	v_add_f32_e32 v12, 2.0, v13
	v_mov_b32_e32 v16, 0xbd9e233f
	v_fmac_f32_e32 v15, v13, v14
	v_add_f32_e32 v14, 0x40400000, v13
	v_cndmask_b32_e32 v12, 1.0, v12, vcc
	v_cmp_lt_i32_e32 vcc, 3, v1
	v_fmac_f32_e32 v16, v13, v15
	v_add_f32_e32 v15, 4.0, v13
	v_cndmask_b32_e32 v14, 1.0, v14, vcc
	v_cmp_lt_i32_e32 vcc, 4, v1
	v_mul_f32_e32 v10, v13, v16
	v_add_f32_e32 v16, 0x40a00000, v13
	v_mul_f32_e32 v12, v12, v14
	v_cndmask_b32_e32 v14, 1.0, v15, vcc
	v_cmp_lt_i32_e32 vcc, 5, v1
	v_add_f32_e32 v17, 0x40c00000, v13
	v_mul_f32_e32 v12, v14, v12
	v_cndmask_b32_e32 v14, 1.0, v16, vcc
	v_cmp_lt_i32_e32 vcc, 6, v1
	v_mul_f32_e32 v12, v14, v12
	v_cndmask_b32_e32 v1, 1.0, v17, vcc
	v_mul_f32_e32 v1, v1, v12
	s_mov_b32 s6, 0x800000
	v_cmp_gt_f32_e32 vcc, s6, v1
	v_cndmask_b32_e64 v12, 0, 32, vcc
	v_fma_f32 v11, v13, v11, 1.0
	v_ldexp_f32 v1, v1, v12
	v_rcp_f32_e32 v11, v11
	v_log_f32_e32 v1, v1
	s_mov_b32 s6, 0x3f317217
	v_mul_f32_e32 v10, v10, v11
	v_mul_f32_e32 v11, 0x3f317217, v1
	v_fma_f32 v12, v1, s6, -v11
	v_fmac_f32_e32 v12, 0x3377d1cf, v1
	s_mov_b32 s6, 0x7f800000
	v_add_f32_e32 v11, v11, v12
	v_cmp_lt_f32_e64 s[6:7], |v1|, s6
	v_cndmask_b32_e64 v1, v1, v11, s[6:7]
	v_mov_b32_e32 v11, 0x41b17218
	v_cndmask_b32_e32 v11, 0, v11, vcc
	v_fmac_f32_e32 v10, 0.5, v13
	v_sub_f32_e32 v1, v1, v11
	v_add_f32_e32 v10, v1, v10
.LBB163_1815:
	s_or_b64 exec, exec, s[22:23]
.LBB163_1816:
	s_andn2_saveexec_b64 s[14:15], s[14:15]
	s_cbranch_execz .LBB163_1834
; %bb.1817:
	s_mov_b32 s6, 0x3f666666
	v_cmp_le_f32_e64 s[6:7], |v9|, s6
                                        ; implicit-def: $vgpr10
                                        ; implicit-def: $vgpr11
                                        ; implicit-def: $vgpr1
	s_and_saveexec_b64 s[22:23], s[6:7]
	s_xor_b64 s[22:23], exec, s[22:23]
	s_cbranch_execz .LBB163_1819
; %bb.1818:
	s_mov_b32 s6, 0x800000
	v_cmp_lt_f32_e64 vcc, |v9|, s6
	v_cndmask_b32_e64 v1, 0, 32, vcc
	v_ldexp_f32 v1, |v9|, v1
	v_log_f32_e32 v1, v1
	s_mov_b32 s6, 0x3f317217
	s_mov_b32 s7, 0x7f800000
	v_mul_f32_e32 v10, 0x3f317217, v1
	v_fma_f32 v11, v1, s6, -v10
	v_fmac_f32_e32 v11, 0x3377d1cf, v1
	v_add_f32_e32 v10, v10, v11
	v_cmp_lt_f32_e64 s[6:7], |v1|, s7
	v_cndmask_b32_e64 v1, v1, v10, s[6:7]
	v_mov_b32_e32 v10, 0x41b17218
	v_cndmask_b32_e32 v10, 0, v10, vcc
	v_sub_f32_e32 v1, v1, v10
	s_mov_b32 s6, 0x3f3b4a23
	s_mov_b32 s7, 0xbeec5b0c
	v_xor_b32_e32 v10, 0x80000000, v1
	v_sub_f32_e64 v1, 1.0, |v9|
	v_add_f32_e64 v11, |v9|, s7
	v_cmp_lt_f32_e64 vcc, |v9|, s6
	s_mov_b32 s6, 0x3e6d3309
	v_cndmask_b32_e32 v1, v1, v11, vcc
	v_cndmask_b32_e64 v11, 0, 1, vcc
	v_cmp_lt_f32_e64 s[6:7], |v9|, s6
	v_cndmask_b32_e64 v1, v1, |v9|, s[6:7]
	v_cndmask_b32_e64 v11, v11, 2, s[6:7]
.LBB163_1819:
	s_andn2_saveexec_b64 s[6:7], s[22:23]
	s_cbranch_execz .LBB163_1821
; %bb.1820:
	s_mov_b32 s11, 0x3fdda512
	s_mov_b32 s22, 0xbfbb16c3
	v_sub_f32_e64 v1, 2.0, |v9|
	v_add_f32_e64 v10, |v9|, s22
	v_cmp_lt_f32_e64 vcc, |v9|, s11
	v_cndmask_b32_e32 v10, v1, v10, vcc
	v_cndmask_b32_e64 v1, v1, 1.0, vcc
	v_cvt_i32_f32_e32 v11, v1
	s_mov_b32 s11, 0x3f9d70a4
	v_add_f32_e64 v1, |v9|, -1.0
	v_cmp_lt_f32_e64 vcc, |v9|, s11
	v_cndmask_b32_e32 v1, v10, v1, vcc
	v_cndmask_b32_e64 v11, v11, 2, vcc
	v_mov_b32_e32 v10, 0
.LBB163_1821:
	s_or_b64 exec, exec, s[6:7]
	v_cmp_lt_i32_e32 vcc, 0, v11
	s_and_saveexec_b64 s[6:7], vcc
	s_xor_b64 s[6:7], exec, s[6:7]
	s_cbranch_execz .LBB163_1829
; %bb.1822:
	v_cmp_lt_i32_e32 vcc, 1, v11
	s_and_saveexec_b64 s[22:23], vcc
	s_xor_b64 s[22:23], exec, s[22:23]
	s_cbranch_execz .LBB163_1826
; %bb.1823:
	v_cmp_eq_u32_e32 vcc, 2, v11
	s_and_saveexec_b64 s[24:25], vcc
	s_cbranch_execz .LBB163_1825
; %bb.1824:
	v_mov_b32_e32 v11, 0x3e6a7578
	v_fmac_f32_e32 v11, 0x3c5b3c5e, v1
	v_mov_b32_e32 v12, 0x3f7a4bb2
	v_fmac_f32_e32 v12, v1, v11
	;; [unrolled: 2-line block ×8, first 2 shown]
	v_fma_f32 v11, v1, v13, 1.0
	v_rcp_f32_e32 v11, v11
	v_mov_b32_e32 v13, 0xbd9e233f
	v_fmac_f32_e32 v13, v1, v12
	v_mul_f32_e32 v12, v1, v13
	v_mul_f32_e32 v11, v12, v11
	v_fmac_f32_e32 v11, -0.5, v1
	v_add_f32_e32 v10, v10, v11
.LBB163_1825:
	s_or_b64 exec, exec, s[24:25]
                                        ; implicit-def: $vgpr1
.LBB163_1826:
	s_andn2_saveexec_b64 s[22:23], s[22:23]
	s_cbranch_execz .LBB163_1828
; %bb.1827:
	v_mul_f32_e32 v11, v1, v1
	v_mul_f32_e32 v12, v1, v11
	v_mov_b32_e32 v13, 0xbab7f476
	v_fmac_f32_e32 v13, 0x39a57b6b, v12
	v_mov_b32_e32 v14, 0x3bc7e707
	v_fmac_f32_e32 v14, v12, v13
	;; [unrolled: 2-line block ×12, first 2 shown]
	v_fmac_f32_e32 v15, v1, v16
	s_mov_b32 s11, 0xa2863e55
	v_fma_f32 v1, v12, -v15, s11
	v_fma_f32 v1, v11, v14, -v1
	v_add_f32_e32 v1, 0xbdf8cdce, v1
	v_add_f32_e32 v10, v10, v1
.LBB163_1828:
	s_or_b64 exec, exec, s[22:23]
                                        ; implicit-def: $vgpr11
                                        ; implicit-def: $vgpr1
.LBB163_1829:
	s_andn2_saveexec_b64 s[6:7], s[6:7]
	s_cbranch_execz .LBB163_1833
; %bb.1830:
	v_cmp_eq_u32_e32 vcc, 0, v11
	s_and_saveexec_b64 s[22:23], vcc
	s_cbranch_execz .LBB163_1832
; %bb.1831:
	v_mul_f32_e32 v11, v1, v1
	v_mov_b32_e32 v12, 0x39679767
	v_fmac_f32_e32 v12, 0x37d383a2, v11
	v_mov_b32_e32 v13, 0x3a9c54a1
	v_fmac_f32_e32 v13, v11, v12
	;; [unrolled: 2-line block ×10, first 2 shown]
	v_mul_f32_e32 v11, v11, v13
	v_fmac_f32_e32 v11, v1, v12
	v_fmac_f32_e32 v11, -0.5, v1
	v_add_f32_e32 v10, v10, v11
.LBB163_1832:
	s_or_b64 exec, exec, s[22:23]
.LBB163_1833:
	s_or_b64 exec, exec, s[6:7]
.LBB163_1834:
	s_or_b64 exec, exec, s[14:15]
.LBB163_1835:
	s_andn2_saveexec_b64 s[8:9], s[8:9]
	s_cbranch_execz .LBB163_1837
; %bb.1836:
	s_mov_b32 s6, 0x3e8a8991
	v_mov_b32_e32 v1, 0xbecd26ab
	v_fma_f32 v1, |v9|, s6, v1
	s_mov_b32 s6, 0x3f528d33
	v_fma_f32 v1, |v9|, v1, s6
	s_mov_b32 s6, 0x800000
	v_cmp_lt_f32_e64 vcc, |v9|, s6
	v_cndmask_b32_e64 v10, 0, 32, vcc
	v_ldexp_f32 v10, |v9|, v10
	v_log_f32_e32 v10, v10
	s_mov_b32 s6, 0xbf13c468
	v_fma_f32 v1, |v9|, v1, s6
	s_mov_b32 s6, 0x3f317217
	v_mul_f32_e32 v11, 0x3f317217, v10
	v_fma_f32 v12, v10, s6, -v11
	v_fmac_f32_e32 v12, 0x3377d1cf, v10
	s_mov_b32 s6, 0x7f800000
	v_add_f32_e32 v11, v11, v12
	v_cmp_lt_f32_e64 s[6:7], |v10|, s6
	v_cndmask_b32_e64 v10, v10, v11, s[6:7]
	v_mov_b32_e32 v11, 0x41b17218
	v_cndmask_b32_e32 v11, 0, v11, vcc
	v_sub_f32_e32 v10, v10, v11
	v_fma_f32 v10, |v9|, v1, -v10
.LBB163_1837:
	s_or_b64 exec, exec, s[8:9]
	v_cmp_le_f32_e64 s[6:7], 0, v9
	v_cmp_nle_f32_e32 vcc, 0, v9
	s_and_saveexec_b64 s[8:9], vcc
	s_xor_b64 s[14:15], exec, s[8:9]
	s_cbranch_execz .LBB163_1841
; %bb.1838:
	s_mov_b32 s8, 0x4b000000
	s_mov_b32 s11, 0x35000000
	v_cmp_lt_f32_e64 s[8:9], |v9|, s8
	v_cmp_gt_f32_e64 s[22:23], |v9|, s11
	s_and_b64 s[8:9], s[8:9], s[22:23]
	s_and_saveexec_b64 s[22:23], s[8:9]
	s_cbranch_execz .LBB163_1840
; %bb.1839:
	v_mul_f32_e64 v1, |v9|, 0.5
	v_floor_f32_e32 v11, v1
	v_sub_f32_e32 v11, v1, v11
	v_min_f32_e32 v11, 0x3f7fffff, v11
	s_mov_b32 s11, 0x7f800000
	v_add_f32_e32 v11, v11, v11
	v_cmp_neq_f32_e32 vcc, s11, v1
	v_cndmask_b32_e32 v1, 0, v11, vcc
	v_cmp_gt_f32_e64 s[8:9], |v9|, 1.0
	v_cndmask_b32_e64 v1, |v9|, v1, s[8:9]
	v_add_f32_e32 v11, v1, v1
	v_rndne_f32_e32 v11, v11
	v_fmac_f32_e32 v1, -0.5, v11
	v_mul_f32_e32 v12, v1, v1
	v_mov_b32_e32 v13, 0xbf1f24be
	v_fmac_f32_e32 v13, 0x3e75aa41, v12
	v_mov_b32_e32 v14, 0x40234736
	v_fmac_f32_e32 v14, v12, v13
	;; [unrolled: 2-line block ×3, first 2 shown]
	v_mul_f32_e32 v14, v1, v12
	v_mul_f32_e32 v13, v14, v13
	v_fmac_f32_e32 v13, 0x40490fdb, v1
	v_mov_b32_e32 v1, 0x3e642e9d
	v_cvt_i32_f32_e32 v11, v11
	v_fmac_f32_e32 v1, 0x3d4be544, v12
	v_mov_b32_e32 v14, 0xbfaad1da
	v_fmac_f32_e32 v14, v12, v1
	v_mov_b32_e32 v1, 0x4081e0d3
	;; [unrolled: 2-line block ×3, first 2 shown]
	v_fmac_f32_e32 v14, v12, v1
	v_fma_f32 v1, v12, v14, 1.0
	v_and_b32_e32 v12, 1, v11
	v_cmp_eq_u32_e32 vcc, 0, v12
	v_lshlrev_b32_e32 v11, 30, v11
	s_brev_b32 s8, 1
	v_cndmask_b32_e32 v1, v1, v13, vcc
	v_and_or_b32 v0, v11, s8, v0
	v_xor_b32_e32 v0, v0, v1
	v_xor_b32_e32 v0, v0, v9
	v_mul_f32_e32 v0, v9, v0
	v_frexp_mant_f32_e64 v1, |v0|
	v_rcp_f32_e32 v1, v1
	v_frexp_exp_i32_f32_e32 v0, v0
	v_sub_u32_e32 v0, 2, v0
	s_mov_b32 s8, 0x800000
	v_mul_f32_e32 v1, 0x3f490fdb, v1
	v_ldexp_f32 v0, v1, v0
	v_cmp_gt_f32_e32 vcc, s8, v0
	v_cndmask_b32_e64 v1, 0, 32, vcc
	v_ldexp_f32 v0, v0, v1
	v_log_f32_e32 v0, v0
	s_mov_b32 s8, 0x3f317217
	v_mul_f32_e32 v1, 0x3f317217, v0
	v_fma_f32 v11, v0, s8, -v1
	v_fmac_f32_e32 v11, 0x3377d1cf, v0
	v_add_f32_e32 v1, v1, v11
	v_cmp_lt_f32_e64 s[8:9], |v0|, s11
	v_cndmask_b32_e64 v0, v0, v1, s[8:9]
	v_mov_b32_e32 v1, 0x41b17218
	v_cndmask_b32_e32 v1, 0, v1, vcc
	v_sub_f32_e32 v0, v0, v1
	v_floor_f32_e32 v1, v9
	v_sub_f32_e32 v1, v9, v1
	v_min_f32_e32 v1, 0x3f7fffff, v1
	v_sub_f32_e32 v0, v0, v10
	v_mov_b32_e32 v10, 0x7f800000
	v_cmp_neq_f32_e32 vcc, 0, v1
	v_cndmask_b32_e32 v10, v10, v0, vcc
.LBB163_1840:
	s_or_b64 exec, exec, s[22:23]
.LBB163_1841:
	s_andn2_saveexec_b64 s[14:15], s[14:15]
; %bb.1842:
	v_cmp_eq_f32_e32 vcc, 1.0, v9
	v_cmp_eq_f32_e64 s[8:9], 2.0, v9
	s_or_b64 s[8:9], vcc, s[8:9]
	v_cndmask_b32_e64 v10, v10, 0, s[8:9]
; %bb.1843:
	s_or_b64 exec, exec, s[14:15]
	s_mov_b32 s8, 0x4b000000
	v_cmp_lt_f32_e64 s[8:9], |v3|, s8
	v_mov_b32_e32 v0, 0x264
	v_mov_b32_e32 v1, 0x7f800000
	s_or_b64 vcc, s[0:1], s[8:9]
	v_cndmask_b32_e32 v4, v1, v4, vcc
	v_cmp_class_f32_e32 vcc, v3, v0
	v_cndmask_b32_e32 v0, v4, v1, vcc
	v_cmp_u_f32_e32 vcc, v3, v3
	v_mul_lo_u32 v2, s10, v2
	v_cndmask_b32_e32 v0, v0, v3, vcc
	v_bfe_u32 v1, v0, 16, 1
	s_movk_i32 s0, 0x7fff
	v_add3_u32 v1, v0, v1, s0
	v_cmp_o_f32_e32 vcc, v0, v0
	v_mov_b32_e32 v0, 0x7fc0
	v_cndmask_b32_sdwa v3, v0, v1, vcc dst_sel:DWORD dst_unused:UNUSED_PAD src0_sel:DWORD src1_sel:WORD_1
	v_ashrrev_i32_e32 v1, 31, v2
	v_mov_b32_e32 v4, s13
	s_and_b32 s26, s33, 0xff
	v_add_co_u32_e32 v0, vcc, s12, v2
	s_cmp_lt_i32 s26, 11
	v_addc_co_u32_e32 v1, vcc, v4, v1, vcc
	s_cbranch_scc1 .LBB163_1921
; %bb.1844:
	s_and_b32 s11, 0xffff, s26
	s_mov_b64 s[22:23], -1
	s_mov_b64 s[8:9], 0
	s_cmp_gt_i32 s11, 25
	s_mov_b64 s[14:15], 0
	s_mov_b64 s[0:1], 0
	s_cbranch_scc0 .LBB163_1877
; %bb.1845:
	s_cmp_gt_i32 s11, 28
	s_cbranch_scc0 .LBB163_1860
; %bb.1846:
	s_cmp_gt_i32 s11, 43
	;; [unrolled: 3-line block ×3, first 2 shown]
	s_cbranch_scc0 .LBB163_1850
; %bb.1848:
	s_mov_b64 s[0:1], -1
	s_mov_b64 s[22:23], 0
	s_cmp_eq_u32 s11, 46
	s_cbranch_scc0 .LBB163_1850
; %bb.1849:
	v_and_b32_e32 v4, 0xffff, v3
	global_store_dword v[0:1], v4, off
	s_mov_b64 s[0:1], 0
	s_mov_b64 s[14:15], -1
.LBB163_1850:
	s_and_b64 vcc, exec, s[22:23]
	s_cbranch_vccz .LBB163_1855
; %bb.1851:
	s_cmp_eq_u32 s11, 44
	s_mov_b64 s[0:1], -1
	s_cbranch_scc0 .LBB163_1855
; %bb.1852:
	v_and_b32_e32 v11, 0xffff, v3
	v_bfe_u32 v4, v11, 7, 8
	s_movk_i32 s0, 0xff
	v_cmp_ne_u32_e32 vcc, s0, v4
	v_mov_b32_e32 v12, 0xff
	s_and_saveexec_b64 s[14:15], vcc
	s_cbranch_execz .LBB163_1854
; %bb.1853:
	v_lshlrev_b32_e32 v13, 16, v11
	s_mov_b32 s0, 0x3f0000
	v_lshrrev_b32_e32 v12, 7, v11
	v_and_b32_e32 v11, 64, v11
	v_and_or_b32 v4, v13, s0, v4
	v_cmp_ne_u32_e32 vcc, 0, v11
	v_cmp_ne_u32_e64 s[0:1], 0, v4
	s_and_b64 s[0:1], vcc, s[0:1]
	v_cndmask_b32_e64 v4, 0, 1, s[0:1]
	v_add_u32_e32 v12, v12, v4
.LBB163_1854:
	s_or_b64 exec, exec, s[14:15]
	s_mov_b64 s[0:1], 0
	s_mov_b64 s[14:15], -1
	global_store_byte v[0:1], v12, off
.LBB163_1855:
	s_mov_b64 s[22:23], 0
.LBB163_1856:
	s_and_b64 vcc, exec, s[22:23]
	s_cbranch_vccz .LBB163_1859
; %bb.1857:
	s_cmp_eq_u32 s11, 29
	s_mov_b64 s[0:1], -1
	s_cbranch_scc0 .LBB163_1859
; %bb.1858:
	v_lshlrev_b32_e32 v4, 16, v3
	v_trunc_f32_e32 v4, v4
	v_mul_f32_e32 v11, 0x2f800000, v4
	v_floor_f32_e32 v11, v11
	v_fmac_f32_e32 v4, 0xcf800000, v11
	v_cvt_u32_f32_e32 v12, v11
	v_cvt_u32_f32_e32 v11, v4
	s_mov_b64 s[0:1], 0
	s_mov_b64 s[14:15], -1
	global_store_dwordx2 v[0:1], v[11:12], off
.LBB163_1859:
	s_mov_b64 s[22:23], 0
.LBB163_1860:
	s_and_b64 vcc, exec, s[22:23]
	s_cbranch_vccz .LBB163_1876
; %bb.1861:
	s_cmp_lt_i32 s11, 27
	s_mov_b64 s[14:15], -1
	s_cbranch_scc1 .LBB163_1867
; %bb.1862:
	s_cmp_gt_i32 s11, 27
	s_cbranch_scc0 .LBB163_1864
; %bb.1863:
	v_lshlrev_b32_e32 v4, 16, v3
	v_cvt_u32_f32_e32 v4, v4
	s_mov_b64 s[14:15], 0
	global_store_dword v[0:1], v4, off
.LBB163_1864:
	s_andn2_b64 vcc, exec, s[14:15]
	s_cbranch_vccnz .LBB163_1866
; %bb.1865:
	v_lshlrev_b32_e32 v4, 16, v3
	v_cvt_u32_f32_e32 v4, v4
	global_store_short v[0:1], v4, off
.LBB163_1866:
	s_mov_b64 s[14:15], 0
.LBB163_1867:
	s_andn2_b64 vcc, exec, s[14:15]
	s_cbranch_vccnz .LBB163_1875
; %bb.1868:
	v_lshlrev_b32_e32 v12, 16, v3
	v_and_b32_e32 v11, 0x7fffffff, v12
	s_mov_b32 s14, 0x43800000
	v_cmp_gt_u32_e32 vcc, s14, v11
	v_mov_b32_e32 v13, 0x80
	s_and_saveexec_b64 s[14:15], vcc
	s_cbranch_execz .LBB163_1874
; %bb.1869:
	s_mov_b32 s22, 0x3bffffff
	v_and_b32_e32 v4, 0xffff, v3
	v_cmp_lt_u32_e32 vcc, s22, v11
	s_mov_b64 s[22:23], 0
                                        ; implicit-def: $vgpr11
	s_and_saveexec_b64 s[24:25], vcc
	s_xor_b64 s[24:25], exec, s[24:25]
	s_cbranch_execz .LBB163_2323
; %bb.1870:
	v_bfe_u32 v11, v4, 4, 1
	s_mov_b32 s27, 0x487ffff
	v_add3_u32 v11, v12, v11, s27
	s_mov_b64 s[22:23], exec
	v_lshrrev_b32_e32 v11, 20, v11
                                        ; implicit-def: $vgpr12
	s_andn2_saveexec_b64 s[24:25], s[24:25]
	s_cbranch_execnz .LBB163_2324
.LBB163_1871:
	s_or_b64 exec, exec, s[24:25]
	v_mov_b32_e32 v13, 0
	s_and_saveexec_b64 s[24:25], s[22:23]
.LBB163_1872:
	v_lshrrev_b32_e32 v4, 8, v4
	s_movk_i32 s22, 0x80
	v_and_or_b32 v13, v4, s22, v11
.LBB163_1873:
	s_or_b64 exec, exec, s[24:25]
.LBB163_1874:
	s_or_b64 exec, exec, s[14:15]
	global_store_byte v[0:1], v13, off
.LBB163_1875:
	s_mov_b64 s[14:15], -1
.LBB163_1876:
	s_mov_b64 s[22:23], 0
.LBB163_1877:
	s_and_b64 vcc, exec, s[22:23]
	s_cbranch_vccz .LBB163_1917
; %bb.1878:
	s_cmp_gt_i32 s11, 22
	s_mov_b64 s[8:9], -1
	s_cbranch_scc0 .LBB163_1910
; %bb.1879:
	s_cmp_lt_i32 s11, 24
	s_cbranch_scc1 .LBB163_1899
; %bb.1880:
	s_cmp_gt_i32 s11, 24
	s_cbranch_scc0 .LBB163_1888
; %bb.1881:
	v_lshlrev_b32_e32 v12, 16, v3
	v_and_b32_e32 v11, 0x7fffffff, v12
	s_mov_b32 s8, 0x47800000
	v_cmp_gt_u32_e32 vcc, s8, v11
	v_mov_b32_e32 v13, 0x80
	s_and_saveexec_b64 s[8:9], vcc
	s_cbranch_execz .LBB163_1887
; %bb.1882:
	s_mov_b32 s14, 0x37ffffff
	v_and_b32_e32 v4, 0xffff, v3
	v_cmp_lt_u32_e32 vcc, s14, v11
	s_mov_b64 s[14:15], 0
                                        ; implicit-def: $vgpr11
	s_and_saveexec_b64 s[22:23], vcc
	s_xor_b64 s[22:23], exec, s[22:23]
	s_cbranch_execz .LBB163_2326
; %bb.1883:
	v_bfe_u32 v11, v4, 5, 1
	s_mov_b32 s24, 0x88fffff
	v_add3_u32 v11, v12, v11, s24
	s_mov_b64 s[14:15], exec
	v_lshrrev_b32_e32 v11, 21, v11
                                        ; implicit-def: $vgpr12
	s_andn2_saveexec_b64 s[22:23], s[22:23]
	s_cbranch_execnz .LBB163_2327
.LBB163_1884:
	s_or_b64 exec, exec, s[22:23]
	v_mov_b32_e32 v13, 0
	s_and_saveexec_b64 s[22:23], s[14:15]
.LBB163_1885:
	v_lshrrev_b32_e32 v4, 8, v4
	s_movk_i32 s14, 0x80
	v_and_or_b32 v13, v4, s14, v11
.LBB163_1886:
	s_or_b64 exec, exec, s[22:23]
.LBB163_1887:
	s_or_b64 exec, exec, s[8:9]
	s_mov_b64 s[8:9], 0
	global_store_byte v[0:1], v13, off
.LBB163_1888:
	s_and_b64 vcc, exec, s[8:9]
	s_cbranch_vccz .LBB163_1898
; %bb.1889:
	v_lshlrev_b32_e32 v12, 16, v3
	v_and_b32_e32 v13, 0x7fffffff, v12
	s_mov_b32 s8, 0x43f00000
	v_and_b32_e32 v4, 0xffff, v3
	v_cmp_gt_u32_e32 vcc, s8, v13
                                        ; implicit-def: $vgpr11
	s_and_saveexec_b64 s[8:9], vcc
	s_xor_b64 s[8:9], exec, s[8:9]
	s_cbranch_execz .LBB163_1895
; %bb.1890:
	s_mov_b32 s14, 0x3c7fffff
	v_cmp_lt_u32_e32 vcc, s14, v13
                                        ; implicit-def: $vgpr11
	s_and_saveexec_b64 s[14:15], vcc
	s_xor_b64 s[14:15], exec, s[14:15]
; %bb.1891:
	v_bfe_u32 v11, v4, 4, 1
	s_mov_b32 s22, 0x407ffff
	v_add3_u32 v11, v12, v11, s22
	v_lshrrev_b32_e32 v12, 20, v11
	v_and_b32_e32 v11, 0xff00000, v11
	s_mov_b32 s22, 0x7f00000
	v_mov_b32_e32 v13, 0x7e
	v_cmp_ne_u32_e32 vcc, s22, v11
	v_cndmask_b32_e32 v11, v13, v12, vcc
                                        ; implicit-def: $vgpr12
; %bb.1892:
	s_andn2_saveexec_b64 s[14:15], s[14:15]
; %bb.1893:
	s_mov_b32 s22, 0x46800000
	v_add_f32_e64 v11, |v12|, s22
; %bb.1894:
	s_or_b64 exec, exec, s[14:15]
                                        ; implicit-def: $vgpr13
.LBB163_1895:
	s_andn2_saveexec_b64 s[8:9], s[8:9]
; %bb.1896:
	s_mov_b32 s14, 0x7f800000
	v_mov_b32_e32 v11, 0x7e
	v_mov_b32_e32 v12, 0x7f
	v_cmp_lt_u32_e32 vcc, s14, v13
	v_cndmask_b32_e32 v11, v11, v12, vcc
; %bb.1897:
	s_or_b64 exec, exec, s[8:9]
	v_lshrrev_b32_e32 v4, 8, v4
	s_movk_i32 s8, 0x80
	v_and_or_b32 v4, v4, s8, v11
	global_store_byte v[0:1], v4, off
.LBB163_1898:
	s_mov_b64 s[8:9], 0
.LBB163_1899:
	s_andn2_b64 vcc, exec, s[8:9]
	s_cbranch_vccnz .LBB163_1909
; %bb.1900:
	v_lshlrev_b32_e32 v12, 16, v3
	v_and_b32_e32 v13, 0x7fffffff, v12
	s_mov_b32 s8, 0x47800000
	v_and_b32_e32 v4, 0xffff, v3
	v_cmp_gt_u32_e32 vcc, s8, v13
                                        ; implicit-def: $vgpr11
	s_and_saveexec_b64 s[8:9], vcc
	s_xor_b64 s[8:9], exec, s[8:9]
	s_cbranch_execz .LBB163_1906
; %bb.1901:
	s_mov_b32 s14, 0x387fffff
	v_cmp_lt_u32_e32 vcc, s14, v13
                                        ; implicit-def: $vgpr11
	s_and_saveexec_b64 s[14:15], vcc
	s_xor_b64 s[14:15], exec, s[14:15]
; %bb.1902:
	v_bfe_u32 v11, v4, 5, 1
	s_mov_b32 s22, 0x80fffff
	v_add3_u32 v11, v12, v11, s22
	v_lshrrev_b32_e32 v11, 21, v11
                                        ; implicit-def: $vgpr12
; %bb.1903:
	s_andn2_saveexec_b64 s[14:15], s[14:15]
; %bb.1904:
	s_mov_b32 s22, 0x43000000
	v_add_f32_e64 v11, |v12|, s22
; %bb.1905:
	s_or_b64 exec, exec, s[14:15]
                                        ; implicit-def: $vgpr13
.LBB163_1906:
	s_andn2_saveexec_b64 s[8:9], s[8:9]
; %bb.1907:
	s_mov_b32 s14, 0x7f800000
	v_mov_b32_e32 v11, 0x7c
	v_mov_b32_e32 v12, 0x7f
	v_cmp_lt_u32_e32 vcc, s14, v13
	v_cndmask_b32_e32 v11, v11, v12, vcc
; %bb.1908:
	s_or_b64 exec, exec, s[8:9]
	v_lshrrev_b32_e32 v4, 8, v4
	s_movk_i32 s8, 0x80
	v_and_or_b32 v4, v4, s8, v11
	global_store_byte v[0:1], v4, off
.LBB163_1909:
	s_mov_b64 s[8:9], 0
	s_mov_b64 s[14:15], -1
.LBB163_1910:
	s_andn2_b64 vcc, exec, s[8:9]
	s_mov_b64 s[8:9], 0
	s_cbranch_vccnz .LBB163_1917
; %bb.1911:
	s_cmp_gt_i32 s11, 14
	s_mov_b64 s[22:23], -1
	s_cbranch_scc0 .LBB163_1915
; %bb.1912:
	s_cmp_eq_u32 s11, 15
	s_mov_b64 s[0:1], -1
	s_cbranch_scc0 .LBB163_1914
; %bb.1913:
	global_store_short v[0:1], v3, off
	s_mov_b64 s[0:1], 0
	s_mov_b64 s[14:15], -1
.LBB163_1914:
	s_mov_b64 s[22:23], 0
.LBB163_1915:
	s_and_b64 vcc, exec, s[22:23]
	s_cbranch_vccz .LBB163_1917
; %bb.1916:
	s_cmp_lg_u32 s11, 11
	s_mov_b64 s[8:9], -1
	s_cselect_b64 s[0:1], -1, 0
.LBB163_1917:
	s_and_b64 vcc, exec, s[0:1]
	s_cbranch_vccnz .LBB163_2325
; %bb.1918:
	s_andn2_b64 vcc, exec, s[8:9]
	s_cbranch_vccnz .LBB163_1920
.LBB163_1919:
	v_and_b32_e32 v4, 0x7fff, v3
	v_cmp_ne_u16_e32 vcc, 0, v4
	v_cndmask_b32_e64 v4, 0, 1, vcc
	s_mov_b64 s[14:15], -1
	global_store_byte v[0:1], v4, off
.LBB163_1920:
	s_mov_b64 s[0:1], 0
	s_branch .LBB163_1922
.LBB163_1921:
	s_mov_b64 s[0:1], -1
	s_mov_b64 s[14:15], 0
.LBB163_1922:
	s_and_b64 vcc, exec, s[0:1]
	s_cbranch_vccz .LBB163_1961
; %bb.1923:
	s_and_b32 s8, 0xffff, s26
	s_cmp_lt_i32 s8, 5
	s_mov_b64 s[0:1], -1
	s_cbranch_scc1 .LBB163_1944
; %bb.1924:
	s_cmp_lt_i32 s8, 8
	s_cbranch_scc1 .LBB163_1934
; %bb.1925:
	s_cmp_lt_i32 s8, 9
	s_cbranch_scc1 .LBB163_1931
; %bb.1926:
	s_cmp_gt_i32 s8, 9
	s_cbranch_scc0 .LBB163_1928
; %bb.1927:
	v_lshlrev_b32_e32 v4, 16, v3
	v_cvt_f64_f32_e32 v[11:12], v4
	v_mov_b32_e32 v13, 0
	v_mov_b32_e32 v14, v13
	s_mov_b64 s[0:1], 0
	global_store_dwordx4 v[0:1], v[11:14], off
.LBB163_1928:
	s_andn2_b64 vcc, exec, s[0:1]
	s_cbranch_vccnz .LBB163_1930
; %bb.1929:
	v_lshlrev_b32_e32 v11, 16, v3
	v_mov_b32_e32 v12, 0
	global_store_dwordx2 v[0:1], v[11:12], off
.LBB163_1930:
	s_mov_b64 s[0:1], 0
.LBB163_1931:
	s_andn2_b64 vcc, exec, s[0:1]
	s_cbranch_vccnz .LBB163_1933
; %bb.1932:
	v_lshlrev_b32_e32 v4, 16, v3
	v_cvt_f16_f32_e32 v4, v4
	global_store_dword v[0:1], v4, off
.LBB163_1933:
	s_mov_b64 s[0:1], 0
.LBB163_1934:
	s_andn2_b64 vcc, exec, s[0:1]
	s_cbranch_vccnz .LBB163_1943
; %bb.1935:
	s_cmp_lt_i32 s8, 6
	s_mov_b64 s[0:1], -1
	s_cbranch_scc1 .LBB163_1941
; %bb.1936:
	s_cmp_gt_i32 s8, 6
	s_cbranch_scc0 .LBB163_1938
; %bb.1937:
	v_lshlrev_b32_e32 v4, 16, v3
	v_cvt_f64_f32_e32 v[11:12], v4
	s_mov_b64 s[0:1], 0
	global_store_dwordx2 v[0:1], v[11:12], off
.LBB163_1938:
	s_andn2_b64 vcc, exec, s[0:1]
	s_cbranch_vccnz .LBB163_1940
; %bb.1939:
	v_lshlrev_b32_e32 v4, 16, v3
	global_store_dword v[0:1], v4, off
.LBB163_1940:
	s_mov_b64 s[0:1], 0
.LBB163_1941:
	s_andn2_b64 vcc, exec, s[0:1]
	s_cbranch_vccnz .LBB163_1943
; %bb.1942:
	v_lshlrev_b32_e32 v4, 16, v3
	v_cvt_f16_f32_e32 v4, v4
	global_store_short v[0:1], v4, off
.LBB163_1943:
	s_mov_b64 s[0:1], 0
.LBB163_1944:
	s_andn2_b64 vcc, exec, s[0:1]
	s_cbranch_vccnz .LBB163_1960
; %bb.1945:
	s_cmp_lt_i32 s8, 2
	s_mov_b64 s[0:1], -1
	s_cbranch_scc1 .LBB163_1955
; %bb.1946:
	s_cmp_lt_i32 s8, 3
	s_cbranch_scc1 .LBB163_1952
; %bb.1947:
	s_cmp_gt_i32 s8, 3
	s_cbranch_scc0 .LBB163_1949
; %bb.1948:
	v_lshlrev_b32_e32 v4, 16, v3
	v_trunc_f32_e32 v4, v4
	s_mov_b32 s0, 0x2f800000
	v_mul_f32_e64 v11, |v4|, s0
	v_floor_f32_e32 v11, v11
	s_mov_b32 s0, 0xcf800000
	v_cvt_u32_f32_e32 v12, v11
	v_fma_f32 v11, v11, s0, |v4|
	v_cvt_u32_f32_e32 v11, v11
	v_ashrrev_i32_e32 v4, 31, v4
	v_xor_b32_e32 v12, v12, v4
	s_mov_b64 s[0:1], 0
	v_xor_b32_e32 v11, v11, v4
	v_sub_co_u32_e32 v11, vcc, v11, v4
	v_subb_co_u32_e32 v12, vcc, v12, v4, vcc
	global_store_dwordx2 v[0:1], v[11:12], off
.LBB163_1949:
	s_andn2_b64 vcc, exec, s[0:1]
	s_cbranch_vccnz .LBB163_1951
; %bb.1950:
	v_lshlrev_b32_e32 v4, 16, v3
	v_cvt_i32_f32_e32 v4, v4
	global_store_dword v[0:1], v4, off
.LBB163_1951:
	s_mov_b64 s[0:1], 0
.LBB163_1952:
	s_andn2_b64 vcc, exec, s[0:1]
	s_cbranch_vccnz .LBB163_1954
; %bb.1953:
	v_lshlrev_b32_e32 v4, 16, v3
	v_cvt_i32_f32_e32 v4, v4
	global_store_short v[0:1], v4, off
.LBB163_1954:
	s_mov_b64 s[0:1], 0
.LBB163_1955:
	s_andn2_b64 vcc, exec, s[0:1]
	s_cbranch_vccnz .LBB163_1960
; %bb.1956:
	s_mov_b64 s[0:1], -1
	s_cmp_gt_i32 s8, 0
	v_lshlrev_b32_e32 v3, 16, v3
	s_cbranch_scc0 .LBB163_1958
; %bb.1957:
	v_cvt_i32_f32_e32 v4, v3
	s_mov_b64 s[0:1], 0
	global_store_byte v[0:1], v4, off
.LBB163_1958:
	s_andn2_b64 vcc, exec, s[0:1]
	s_cbranch_vccnz .LBB163_1960
; %bb.1959:
	v_trunc_f32_e32 v3, v3
	s_mov_b32 s0, 0x2f800000
	v_mul_f32_e64 v4, |v3|, s0
	v_floor_f32_e32 v4, v4
	s_mov_b32 s0, 0xcf800000
	v_fma_f32 v4, v4, s0, |v3|
	v_cvt_u32_f32_e32 v4, v4
	v_ashrrev_i32_e32 v3, 31, v3
	v_xor_b32_e32 v4, v4, v3
	v_sub_u32_e32 v3, v4, v3
	global_store_byte v[0:1], v3, off
.LBB163_1960:
	s_mov_b64 s[14:15], -1
.LBB163_1961:
	s_andn2_b64 vcc, exec, s[14:15]
	s_cbranch_vccnz .LBB163_2276
; %bb.1962:
	s_mov_b32 s0, 0x4b000000
	v_cmp_lt_f32_e64 s[0:1], |v5|, s0
	v_mov_b32_e32 v0, 0x264
	v_mov_b32_e32 v1, 0x7f800000
	s_or_b64 vcc, s[2:3], s[0:1]
	v_cndmask_b32_e32 v3, v1, v6, vcc
	v_cmp_class_f32_e32 vcc, v5, v0
	v_cndmask_b32_e32 v0, v3, v1, vcc
	v_cmp_u_f32_e32 vcc, v5, v5
	v_cndmask_b32_e32 v0, v0, v5, vcc
	v_bfe_u32 v1, v0, 16, 1
	s_movk_i32 s0, 0x7fff
	v_add3_u32 v1, v0, v1, s0
	s_lshl_b32 s22, s10, 7
	v_lshrrev_b32_e32 v1, 16, v1
	v_mov_b32_e32 v3, 0x7fc0
	v_cmp_o_f32_e32 vcc, v0, v0
	v_add_u32_e32 v2, s22, v2
	v_cndmask_b32_e32 v3, v3, v1, vcc
	v_ashrrev_i32_e32 v1, 31, v2
	v_mov_b32_e32 v4, s13
	v_add_co_u32_e32 v0, vcc, s12, v2
	s_cmp_lt_i32 s26, 11
	v_addc_co_u32_e32 v1, vcc, v4, v1, vcc
	s_cbranch_scc1 .LBB163_2040
; %bb.1963:
	s_and_b32 s23, 0xffff, s26
	s_mov_b64 s[10:11], -1
	s_mov_b64 s[2:3], 0
	s_cmp_gt_i32 s23, 25
	s_mov_b64 s[8:9], 0
	s_mov_b64 s[0:1], 0
	s_cbranch_scc0 .LBB163_1996
; %bb.1964:
	s_cmp_gt_i32 s23, 28
	s_cbranch_scc0 .LBB163_1979
; %bb.1965:
	s_cmp_gt_i32 s23, 43
	;; [unrolled: 3-line block ×3, first 2 shown]
	s_cbranch_scc0 .LBB163_1969
; %bb.1967:
	s_mov_b64 s[0:1], -1
	s_mov_b64 s[10:11], 0
	s_cmp_eq_u32 s23, 46
	s_cbranch_scc0 .LBB163_1969
; %bb.1968:
	v_and_b32_e32 v4, 0xffff, v3
	global_store_dword v[0:1], v4, off
	s_mov_b64 s[0:1], 0
	s_mov_b64 s[8:9], -1
.LBB163_1969:
	s_and_b64 vcc, exec, s[10:11]
	s_cbranch_vccz .LBB163_1974
; %bb.1970:
	s_cmp_eq_u32 s23, 44
	s_mov_b64 s[0:1], -1
	s_cbranch_scc0 .LBB163_1974
; %bb.1971:
	v_and_b32_e32 v5, 0xffff, v3
	v_bfe_u32 v4, v5, 7, 8
	s_movk_i32 s0, 0xff
	v_cmp_ne_u32_e32 vcc, s0, v4
	v_mov_b32_e32 v6, 0xff
	s_and_saveexec_b64 s[8:9], vcc
	s_cbranch_execz .LBB163_1973
; %bb.1972:
	v_lshlrev_b32_e32 v11, 16, v5
	s_mov_b32 s0, 0x3f0000
	v_lshrrev_b32_e32 v6, 7, v5
	v_and_b32_e32 v5, 64, v5
	v_and_or_b32 v4, v11, s0, v4
	v_cmp_ne_u32_e32 vcc, 0, v5
	v_cmp_ne_u32_e64 s[0:1], 0, v4
	s_and_b64 s[0:1], vcc, s[0:1]
	v_cndmask_b32_e64 v4, 0, 1, s[0:1]
	v_add_u32_e32 v6, v6, v4
.LBB163_1973:
	s_or_b64 exec, exec, s[8:9]
	s_mov_b64 s[0:1], 0
	s_mov_b64 s[8:9], -1
	global_store_byte v[0:1], v6, off
.LBB163_1974:
	s_mov_b64 s[10:11], 0
.LBB163_1975:
	s_and_b64 vcc, exec, s[10:11]
	s_cbranch_vccz .LBB163_1978
; %bb.1976:
	s_cmp_eq_u32 s23, 29
	s_mov_b64 s[0:1], -1
	s_cbranch_scc0 .LBB163_1978
; %bb.1977:
	v_lshlrev_b32_e32 v4, 16, v3
	v_trunc_f32_e32 v4, v4
	v_mul_f32_e32 v5, 0x2f800000, v4
	v_floor_f32_e32 v6, v5
	v_fmac_f32_e32 v4, 0xcf800000, v6
	v_cvt_u32_f32_e32 v5, v6
	v_cvt_u32_f32_e32 v4, v4
	s_mov_b64 s[0:1], 0
	s_mov_b64 s[8:9], -1
	global_store_dwordx2 v[0:1], v[4:5], off
.LBB163_1978:
	s_mov_b64 s[10:11], 0
.LBB163_1979:
	s_and_b64 vcc, exec, s[10:11]
	s_cbranch_vccz .LBB163_1995
; %bb.1980:
	s_cmp_lt_i32 s23, 27
	s_mov_b64 s[8:9], -1
	s_cbranch_scc1 .LBB163_1986
; %bb.1981:
	s_cmp_gt_i32 s23, 27
	s_cbranch_scc0 .LBB163_1983
; %bb.1982:
	v_lshlrev_b32_e32 v4, 16, v3
	v_cvt_u32_f32_e32 v4, v4
	s_mov_b64 s[8:9], 0
	global_store_dword v[0:1], v4, off
.LBB163_1983:
	s_andn2_b64 vcc, exec, s[8:9]
	s_cbranch_vccnz .LBB163_1985
; %bb.1984:
	v_lshlrev_b32_e32 v4, 16, v3
	v_cvt_u32_f32_e32 v4, v4
	global_store_short v[0:1], v4, off
.LBB163_1985:
	s_mov_b64 s[8:9], 0
.LBB163_1986:
	s_andn2_b64 vcc, exec, s[8:9]
	s_cbranch_vccnz .LBB163_1994
; %bb.1987:
	v_lshlrev_b32_e32 v6, 16, v3
	v_and_b32_e32 v5, 0x7fffffff, v6
	s_mov_b32 s8, 0x43800000
	v_cmp_gt_u32_e32 vcc, s8, v5
	v_mov_b32_e32 v11, 0x80
	s_and_saveexec_b64 s[8:9], vcc
	s_cbranch_execz .LBB163_1993
; %bb.1988:
	s_mov_b32 s10, 0x3bffffff
	v_and_b32_e32 v4, 0xffff, v3
	v_cmp_lt_u32_e32 vcc, s10, v5
	s_mov_b64 s[10:11], 0
                                        ; implicit-def: $vgpr5
	s_and_saveexec_b64 s[14:15], vcc
	s_xor_b64 s[14:15], exec, s[14:15]
	s_cbranch_execz .LBB163_2328
; %bb.1989:
	v_bfe_u32 v5, v4, 4, 1
	s_mov_b32 s24, 0x487ffff
	v_add3_u32 v5, v6, v5, s24
	s_mov_b64 s[10:11], exec
	v_lshrrev_b32_e32 v5, 20, v5
                                        ; implicit-def: $vgpr6
	s_andn2_saveexec_b64 s[14:15], s[14:15]
	s_cbranch_execnz .LBB163_2329
.LBB163_1990:
	s_or_b64 exec, exec, s[14:15]
	v_mov_b32_e32 v11, 0
	s_and_saveexec_b64 s[14:15], s[10:11]
.LBB163_1991:
	v_lshrrev_b32_e32 v4, 8, v4
	s_movk_i32 s10, 0x80
	v_and_or_b32 v11, v4, s10, v5
.LBB163_1992:
	s_or_b64 exec, exec, s[14:15]
.LBB163_1993:
	s_or_b64 exec, exec, s[8:9]
	global_store_byte v[0:1], v11, off
.LBB163_1994:
	s_mov_b64 s[8:9], -1
.LBB163_1995:
	s_mov_b64 s[10:11], 0
.LBB163_1996:
	s_and_b64 vcc, exec, s[10:11]
	s_cbranch_vccz .LBB163_2036
; %bb.1997:
	s_cmp_gt_i32 s23, 22
	s_mov_b64 s[2:3], -1
	s_cbranch_scc0 .LBB163_2029
; %bb.1998:
	s_cmp_lt_i32 s23, 24
	s_cbranch_scc1 .LBB163_2018
; %bb.1999:
	s_cmp_gt_i32 s23, 24
	s_cbranch_scc0 .LBB163_2007
; %bb.2000:
	v_lshlrev_b32_e32 v6, 16, v3
	v_and_b32_e32 v5, 0x7fffffff, v6
	s_mov_b32 s2, 0x47800000
	v_cmp_gt_u32_e32 vcc, s2, v5
	v_mov_b32_e32 v11, 0x80
	s_and_saveexec_b64 s[2:3], vcc
	s_cbranch_execz .LBB163_2006
; %bb.2001:
	s_mov_b32 s8, 0x37ffffff
	v_and_b32_e32 v4, 0xffff, v3
	v_cmp_lt_u32_e32 vcc, s8, v5
	s_mov_b64 s[8:9], 0
                                        ; implicit-def: $vgpr5
	s_and_saveexec_b64 s[10:11], vcc
	s_xor_b64 s[10:11], exec, s[10:11]
	s_cbranch_execz .LBB163_2331
; %bb.2002:
	v_bfe_u32 v5, v4, 5, 1
	s_mov_b32 s14, 0x88fffff
	v_add3_u32 v5, v6, v5, s14
	s_mov_b64 s[8:9], exec
	v_lshrrev_b32_e32 v5, 21, v5
                                        ; implicit-def: $vgpr6
	s_andn2_saveexec_b64 s[10:11], s[10:11]
	s_cbranch_execnz .LBB163_2332
.LBB163_2003:
	s_or_b64 exec, exec, s[10:11]
	v_mov_b32_e32 v11, 0
	s_and_saveexec_b64 s[10:11], s[8:9]
.LBB163_2004:
	v_lshrrev_b32_e32 v4, 8, v4
	s_movk_i32 s8, 0x80
	v_and_or_b32 v11, v4, s8, v5
.LBB163_2005:
	s_or_b64 exec, exec, s[10:11]
.LBB163_2006:
	s_or_b64 exec, exec, s[2:3]
	s_mov_b64 s[2:3], 0
	global_store_byte v[0:1], v11, off
.LBB163_2007:
	s_and_b64 vcc, exec, s[2:3]
	s_cbranch_vccz .LBB163_2017
; %bb.2008:
	v_lshlrev_b32_e32 v6, 16, v3
	v_and_b32_e32 v11, 0x7fffffff, v6
	s_mov_b32 s2, 0x43f00000
	v_and_b32_e32 v4, 0xffff, v3
	v_cmp_gt_u32_e32 vcc, s2, v11
                                        ; implicit-def: $vgpr5
	s_and_saveexec_b64 s[2:3], vcc
	s_xor_b64 s[2:3], exec, s[2:3]
	s_cbranch_execz .LBB163_2014
; %bb.2009:
	s_mov_b32 s8, 0x3c7fffff
	v_cmp_lt_u32_e32 vcc, s8, v11
                                        ; implicit-def: $vgpr5
	s_and_saveexec_b64 s[8:9], vcc
	s_xor_b64 s[8:9], exec, s[8:9]
; %bb.2010:
	v_bfe_u32 v5, v4, 4, 1
	s_mov_b32 s10, 0x407ffff
	v_add3_u32 v5, v6, v5, s10
	v_lshrrev_b32_e32 v6, 20, v5
	v_and_b32_e32 v5, 0xff00000, v5
	s_mov_b32 s10, 0x7f00000
	v_mov_b32_e32 v11, 0x7e
	v_cmp_ne_u32_e32 vcc, s10, v5
	v_cndmask_b32_e32 v5, v11, v6, vcc
                                        ; implicit-def: $vgpr6
; %bb.2011:
	s_andn2_saveexec_b64 s[8:9], s[8:9]
; %bb.2012:
	s_mov_b32 s10, 0x46800000
	v_add_f32_e64 v5, |v6|, s10
; %bb.2013:
	s_or_b64 exec, exec, s[8:9]
                                        ; implicit-def: $vgpr11
.LBB163_2014:
	s_andn2_saveexec_b64 s[2:3], s[2:3]
; %bb.2015:
	s_mov_b32 s8, 0x7f800000
	v_mov_b32_e32 v5, 0x7e
	v_mov_b32_e32 v6, 0x7f
	v_cmp_lt_u32_e32 vcc, s8, v11
	v_cndmask_b32_e32 v5, v5, v6, vcc
; %bb.2016:
	s_or_b64 exec, exec, s[2:3]
	v_lshrrev_b32_e32 v4, 8, v4
	s_movk_i32 s2, 0x80
	v_and_or_b32 v4, v4, s2, v5
	global_store_byte v[0:1], v4, off
.LBB163_2017:
	s_mov_b64 s[2:3], 0
.LBB163_2018:
	s_andn2_b64 vcc, exec, s[2:3]
	s_cbranch_vccnz .LBB163_2028
; %bb.2019:
	v_lshlrev_b32_e32 v6, 16, v3
	v_and_b32_e32 v11, 0x7fffffff, v6
	s_mov_b32 s2, 0x47800000
	v_and_b32_e32 v4, 0xffff, v3
	v_cmp_gt_u32_e32 vcc, s2, v11
                                        ; implicit-def: $vgpr5
	s_and_saveexec_b64 s[2:3], vcc
	s_xor_b64 s[2:3], exec, s[2:3]
	s_cbranch_execz .LBB163_2025
; %bb.2020:
	s_mov_b32 s8, 0x387fffff
	v_cmp_lt_u32_e32 vcc, s8, v11
                                        ; implicit-def: $vgpr5
	s_and_saveexec_b64 s[8:9], vcc
	s_xor_b64 s[8:9], exec, s[8:9]
; %bb.2021:
	v_bfe_u32 v5, v4, 5, 1
	s_mov_b32 s10, 0x80fffff
	v_add3_u32 v5, v6, v5, s10
	v_lshrrev_b32_e32 v5, 21, v5
                                        ; implicit-def: $vgpr6
; %bb.2022:
	s_andn2_saveexec_b64 s[8:9], s[8:9]
; %bb.2023:
	s_mov_b32 s10, 0x43000000
	v_add_f32_e64 v5, |v6|, s10
; %bb.2024:
	s_or_b64 exec, exec, s[8:9]
                                        ; implicit-def: $vgpr11
.LBB163_2025:
	s_andn2_saveexec_b64 s[2:3], s[2:3]
; %bb.2026:
	s_mov_b32 s8, 0x7f800000
	v_mov_b32_e32 v5, 0x7c
	v_mov_b32_e32 v6, 0x7f
	v_cmp_lt_u32_e32 vcc, s8, v11
	v_cndmask_b32_e32 v5, v5, v6, vcc
; %bb.2027:
	s_or_b64 exec, exec, s[2:3]
	v_lshrrev_b32_e32 v4, 8, v4
	s_movk_i32 s2, 0x80
	v_and_or_b32 v4, v4, s2, v5
	global_store_byte v[0:1], v4, off
.LBB163_2028:
	s_mov_b64 s[2:3], 0
	s_mov_b64 s[8:9], -1
.LBB163_2029:
	s_andn2_b64 vcc, exec, s[2:3]
	s_mov_b64 s[2:3], 0
	s_cbranch_vccnz .LBB163_2036
; %bb.2030:
	s_cmp_gt_i32 s23, 14
	s_mov_b64 s[10:11], -1
	s_cbranch_scc0 .LBB163_2034
; %bb.2031:
	s_cmp_eq_u32 s23, 15
	s_mov_b64 s[0:1], -1
	s_cbranch_scc0 .LBB163_2033
; %bb.2032:
	global_store_short v[0:1], v3, off
	s_mov_b64 s[0:1], 0
	s_mov_b64 s[8:9], -1
.LBB163_2033:
	s_mov_b64 s[10:11], 0
.LBB163_2034:
	s_and_b64 vcc, exec, s[10:11]
	s_cbranch_vccz .LBB163_2036
; %bb.2035:
	s_cmp_lg_u32 s23, 11
	s_mov_b64 s[2:3], -1
	s_cselect_b64 s[0:1], -1, 0
.LBB163_2036:
	s_and_b64 vcc, exec, s[0:1]
	s_cbranch_vccnz .LBB163_2330
; %bb.2037:
	s_andn2_b64 vcc, exec, s[2:3]
	s_cbranch_vccnz .LBB163_2039
.LBB163_2038:
	v_and_b32_e32 v4, 0x7fff, v3
	v_cmp_ne_u16_e32 vcc, 0, v4
	v_cndmask_b32_e64 v4, 0, 1, vcc
	s_mov_b64 s[8:9], -1
	global_store_byte v[0:1], v4, off
.LBB163_2039:
	s_mov_b64 s[0:1], 0
	s_branch .LBB163_2041
.LBB163_2040:
	s_mov_b64 s[0:1], -1
	s_mov_b64 s[8:9], 0
.LBB163_2041:
	s_and_b64 vcc, exec, s[0:1]
	s_cbranch_vccz .LBB163_2080
; %bb.2042:
	s_and_b32 s2, 0xffff, s26
	s_cmp_lt_i32 s2, 5
	s_mov_b64 s[0:1], -1
	s_cbranch_scc1 .LBB163_2063
; %bb.2043:
	s_cmp_lt_i32 s2, 8
	s_cbranch_scc1 .LBB163_2053
; %bb.2044:
	s_cmp_lt_i32 s2, 9
	s_cbranch_scc1 .LBB163_2050
; %bb.2045:
	s_cmp_gt_i32 s2, 9
	s_cbranch_scc0 .LBB163_2047
; %bb.2046:
	v_lshlrev_b32_e32 v4, 16, v3
	v_cvt_f64_f32_e32 v[11:12], v4
	v_mov_b32_e32 v13, 0
	v_mov_b32_e32 v14, v13
	s_mov_b64 s[0:1], 0
	global_store_dwordx4 v[0:1], v[11:14], off
.LBB163_2047:
	s_andn2_b64 vcc, exec, s[0:1]
	s_cbranch_vccnz .LBB163_2049
; %bb.2048:
	v_lshlrev_b32_e32 v4, 16, v3
	v_mov_b32_e32 v5, 0
	global_store_dwordx2 v[0:1], v[4:5], off
.LBB163_2049:
	s_mov_b64 s[0:1], 0
.LBB163_2050:
	s_andn2_b64 vcc, exec, s[0:1]
	s_cbranch_vccnz .LBB163_2052
; %bb.2051:
	v_lshlrev_b32_e32 v4, 16, v3
	v_cvt_f16_f32_e32 v4, v4
	global_store_dword v[0:1], v4, off
.LBB163_2052:
	s_mov_b64 s[0:1], 0
.LBB163_2053:
	s_andn2_b64 vcc, exec, s[0:1]
	s_cbranch_vccnz .LBB163_2062
; %bb.2054:
	s_cmp_lt_i32 s2, 6
	s_mov_b64 s[0:1], -1
	s_cbranch_scc1 .LBB163_2060
; %bb.2055:
	s_cmp_gt_i32 s2, 6
	s_cbranch_scc0 .LBB163_2057
; %bb.2056:
	v_lshlrev_b32_e32 v4, 16, v3
	v_cvt_f64_f32_e32 v[4:5], v4
	s_mov_b64 s[0:1], 0
	global_store_dwordx2 v[0:1], v[4:5], off
.LBB163_2057:
	s_andn2_b64 vcc, exec, s[0:1]
	s_cbranch_vccnz .LBB163_2059
; %bb.2058:
	v_lshlrev_b32_e32 v4, 16, v3
	global_store_dword v[0:1], v4, off
.LBB163_2059:
	s_mov_b64 s[0:1], 0
.LBB163_2060:
	s_andn2_b64 vcc, exec, s[0:1]
	s_cbranch_vccnz .LBB163_2062
; %bb.2061:
	v_lshlrev_b32_e32 v4, 16, v3
	v_cvt_f16_f32_e32 v4, v4
	global_store_short v[0:1], v4, off
.LBB163_2062:
	s_mov_b64 s[0:1], 0
.LBB163_2063:
	s_andn2_b64 vcc, exec, s[0:1]
	s_cbranch_vccnz .LBB163_2079
; %bb.2064:
	s_cmp_lt_i32 s2, 2
	s_mov_b64 s[0:1], -1
	s_cbranch_scc1 .LBB163_2074
; %bb.2065:
	s_cmp_lt_i32 s2, 3
	s_cbranch_scc1 .LBB163_2071
; %bb.2066:
	s_cmp_gt_i32 s2, 3
	s_cbranch_scc0 .LBB163_2068
; %bb.2067:
	v_lshlrev_b32_e32 v4, 16, v3
	v_trunc_f32_e32 v4, v4
	s_mov_b32 s0, 0x2f800000
	v_mul_f32_e64 v5, |v4|, s0
	v_floor_f32_e32 v5, v5
	s_mov_b32 s0, 0xcf800000
	v_cvt_u32_f32_e32 v6, v5
	v_fma_f32 v5, v5, s0, |v4|
	v_cvt_u32_f32_e32 v5, v5
	v_ashrrev_i32_e32 v11, 31, v4
	v_xor_b32_e32 v6, v6, v11
	s_mov_b64 s[0:1], 0
	v_xor_b32_e32 v4, v5, v11
	v_sub_co_u32_e32 v4, vcc, v4, v11
	v_subb_co_u32_e32 v5, vcc, v6, v11, vcc
	global_store_dwordx2 v[0:1], v[4:5], off
.LBB163_2068:
	s_andn2_b64 vcc, exec, s[0:1]
	s_cbranch_vccnz .LBB163_2070
; %bb.2069:
	v_lshlrev_b32_e32 v4, 16, v3
	v_cvt_i32_f32_e32 v4, v4
	global_store_dword v[0:1], v4, off
.LBB163_2070:
	s_mov_b64 s[0:1], 0
.LBB163_2071:
	s_andn2_b64 vcc, exec, s[0:1]
	s_cbranch_vccnz .LBB163_2073
; %bb.2072:
	v_lshlrev_b32_e32 v4, 16, v3
	v_cvt_i32_f32_e32 v4, v4
	global_store_short v[0:1], v4, off
.LBB163_2073:
	s_mov_b64 s[0:1], 0
.LBB163_2074:
	s_andn2_b64 vcc, exec, s[0:1]
	s_cbranch_vccnz .LBB163_2079
; %bb.2075:
	s_mov_b64 s[0:1], -1
	s_cmp_gt_i32 s2, 0
	v_lshlrev_b32_e32 v3, 16, v3
	s_cbranch_scc0 .LBB163_2077
; %bb.2076:
	v_cvt_i32_f32_e32 v4, v3
	s_mov_b64 s[0:1], 0
	global_store_byte v[0:1], v4, off
.LBB163_2077:
	s_andn2_b64 vcc, exec, s[0:1]
	s_cbranch_vccnz .LBB163_2079
; %bb.2078:
	v_trunc_f32_e32 v3, v3
	s_mov_b32 s0, 0x2f800000
	v_mul_f32_e64 v4, |v3|, s0
	v_floor_f32_e32 v4, v4
	s_mov_b32 s0, 0xcf800000
	v_fma_f32 v4, v4, s0, |v3|
	v_cvt_u32_f32_e32 v4, v4
	v_ashrrev_i32_e32 v3, 31, v3
	v_xor_b32_e32 v4, v4, v3
	v_sub_u32_e32 v3, v4, v3
	global_store_byte v[0:1], v3, off
.LBB163_2079:
	s_mov_b64 s[8:9], -1
.LBB163_2080:
	s_andn2_b64 vcc, exec, s[8:9]
	s_cbranch_vccnz .LBB163_2276
; %bb.2081:
	s_mov_b32 s0, 0x4b000000
	v_cmp_lt_f32_e64 s[0:1], |v7|, s0
	v_mov_b32_e32 v0, 0x264
	v_mov_b32_e32 v1, 0x7f800000
	s_or_b64 vcc, s[4:5], s[0:1]
	v_cndmask_b32_e32 v3, v1, v8, vcc
	v_cmp_class_f32_e32 vcc, v7, v0
	v_cndmask_b32_e32 v0, v3, v1, vcc
	v_cmp_u_f32_e32 vcc, v7, v7
	v_cndmask_b32_e32 v0, v0, v7, vcc
	v_bfe_u32 v1, v0, 16, 1
	s_movk_i32 s0, 0x7fff
	v_add3_u32 v1, v0, v1, s0
	v_cmp_o_f32_e32 vcc, v0, v0
	v_mov_b32_e32 v0, 0x7fc0
	v_add_u32_e32 v2, s22, v2
	v_cndmask_b32_sdwa v3, v0, v1, vcc dst_sel:DWORD dst_unused:UNUSED_PAD src0_sel:DWORD src1_sel:WORD_1
	v_ashrrev_i32_e32 v1, 31, v2
	v_mov_b32_e32 v4, s13
	v_add_co_u32_e32 v0, vcc, s12, v2
	s_cmp_lt_i32 s26, 11
	v_addc_co_u32_e32 v1, vcc, v4, v1, vcc
	s_cbranch_scc1 .LBB163_2159
; %bb.2082:
	s_and_b32 s14, 0xffff, s26
	s_mov_b64 s[8:9], -1
	s_mov_b64 s[2:3], 0
	s_cmp_gt_i32 s14, 25
	s_mov_b64 s[4:5], 0
	s_mov_b64 s[0:1], 0
	s_cbranch_scc0 .LBB163_2115
; %bb.2083:
	s_cmp_gt_i32 s14, 28
	s_cbranch_scc0 .LBB163_2098
; %bb.2084:
	s_cmp_gt_i32 s14, 43
	;; [unrolled: 3-line block ×3, first 2 shown]
	s_cbranch_scc0 .LBB163_2088
; %bb.2086:
	s_mov_b64 s[0:1], -1
	s_mov_b64 s[8:9], 0
	s_cmp_eq_u32 s14, 46
	s_cbranch_scc0 .LBB163_2088
; %bb.2087:
	v_and_b32_e32 v4, 0xffff, v3
	global_store_dword v[0:1], v4, off
	s_mov_b64 s[0:1], 0
	s_mov_b64 s[4:5], -1
.LBB163_2088:
	s_and_b64 vcc, exec, s[8:9]
	s_cbranch_vccz .LBB163_2093
; %bb.2089:
	s_cmp_eq_u32 s14, 44
	s_mov_b64 s[0:1], -1
	s_cbranch_scc0 .LBB163_2093
; %bb.2090:
	v_and_b32_e32 v5, 0xffff, v3
	v_bfe_u32 v4, v5, 7, 8
	s_movk_i32 s0, 0xff
	v_cmp_ne_u32_e32 vcc, s0, v4
	v_mov_b32_e32 v6, 0xff
	s_and_saveexec_b64 s[4:5], vcc
	s_cbranch_execz .LBB163_2092
; %bb.2091:
	v_lshlrev_b32_e32 v7, 16, v5
	s_mov_b32 s0, 0x3f0000
	v_lshrrev_b32_e32 v6, 7, v5
	v_and_b32_e32 v5, 64, v5
	v_and_or_b32 v4, v7, s0, v4
	v_cmp_ne_u32_e32 vcc, 0, v5
	v_cmp_ne_u32_e64 s[0:1], 0, v4
	s_and_b64 s[0:1], vcc, s[0:1]
	v_cndmask_b32_e64 v4, 0, 1, s[0:1]
	v_add_u32_e32 v6, v6, v4
.LBB163_2092:
	s_or_b64 exec, exec, s[4:5]
	s_mov_b64 s[0:1], 0
	s_mov_b64 s[4:5], -1
	global_store_byte v[0:1], v6, off
.LBB163_2093:
	s_mov_b64 s[8:9], 0
.LBB163_2094:
	s_and_b64 vcc, exec, s[8:9]
	s_cbranch_vccz .LBB163_2097
; %bb.2095:
	s_cmp_eq_u32 s14, 29
	s_mov_b64 s[0:1], -1
	s_cbranch_scc0 .LBB163_2097
; %bb.2096:
	v_lshlrev_b32_e32 v4, 16, v3
	v_trunc_f32_e32 v4, v4
	v_mul_f32_e32 v5, 0x2f800000, v4
	v_floor_f32_e32 v6, v5
	v_fmac_f32_e32 v4, 0xcf800000, v6
	v_cvt_u32_f32_e32 v5, v6
	v_cvt_u32_f32_e32 v4, v4
	s_mov_b64 s[0:1], 0
	s_mov_b64 s[4:5], -1
	global_store_dwordx2 v[0:1], v[4:5], off
.LBB163_2097:
	s_mov_b64 s[8:9], 0
.LBB163_2098:
	s_and_b64 vcc, exec, s[8:9]
	s_cbranch_vccz .LBB163_2114
; %bb.2099:
	s_cmp_lt_i32 s14, 27
	s_mov_b64 s[4:5], -1
	s_cbranch_scc1 .LBB163_2105
; %bb.2100:
	s_cmp_gt_i32 s14, 27
	s_cbranch_scc0 .LBB163_2102
; %bb.2101:
	v_lshlrev_b32_e32 v4, 16, v3
	v_cvt_u32_f32_e32 v4, v4
	s_mov_b64 s[4:5], 0
	global_store_dword v[0:1], v4, off
.LBB163_2102:
	s_andn2_b64 vcc, exec, s[4:5]
	s_cbranch_vccnz .LBB163_2104
; %bb.2103:
	v_lshlrev_b32_e32 v4, 16, v3
	v_cvt_u32_f32_e32 v4, v4
	global_store_short v[0:1], v4, off
.LBB163_2104:
	s_mov_b64 s[4:5], 0
.LBB163_2105:
	s_andn2_b64 vcc, exec, s[4:5]
	s_cbranch_vccnz .LBB163_2113
; %bb.2106:
	v_lshlrev_b32_e32 v6, 16, v3
	v_and_b32_e32 v5, 0x7fffffff, v6
	s_mov_b32 s4, 0x43800000
	v_cmp_gt_u32_e32 vcc, s4, v5
	v_mov_b32_e32 v7, 0x80
	s_and_saveexec_b64 s[4:5], vcc
	s_cbranch_execz .LBB163_2112
; %bb.2107:
	s_mov_b32 s8, 0x3bffffff
	v_and_b32_e32 v4, 0xffff, v3
	v_cmp_lt_u32_e32 vcc, s8, v5
	s_mov_b64 s[8:9], 0
                                        ; implicit-def: $vgpr5
	s_and_saveexec_b64 s[10:11], vcc
	s_xor_b64 s[10:11], exec, s[10:11]
	s_cbranch_execz .LBB163_2333
; %bb.2108:
	v_bfe_u32 v5, v4, 4, 1
	s_mov_b32 s15, 0x487ffff
	v_add3_u32 v5, v6, v5, s15
	s_mov_b64 s[8:9], exec
	v_lshrrev_b32_e32 v5, 20, v5
                                        ; implicit-def: $vgpr6
	s_andn2_saveexec_b64 s[10:11], s[10:11]
	s_cbranch_execnz .LBB163_2334
.LBB163_2109:
	s_or_b64 exec, exec, s[10:11]
	v_mov_b32_e32 v7, 0
	s_and_saveexec_b64 s[10:11], s[8:9]
.LBB163_2110:
	v_lshrrev_b32_e32 v4, 8, v4
	s_movk_i32 s8, 0x80
	v_and_or_b32 v7, v4, s8, v5
.LBB163_2111:
	s_or_b64 exec, exec, s[10:11]
.LBB163_2112:
	s_or_b64 exec, exec, s[4:5]
	global_store_byte v[0:1], v7, off
.LBB163_2113:
	s_mov_b64 s[4:5], -1
.LBB163_2114:
	s_mov_b64 s[8:9], 0
.LBB163_2115:
	s_and_b64 vcc, exec, s[8:9]
	s_cbranch_vccz .LBB163_2155
; %bb.2116:
	s_cmp_gt_i32 s14, 22
	s_mov_b64 s[2:3], -1
	s_cbranch_scc0 .LBB163_2148
; %bb.2117:
	s_cmp_lt_i32 s14, 24
	s_cbranch_scc1 .LBB163_2137
; %bb.2118:
	s_cmp_gt_i32 s14, 24
	s_cbranch_scc0 .LBB163_2126
; %bb.2119:
	v_lshlrev_b32_e32 v6, 16, v3
	v_and_b32_e32 v5, 0x7fffffff, v6
	s_mov_b32 s2, 0x47800000
	v_cmp_gt_u32_e32 vcc, s2, v5
	v_mov_b32_e32 v7, 0x80
	s_and_saveexec_b64 s[2:3], vcc
	s_cbranch_execz .LBB163_2125
; %bb.2120:
	s_mov_b32 s4, 0x37ffffff
	v_and_b32_e32 v4, 0xffff, v3
	v_cmp_lt_u32_e32 vcc, s4, v5
	s_mov_b64 s[4:5], 0
                                        ; implicit-def: $vgpr5
	s_and_saveexec_b64 s[8:9], vcc
	s_xor_b64 s[8:9], exec, s[8:9]
	s_cbranch_execz .LBB163_2336
; %bb.2121:
	v_bfe_u32 v5, v4, 5, 1
	s_mov_b32 s10, 0x88fffff
	v_add3_u32 v5, v6, v5, s10
	s_mov_b64 s[4:5], exec
	v_lshrrev_b32_e32 v5, 21, v5
                                        ; implicit-def: $vgpr6
	s_andn2_saveexec_b64 s[8:9], s[8:9]
	s_cbranch_execnz .LBB163_2337
.LBB163_2122:
	s_or_b64 exec, exec, s[8:9]
	v_mov_b32_e32 v7, 0
	s_and_saveexec_b64 s[8:9], s[4:5]
.LBB163_2123:
	v_lshrrev_b32_e32 v4, 8, v4
	s_movk_i32 s4, 0x80
	v_and_or_b32 v7, v4, s4, v5
.LBB163_2124:
	s_or_b64 exec, exec, s[8:9]
.LBB163_2125:
	s_or_b64 exec, exec, s[2:3]
	s_mov_b64 s[2:3], 0
	global_store_byte v[0:1], v7, off
.LBB163_2126:
	s_and_b64 vcc, exec, s[2:3]
	s_cbranch_vccz .LBB163_2136
; %bb.2127:
	v_lshlrev_b32_e32 v6, 16, v3
	v_and_b32_e32 v7, 0x7fffffff, v6
	s_mov_b32 s2, 0x43f00000
	v_and_b32_e32 v4, 0xffff, v3
	v_cmp_gt_u32_e32 vcc, s2, v7
                                        ; implicit-def: $vgpr5
	s_and_saveexec_b64 s[2:3], vcc
	s_xor_b64 s[2:3], exec, s[2:3]
	s_cbranch_execz .LBB163_2133
; %bb.2128:
	s_mov_b32 s4, 0x3c7fffff
	v_cmp_lt_u32_e32 vcc, s4, v7
                                        ; implicit-def: $vgpr5
	s_and_saveexec_b64 s[4:5], vcc
	s_xor_b64 s[4:5], exec, s[4:5]
; %bb.2129:
	v_bfe_u32 v5, v4, 4, 1
	s_mov_b32 s8, 0x407ffff
	v_add3_u32 v5, v6, v5, s8
	v_lshrrev_b32_e32 v6, 20, v5
	v_and_b32_e32 v5, 0xff00000, v5
	s_mov_b32 s8, 0x7f00000
	v_mov_b32_e32 v7, 0x7e
	v_cmp_ne_u32_e32 vcc, s8, v5
	v_cndmask_b32_e32 v5, v7, v6, vcc
                                        ; implicit-def: $vgpr6
; %bb.2130:
	s_andn2_saveexec_b64 s[4:5], s[4:5]
; %bb.2131:
	s_mov_b32 s8, 0x46800000
	v_add_f32_e64 v5, |v6|, s8
; %bb.2132:
	s_or_b64 exec, exec, s[4:5]
                                        ; implicit-def: $vgpr7
.LBB163_2133:
	s_andn2_saveexec_b64 s[2:3], s[2:3]
; %bb.2134:
	s_mov_b32 s4, 0x7f800000
	v_mov_b32_e32 v5, 0x7e
	v_mov_b32_e32 v6, 0x7f
	v_cmp_lt_u32_e32 vcc, s4, v7
	v_cndmask_b32_e32 v5, v5, v6, vcc
; %bb.2135:
	s_or_b64 exec, exec, s[2:3]
	v_lshrrev_b32_e32 v4, 8, v4
	s_movk_i32 s2, 0x80
	v_and_or_b32 v4, v4, s2, v5
	global_store_byte v[0:1], v4, off
.LBB163_2136:
	s_mov_b64 s[2:3], 0
.LBB163_2137:
	s_andn2_b64 vcc, exec, s[2:3]
	s_cbranch_vccnz .LBB163_2147
; %bb.2138:
	v_lshlrev_b32_e32 v6, 16, v3
	v_and_b32_e32 v7, 0x7fffffff, v6
	s_mov_b32 s2, 0x47800000
	v_and_b32_e32 v4, 0xffff, v3
	v_cmp_gt_u32_e32 vcc, s2, v7
                                        ; implicit-def: $vgpr5
	s_and_saveexec_b64 s[2:3], vcc
	s_xor_b64 s[2:3], exec, s[2:3]
	s_cbranch_execz .LBB163_2144
; %bb.2139:
	s_mov_b32 s4, 0x387fffff
	v_cmp_lt_u32_e32 vcc, s4, v7
                                        ; implicit-def: $vgpr5
	s_and_saveexec_b64 s[4:5], vcc
	s_xor_b64 s[4:5], exec, s[4:5]
; %bb.2140:
	v_bfe_u32 v5, v4, 5, 1
	s_mov_b32 s8, 0x80fffff
	v_add3_u32 v5, v6, v5, s8
	v_lshrrev_b32_e32 v5, 21, v5
                                        ; implicit-def: $vgpr6
; %bb.2141:
	s_andn2_saveexec_b64 s[4:5], s[4:5]
; %bb.2142:
	s_mov_b32 s8, 0x43000000
	v_add_f32_e64 v5, |v6|, s8
; %bb.2143:
	s_or_b64 exec, exec, s[4:5]
                                        ; implicit-def: $vgpr7
.LBB163_2144:
	s_andn2_saveexec_b64 s[2:3], s[2:3]
; %bb.2145:
	s_mov_b32 s4, 0x7f800000
	v_mov_b32_e32 v5, 0x7c
	v_mov_b32_e32 v6, 0x7f
	v_cmp_lt_u32_e32 vcc, s4, v7
	v_cndmask_b32_e32 v5, v5, v6, vcc
; %bb.2146:
	s_or_b64 exec, exec, s[2:3]
	v_lshrrev_b32_e32 v4, 8, v4
	s_movk_i32 s2, 0x80
	v_and_or_b32 v4, v4, s2, v5
	global_store_byte v[0:1], v4, off
.LBB163_2147:
	s_mov_b64 s[2:3], 0
	s_mov_b64 s[4:5], -1
.LBB163_2148:
	s_andn2_b64 vcc, exec, s[2:3]
	s_mov_b64 s[2:3], 0
	s_cbranch_vccnz .LBB163_2155
; %bb.2149:
	s_cmp_gt_i32 s14, 14
	s_mov_b64 s[8:9], -1
	s_cbranch_scc0 .LBB163_2153
; %bb.2150:
	s_cmp_eq_u32 s14, 15
	s_mov_b64 s[0:1], -1
	s_cbranch_scc0 .LBB163_2152
; %bb.2151:
	global_store_short v[0:1], v3, off
	s_mov_b64 s[0:1], 0
	s_mov_b64 s[4:5], -1
.LBB163_2152:
	s_mov_b64 s[8:9], 0
.LBB163_2153:
	s_and_b64 vcc, exec, s[8:9]
	s_cbranch_vccz .LBB163_2155
; %bb.2154:
	s_cmp_lg_u32 s14, 11
	s_mov_b64 s[2:3], -1
	s_cselect_b64 s[0:1], -1, 0
.LBB163_2155:
	s_and_b64 vcc, exec, s[0:1]
	s_cbranch_vccnz .LBB163_2335
; %bb.2156:
	s_andn2_b64 vcc, exec, s[2:3]
	s_cbranch_vccnz .LBB163_2158
.LBB163_2157:
	v_and_b32_e32 v4, 0x7fff, v3
	v_cmp_ne_u16_e32 vcc, 0, v4
	v_cndmask_b32_e64 v4, 0, 1, vcc
	s_mov_b64 s[4:5], -1
	global_store_byte v[0:1], v4, off
.LBB163_2158:
	s_mov_b64 s[0:1], 0
	s_branch .LBB163_2160
.LBB163_2159:
	s_mov_b64 s[0:1], -1
	s_mov_b64 s[4:5], 0
.LBB163_2160:
	s_and_b64 vcc, exec, s[0:1]
	s_cbranch_vccz .LBB163_2199
; %bb.2161:
	s_and_b32 s2, 0xffff, s26
	s_cmp_lt_i32 s2, 5
	s_mov_b64 s[0:1], -1
	s_cbranch_scc1 .LBB163_2182
; %bb.2162:
	s_cmp_lt_i32 s2, 8
	s_cbranch_scc1 .LBB163_2172
; %bb.2163:
	s_cmp_lt_i32 s2, 9
	s_cbranch_scc1 .LBB163_2169
; %bb.2164:
	s_cmp_gt_i32 s2, 9
	s_cbranch_scc0 .LBB163_2166
; %bb.2165:
	v_lshlrev_b32_e32 v4, 16, v3
	v_cvt_f64_f32_e32 v[4:5], v4
	v_mov_b32_e32 v6, 0
	v_mov_b32_e32 v7, v6
	s_mov_b64 s[0:1], 0
	global_store_dwordx4 v[0:1], v[4:7], off
.LBB163_2166:
	s_andn2_b64 vcc, exec, s[0:1]
	s_cbranch_vccnz .LBB163_2168
; %bb.2167:
	v_lshlrev_b32_e32 v4, 16, v3
	v_mov_b32_e32 v5, 0
	global_store_dwordx2 v[0:1], v[4:5], off
.LBB163_2168:
	s_mov_b64 s[0:1], 0
.LBB163_2169:
	s_andn2_b64 vcc, exec, s[0:1]
	s_cbranch_vccnz .LBB163_2171
; %bb.2170:
	v_lshlrev_b32_e32 v4, 16, v3
	v_cvt_f16_f32_e32 v4, v4
	global_store_dword v[0:1], v4, off
.LBB163_2171:
	s_mov_b64 s[0:1], 0
.LBB163_2172:
	s_andn2_b64 vcc, exec, s[0:1]
	s_cbranch_vccnz .LBB163_2181
; %bb.2173:
	s_cmp_lt_i32 s2, 6
	s_mov_b64 s[0:1], -1
	s_cbranch_scc1 .LBB163_2179
; %bb.2174:
	s_cmp_gt_i32 s2, 6
	s_cbranch_scc0 .LBB163_2176
; %bb.2175:
	v_lshlrev_b32_e32 v4, 16, v3
	v_cvt_f64_f32_e32 v[4:5], v4
	s_mov_b64 s[0:1], 0
	global_store_dwordx2 v[0:1], v[4:5], off
.LBB163_2176:
	s_andn2_b64 vcc, exec, s[0:1]
	s_cbranch_vccnz .LBB163_2178
; %bb.2177:
	v_lshlrev_b32_e32 v4, 16, v3
	global_store_dword v[0:1], v4, off
.LBB163_2178:
	s_mov_b64 s[0:1], 0
.LBB163_2179:
	s_andn2_b64 vcc, exec, s[0:1]
	s_cbranch_vccnz .LBB163_2181
; %bb.2180:
	v_lshlrev_b32_e32 v4, 16, v3
	v_cvt_f16_f32_e32 v4, v4
	global_store_short v[0:1], v4, off
.LBB163_2181:
	s_mov_b64 s[0:1], 0
.LBB163_2182:
	s_andn2_b64 vcc, exec, s[0:1]
	s_cbranch_vccnz .LBB163_2198
; %bb.2183:
	s_cmp_lt_i32 s2, 2
	s_mov_b64 s[0:1], -1
	s_cbranch_scc1 .LBB163_2193
; %bb.2184:
	s_cmp_lt_i32 s2, 3
	s_cbranch_scc1 .LBB163_2190
; %bb.2185:
	s_cmp_gt_i32 s2, 3
	s_cbranch_scc0 .LBB163_2187
; %bb.2186:
	v_lshlrev_b32_e32 v4, 16, v3
	v_trunc_f32_e32 v4, v4
	s_mov_b32 s0, 0x2f800000
	v_mul_f32_e64 v5, |v4|, s0
	v_floor_f32_e32 v5, v5
	s_mov_b32 s0, 0xcf800000
	v_cvt_u32_f32_e32 v6, v5
	v_fma_f32 v5, v5, s0, |v4|
	v_cvt_u32_f32_e32 v5, v5
	v_ashrrev_i32_e32 v7, 31, v4
	v_xor_b32_e32 v6, v6, v7
	s_mov_b64 s[0:1], 0
	v_xor_b32_e32 v4, v5, v7
	v_sub_co_u32_e32 v4, vcc, v4, v7
	v_subb_co_u32_e32 v5, vcc, v6, v7, vcc
	global_store_dwordx2 v[0:1], v[4:5], off
.LBB163_2187:
	s_andn2_b64 vcc, exec, s[0:1]
	s_cbranch_vccnz .LBB163_2189
; %bb.2188:
	v_lshlrev_b32_e32 v4, 16, v3
	v_cvt_i32_f32_e32 v4, v4
	global_store_dword v[0:1], v4, off
.LBB163_2189:
	s_mov_b64 s[0:1], 0
.LBB163_2190:
	s_andn2_b64 vcc, exec, s[0:1]
	s_cbranch_vccnz .LBB163_2192
; %bb.2191:
	v_lshlrev_b32_e32 v4, 16, v3
	v_cvt_i32_f32_e32 v4, v4
	global_store_short v[0:1], v4, off
.LBB163_2192:
	s_mov_b64 s[0:1], 0
.LBB163_2193:
	s_andn2_b64 vcc, exec, s[0:1]
	s_cbranch_vccnz .LBB163_2198
; %bb.2194:
	s_mov_b64 s[0:1], -1
	s_cmp_gt_i32 s2, 0
	v_lshlrev_b32_e32 v3, 16, v3
	s_cbranch_scc0 .LBB163_2196
; %bb.2195:
	v_cvt_i32_f32_e32 v4, v3
	s_mov_b64 s[0:1], 0
	global_store_byte v[0:1], v4, off
.LBB163_2196:
	s_andn2_b64 vcc, exec, s[0:1]
	s_cbranch_vccnz .LBB163_2198
; %bb.2197:
	v_trunc_f32_e32 v3, v3
	s_mov_b32 s0, 0x2f800000
	v_mul_f32_e64 v4, |v3|, s0
	v_floor_f32_e32 v4, v4
	s_mov_b32 s0, 0xcf800000
	v_fma_f32 v4, v4, s0, |v3|
	v_cvt_u32_f32_e32 v4, v4
	v_ashrrev_i32_e32 v3, 31, v3
	v_xor_b32_e32 v4, v4, v3
	v_sub_u32_e32 v3, v4, v3
	global_store_byte v[0:1], v3, off
.LBB163_2198:
	s_mov_b64 s[4:5], -1
.LBB163_2199:
	s_andn2_b64 vcc, exec, s[4:5]
	s_cbranch_vccnz .LBB163_2276
; %bb.2200:
	s_mov_b32 s0, 0x4b000000
	v_cmp_lt_f32_e64 s[0:1], |v9|, s0
	v_mov_b32_e32 v0, 0x264
	v_mov_b32_e32 v1, 0x7f800000
	s_or_b64 vcc, s[6:7], s[0:1]
	v_cndmask_b32_e32 v3, v1, v10, vcc
	v_cmp_class_f32_e32 vcc, v9, v0
	v_cndmask_b32_e32 v0, v3, v1, vcc
	v_cmp_u_f32_e32 vcc, v9, v9
	v_cndmask_b32_e32 v0, v0, v9, vcc
	v_bfe_u32 v1, v0, 16, 1
	s_movk_i32 s0, 0x7fff
	v_add3_u32 v1, v0, v1, s0
	v_cmp_o_f32_e32 vcc, v0, v0
	v_mov_b32_e32 v0, 0x7fc0
	v_cndmask_b32_sdwa v3, v0, v1, vcc dst_sel:DWORD dst_unused:UNUSED_PAD src0_sel:DWORD src1_sel:WORD_1
	v_add_u32_e32 v0, s22, v2
	v_ashrrev_i32_e32 v1, 31, v0
	v_mov_b32_e32 v2, s13
	v_add_co_u32_e32 v0, vcc, s12, v0
	s_cmp_lt_i32 s26, 11
	v_addc_co_u32_e32 v1, vcc, v2, v1, vcc
	s_cbranch_scc1 .LBB163_2321
; %bb.2201:
	s_and_b32 s10, 0xffff, s26
	s_mov_b64 s[4:5], -1
	s_mov_b64 s[2:3], 0
	s_cmp_gt_i32 s10, 25
	s_mov_b64 s[0:1], 0
	s_cbranch_scc0 .LBB163_2234
; %bb.2202:
	s_cmp_gt_i32 s10, 28
	s_cbranch_scc0 .LBB163_2218
; %bb.2203:
	s_cmp_gt_i32 s10, 43
	;; [unrolled: 3-line block ×3, first 2 shown]
	s_cbranch_scc0 .LBB163_2208
; %bb.2205:
	s_cmp_eq_u32 s10, 46
	s_mov_b64 s[0:1], -1
	s_cbranch_scc0 .LBB163_2207
; %bb.2206:
	v_and_b32_e32 v2, 0xffff, v3
	global_store_dword v[0:1], v2, off
	s_mov_b64 s[0:1], 0
.LBB163_2207:
	s_mov_b64 s[4:5], 0
.LBB163_2208:
	s_and_b64 vcc, exec, s[4:5]
	s_cbranch_vccz .LBB163_2213
; %bb.2209:
	s_cmp_eq_u32 s10, 44
	s_mov_b64 s[0:1], -1
	s_cbranch_scc0 .LBB163_2213
; %bb.2210:
	v_and_b32_e32 v4, 0xffff, v3
	v_bfe_u32 v2, v4, 7, 8
	s_movk_i32 s0, 0xff
	v_cmp_ne_u32_e32 vcc, s0, v2
	v_mov_b32_e32 v5, 0xff
	s_and_saveexec_b64 s[4:5], vcc
	s_cbranch_execz .LBB163_2212
; %bb.2211:
	v_lshlrev_b32_e32 v6, 16, v4
	s_mov_b32 s0, 0x3f0000
	v_lshrrev_b32_e32 v5, 7, v4
	v_and_b32_e32 v4, 64, v4
	v_and_or_b32 v2, v6, s0, v2
	v_cmp_ne_u32_e32 vcc, 0, v4
	v_cmp_ne_u32_e64 s[0:1], 0, v2
	s_and_b64 s[0:1], vcc, s[0:1]
	v_cndmask_b32_e64 v2, 0, 1, s[0:1]
	v_add_u32_e32 v5, v5, v2
.LBB163_2212:
	s_or_b64 exec, exec, s[4:5]
	s_mov_b64 s[0:1], 0
	global_store_byte v[0:1], v5, off
.LBB163_2213:
	s_mov_b64 s[4:5], 0
.LBB163_2214:
	s_and_b64 vcc, exec, s[4:5]
	s_cbranch_vccz .LBB163_2217
; %bb.2215:
	s_cmp_eq_u32 s10, 29
	s_mov_b64 s[0:1], -1
	s_cbranch_scc0 .LBB163_2217
; %bb.2216:
	v_lshlrev_b32_e32 v2, 16, v3
	v_trunc_f32_e32 v2, v2
	v_mul_f32_e32 v4, 0x2f800000, v2
	v_floor_f32_e32 v4, v4
	v_fmac_f32_e32 v2, 0xcf800000, v4
	v_cvt_u32_f32_e32 v5, v4
	v_cvt_u32_f32_e32 v4, v2
	s_mov_b64 s[0:1], 0
	global_store_dwordx2 v[0:1], v[4:5], off
.LBB163_2217:
	s_mov_b64 s[4:5], 0
.LBB163_2218:
	s_and_b64 vcc, exec, s[4:5]
	s_cbranch_vccz .LBB163_2233
; %bb.2219:
	s_cmp_lt_i32 s10, 27
	s_mov_b64 s[4:5], -1
	s_cbranch_scc1 .LBB163_2225
; %bb.2220:
	s_cmp_gt_i32 s10, 27
	s_cbranch_scc0 .LBB163_2222
; %bb.2221:
	v_lshlrev_b32_e32 v2, 16, v3
	v_cvt_u32_f32_e32 v2, v2
	s_mov_b64 s[4:5], 0
	global_store_dword v[0:1], v2, off
.LBB163_2222:
	s_andn2_b64 vcc, exec, s[4:5]
	s_cbranch_vccnz .LBB163_2224
; %bb.2223:
	v_lshlrev_b32_e32 v2, 16, v3
	v_cvt_u32_f32_e32 v2, v2
	global_store_short v[0:1], v2, off
.LBB163_2224:
	s_mov_b64 s[4:5], 0
.LBB163_2225:
	s_andn2_b64 vcc, exec, s[4:5]
	s_cbranch_vccnz .LBB163_2233
; %bb.2226:
	v_lshlrev_b32_e32 v5, 16, v3
	v_and_b32_e32 v4, 0x7fffffff, v5
	s_mov_b32 s4, 0x43800000
	v_cmp_gt_u32_e32 vcc, s4, v4
	v_mov_b32_e32 v6, 0x80
	s_and_saveexec_b64 s[4:5], vcc
	s_cbranch_execz .LBB163_2232
; %bb.2227:
	s_mov_b32 s6, 0x3bffffff
	v_and_b32_e32 v2, 0xffff, v3
	v_cmp_lt_u32_e32 vcc, s6, v4
	s_mov_b64 s[6:7], 0
                                        ; implicit-def: $vgpr4
	s_and_saveexec_b64 s[8:9], vcc
	s_xor_b64 s[8:9], exec, s[8:9]
	s_cbranch_execz .LBB163_2338
; %bb.2228:
	v_bfe_u32 v4, v2, 4, 1
	s_mov_b32 s11, 0x487ffff
	v_add3_u32 v4, v5, v4, s11
	s_mov_b64 s[6:7], exec
	v_lshrrev_b32_e32 v4, 20, v4
                                        ; implicit-def: $vgpr5
	s_andn2_saveexec_b64 s[8:9], s[8:9]
	s_cbranch_execnz .LBB163_2339
.LBB163_2229:
	s_or_b64 exec, exec, s[8:9]
	v_mov_b32_e32 v6, 0
	s_and_saveexec_b64 s[8:9], s[6:7]
.LBB163_2230:
	v_lshrrev_b32_e32 v2, 8, v2
	s_movk_i32 s6, 0x80
	v_and_or_b32 v6, v2, s6, v4
.LBB163_2231:
	s_or_b64 exec, exec, s[8:9]
.LBB163_2232:
	s_or_b64 exec, exec, s[4:5]
	global_store_byte v[0:1], v6, off
.LBB163_2233:
	s_mov_b64 s[4:5], 0
.LBB163_2234:
	s_and_b64 vcc, exec, s[4:5]
	s_cbranch_vccz .LBB163_2274
; %bb.2235:
	s_cmp_gt_i32 s10, 22
	s_mov_b64 s[2:3], -1
	s_cbranch_scc0 .LBB163_2267
; %bb.2236:
	s_cmp_lt_i32 s10, 24
	s_cbranch_scc1 .LBB163_2256
; %bb.2237:
	s_cmp_gt_i32 s10, 24
	s_cbranch_scc0 .LBB163_2245
; %bb.2238:
	v_lshlrev_b32_e32 v5, 16, v3
	v_and_b32_e32 v4, 0x7fffffff, v5
	s_mov_b32 s2, 0x47800000
	v_cmp_gt_u32_e32 vcc, s2, v4
	v_mov_b32_e32 v6, 0x80
	s_and_saveexec_b64 s[2:3], vcc
	s_cbranch_execz .LBB163_2244
; %bb.2239:
	s_mov_b32 s4, 0x37ffffff
	v_and_b32_e32 v2, 0xffff, v3
	v_cmp_lt_u32_e32 vcc, s4, v4
	s_mov_b64 s[4:5], 0
                                        ; implicit-def: $vgpr4
	s_and_saveexec_b64 s[6:7], vcc
	s_xor_b64 s[6:7], exec, s[6:7]
	s_cbranch_execz .LBB163_2341
; %bb.2240:
	v_bfe_u32 v4, v2, 5, 1
	s_mov_b32 s8, 0x88fffff
	v_add3_u32 v4, v5, v4, s8
	s_mov_b64 s[4:5], exec
	v_lshrrev_b32_e32 v4, 21, v4
                                        ; implicit-def: $vgpr5
	s_andn2_saveexec_b64 s[6:7], s[6:7]
	s_cbranch_execnz .LBB163_2342
.LBB163_2241:
	s_or_b64 exec, exec, s[6:7]
	v_mov_b32_e32 v6, 0
	s_and_saveexec_b64 s[6:7], s[4:5]
.LBB163_2242:
	v_lshrrev_b32_e32 v2, 8, v2
	s_movk_i32 s4, 0x80
	v_and_or_b32 v6, v2, s4, v4
.LBB163_2243:
	s_or_b64 exec, exec, s[6:7]
.LBB163_2244:
	s_or_b64 exec, exec, s[2:3]
	s_mov_b64 s[2:3], 0
	global_store_byte v[0:1], v6, off
.LBB163_2245:
	s_and_b64 vcc, exec, s[2:3]
	s_cbranch_vccz .LBB163_2255
; %bb.2246:
	v_lshlrev_b32_e32 v5, 16, v3
	v_and_b32_e32 v6, 0x7fffffff, v5
	s_mov_b32 s2, 0x43f00000
	v_and_b32_e32 v2, 0xffff, v3
	v_cmp_gt_u32_e32 vcc, s2, v6
                                        ; implicit-def: $vgpr4
	s_and_saveexec_b64 s[2:3], vcc
	s_xor_b64 s[2:3], exec, s[2:3]
	s_cbranch_execz .LBB163_2252
; %bb.2247:
	s_mov_b32 s4, 0x3c7fffff
	v_cmp_lt_u32_e32 vcc, s4, v6
                                        ; implicit-def: $vgpr4
	s_and_saveexec_b64 s[4:5], vcc
	s_xor_b64 s[4:5], exec, s[4:5]
; %bb.2248:
	v_bfe_u32 v4, v2, 4, 1
	s_mov_b32 s6, 0x407ffff
	v_add3_u32 v4, v5, v4, s6
	v_lshrrev_b32_e32 v5, 20, v4
	v_and_b32_e32 v4, 0xff00000, v4
	s_mov_b32 s6, 0x7f00000
	v_mov_b32_e32 v6, 0x7e
	v_cmp_ne_u32_e32 vcc, s6, v4
	v_cndmask_b32_e32 v4, v6, v5, vcc
                                        ; implicit-def: $vgpr5
; %bb.2249:
	s_andn2_saveexec_b64 s[4:5], s[4:5]
; %bb.2250:
	s_mov_b32 s6, 0x46800000
	v_add_f32_e64 v4, |v5|, s6
; %bb.2251:
	s_or_b64 exec, exec, s[4:5]
                                        ; implicit-def: $vgpr6
.LBB163_2252:
	s_andn2_saveexec_b64 s[2:3], s[2:3]
; %bb.2253:
	s_mov_b32 s4, 0x7f800000
	v_mov_b32_e32 v4, 0x7e
	v_mov_b32_e32 v5, 0x7f
	v_cmp_lt_u32_e32 vcc, s4, v6
	v_cndmask_b32_e32 v4, v4, v5, vcc
; %bb.2254:
	s_or_b64 exec, exec, s[2:3]
	v_lshrrev_b32_e32 v2, 8, v2
	s_movk_i32 s2, 0x80
	v_and_or_b32 v2, v2, s2, v4
	global_store_byte v[0:1], v2, off
.LBB163_2255:
	s_mov_b64 s[2:3], 0
.LBB163_2256:
	s_andn2_b64 vcc, exec, s[2:3]
	s_cbranch_vccnz .LBB163_2266
; %bb.2257:
	v_lshlrev_b32_e32 v5, 16, v3
	v_and_b32_e32 v6, 0x7fffffff, v5
	s_mov_b32 s2, 0x47800000
	v_and_b32_e32 v2, 0xffff, v3
	v_cmp_gt_u32_e32 vcc, s2, v6
                                        ; implicit-def: $vgpr4
	s_and_saveexec_b64 s[2:3], vcc
	s_xor_b64 s[2:3], exec, s[2:3]
	s_cbranch_execz .LBB163_2263
; %bb.2258:
	s_mov_b32 s4, 0x387fffff
	v_cmp_lt_u32_e32 vcc, s4, v6
                                        ; implicit-def: $vgpr4
	s_and_saveexec_b64 s[4:5], vcc
	s_xor_b64 s[4:5], exec, s[4:5]
; %bb.2259:
	v_bfe_u32 v4, v2, 5, 1
	s_mov_b32 s6, 0x80fffff
	v_add3_u32 v4, v5, v4, s6
	v_lshrrev_b32_e32 v4, 21, v4
                                        ; implicit-def: $vgpr5
; %bb.2260:
	s_andn2_saveexec_b64 s[4:5], s[4:5]
; %bb.2261:
	s_mov_b32 s6, 0x43000000
	v_add_f32_e64 v4, |v5|, s6
; %bb.2262:
	s_or_b64 exec, exec, s[4:5]
                                        ; implicit-def: $vgpr6
.LBB163_2263:
	s_andn2_saveexec_b64 s[2:3], s[2:3]
; %bb.2264:
	s_mov_b32 s4, 0x7f800000
	v_mov_b32_e32 v4, 0x7c
	v_mov_b32_e32 v5, 0x7f
	v_cmp_lt_u32_e32 vcc, s4, v6
	v_cndmask_b32_e32 v4, v4, v5, vcc
; %bb.2265:
	s_or_b64 exec, exec, s[2:3]
	v_lshrrev_b32_e32 v2, 8, v2
	s_movk_i32 s2, 0x80
	v_and_or_b32 v2, v2, s2, v4
	global_store_byte v[0:1], v2, off
.LBB163_2266:
	s_mov_b64 s[2:3], 0
.LBB163_2267:
	s_andn2_b64 vcc, exec, s[2:3]
	s_mov_b64 s[2:3], 0
	s_cbranch_vccnz .LBB163_2274
; %bb.2268:
	s_cmp_gt_i32 s10, 14
	s_mov_b64 s[4:5], -1
	s_cbranch_scc0 .LBB163_2272
; %bb.2269:
	s_cmp_eq_u32 s10, 15
	s_mov_b64 s[0:1], -1
	s_cbranch_scc0 .LBB163_2271
; %bb.2270:
	global_store_short v[0:1], v3, off
	s_mov_b64 s[0:1], 0
.LBB163_2271:
	s_mov_b64 s[4:5], 0
.LBB163_2272:
	s_and_b64 vcc, exec, s[4:5]
	s_cbranch_vccz .LBB163_2274
; %bb.2273:
	s_cmp_lg_u32 s10, 11
	s_mov_b64 s[2:3], -1
	s_cselect_b64 s[0:1], -1, 0
.LBB163_2274:
	s_and_b64 vcc, exec, s[0:1]
	s_cbranch_vccnz .LBB163_2340
.LBB163_2275:
	s_mov_b64 s[0:1], 0
	s_branch .LBB163_2277
.LBB163_2276:
	s_mov_b64 s[0:1], 0
	s_mov_b64 s[2:3], 0
                                        ; implicit-def: $sgpr26
                                        ; implicit-def: $vgpr0_vgpr1
                                        ; implicit-def: $vgpr3
.LBB163_2277:
	s_and_b64 s[8:9], s[2:3], exec
	s_andn2_b64 s[2:3], s[16:17], exec
	s_and_b64 s[4:5], s[20:21], exec
	s_and_b64 s[0:1], s[0:1], exec
	s_or_b64 s[16:17], s[2:3], s[4:5]
.LBB163_2278:
	s_or_b64 exec, exec, s[18:19]
	s_and_saveexec_b64 s[2:3], s[16:17]
	s_cbranch_execz .LBB163_2281
; %bb.2279:
	; divergent unreachable
	s_or_b64 exec, exec, s[2:3]
	s_and_saveexec_b64 s[2:3], s[8:9]
	s_xor_b64 s[2:3], exec, s[2:3]
	s_cbranch_execnz .LBB163_2282
.LBB163_2280:
	s_or_b64 exec, exec, s[2:3]
	s_and_saveexec_b64 s[2:3], s[0:1]
	s_cbranch_execnz .LBB163_2283
	s_branch .LBB163_2320
.LBB163_2281:
	s_or_b64 exec, exec, s[2:3]
	s_and_saveexec_b64 s[2:3], s[8:9]
	s_xor_b64 s[2:3], exec, s[2:3]
	s_cbranch_execz .LBB163_2280
.LBB163_2282:
	s_waitcnt vmcnt(0)
	v_and_b32_e32 v2, 0x7fff, v3
	v_cmp_ne_u16_e32 vcc, 0, v2
	v_cndmask_b32_e64 v2, 0, 1, vcc
	global_store_byte v[0:1], v2, off
	s_or_b64 exec, exec, s[2:3]
	s_and_saveexec_b64 s[2:3], s[0:1]
	s_cbranch_execz .LBB163_2320
.LBB163_2283:
	s_sext_i32_i16 s2, s26
	s_cmp_lt_i32 s2, 5
	s_mov_b64 s[0:1], -1
	s_cbranch_scc1 .LBB163_2304
; %bb.2284:
	s_cmp_lt_i32 s2, 8
	s_cbranch_scc1 .LBB163_2294
; %bb.2285:
	s_cmp_lt_i32 s2, 9
	s_cbranch_scc1 .LBB163_2291
; %bb.2286:
	s_cmp_gt_i32 s2, 9
	s_cbranch_scc0 .LBB163_2288
; %bb.2287:
	s_waitcnt vmcnt(0)
	v_lshlrev_b32_e32 v2, 16, v3
	v_cvt_f64_f32_e32 v[4:5], v2
	v_mov_b32_e32 v6, 0
	v_mov_b32_e32 v7, v6
	s_mov_b64 s[0:1], 0
	global_store_dwordx4 v[0:1], v[4:7], off
.LBB163_2288:
	s_andn2_b64 vcc, exec, s[0:1]
	s_cbranch_vccnz .LBB163_2290
; %bb.2289:
	s_waitcnt vmcnt(0)
	v_lshlrev_b32_e32 v4, 16, v3
	v_mov_b32_e32 v5, 0
	global_store_dwordx2 v[0:1], v[4:5], off
.LBB163_2290:
	s_mov_b64 s[0:1], 0
.LBB163_2291:
	s_andn2_b64 vcc, exec, s[0:1]
	s_cbranch_vccnz .LBB163_2293
; %bb.2292:
	s_waitcnt vmcnt(0)
	v_lshlrev_b32_e32 v2, 16, v3
	v_cvt_f16_f32_e32 v2, v2
	global_store_dword v[0:1], v2, off
.LBB163_2293:
	s_mov_b64 s[0:1], 0
.LBB163_2294:
	s_andn2_b64 vcc, exec, s[0:1]
	s_cbranch_vccnz .LBB163_2303
; %bb.2295:
	s_sext_i32_i16 s2, s26
	s_cmp_lt_i32 s2, 6
	s_mov_b64 s[0:1], -1
	s_cbranch_scc1 .LBB163_2301
; %bb.2296:
	s_cmp_gt_i32 s2, 6
	s_cbranch_scc0 .LBB163_2298
; %bb.2297:
	s_waitcnt vmcnt(0)
	v_lshlrev_b32_e32 v2, 16, v3
	v_cvt_f64_f32_e32 v[4:5], v2
	s_mov_b64 s[0:1], 0
	global_store_dwordx2 v[0:1], v[4:5], off
.LBB163_2298:
	s_andn2_b64 vcc, exec, s[0:1]
	s_cbranch_vccnz .LBB163_2300
; %bb.2299:
	s_waitcnt vmcnt(0)
	v_lshlrev_b32_e32 v2, 16, v3
	global_store_dword v[0:1], v2, off
.LBB163_2300:
	s_mov_b64 s[0:1], 0
.LBB163_2301:
	s_andn2_b64 vcc, exec, s[0:1]
	s_cbranch_vccnz .LBB163_2303
; %bb.2302:
	s_waitcnt vmcnt(0)
	v_lshlrev_b32_e32 v2, 16, v3
	v_cvt_f16_f32_e32 v2, v2
	global_store_short v[0:1], v2, off
.LBB163_2303:
	s_mov_b64 s[0:1], 0
.LBB163_2304:
	s_andn2_b64 vcc, exec, s[0:1]
	s_cbranch_vccnz .LBB163_2320
; %bb.2305:
	s_sext_i32_i16 s2, s26
	s_cmp_lt_i32 s2, 2
	s_mov_b64 s[0:1], -1
	s_cbranch_scc1 .LBB163_2315
; %bb.2306:
	s_cmp_lt_i32 s2, 3
	s_cbranch_scc1 .LBB163_2312
; %bb.2307:
	s_cmp_gt_i32 s2, 3
	s_cbranch_scc0 .LBB163_2309
; %bb.2308:
	s_waitcnt vmcnt(0)
	v_lshlrev_b32_e32 v2, 16, v3
	v_trunc_f32_e32 v2, v2
	s_mov_b32 s0, 0x2f800000
	v_mul_f32_e64 v4, |v2|, s0
	v_floor_f32_e32 v4, v4
	s_mov_b32 s0, 0xcf800000
	v_cvt_u32_f32_e32 v5, v4
	v_fma_f32 v4, v4, s0, |v2|
	v_cvt_u32_f32_e32 v4, v4
	v_ashrrev_i32_e32 v2, 31, v2
	v_xor_b32_e32 v5, v5, v2
	s_mov_b64 s[0:1], 0
	v_xor_b32_e32 v4, v4, v2
	v_sub_co_u32_e32 v4, vcc, v4, v2
	v_subb_co_u32_e32 v5, vcc, v5, v2, vcc
	global_store_dwordx2 v[0:1], v[4:5], off
.LBB163_2309:
	s_andn2_b64 vcc, exec, s[0:1]
	s_cbranch_vccnz .LBB163_2311
; %bb.2310:
	s_waitcnt vmcnt(0)
	v_lshlrev_b32_e32 v2, 16, v3
	v_cvt_i32_f32_e32 v2, v2
	global_store_dword v[0:1], v2, off
.LBB163_2311:
	s_mov_b64 s[0:1], 0
.LBB163_2312:
	s_andn2_b64 vcc, exec, s[0:1]
	s_cbranch_vccnz .LBB163_2314
; %bb.2313:
	s_waitcnt vmcnt(0)
	v_lshlrev_b32_e32 v2, 16, v3
	v_cvt_i32_f32_e32 v2, v2
	global_store_short v[0:1], v2, off
.LBB163_2314:
	s_mov_b64 s[0:1], 0
.LBB163_2315:
	s_andn2_b64 vcc, exec, s[0:1]
	s_cbranch_vccnz .LBB163_2320
; %bb.2316:
	s_sext_i32_i16 s2, s26
	s_mov_b64 s[0:1], -1
	s_cmp_gt_i32 s2, 0
	s_waitcnt vmcnt(0)
	v_lshlrev_b32_e32 v2, 16, v3
	s_cbranch_scc0 .LBB163_2318
; %bb.2317:
	v_cvt_i32_f32_e32 v3, v2
	s_mov_b64 s[0:1], 0
	global_store_byte v[0:1], v3, off
.LBB163_2318:
	s_andn2_b64 vcc, exec, s[0:1]
	s_cbranch_vccnz .LBB163_2320
; %bb.2319:
	v_trunc_f32_e32 v2, v2
	s_mov_b32 s0, 0x2f800000
	v_mul_f32_e64 v3, |v2|, s0
	v_floor_f32_e32 v3, v3
	s_mov_b32 s0, 0xcf800000
	v_fma_f32 v3, v3, s0, |v2|
	v_cvt_u32_f32_e32 v3, v3
	v_ashrrev_i32_e32 v2, 31, v2
	v_xor_b32_e32 v3, v3, v2
	v_sub_u32_e32 v2, v3, v2
	global_store_byte v[0:1], v2, off
	s_endpgm
.LBB163_2320:
	s_endpgm
.LBB163_2321:
	s_mov_b64 s[2:3], 0
	s_mov_b64 s[0:1], -1
	s_branch .LBB163_2277
.LBB163_2322:
	s_trap 2
	s_or_b64 s[20:21], s[20:21], exec
	s_cbranch_execz .LBB163_1753
	s_branch .LBB163_1754
.LBB163_2323:
	s_andn2_saveexec_b64 s[24:25], s[24:25]
	s_cbranch_execz .LBB163_1871
.LBB163_2324:
	s_mov_b32 s27, 0x46000000
	v_add_f32_e64 v11, |v12|, s27
	v_and_b32_e32 v11, 0xff, v11
	v_cmp_ne_u32_e32 vcc, 0, v11
	s_andn2_b64 s[22:23], s[22:23], exec
	s_and_b64 s[28:29], vcc, exec
	s_or_b64 s[22:23], s[22:23], s[28:29]
	s_or_b64 exec, exec, s[24:25]
	v_mov_b32_e32 v13, 0
	s_and_saveexec_b64 s[24:25], s[22:23]
	s_cbranch_execnz .LBB163_1872
	s_branch .LBB163_1873
.LBB163_2325:
	s_trap 2
	s_or_b64 s[20:21], s[20:21], exec
	s_cbranch_execz .LBB163_1919
	s_branch .LBB163_1920
.LBB163_2326:
	s_andn2_saveexec_b64 s[22:23], s[22:23]
	s_cbranch_execz .LBB163_1884
.LBB163_2327:
	s_mov_b32 s24, 0x42800000
	v_add_f32_e64 v11, |v12|, s24
	v_and_b32_e32 v11, 0xff, v11
	v_cmp_ne_u32_e32 vcc, 0, v11
	s_andn2_b64 s[14:15], s[14:15], exec
	s_and_b64 s[24:25], vcc, exec
	s_or_b64 s[14:15], s[14:15], s[24:25]
	s_or_b64 exec, exec, s[22:23]
	v_mov_b32_e32 v13, 0
	s_and_saveexec_b64 s[22:23], s[14:15]
	s_cbranch_execnz .LBB163_1885
	s_branch .LBB163_1886
.LBB163_2328:
	s_andn2_saveexec_b64 s[14:15], s[14:15]
	s_cbranch_execz .LBB163_1990
.LBB163_2329:
	s_mov_b32 s24, 0x46000000
	v_add_f32_e64 v5, |v6|, s24
	v_and_b32_e32 v5, 0xff, v5
	v_cmp_ne_u32_e32 vcc, 0, v5
	s_andn2_b64 s[10:11], s[10:11], exec
	s_and_b64 s[24:25], vcc, exec
	s_or_b64 s[10:11], s[10:11], s[24:25]
	s_or_b64 exec, exec, s[14:15]
	v_mov_b32_e32 v11, 0
	s_and_saveexec_b64 s[14:15], s[10:11]
	s_cbranch_execnz .LBB163_1991
	s_branch .LBB163_1992
.LBB163_2330:
	s_trap 2
	s_or_b64 s[20:21], s[20:21], exec
	s_cbranch_execz .LBB163_2038
	s_branch .LBB163_2039
.LBB163_2331:
	s_andn2_saveexec_b64 s[10:11], s[10:11]
	s_cbranch_execz .LBB163_2003
.LBB163_2332:
	s_mov_b32 s14, 0x42800000
	v_add_f32_e64 v5, |v6|, s14
	v_and_b32_e32 v5, 0xff, v5
	v_cmp_ne_u32_e32 vcc, 0, v5
	s_andn2_b64 s[8:9], s[8:9], exec
	s_and_b64 s[14:15], vcc, exec
	s_or_b64 s[8:9], s[8:9], s[14:15]
	s_or_b64 exec, exec, s[10:11]
	v_mov_b32_e32 v11, 0
	s_and_saveexec_b64 s[10:11], s[8:9]
	s_cbranch_execnz .LBB163_2004
	s_branch .LBB163_2005
.LBB163_2333:
	s_andn2_saveexec_b64 s[10:11], s[10:11]
	s_cbranch_execz .LBB163_2109
.LBB163_2334:
	s_mov_b32 s15, 0x46000000
	v_add_f32_e64 v5, |v6|, s15
	v_and_b32_e32 v5, 0xff, v5
	v_cmp_ne_u32_e32 vcc, 0, v5
	s_andn2_b64 s[8:9], s[8:9], exec
	s_and_b64 s[24:25], vcc, exec
	s_or_b64 s[8:9], s[8:9], s[24:25]
	s_or_b64 exec, exec, s[10:11]
	v_mov_b32_e32 v7, 0
	s_and_saveexec_b64 s[10:11], s[8:9]
	s_cbranch_execnz .LBB163_2110
	s_branch .LBB163_2111
.LBB163_2335:
	s_trap 2
	s_or_b64 s[20:21], s[20:21], exec
	s_cbranch_execz .LBB163_2157
	s_branch .LBB163_2158
.LBB163_2336:
	s_andn2_saveexec_b64 s[8:9], s[8:9]
	s_cbranch_execz .LBB163_2122
.LBB163_2337:
	s_mov_b32 s10, 0x42800000
	v_add_f32_e64 v5, |v6|, s10
	v_and_b32_e32 v5, 0xff, v5
	v_cmp_ne_u32_e32 vcc, 0, v5
	s_andn2_b64 s[4:5], s[4:5], exec
	s_and_b64 s[10:11], vcc, exec
	s_or_b64 s[4:5], s[4:5], s[10:11]
	s_or_b64 exec, exec, s[8:9]
	v_mov_b32_e32 v7, 0
	s_and_saveexec_b64 s[8:9], s[4:5]
	s_cbranch_execnz .LBB163_2123
	s_branch .LBB163_2124
.LBB163_2338:
	s_andn2_saveexec_b64 s[8:9], s[8:9]
	s_cbranch_execz .LBB163_2229
.LBB163_2339:
	s_mov_b32 s11, 0x46000000
	v_add_f32_e64 v4, |v5|, s11
	v_and_b32_e32 v4, 0xff, v4
	v_cmp_ne_u32_e32 vcc, 0, v4
	s_andn2_b64 s[6:7], s[6:7], exec
	s_and_b64 s[12:13], vcc, exec
	s_or_b64 s[6:7], s[6:7], s[12:13]
	s_or_b64 exec, exec, s[8:9]
	v_mov_b32_e32 v6, 0
	s_and_saveexec_b64 s[8:9], s[6:7]
	s_cbranch_execnz .LBB163_2230
	s_branch .LBB163_2231
.LBB163_2340:
	s_mov_b64 s[2:3], 0
	s_or_b64 s[20:21], s[20:21], exec
	s_trap 2
	s_branch .LBB163_2275
.LBB163_2341:
	s_andn2_saveexec_b64 s[6:7], s[6:7]
	s_cbranch_execz .LBB163_2241
.LBB163_2342:
	s_mov_b32 s8, 0x42800000
	v_add_f32_e64 v4, |v5|, s8
	v_and_b32_e32 v4, 0xff, v4
	v_cmp_ne_u32_e32 vcc, 0, v4
	s_andn2_b64 s[4:5], s[4:5], exec
	s_and_b64 s[8:9], vcc, exec
	s_or_b64 s[4:5], s[4:5], s[8:9]
	s_or_b64 exec, exec, s[6:7]
	v_mov_b32_e32 v6, 0
	s_and_saveexec_b64 s[6:7], s[4:5]
	s_cbranch_execnz .LBB163_2242
	s_branch .LBB163_2243
	.section	.rodata,"a",@progbits
	.p2align	6, 0x0
	.amdhsa_kernel _ZN2at6native32elementwise_kernel_manual_unrollILi128ELi4EZNS0_15gpu_kernel_implIZZZNS0_18lgamma_kernel_cudaERNS_18TensorIteratorBaseEENKUlvE_clEvENKUlvE2_clEvEUlN3c108BFloat16EE_EEvS4_RKT_EUlibE_EEviT1_
		.amdhsa_group_segment_fixed_size 0
		.amdhsa_private_segment_fixed_size 0
		.amdhsa_kernarg_size 40
		.amdhsa_user_sgpr_count 6
		.amdhsa_user_sgpr_private_segment_buffer 1
		.amdhsa_user_sgpr_dispatch_ptr 0
		.amdhsa_user_sgpr_queue_ptr 0
		.amdhsa_user_sgpr_kernarg_segment_ptr 1
		.amdhsa_user_sgpr_dispatch_id 0
		.amdhsa_user_sgpr_flat_scratch_init 0
		.amdhsa_user_sgpr_private_segment_size 0
		.amdhsa_uses_dynamic_stack 0
		.amdhsa_system_sgpr_private_segment_wavefront_offset 0
		.amdhsa_system_sgpr_workgroup_id_x 1
		.amdhsa_system_sgpr_workgroup_id_y 0
		.amdhsa_system_sgpr_workgroup_id_z 0
		.amdhsa_system_sgpr_workgroup_info 0
		.amdhsa_system_vgpr_workitem_id 0
		.amdhsa_next_free_vgpr 18
		.amdhsa_next_free_sgpr 44
		.amdhsa_reserve_vcc 1
		.amdhsa_reserve_flat_scratch 0
		.amdhsa_float_round_mode_32 0
		.amdhsa_float_round_mode_16_64 0
		.amdhsa_float_denorm_mode_32 3
		.amdhsa_float_denorm_mode_16_64 3
		.amdhsa_dx10_clamp 1
		.amdhsa_ieee_mode 1
		.amdhsa_fp16_overflow 0
		.amdhsa_exception_fp_ieee_invalid_op 0
		.amdhsa_exception_fp_denorm_src 0
		.amdhsa_exception_fp_ieee_div_zero 0
		.amdhsa_exception_fp_ieee_overflow 0
		.amdhsa_exception_fp_ieee_underflow 0
		.amdhsa_exception_fp_ieee_inexact 0
		.amdhsa_exception_int_div_zero 0
	.end_amdhsa_kernel
	.section	.text._ZN2at6native32elementwise_kernel_manual_unrollILi128ELi4EZNS0_15gpu_kernel_implIZZZNS0_18lgamma_kernel_cudaERNS_18TensorIteratorBaseEENKUlvE_clEvENKUlvE2_clEvEUlN3c108BFloat16EE_EEvS4_RKT_EUlibE_EEviT1_,"axG",@progbits,_ZN2at6native32elementwise_kernel_manual_unrollILi128ELi4EZNS0_15gpu_kernel_implIZZZNS0_18lgamma_kernel_cudaERNS_18TensorIteratorBaseEENKUlvE_clEvENKUlvE2_clEvEUlN3c108BFloat16EE_EEvS4_RKT_EUlibE_EEviT1_,comdat
.Lfunc_end163:
	.size	_ZN2at6native32elementwise_kernel_manual_unrollILi128ELi4EZNS0_15gpu_kernel_implIZZZNS0_18lgamma_kernel_cudaERNS_18TensorIteratorBaseEENKUlvE_clEvENKUlvE2_clEvEUlN3c108BFloat16EE_EEvS4_RKT_EUlibE_EEviT1_, .Lfunc_end163-_ZN2at6native32elementwise_kernel_manual_unrollILi128ELi4EZNS0_15gpu_kernel_implIZZZNS0_18lgamma_kernel_cudaERNS_18TensorIteratorBaseEENKUlvE_clEvENKUlvE2_clEvEUlN3c108BFloat16EE_EEvS4_RKT_EUlibE_EEviT1_
                                        ; -- End function
	.set _ZN2at6native32elementwise_kernel_manual_unrollILi128ELi4EZNS0_15gpu_kernel_implIZZZNS0_18lgamma_kernel_cudaERNS_18TensorIteratorBaseEENKUlvE_clEvENKUlvE2_clEvEUlN3c108BFloat16EE_EEvS4_RKT_EUlibE_EEviT1_.num_vgpr, 18
	.set _ZN2at6native32elementwise_kernel_manual_unrollILi128ELi4EZNS0_15gpu_kernel_implIZZZNS0_18lgamma_kernel_cudaERNS_18TensorIteratorBaseEENKUlvE_clEvENKUlvE2_clEvEUlN3c108BFloat16EE_EEvS4_RKT_EUlibE_EEviT1_.num_agpr, 0
	.set _ZN2at6native32elementwise_kernel_manual_unrollILi128ELi4EZNS0_15gpu_kernel_implIZZZNS0_18lgamma_kernel_cudaERNS_18TensorIteratorBaseEENKUlvE_clEvENKUlvE2_clEvEUlN3c108BFloat16EE_EEvS4_RKT_EUlibE_EEviT1_.numbered_sgpr, 44
	.set _ZN2at6native32elementwise_kernel_manual_unrollILi128ELi4EZNS0_15gpu_kernel_implIZZZNS0_18lgamma_kernel_cudaERNS_18TensorIteratorBaseEENKUlvE_clEvENKUlvE2_clEvEUlN3c108BFloat16EE_EEvS4_RKT_EUlibE_EEviT1_.num_named_barrier, 0
	.set _ZN2at6native32elementwise_kernel_manual_unrollILi128ELi4EZNS0_15gpu_kernel_implIZZZNS0_18lgamma_kernel_cudaERNS_18TensorIteratorBaseEENKUlvE_clEvENKUlvE2_clEvEUlN3c108BFloat16EE_EEvS4_RKT_EUlibE_EEviT1_.private_seg_size, 0
	.set _ZN2at6native32elementwise_kernel_manual_unrollILi128ELi4EZNS0_15gpu_kernel_implIZZZNS0_18lgamma_kernel_cudaERNS_18TensorIteratorBaseEENKUlvE_clEvENKUlvE2_clEvEUlN3c108BFloat16EE_EEvS4_RKT_EUlibE_EEviT1_.uses_vcc, 1
	.set _ZN2at6native32elementwise_kernel_manual_unrollILi128ELi4EZNS0_15gpu_kernel_implIZZZNS0_18lgamma_kernel_cudaERNS_18TensorIteratorBaseEENKUlvE_clEvENKUlvE2_clEvEUlN3c108BFloat16EE_EEvS4_RKT_EUlibE_EEviT1_.uses_flat_scratch, 0
	.set _ZN2at6native32elementwise_kernel_manual_unrollILi128ELi4EZNS0_15gpu_kernel_implIZZZNS0_18lgamma_kernel_cudaERNS_18TensorIteratorBaseEENKUlvE_clEvENKUlvE2_clEvEUlN3c108BFloat16EE_EEvS4_RKT_EUlibE_EEviT1_.has_dyn_sized_stack, 0
	.set _ZN2at6native32elementwise_kernel_manual_unrollILi128ELi4EZNS0_15gpu_kernel_implIZZZNS0_18lgamma_kernel_cudaERNS_18TensorIteratorBaseEENKUlvE_clEvENKUlvE2_clEvEUlN3c108BFloat16EE_EEvS4_RKT_EUlibE_EEviT1_.has_recursion, 0
	.set _ZN2at6native32elementwise_kernel_manual_unrollILi128ELi4EZNS0_15gpu_kernel_implIZZZNS0_18lgamma_kernel_cudaERNS_18TensorIteratorBaseEENKUlvE_clEvENKUlvE2_clEvEUlN3c108BFloat16EE_EEvS4_RKT_EUlibE_EEviT1_.has_indirect_call, 0
	.section	.AMDGPU.csdata,"",@progbits
; Kernel info:
; codeLenInByte = 58388
; TotalNumSgprs: 48
; NumVgprs: 18
; ScratchSize: 0
; MemoryBound: 0
; FloatMode: 240
; IeeeMode: 1
; LDSByteSize: 0 bytes/workgroup (compile time only)
; SGPRBlocks: 5
; VGPRBlocks: 4
; NumSGPRsForWavesPerEU: 48
; NumVGPRsForWavesPerEU: 18
; Occupancy: 10
; WaveLimiterHint : 0
; COMPUTE_PGM_RSRC2:SCRATCH_EN: 0
; COMPUTE_PGM_RSRC2:USER_SGPR: 6
; COMPUTE_PGM_RSRC2:TRAP_HANDLER: 0
; COMPUTE_PGM_RSRC2:TGID_X_EN: 1
; COMPUTE_PGM_RSRC2:TGID_Y_EN: 0
; COMPUTE_PGM_RSRC2:TGID_Z_EN: 0
; COMPUTE_PGM_RSRC2:TIDIG_COMP_CNT: 0
	.section	.text._ZN2at6native32elementwise_kernel_manual_unrollILi128ELi4EZNS0_15gpu_kernel_implIZZZNS0_18lgamma_kernel_cudaERNS_18TensorIteratorBaseEENKUlvE_clEvENKUlvE2_clEvEUlN3c108BFloat16EE_EEvS4_RKT_EUlibE0_EEviT1_,"axG",@progbits,_ZN2at6native32elementwise_kernel_manual_unrollILi128ELi4EZNS0_15gpu_kernel_implIZZZNS0_18lgamma_kernel_cudaERNS_18TensorIteratorBaseEENKUlvE_clEvENKUlvE2_clEvEUlN3c108BFloat16EE_EEvS4_RKT_EUlibE0_EEviT1_,comdat
	.globl	_ZN2at6native32elementwise_kernel_manual_unrollILi128ELi4EZNS0_15gpu_kernel_implIZZZNS0_18lgamma_kernel_cudaERNS_18TensorIteratorBaseEENKUlvE_clEvENKUlvE2_clEvEUlN3c108BFloat16EE_EEvS4_RKT_EUlibE0_EEviT1_ ; -- Begin function _ZN2at6native32elementwise_kernel_manual_unrollILi128ELi4EZNS0_15gpu_kernel_implIZZZNS0_18lgamma_kernel_cudaERNS_18TensorIteratorBaseEENKUlvE_clEvENKUlvE2_clEvEUlN3c108BFloat16EE_EEvS4_RKT_EUlibE0_EEviT1_
	.p2align	8
	.type	_ZN2at6native32elementwise_kernel_manual_unrollILi128ELi4EZNS0_15gpu_kernel_implIZZZNS0_18lgamma_kernel_cudaERNS_18TensorIteratorBaseEENKUlvE_clEvENKUlvE2_clEvEUlN3c108BFloat16EE_EEvS4_RKT_EUlibE0_EEviT1_,@function
_ZN2at6native32elementwise_kernel_manual_unrollILi128ELi4EZNS0_15gpu_kernel_implIZZZNS0_18lgamma_kernel_cudaERNS_18TensorIteratorBaseEENKUlvE_clEvENKUlvE2_clEvEUlN3c108BFloat16EE_EEvS4_RKT_EUlibE0_EEviT1_: ; @_ZN2at6native32elementwise_kernel_manual_unrollILi128ELi4EZNS0_15gpu_kernel_implIZZZNS0_18lgamma_kernel_cudaERNS_18TensorIteratorBaseEENKUlvE_clEvENKUlvE2_clEvEUlN3c108BFloat16EE_EEvS4_RKT_EUlibE0_EEviT1_
; %bb.0:
	s_load_dword s70, s[4:5], 0x0
	s_load_dword s33, s[4:5], 0x8
	s_add_u32 s34, s4, 8
	s_addc_u32 s35, s5, 0
	v_lshl_or_b32 v8, s6, 9, v0
	v_or_b32_e32 v15, 0x180, v8
	s_waitcnt lgkmcnt(0)
	s_add_i32 s72, s33, -1
	s_cmp_gt_u32 s72, 1
	v_cmp_le_i32_e32 vcc, s70, v15
	s_cselect_b64 s[40:41], -1, 0
	s_mov_b64 s[6:7], 0
	s_mov_b64 s[28:29], 0
	s_and_saveexec_b64 s[0:1], vcc
	s_xor_b64 s[42:43], exec, s[0:1]
	s_cbranch_execz .LBB164_1238
; %bb.1:
	v_mov_b32_e32 v0, 0
	global_load_ushort v0, v0, s[34:35] offset:345
	s_load_dwordx4 s[36:39], s[34:35], 0x4
	s_load_dwordx2 s[44:45], s[34:35], 0x14
	s_load_dwordx4 s[28:31], s[34:35], 0xc4
	s_load_dwordx4 s[24:27], s[34:35], 0x148
	s_cmp_lg_u32 s33, 0
	s_cselect_b64 s[50:51], -1, 0
	s_add_u32 s48, s34, 0xc4
	s_addc_u32 s49, s35, 0
	s_min_u32 s75, s72, 15
	s_cmp_gt_u32 s33, 1
	s_cselect_b64 s[46:47], -1, 0
	v_cmp_gt_i32_e32 vcc, s70, v8
	s_mov_b64 s[2:3], -1
	s_mov_b64 s[60:61], 0
	s_mov_b64 s[54:55], 0
	;; [unrolled: 1-line block ×3, first 2 shown]
	s_waitcnt vmcnt(0)
	v_readfirstlane_b32 s73, v0
	s_and_b32 s0, 0xffff, s73
	s_lshr_b32 s74, s0, 8
	s_and_saveexec_b64 s[56:57], vcc
	s_cbranch_execz .LBB164_304
; %bb.2:
	s_andn2_b64 vcc, exec, s[40:41]
	s_cbranch_vccnz .LBB164_7
; %bb.3:
	s_andn2_b64 vcc, exec, s[50:51]
	s_cbranch_vccnz .LBB164_8
; %bb.4:
	s_add_i32 s59, s75, 1
	s_cmp_eq_u32 s72, 2
	s_cbranch_scc1 .LBB164_9
; %bb.5:
	s_and_b32 s58, s59, 28
	v_mov_b32_e32 v2, 0
	s_mov_b32 s62, 0
	s_mov_b64 s[52:53], s[34:35]
	s_mov_b64 s[54:55], s[48:49]
	v_mov_b32_e32 v0, 0
	v_mov_b32_e32 v1, v8
.LBB164_6:                              ; =>This Inner Loop Header: Depth=1
	s_load_dwordx8 s[16:23], s[52:53], 0x4
	s_load_dwordx4 s[0:3], s[52:53], 0x24
	s_load_dwordx8 s[8:15], s[54:55], 0x0
	s_add_u32 s52, s52, 48
	s_addc_u32 s53, s53, 0
	s_waitcnt lgkmcnt(0)
	v_mul_hi_u32 v3, s17, v1
	s_add_i32 s62, s62, 4
	s_add_u32 s54, s54, 32
	s_addc_u32 s55, s55, 0
	v_add_u32_e32 v3, v1, v3
	v_lshrrev_b32_e32 v3, s18, v3
	v_mul_lo_u32 v4, v3, s16
	v_mul_hi_u32 v5, s20, v3
	s_cmp_lg_u32 s58, s62
	v_sub_u32_e32 v1, v1, v4
	v_add_u32_e32 v4, v3, v5
	v_mul_lo_u32 v5, v1, s8
	v_mul_lo_u32 v6, v1, s9
	v_lshrrev_b32_e32 v1, s21, v4
	v_mul_lo_u32 v4, v1, s19
	v_mul_hi_u32 v7, s23, v1
	v_sub_u32_e32 v3, v3, v4
	v_add_u32_e32 v4, v1, v7
	v_lshrrev_b32_e32 v4, s0, v4
	v_mul_hi_u32 v9, s2, v4
	v_mul_lo_u32 v10, v4, s22
	v_mul_lo_u32 v7, v3, s10
	;; [unrolled: 1-line block ×3, first 2 shown]
	v_sub_u32_e32 v10, v1, v10
	v_add_u32_e32 v1, v4, v9
	v_lshrrev_b32_e32 v1, s3, v1
	v_mul_lo_u32 v9, v1, s1
	v_mul_lo_u32 v11, v10, s12
	;; [unrolled: 1-line block ×3, first 2 shown]
	v_add3_u32 v0, v5, v0, v7
	v_sub_u32_e32 v4, v4, v9
	v_mul_lo_u32 v9, v4, s14
	v_mul_lo_u32 v4, v4, s15
	v_add3_u32 v2, v6, v2, v3
	v_add3_u32 v0, v11, v0, v9
	;; [unrolled: 1-line block ×3, first 2 shown]
	s_cbranch_scc1 .LBB164_6
	s_branch .LBB164_10
.LBB164_7:
                                        ; implicit-def: $vgpr0
                                        ; implicit-def: $vgpr2
	s_branch .LBB164_14
.LBB164_8:
	v_mov_b32_e32 v0, 0
	v_mov_b32_e32 v2, 0
	s_branch .LBB164_13
.LBB164_9:
	s_mov_b32 s58, 0
	v_mov_b32_e32 v0, 0
	v_mov_b32_e32 v2, 0
	;; [unrolled: 1-line block ×3, first 2 shown]
.LBB164_10:
	s_and_b32 s8, s59, 3
	s_cmp_eq_u32 s8, 0
	s_cbranch_scc1 .LBB164_13
; %bb.11:
	s_lshl_b32 s0, s58, 3
	s_add_u32 s0, s34, s0
	s_addc_u32 s1, s35, 0
	s_add_u32 s0, s0, 0xc4
	s_addc_u32 s1, s1, 0
	s_mul_i32 s2, s58, 12
	s_add_u32 s2, s34, s2
	s_addc_u32 s3, s35, 0
.LBB164_12:                             ; =>This Inner Loop Header: Depth=1
	s_load_dwordx2 s[10:11], s[2:3], 0x4
	s_load_dword s9, s[2:3], 0xc
	s_load_dwordx2 s[12:13], s[0:1], 0x0
	s_add_u32 s2, s2, 12
	s_addc_u32 s3, s3, 0
	s_waitcnt lgkmcnt(0)
	v_mul_hi_u32 v3, s11, v1
	s_add_u32 s0, s0, 8
	s_addc_u32 s1, s1, 0
	s_add_i32 s8, s8, -1
	v_add_u32_e32 v3, v1, v3
	v_lshrrev_b32_e32 v4, s9, v3
	v_mul_lo_u32 v3, v4, s10
	s_cmp_lg_u32 s8, 0
	v_sub_u32_e32 v3, v1, v3
	v_mad_u64_u32 v[0:1], s[10:11], v3, s12, v[0:1]
	v_mad_u64_u32 v[2:3], s[10:11], v3, s13, v[2:3]
	v_mov_b32_e32 v1, v4
	s_cbranch_scc1 .LBB164_12
.LBB164_13:
	s_cbranch_execnz .LBB164_16
.LBB164_14:
	s_waitcnt lgkmcnt(0)
	v_mul_hi_u32 v0, s37, v8
	s_andn2_b64 vcc, exec, s[46:47]
	v_add_u32_e32 v0, v8, v0
	v_lshrrev_b32_e32 v1, s38, v0
	v_mul_lo_u32 v0, v1, s36
	v_sub_u32_e32 v2, v8, v0
	v_mul_lo_u32 v0, v2, s28
	v_mul_lo_u32 v2, v2, s29
	s_cbranch_vccnz .LBB164_16
; %bb.15:
	v_mul_hi_u32 v3, s44, v1
	v_add_u32_e32 v3, v1, v3
	v_lshrrev_b32_e32 v3, s45, v3
	v_mul_lo_u32 v3, v3, s39
	v_sub_u32_e32 v3, v1, v3
	v_mad_u64_u32 v[0:1], s[0:1], v3, s30, v[0:1]
	v_mad_u64_u32 v[2:3], s[0:1], v3, s31, v[2:3]
.LBB164_16:
	s_waitcnt lgkmcnt(0)
	v_mov_b32_e32 v3, s27
	s_and_b32 s12, 0xffff, s74
	v_add_co_u32_e32 v1, vcc, s26, v2
	s_cmp_lt_i32 s12, 11
	v_addc_co_u32_e32 v2, vcc, 0, v3, vcc
	s_cbranch_scc1 .LBB164_23
; %bb.17:
	s_cmp_gt_i32 s12, 25
	s_cbranch_scc0 .LBB164_70
; %bb.18:
	s_cmp_gt_i32 s12, 28
	s_cbranch_scc0 .LBB164_73
	;; [unrolled: 3-line block ×4, first 2 shown]
; %bb.21:
	s_cmp_eq_u32 s12, 46
	s_mov_b64 s[2:3], 0
	s_cbranch_scc0 .LBB164_79
; %bb.22:
	global_load_dword v3, v[1:2], off
	s_mov_b64 s[0:1], -1
	s_mov_b64 s[8:9], 0
	s_branch .LBB164_81
.LBB164_23:
	s_mov_b64 s[8:9], 0
                                        ; implicit-def: $vgpr3
	s_mov_b64 s[0:1], 0
	s_cbranch_execnz .LBB164_254
.LBB164_24:
	s_andn2_b64 vcc, exec, s[0:1]
	s_cbranch_vccnz .LBB164_301
.LBB164_25:
	s_waitcnt vmcnt(0)
	v_lshlrev_b32_e32 v1, 16, v3
	s_mov_b32 s0, 0x3c800000
	v_and_b32_e32 v2, 0x7fffffff, v1
	v_cmp_nlt_f32_e64 s[0:1], |v1|, s0
                                        ; implicit-def: $vgpr3
	s_and_saveexec_b64 s[2:3], s[0:1]
	s_xor_b64 s[2:3], exec, s[2:3]
	s_cbranch_execz .LBB164_55
; %bb.26:
	v_cmp_nlt_f32_e64 s[0:1], |v1|, 2.0
                                        ; implicit-def: $vgpr3
	s_and_saveexec_b64 s[10:11], s[0:1]
	s_xor_b64 s[10:11], exec, s[10:11]
	s_cbranch_execz .LBB164_36
; %bb.27:
	s_mov_b32 s0, 0x41000000
	v_cmp_nlt_f32_e64 s[0:1], |v1|, s0
                                        ; implicit-def: $vgpr3
	s_and_saveexec_b64 s[12:13], s[0:1]
	s_xor_b64 s[12:13], exec, s[12:13]
	s_cbranch_execz .LBB164_33
; %bb.28:
	s_mov_b32 s0, 0x5c800000
	v_cmp_nlt_f32_e64 s[0:1], |v1|, s0
                                        ; implicit-def: $vgpr3
	s_and_saveexec_b64 s[14:15], s[0:1]
	s_xor_b64 s[14:15], exec, s[14:15]
	s_cbranch_execz .LBB164_30
; %bb.29:
	s_mov_b32 s0, 0x800000
	v_cmp_lt_f32_e64 vcc, |v1|, s0
	v_cndmask_b32_e64 v3, 0, 32, vcc
	v_ldexp_f32 v3, |v1|, v3
	v_log_f32_e32 v3, v3
	s_mov_b32 s0, 0x3f317217
	s_mov_b32 s1, 0x7f800000
	v_mul_f32_e32 v4, 0x3f317217, v3
	v_fma_f32 v5, v3, s0, -v4
	v_fmac_f32_e32 v5, 0x3377d1cf, v3
	v_add_f32_e32 v4, v4, v5
	v_cmp_lt_f32_e64 s[0:1], |v3|, s1
	v_cndmask_b32_e64 v3, v3, v4, s[0:1]
	v_mov_b32_e32 v4, 0x41b17218
	v_cndmask_b32_e32 v4, 0, v4, vcc
	v_sub_f32_e32 v3, v3, v4
	v_fma_f32 v3, |v1|, v3, -|v1|
.LBB164_30:
	s_andn2_saveexec_b64 s[14:15], s[14:15]
	s_cbranch_execz .LBB164_32
; %bb.31:
	v_rcp_f32_e64 v4, |v1|
	v_mov_b32_e32 v3, 0x3a5b3dd2
	v_mov_b32_e32 v5, 0xba1c065c
	;; [unrolled: 1-line block ×3, first 2 shown]
	v_mul_f32_e32 v7, v4, v4
	v_fmac_f32_e32 v3, 0xbad5c4e8, v7
	v_fmac_f32_e32 v5, v7, v3
	s_mov_b32 s0, 0x800000
	v_fmac_f32_e32 v6, v7, v5
	v_mov_b32_e32 v3, 0xbb360b61
	v_cmp_lt_f32_e64 vcc, |v1|, s0
	v_fmac_f32_e32 v3, v7, v6
	v_cndmask_b32_e64 v6, 0, 32, vcc
	v_ldexp_f32 v6, |v1|, v6
	v_log_f32_e32 v6, v6
	v_mov_b32_e32 v5, 0x3daaaaab
	v_fmac_f32_e32 v5, v7, v3
	v_mov_b32_e32 v3, 0x3ed67f1d
	v_fmac_f32_e32 v3, v4, v5
	s_mov_b32 s0, 0x3f317217
	v_mul_f32_e32 v5, 0x3f317217, v6
	v_fma_f32 v7, v6, s0, -v5
	v_fmac_f32_e32 v7, 0x3377d1cf, v6
	s_mov_b32 s0, 0x7f800000
	v_add_f32_e32 v5, v5, v7
	v_cmp_lt_f32_e64 s[0:1], |v6|, s0
	v_cndmask_b32_e64 v5, v6, v5, s[0:1]
	v_mov_b32_e32 v6, 0x41b17218
	v_cndmask_b32_e32 v6, 0, v6, vcc
	v_sub_f32_e32 v5, v5, v6
	v_add_f32_e64 v4, |v1|, -0.5
	v_add_f32_e32 v5, -1.0, v5
	v_fmac_f32_e32 v3, v4, v5
.LBB164_32:
	s_or_b64 exec, exec, s[14:15]
.LBB164_33:
	s_andn2_saveexec_b64 s[12:13], s[12:13]
	s_cbranch_execz .LBB164_35
; %bb.34:
	v_cvt_i32_f32_e32 v3, v2
	v_mov_b32_e32 v4, 0x3af135b4
	v_mov_b32_e32 v5, 0x3cda40e4
	;; [unrolled: 1-line block ×3, first 2 shown]
	v_cvt_f32_i32_e32 v7, v3
	v_mov_b32_e32 v9, 0x3ea6cc7a
	v_mov_b32_e32 v10, 0x3e5c245a
	v_cmp_lt_i32_e32 vcc, 2, v3
	v_sub_f32_e64 v7, |v1|, v7
	v_fmac_f32_e32 v4, 0x3805ff67, v7
	v_fmac_f32_e32 v5, v7, v4
	;; [unrolled: 1-line block ×3, first 2 shown]
	v_mov_b32_e32 v5, 0x3a4beed6
	v_fmac_f32_e32 v9, v7, v6
	v_fmac_f32_e32 v5, 0x36f5d7bd, v7
	v_mov_b32_e32 v6, 0x3c98bf54
	v_fmac_f32_e32 v6, v7, v5
	v_mov_b32_e32 v5, 0x3e300f6e
	;; [unrolled: 2-line block ×4, first 2 shown]
	v_fmac_f32_e32 v5, v7, v6
	v_add_f32_e32 v6, 2.0, v7
	v_mov_b32_e32 v11, 0xbd9e233f
	v_fmac_f32_e32 v10, v7, v9
	v_add_f32_e32 v9, 0x40400000, v7
	v_cndmask_b32_e32 v6, 1.0, v6, vcc
	v_cmp_lt_i32_e32 vcc, 3, v3
	v_fmac_f32_e32 v11, v7, v10
	v_add_f32_e32 v10, 4.0, v7
	v_cndmask_b32_e32 v9, 1.0, v9, vcc
	v_cmp_lt_i32_e32 vcc, 4, v3
	v_mul_f32_e32 v4, v7, v11
	v_add_f32_e32 v11, 0x40a00000, v7
	v_mul_f32_e32 v6, v6, v9
	v_cndmask_b32_e32 v9, 1.0, v10, vcc
	v_cmp_lt_i32_e32 vcc, 5, v3
	v_add_f32_e32 v12, 0x40c00000, v7
	v_mul_f32_e32 v6, v9, v6
	v_cndmask_b32_e32 v9, 1.0, v11, vcc
	v_cmp_lt_i32_e32 vcc, 6, v3
	v_mul_f32_e32 v6, v9, v6
	v_cndmask_b32_e32 v3, 1.0, v12, vcc
	v_mul_f32_e32 v3, v3, v6
	s_mov_b32 s0, 0x800000
	v_cmp_gt_f32_e32 vcc, s0, v3
	v_cndmask_b32_e64 v6, 0, 32, vcc
	v_fma_f32 v5, v7, v5, 1.0
	v_ldexp_f32 v3, v3, v6
	v_rcp_f32_e32 v5, v5
	v_log_f32_e32 v3, v3
	s_mov_b32 s0, 0x3f317217
	v_mul_f32_e32 v4, v4, v5
	v_mul_f32_e32 v5, 0x3f317217, v3
	v_fma_f32 v6, v3, s0, -v5
	v_fmac_f32_e32 v6, 0x3377d1cf, v3
	s_mov_b32 s0, 0x7f800000
	v_add_f32_e32 v5, v5, v6
	v_cmp_lt_f32_e64 s[0:1], |v3|, s0
	v_cndmask_b32_e64 v3, v3, v5, s[0:1]
	v_mov_b32_e32 v5, 0x41b17218
	v_cndmask_b32_e32 v5, 0, v5, vcc
	v_fmac_f32_e32 v4, 0.5, v7
	v_sub_f32_e32 v3, v3, v5
	v_add_f32_e32 v3, v3, v4
.LBB164_35:
	s_or_b64 exec, exec, s[12:13]
.LBB164_36:
	s_andn2_saveexec_b64 s[10:11], s[10:11]
	s_cbranch_execz .LBB164_54
; %bb.37:
	s_mov_b32 s0, 0x3f666666
	v_cmp_le_f32_e64 s[0:1], |v1|, s0
                                        ; implicit-def: $vgpr3
                                        ; implicit-def: $vgpr5
                                        ; implicit-def: $vgpr4
	s_and_saveexec_b64 s[12:13], s[0:1]
	s_xor_b64 s[12:13], exec, s[12:13]
	s_cbranch_execz .LBB164_39
; %bb.38:
	s_mov_b32 s0, 0x800000
	v_cmp_lt_f32_e64 vcc, |v1|, s0
	v_cndmask_b32_e64 v3, 0, 32, vcc
	v_ldexp_f32 v3, |v1|, v3
	v_log_f32_e32 v3, v3
	s_mov_b32 s0, 0x3f317217
	s_mov_b32 s1, 0x7f800000
	v_mul_f32_e32 v4, 0x3f317217, v3
	v_fma_f32 v5, v3, s0, -v4
	v_fmac_f32_e32 v5, 0x3377d1cf, v3
	v_add_f32_e32 v4, v4, v5
	v_cmp_lt_f32_e64 s[0:1], |v3|, s1
	v_cndmask_b32_e64 v3, v3, v4, s[0:1]
	v_mov_b32_e32 v4, 0x41b17218
	v_cndmask_b32_e32 v4, 0, v4, vcc
	s_mov_b32 s0, 0x3f3b4a23
	s_mov_b32 s1, 0xbeec5b0c
	v_sub_f32_e32 v3, v3, v4
	v_sub_f32_e64 v4, 1.0, |v1|
	v_add_f32_e64 v5, |v1|, s1
	v_cmp_lt_f32_e64 vcc, |v1|, s0
	s_mov_b32 s0, 0x3e6d3309
	v_cndmask_b32_e32 v4, v4, v5, vcc
	v_cndmask_b32_e64 v5, 0, 1, vcc
	v_cmp_lt_f32_e64 s[0:1], |v1|, s0
	v_xor_b32_e32 v3, 0x80000000, v3
	v_cndmask_b32_e64 v4, v4, |v1|, s[0:1]
	v_cndmask_b32_e64 v5, v5, 2, s[0:1]
.LBB164_39:
	s_andn2_saveexec_b64 s[0:1], s[12:13]
	s_cbranch_execz .LBB164_41
; %bb.40:
	s_mov_b32 s12, 0x3fdda512
	s_mov_b32 s13, 0xbfbb16c3
	v_sub_f32_e64 v3, 2.0, |v1|
	v_add_f32_e64 v4, |v1|, s13
	v_cmp_lt_f32_e64 vcc, |v1|, s12
	v_cndmask_b32_e32 v4, v3, v4, vcc
	v_cndmask_b32_e64 v3, v3, 1.0, vcc
	v_cvt_i32_f32_e32 v3, v3
	s_mov_b32 s12, 0x3f9d70a4
	v_add_f32_e64 v5, |v1|, -1.0
	v_cmp_lt_f32_e64 vcc, |v1|, s12
	v_cndmask_b32_e32 v4, v4, v5, vcc
	v_cndmask_b32_e64 v5, v3, 2, vcc
	v_mov_b32_e32 v3, 0
.LBB164_41:
	s_or_b64 exec, exec, s[0:1]
	v_cmp_lt_i32_e32 vcc, 0, v5
	s_and_saveexec_b64 s[0:1], vcc
	s_xor_b64 s[0:1], exec, s[0:1]
	s_cbranch_execz .LBB164_49
; %bb.42:
	v_cmp_lt_i32_e32 vcc, 1, v5
	s_and_saveexec_b64 s[12:13], vcc
	s_xor_b64 s[12:13], exec, s[12:13]
	s_cbranch_execz .LBB164_46
; %bb.43:
	v_cmp_eq_u32_e32 vcc, 2, v5
	s_and_saveexec_b64 s[14:15], vcc
	s_cbranch_execz .LBB164_45
; %bb.44:
	v_mov_b32_e32 v5, 0x3e6a7578
	v_fmac_f32_e32 v5, 0x3c5b3c5e, v4
	v_mov_b32_e32 v6, 0x3f7a4bb2
	v_fmac_f32_e32 v6, v4, v5
	;; [unrolled: 2-line block ×8, first 2 shown]
	v_fma_f32 v5, v4, v7, 1.0
	v_rcp_f32_e32 v5, v5
	v_mov_b32_e32 v7, 0xbd9e233f
	v_fmac_f32_e32 v7, v4, v6
	v_mul_f32_e32 v6, v4, v7
	v_mul_f32_e32 v5, v6, v5
	v_fmac_f32_e32 v5, -0.5, v4
	v_add_f32_e32 v3, v3, v5
.LBB164_45:
	s_or_b64 exec, exec, s[14:15]
                                        ; implicit-def: $vgpr4
.LBB164_46:
	s_andn2_saveexec_b64 s[12:13], s[12:13]
	s_cbranch_execz .LBB164_48
; %bb.47:
	v_mul_f32_e32 v5, v4, v4
	v_mul_f32_e32 v6, v4, v5
	v_mov_b32_e32 v7, 0xbab7f476
	v_fmac_f32_e32 v7, 0x39a57b6b, v6
	v_mov_b32_e32 v9, 0x3bc7e707
	v_fmac_f32_e32 v9, v6, v7
	;; [unrolled: 2-line block ×12, first 2 shown]
	v_fmac_f32_e32 v10, v4, v11
	s_mov_b32 s14, 0xa2863e55
	v_fma_f32 v4, v6, -v10, s14
	v_fma_f32 v4, v5, v9, -v4
	v_add_f32_e32 v4, 0xbdf8cdce, v4
	v_add_f32_e32 v3, v3, v4
.LBB164_48:
	s_or_b64 exec, exec, s[12:13]
                                        ; implicit-def: $vgpr5
                                        ; implicit-def: $vgpr4
.LBB164_49:
	s_andn2_saveexec_b64 s[0:1], s[0:1]
	s_cbranch_execz .LBB164_53
; %bb.50:
	v_cmp_eq_u32_e32 vcc, 0, v5
	s_and_saveexec_b64 s[12:13], vcc
	s_cbranch_execz .LBB164_52
; %bb.51:
	v_mul_f32_e32 v5, v4, v4
	v_mov_b32_e32 v6, 0x39679767
	v_fmac_f32_e32 v6, 0x37d383a2, v5
	v_mov_b32_e32 v7, 0x3a9c54a1
	v_fmac_f32_e32 v7, v5, v6
	;; [unrolled: 2-line block ×10, first 2 shown]
	v_mul_f32_e32 v5, v5, v7
	v_fmac_f32_e32 v5, v4, v6
	v_fmac_f32_e32 v5, -0.5, v4
	v_add_f32_e32 v3, v3, v5
.LBB164_52:
	s_or_b64 exec, exec, s[12:13]
.LBB164_53:
	s_or_b64 exec, exec, s[0:1]
.LBB164_54:
	s_or_b64 exec, exec, s[10:11]
.LBB164_55:
	s_andn2_saveexec_b64 s[2:3], s[2:3]
	s_cbranch_execz .LBB164_57
; %bb.56:
	s_mov_b32 s0, 0x3e8a8991
	v_mov_b32_e32 v3, 0xbecd26ab
	v_fma_f32 v3, |v1|, s0, v3
	s_mov_b32 s0, 0x3f528d33
	v_fma_f32 v3, |v1|, v3, s0
	s_mov_b32 s0, 0x800000
	v_cmp_lt_f32_e64 vcc, |v1|, s0
	v_cndmask_b32_e64 v4, 0, 32, vcc
	v_ldexp_f32 v4, |v1|, v4
	v_log_f32_e32 v4, v4
	s_mov_b32 s0, 0xbf13c468
	v_fma_f32 v3, |v1|, v3, s0
	s_mov_b32 s0, 0x3f317217
	v_mul_f32_e32 v5, 0x3f317217, v4
	v_fma_f32 v6, v4, s0, -v5
	v_fmac_f32_e32 v6, 0x3377d1cf, v4
	s_mov_b32 s0, 0x7f800000
	v_add_f32_e32 v5, v5, v6
	v_cmp_lt_f32_e64 s[0:1], |v4|, s0
	v_cndmask_b32_e64 v4, v4, v5, s[0:1]
	v_mov_b32_e32 v5, 0x41b17218
	v_cndmask_b32_e32 v5, 0, v5, vcc
	v_sub_f32_e32 v4, v4, v5
	v_fma_f32 v3, |v1|, v3, -v4
.LBB164_57:
	s_or_b64 exec, exec, s[2:3]
	v_cmp_le_f32_e32 vcc, 0, v1
	v_cmp_nle_f32_e64 s[0:1], 0, v1
	s_and_saveexec_b64 s[2:3], s[0:1]
	s_xor_b64 s[10:11], exec, s[2:3]
	s_cbranch_execz .LBB164_61
; %bb.58:
	s_mov_b32 s0, 0x4b000000
	s_mov_b32 s2, 0x35000000
	v_cmp_lt_f32_e64 s[0:1], |v1|, s0
	v_cmp_gt_f32_e64 s[2:3], |v1|, s2
	s_and_b64 s[0:1], s[0:1], s[2:3]
	s_and_saveexec_b64 s[12:13], s[0:1]
	s_cbranch_execz .LBB164_60
; %bb.59:
	v_mul_f32_e64 v4, |v1|, 0.5
	v_floor_f32_e32 v5, v4
	v_sub_f32_e32 v5, v4, v5
	v_min_f32_e32 v5, 0x3f7fffff, v5
	s_mov_b32 s2, 0x7f800000
	v_add_f32_e32 v5, v5, v5
	v_cmp_neq_f32_e64 s[0:1], s2, v4
	v_cndmask_b32_e64 v4, 0, v5, s[0:1]
	v_cmp_gt_f32_e64 s[0:1], |v1|, 1.0
	v_cndmask_b32_e64 v4, |v1|, v4, s[0:1]
	v_add_f32_e32 v5, v4, v4
	v_rndne_f32_e32 v5, v5
	v_fmac_f32_e32 v4, -0.5, v5
	v_mul_f32_e32 v6, v4, v4
	v_mov_b32_e32 v7, 0xbf1f24be
	v_fmac_f32_e32 v7, 0x3e75aa41, v6
	v_mov_b32_e32 v9, 0x40234736
	v_fmac_f32_e32 v9, v6, v7
	;; [unrolled: 2-line block ×3, first 2 shown]
	v_mul_f32_e32 v9, v4, v6
	v_mul_f32_e32 v7, v9, v7
	v_fmac_f32_e32 v7, 0x40490fdb, v4
	v_mov_b32_e32 v4, 0x3e642e9d
	v_cvt_i32_f32_e32 v5, v5
	v_fmac_f32_e32 v4, 0x3d4be544, v6
	v_mov_b32_e32 v9, 0xbfaad1da
	v_fmac_f32_e32 v9, v6, v4
	v_mov_b32_e32 v4, 0x4081e0d3
	;; [unrolled: 2-line block ×3, first 2 shown]
	v_fmac_f32_e32 v9, v6, v4
	v_fma_f32 v4, v6, v9, 1.0
	v_and_b32_e32 v6, 1, v5
	v_cmp_eq_u32_e64 s[0:1], 0, v6
	v_cndmask_b32_e64 v4, v4, v7, s[0:1]
	v_lshlrev_b32_e32 v5, 30, v5
	s_brev_b32 s0, 1
	v_and_or_b32 v2, v5, s0, v2
	v_xor_b32_e32 v2, v2, v4
	v_xor_b32_e32 v2, v2, v1
	v_mul_f32_e32 v2, v1, v2
	v_frexp_mant_f32_e64 v4, |v2|
	v_rcp_f32_e32 v4, v4
	v_frexp_exp_i32_f32_e32 v2, v2
	v_sub_u32_e32 v2, 2, v2
	s_mov_b32 s0, 0x800000
	v_mul_f32_e32 v4, 0x3f490fdb, v4
	v_ldexp_f32 v2, v4, v2
	v_cmp_gt_f32_e64 s[0:1], s0, v2
	v_cndmask_b32_e64 v4, 0, 32, s[0:1]
	v_ldexp_f32 v2, v2, v4
	v_log_f32_e32 v2, v2
	s_mov_b32 s3, 0x3f317217
	v_mul_f32_e32 v4, 0x3f317217, v2
	v_fma_f32 v5, v2, s3, -v4
	v_fmac_f32_e32 v5, 0x3377d1cf, v2
	v_add_f32_e32 v4, v4, v5
	v_cmp_lt_f32_e64 s[2:3], |v2|, s2
	v_cndmask_b32_e64 v2, v2, v4, s[2:3]
	v_mov_b32_e32 v4, 0x41b17218
	v_cndmask_b32_e64 v4, 0, v4, s[0:1]
	v_sub_f32_e32 v2, v2, v4
	v_sub_f32_e32 v2, v2, v3
	v_floor_f32_e32 v3, v1
	v_sub_f32_e32 v3, v1, v3
	v_min_f32_e32 v3, 0x3f7fffff, v3
	v_mov_b32_e32 v4, 0x7f800000
	v_cmp_neq_f32_e64 s[0:1], 0, v3
	v_cndmask_b32_e64 v3, v4, v2, s[0:1]
.LBB164_60:
	s_or_b64 exec, exec, s[12:13]
.LBB164_61:
	s_andn2_saveexec_b64 s[10:11], s[10:11]
; %bb.62:
	v_cmp_eq_f32_e64 s[0:1], 1.0, v1
	v_cmp_eq_f32_e64 s[2:3], 2.0, v1
	s_or_b64 s[0:1], s[0:1], s[2:3]
	v_cndmask_b32_e64 v3, v3, 0, s[0:1]
; %bb.63:
	s_or_b64 exec, exec, s[10:11]
	s_mov_b32 s0, 0x4b000000
	v_cmp_lt_f32_e64 s[0:1], |v1|, s0
	v_mov_b32_e32 v2, 0x264
	v_mov_b32_e32 v4, 0x7f800000
	s_or_b64 vcc, vcc, s[0:1]
	v_cndmask_b32_e32 v3, v4, v3, vcc
	v_cmp_class_f32_e32 vcc, v1, v2
	v_cndmask_b32_e32 v2, v3, v4, vcc
	v_cmp_u_f32_e32 vcc, v1, v1
	v_cndmask_b32_e32 v1, v2, v1, vcc
	v_bfe_u32 v2, v1, 16, 1
	s_movk_i32 s0, 0x7fff
	v_add3_u32 v2, v1, v2, s0
	v_cmp_o_f32_e32 vcc, v1, v1
	v_mov_b32_e32 v1, 0x7fc0
	v_cndmask_b32_sdwa v2, v1, v2, vcc dst_sel:DWORD dst_unused:UNUSED_PAD src0_sel:DWORD src1_sel:WORD_1
	v_mov_b32_e32 v1, s25
	s_and_b32 s14, s73, 0xff
	v_add_co_u32_e32 v0, vcc, s24, v0
	s_cmp_lt_i32 s14, 11
	v_addc_co_u32_e32 v1, vcc, 0, v1, vcc
	s_cbranch_scc1 .LBB164_71
; %bb.64:
	s_and_b32 s15, 0xffff, s14
	s_cmp_gt_i32 s15, 25
	s_cbranch_scc0 .LBB164_74
; %bb.65:
	s_cmp_gt_i32 s15, 28
	s_cbranch_scc0 .LBB164_76
; %bb.66:
	;; [unrolled: 3-line block ×4, first 2 shown]
	s_mov_b64 s[10:11], 0
	s_mov_b64 s[0:1], -1
	s_cmp_eq_u32 s15, 46
	s_mov_b64 s[2:3], 0
	s_cbranch_scc0 .LBB164_85
; %bb.69:
	v_and_b32_e32 v3, 0xffff, v2
	global_store_dword v[0:1], v3, off
	s_mov_b64 s[2:3], -1
	s_mov_b64 s[0:1], 0
	s_branch .LBB164_85
.LBB164_70:
	s_mov_b64 s[8:9], 0
	s_mov_b64 s[0:1], 0
                                        ; implicit-def: $vgpr3
	s_cbranch_execnz .LBB164_219
	s_branch .LBB164_253
.LBB164_71:
	s_mov_b64 s[0:1], 0
	s_mov_b64 s[2:3], 0
	s_cbranch_execnz .LBB164_154
.LBB164_72:
	s_andn2_b64 vcc, exec, s[2:3]
	s_cbranch_vccnz .LBB164_302
	s_branch .LBB164_192
.LBB164_73:
	s_mov_b64 s[2:3], -1
	s_mov_b64 s[8:9], 0
	s_mov_b64 s[0:1], 0
                                        ; implicit-def: $vgpr3
	s_branch .LBB164_200
.LBB164_74:
	s_mov_b64 s[10:11], -1
	s_mov_b64 s[0:1], 0
	s_mov_b64 s[2:3], 0
	s_branch .LBB164_112
.LBB164_75:
	s_mov_b64 s[2:3], -1
	s_mov_b64 s[8:9], 0
	s_mov_b64 s[0:1], 0
                                        ; implicit-def: $vgpr3
	s_branch .LBB164_195
.LBB164_76:
	s_mov_b64 s[10:11], -1
	s_mov_b64 s[0:1], 0
	s_mov_b64 s[2:3], 0
	s_branch .LBB164_95
.LBB164_77:
	s_mov_b64 s[2:3], -1
	s_mov_b64 s[8:9], 0
	s_branch .LBB164_80
.LBB164_78:
	s_mov_b64 s[10:11], -1
	s_mov_b64 s[0:1], 0
	s_mov_b64 s[2:3], 0
	s_branch .LBB164_91
.LBB164_79:
	s_mov_b64 s[8:9], -1
.LBB164_80:
	s_mov_b64 s[0:1], 0
                                        ; implicit-def: $vgpr3
.LBB164_81:
	s_and_b64 vcc, exec, s[2:3]
	s_cbranch_vccz .LBB164_194
; %bb.82:
	s_cmp_eq_u32 s12, 44
	s_cbranch_scc0 .LBB164_193
; %bb.83:
	global_load_ubyte v3, v[1:2], off
	s_movk_i32 s2, 0xff
	v_mov_b32_e32 v4, 0x7f800001
	v_mov_b32_e32 v5, 0x400000
	;; [unrolled: 1-line block ×3, first 2 shown]
	s_mov_b64 s[0:1], -1
	s_mov_b64 s[8:9], 0
	s_waitcnt vmcnt(0)
	v_lshlrev_b32_e32 v7, 23, v3
	v_cmp_ne_u32_e32 vcc, s2, v3
	v_cndmask_b32_e32 v4, v4, v7, vcc
	v_cmp_ne_u32_e32 vcc, 0, v3
	v_cndmask_b32_e32 v3, v5, v4, vcc
	v_add_u32_e32 v4, 0x7fff, v3
	v_cmp_o_f32_e32 vcc, v3, v3
	v_cndmask_b32_sdwa v3, v6, v4, vcc dst_sel:DWORD dst_unused:UNUSED_PAD src0_sel:DWORD src1_sel:WORD_1
	s_branch .LBB164_194
.LBB164_84:
	s_mov_b64 s[10:11], -1
	s_mov_b64 s[0:1], 0
	s_mov_b64 s[2:3], 0
.LBB164_85:
	s_and_b64 vcc, exec, s[10:11]
	s_cbranch_vccz .LBB164_90
; %bb.86:
	s_cmp_eq_u32 s15, 44
	s_mov_b64 s[0:1], -1
	s_cbranch_scc0 .LBB164_90
; %bb.87:
	v_and_b32_e32 v4, 0xffff, v2
	v_bfe_u32 v3, v4, 7, 8
	s_movk_i32 s0, 0xff
	v_cmp_ne_u32_e32 vcc, s0, v3
	v_mov_b32_e32 v5, 0xff
	s_and_saveexec_b64 s[2:3], vcc
	s_cbranch_execz .LBB164_89
; %bb.88:
	v_lshlrev_b32_e32 v6, 16, v4
	s_mov_b32 s0, 0x3f0000
	v_lshrrev_b32_e32 v5, 7, v4
	v_and_b32_e32 v4, 64, v4
	v_and_or_b32 v3, v6, s0, v3
	v_cmp_ne_u32_e32 vcc, 0, v4
	v_cmp_ne_u32_e64 s[0:1], 0, v3
	s_and_b64 s[0:1], vcc, s[0:1]
	v_cndmask_b32_e64 v3, 0, 1, s[0:1]
	v_add_u32_e32 v5, v5, v3
.LBB164_89:
	s_or_b64 exec, exec, s[2:3]
	s_mov_b64 s[2:3], -1
	s_mov_b64 s[0:1], 0
	global_store_byte v[0:1], v5, off
.LBB164_90:
	s_mov_b64 s[10:11], 0
.LBB164_91:
	s_and_b64 vcc, exec, s[10:11]
	s_cbranch_vccz .LBB164_94
; %bb.92:
	s_cmp_eq_u32 s15, 29
	s_mov_b64 s[0:1], -1
	s_cbranch_scc0 .LBB164_94
; %bb.93:
	v_lshlrev_b32_e32 v3, 16, v2
	v_trunc_f32_e32 v3, v3
	v_mul_f32_e32 v4, 0x2f800000, v3
	v_floor_f32_e32 v5, v4
	v_fmac_f32_e32 v3, 0xcf800000, v5
	v_cvt_u32_f32_e32 v4, v5
	v_cvt_u32_f32_e32 v3, v3
	s_mov_b64 s[2:3], -1
	s_mov_b64 s[0:1], 0
	s_mov_b64 s[10:11], 0
	global_store_dwordx2 v[0:1], v[3:4], off
	s_branch .LBB164_95
.LBB164_94:
	s_mov_b64 s[10:11], 0
.LBB164_95:
	s_and_b64 vcc, exec, s[10:11]
	s_cbranch_vccz .LBB164_111
; %bb.96:
	s_cmp_lt_i32 s15, 27
	s_mov_b64 s[2:3], -1
	s_cbranch_scc1 .LBB164_102
; %bb.97:
	s_cmp_gt_i32 s15, 27
	s_cbranch_scc0 .LBB164_99
; %bb.98:
	v_lshlrev_b32_e32 v3, 16, v2
	v_cvt_u32_f32_e32 v3, v3
	s_mov_b64 s[2:3], 0
	global_store_dword v[0:1], v3, off
.LBB164_99:
	s_andn2_b64 vcc, exec, s[2:3]
	s_cbranch_vccnz .LBB164_101
; %bb.100:
	v_lshlrev_b32_e32 v3, 16, v2
	v_cvt_u32_f32_e32 v3, v3
	global_store_short v[0:1], v3, off
.LBB164_101:
	s_mov_b64 s[2:3], 0
.LBB164_102:
	s_andn2_b64 vcc, exec, s[2:3]
	s_cbranch_vccnz .LBB164_110
; %bb.103:
	v_lshlrev_b32_e32 v5, 16, v2
	v_and_b32_e32 v4, 0x7fffffff, v5
	s_mov_b32 s2, 0x43800000
	v_cmp_gt_u32_e32 vcc, s2, v4
	v_mov_b32_e32 v6, 0x80
	s_and_saveexec_b64 s[2:3], vcc
	s_cbranch_execz .LBB164_109
; %bb.104:
	s_mov_b32 s10, 0x3bffffff
	v_and_b32_e32 v3, 0xffff, v2
	v_cmp_lt_u32_e32 vcc, s10, v4
	s_mov_b64 s[10:11], 0
                                        ; implicit-def: $vgpr4
	s_and_saveexec_b64 s[12:13], vcc
	s_xor_b64 s[12:13], exec, s[12:13]
	s_cbranch_execz .LBB164_383
; %bb.105:
	v_bfe_u32 v4, v3, 4, 1
	s_mov_b32 s16, 0x487ffff
	v_add3_u32 v4, v5, v4, s16
	s_mov_b64 s[10:11], exec
	v_lshrrev_b32_e32 v4, 20, v4
                                        ; implicit-def: $vgpr5
	s_andn2_saveexec_b64 s[12:13], s[12:13]
	s_cbranch_execnz .LBB164_384
.LBB164_106:
	s_or_b64 exec, exec, s[12:13]
	v_mov_b32_e32 v6, 0
	s_and_saveexec_b64 s[12:13], s[10:11]
.LBB164_107:
	v_lshrrev_b32_e32 v3, 8, v3
	s_movk_i32 s10, 0x80
	v_and_or_b32 v6, v3, s10, v4
.LBB164_108:
	s_or_b64 exec, exec, s[12:13]
.LBB164_109:
	s_or_b64 exec, exec, s[2:3]
	global_store_byte v[0:1], v6, off
.LBB164_110:
	s_mov_b64 s[2:3], -1
.LBB164_111:
	s_mov_b64 s[10:11], 0
.LBB164_112:
	s_and_b64 vcc, exec, s[10:11]
	s_cbranch_vccz .LBB164_153
; %bb.113:
	s_cmp_gt_i32 s15, 22
	s_mov_b64 s[10:11], -1
	s_cbranch_scc0 .LBB164_145
; %bb.114:
	s_cmp_lt_i32 s15, 24
	s_mov_b64 s[2:3], -1
	s_cbranch_scc1 .LBB164_134
; %bb.115:
	s_cmp_gt_i32 s15, 24
	s_cbranch_scc0 .LBB164_123
; %bb.116:
	v_lshlrev_b32_e32 v5, 16, v2
	v_and_b32_e32 v4, 0x7fffffff, v5
	s_mov_b32 s2, 0x47800000
	v_cmp_gt_u32_e32 vcc, s2, v4
	v_mov_b32_e32 v6, 0x80
	s_and_saveexec_b64 s[2:3], vcc
	s_cbranch_execz .LBB164_122
; %bb.117:
	s_mov_b32 s10, 0x37ffffff
	v_and_b32_e32 v3, 0xffff, v2
	v_cmp_lt_u32_e32 vcc, s10, v4
	s_mov_b64 s[10:11], 0
                                        ; implicit-def: $vgpr4
	s_and_saveexec_b64 s[12:13], vcc
	s_xor_b64 s[12:13], exec, s[12:13]
	s_cbranch_execz .LBB164_387
; %bb.118:
	v_bfe_u32 v4, v3, 5, 1
	s_mov_b32 s16, 0x88fffff
	v_add3_u32 v4, v5, v4, s16
	s_mov_b64 s[10:11], exec
	v_lshrrev_b32_e32 v4, 21, v4
                                        ; implicit-def: $vgpr5
	s_andn2_saveexec_b64 s[12:13], s[12:13]
	s_cbranch_execnz .LBB164_388
.LBB164_119:
	s_or_b64 exec, exec, s[12:13]
	v_mov_b32_e32 v6, 0
	s_and_saveexec_b64 s[12:13], s[10:11]
.LBB164_120:
	v_lshrrev_b32_e32 v3, 8, v3
	s_movk_i32 s10, 0x80
	v_and_or_b32 v6, v3, s10, v4
.LBB164_121:
	s_or_b64 exec, exec, s[12:13]
.LBB164_122:
	s_or_b64 exec, exec, s[2:3]
	s_mov_b64 s[2:3], 0
	global_store_byte v[0:1], v6, off
.LBB164_123:
	s_and_b64 vcc, exec, s[2:3]
	s_cbranch_vccz .LBB164_133
; %bb.124:
	v_lshlrev_b32_e32 v5, 16, v2
	v_and_b32_e32 v6, 0x7fffffff, v5
	s_mov_b32 s2, 0x43f00000
	v_and_b32_e32 v3, 0xffff, v2
	v_cmp_gt_u32_e32 vcc, s2, v6
                                        ; implicit-def: $vgpr4
	s_and_saveexec_b64 s[2:3], vcc
	s_xor_b64 s[2:3], exec, s[2:3]
	s_cbranch_execz .LBB164_130
; %bb.125:
	s_mov_b32 s10, 0x3c7fffff
	v_cmp_lt_u32_e32 vcc, s10, v6
                                        ; implicit-def: $vgpr4
	s_and_saveexec_b64 s[10:11], vcc
	s_xor_b64 s[10:11], exec, s[10:11]
; %bb.126:
	v_bfe_u32 v4, v3, 4, 1
	s_mov_b32 s12, 0x407ffff
	v_add3_u32 v4, v5, v4, s12
	v_lshrrev_b32_e32 v5, 20, v4
	v_and_b32_e32 v4, 0xff00000, v4
	s_mov_b32 s12, 0x7f00000
	v_mov_b32_e32 v6, 0x7e
	v_cmp_ne_u32_e32 vcc, s12, v4
	v_cndmask_b32_e32 v4, v6, v5, vcc
                                        ; implicit-def: $vgpr5
; %bb.127:
	s_andn2_saveexec_b64 s[10:11], s[10:11]
; %bb.128:
	s_mov_b32 s12, 0x46800000
	v_add_f32_e64 v4, |v5|, s12
; %bb.129:
	s_or_b64 exec, exec, s[10:11]
                                        ; implicit-def: $vgpr6
.LBB164_130:
	s_andn2_saveexec_b64 s[2:3], s[2:3]
; %bb.131:
	s_mov_b32 s10, 0x7f800000
	v_mov_b32_e32 v4, 0x7e
	v_mov_b32_e32 v5, 0x7f
	v_cmp_lt_u32_e32 vcc, s10, v6
	v_cndmask_b32_e32 v4, v4, v5, vcc
; %bb.132:
	s_or_b64 exec, exec, s[2:3]
	v_lshrrev_b32_e32 v3, 8, v3
	s_movk_i32 s2, 0x80
	v_and_or_b32 v3, v3, s2, v4
	global_store_byte v[0:1], v3, off
.LBB164_133:
	s_mov_b64 s[2:3], 0
.LBB164_134:
	s_andn2_b64 vcc, exec, s[2:3]
	s_cbranch_vccnz .LBB164_144
; %bb.135:
	v_lshlrev_b32_e32 v5, 16, v2
	v_and_b32_e32 v6, 0x7fffffff, v5
	s_mov_b32 s2, 0x47800000
	v_and_b32_e32 v3, 0xffff, v2
	v_cmp_gt_u32_e32 vcc, s2, v6
                                        ; implicit-def: $vgpr4
	s_and_saveexec_b64 s[2:3], vcc
	s_xor_b64 s[2:3], exec, s[2:3]
	s_cbranch_execz .LBB164_141
; %bb.136:
	s_mov_b32 s10, 0x387fffff
	v_cmp_lt_u32_e32 vcc, s10, v6
                                        ; implicit-def: $vgpr4
	s_and_saveexec_b64 s[10:11], vcc
	s_xor_b64 s[10:11], exec, s[10:11]
; %bb.137:
	v_bfe_u32 v4, v3, 5, 1
	s_mov_b32 s12, 0x80fffff
	v_add3_u32 v4, v5, v4, s12
	v_lshrrev_b32_e32 v4, 21, v4
                                        ; implicit-def: $vgpr5
; %bb.138:
	s_andn2_saveexec_b64 s[10:11], s[10:11]
; %bb.139:
	s_mov_b32 s12, 0x43000000
	v_add_f32_e64 v4, |v5|, s12
; %bb.140:
	s_or_b64 exec, exec, s[10:11]
                                        ; implicit-def: $vgpr6
.LBB164_141:
	s_andn2_saveexec_b64 s[2:3], s[2:3]
; %bb.142:
	s_mov_b32 s10, 0x7f800000
	v_mov_b32_e32 v4, 0x7c
	v_mov_b32_e32 v5, 0x7f
	v_cmp_lt_u32_e32 vcc, s10, v6
	v_cndmask_b32_e32 v4, v4, v5, vcc
; %bb.143:
	s_or_b64 exec, exec, s[2:3]
	v_lshrrev_b32_e32 v3, 8, v3
	s_movk_i32 s2, 0x80
	v_and_or_b32 v3, v3, s2, v4
	global_store_byte v[0:1], v3, off
.LBB164_144:
	s_mov_b64 s[10:11], 0
	s_mov_b64 s[2:3], -1
.LBB164_145:
	s_andn2_b64 vcc, exec, s[10:11]
	s_cbranch_vccnz .LBB164_153
; %bb.146:
	s_cmp_gt_i32 s15, 14
	s_mov_b64 s[10:11], -1
	s_cbranch_scc0 .LBB164_150
; %bb.147:
	s_cmp_eq_u32 s15, 15
	s_mov_b64 s[0:1], -1
	s_cbranch_scc0 .LBB164_149
; %bb.148:
	global_store_short v[0:1], v2, off
	s_mov_b64 s[2:3], -1
	s_mov_b64 s[0:1], 0
.LBB164_149:
	s_mov_b64 s[10:11], 0
.LBB164_150:
	s_and_b64 vcc, exec, s[10:11]
	s_cbranch_vccz .LBB164_153
; %bb.151:
	s_cmp_eq_u32 s15, 11
	s_mov_b64 s[0:1], -1
	s_cbranch_scc0 .LBB164_153
; %bb.152:
	v_and_b32_e32 v3, 0x7fff, v2
	v_cmp_ne_u16_e32 vcc, 0, v3
	v_cndmask_b32_e64 v3, 0, 1, vcc
	s_mov_b64 s[2:3], -1
	s_mov_b64 s[0:1], 0
	global_store_byte v[0:1], v3, off
.LBB164_153:
	s_branch .LBB164_72
.LBB164_154:
	s_and_b32 s10, 0xffff, s14
	s_cmp_lt_i32 s10, 5
	s_mov_b64 s[2:3], -1
	s_cbranch_scc1 .LBB164_175
; %bb.155:
	s_cmp_lt_i32 s10, 8
	s_cbranch_scc1 .LBB164_165
; %bb.156:
	s_cmp_lt_i32 s10, 9
	s_cbranch_scc1 .LBB164_162
; %bb.157:
	s_cmp_gt_i32 s10, 9
	s_cbranch_scc0 .LBB164_159
; %bb.158:
	v_lshlrev_b32_e32 v3, 16, v2
	v_cvt_f64_f32_e32 v[3:4], v3
	v_mov_b32_e32 v5, 0
	v_mov_b32_e32 v6, v5
	s_mov_b64 s[2:3], 0
	global_store_dwordx4 v[0:1], v[3:6], off
.LBB164_159:
	s_andn2_b64 vcc, exec, s[2:3]
	s_cbranch_vccnz .LBB164_161
; %bb.160:
	v_lshlrev_b32_e32 v3, 16, v2
	v_mov_b32_e32 v4, 0
	global_store_dwordx2 v[0:1], v[3:4], off
.LBB164_161:
	s_mov_b64 s[2:3], 0
.LBB164_162:
	s_andn2_b64 vcc, exec, s[2:3]
	s_cbranch_vccnz .LBB164_164
; %bb.163:
	v_lshlrev_b32_e32 v3, 16, v2
	v_cvt_f16_f32_e32 v3, v3
	global_store_dword v[0:1], v3, off
.LBB164_164:
	s_mov_b64 s[2:3], 0
.LBB164_165:
	s_andn2_b64 vcc, exec, s[2:3]
	s_cbranch_vccnz .LBB164_174
; %bb.166:
	s_cmp_lt_i32 s10, 6
	s_mov_b64 s[2:3], -1
	s_cbranch_scc1 .LBB164_172
; %bb.167:
	s_cmp_gt_i32 s10, 6
	s_cbranch_scc0 .LBB164_169
; %bb.168:
	v_lshlrev_b32_e32 v3, 16, v2
	v_cvt_f64_f32_e32 v[3:4], v3
	s_mov_b64 s[2:3], 0
	global_store_dwordx2 v[0:1], v[3:4], off
.LBB164_169:
	s_andn2_b64 vcc, exec, s[2:3]
	s_cbranch_vccnz .LBB164_171
; %bb.170:
	v_lshlrev_b32_e32 v3, 16, v2
	global_store_dword v[0:1], v3, off
.LBB164_171:
	s_mov_b64 s[2:3], 0
.LBB164_172:
	s_andn2_b64 vcc, exec, s[2:3]
	s_cbranch_vccnz .LBB164_174
; %bb.173:
	v_lshlrev_b32_e32 v3, 16, v2
	v_cvt_f16_f32_e32 v3, v3
	global_store_short v[0:1], v3, off
.LBB164_174:
	s_mov_b64 s[2:3], 0
.LBB164_175:
	s_andn2_b64 vcc, exec, s[2:3]
	s_cbranch_vccnz .LBB164_191
; %bb.176:
	s_cmp_lt_i32 s10, 2
	s_mov_b64 s[2:3], -1
	s_cbranch_scc1 .LBB164_186
; %bb.177:
	s_cmp_lt_i32 s10, 3
	s_cbranch_scc1 .LBB164_183
; %bb.178:
	s_cmp_gt_i32 s10, 3
	s_cbranch_scc0 .LBB164_180
; %bb.179:
	v_lshlrev_b32_e32 v3, 16, v2
	v_trunc_f32_e32 v3, v3
	s_mov_b32 s2, 0x2f800000
	v_mul_f32_e64 v4, |v3|, s2
	v_floor_f32_e32 v4, v4
	s_mov_b32 s2, 0xcf800000
	v_cvt_u32_f32_e32 v5, v4
	v_fma_f32 v4, v4, s2, |v3|
	v_cvt_u32_f32_e32 v4, v4
	v_ashrrev_i32_e32 v6, 31, v3
	v_xor_b32_e32 v5, v5, v6
	s_mov_b64 s[2:3], 0
	v_xor_b32_e32 v3, v4, v6
	v_sub_co_u32_e32 v3, vcc, v3, v6
	v_subb_co_u32_e32 v4, vcc, v5, v6, vcc
	global_store_dwordx2 v[0:1], v[3:4], off
.LBB164_180:
	s_andn2_b64 vcc, exec, s[2:3]
	s_cbranch_vccnz .LBB164_182
; %bb.181:
	v_lshlrev_b32_e32 v3, 16, v2
	v_cvt_i32_f32_e32 v3, v3
	global_store_dword v[0:1], v3, off
.LBB164_182:
	s_mov_b64 s[2:3], 0
.LBB164_183:
	s_andn2_b64 vcc, exec, s[2:3]
	s_cbranch_vccnz .LBB164_185
; %bb.184:
	v_lshlrev_b32_e32 v3, 16, v2
	v_cvt_i32_f32_e32 v3, v3
	global_store_short v[0:1], v3, off
.LBB164_185:
	s_mov_b64 s[2:3], 0
.LBB164_186:
	s_andn2_b64 vcc, exec, s[2:3]
	s_cbranch_vccnz .LBB164_191
; %bb.187:
	s_cmp_gt_i32 s10, 0
	s_mov_b64 s[2:3], -1
	s_cbranch_scc0 .LBB164_189
; %bb.188:
	v_lshlrev_b32_e32 v3, 16, v2
	v_cvt_i32_f32_e32 v3, v3
	s_mov_b64 s[2:3], 0
	global_store_byte v[0:1], v3, off
.LBB164_189:
	s_andn2_b64 vcc, exec, s[2:3]
	s_cbranch_vccnz .LBB164_191
; %bb.190:
	v_lshlrev_b32_e32 v2, 16, v2
	v_trunc_f32_e32 v2, v2
	s_mov_b32 s2, 0x2f800000
	v_mul_f32_e64 v3, |v2|, s2
	v_floor_f32_e32 v3, v3
	s_mov_b32 s2, 0xcf800000
	v_fma_f32 v3, v3, s2, |v2|
	v_cvt_u32_f32_e32 v3, v3
	v_ashrrev_i32_e32 v2, 31, v2
	v_xor_b32_e32 v3, v3, v2
	v_sub_u32_e32 v2, v3, v2
	global_store_byte v[0:1], v2, off
.LBB164_191:
.LBB164_192:
	v_add_u32_e32 v8, 0x80, v8
	s_mov_b64 s[2:3], -1
	s_branch .LBB164_303
.LBB164_193:
	s_mov_b64 s[8:9], -1
                                        ; implicit-def: $vgpr3
.LBB164_194:
	s_mov_b64 s[2:3], 0
.LBB164_195:
	s_and_b64 vcc, exec, s[2:3]
	s_cbranch_vccz .LBB164_199
; %bb.196:
	s_cmp_eq_u32 s12, 29
	s_cbranch_scc0 .LBB164_198
; %bb.197:
	global_load_dwordx2 v[3:4], v[1:2], off
	s_movk_i32 s2, 0x7fff
	s_mov_b64 s[0:1], -1
	s_mov_b64 s[8:9], 0
	s_waitcnt vmcnt(0)
	v_ffbh_u32_e32 v5, v4
	v_min_u32_e32 v5, 32, v5
	v_lshlrev_b64 v[3:4], v5, v[3:4]
	v_min_u32_e32 v3, 1, v3
	v_or_b32_e32 v3, v4, v3
	v_cvt_f32_u32_e32 v3, v3
	v_sub_u32_e32 v4, 32, v5
	v_ldexp_f32 v3, v3, v4
	v_bfe_u32 v4, v3, 16, 1
	v_add3_u32 v3, v3, v4, s2
	v_lshrrev_b32_e32 v3, 16, v3
	s_branch .LBB164_199
.LBB164_198:
	s_mov_b64 s[8:9], -1
                                        ; implicit-def: $vgpr3
.LBB164_199:
	s_mov_b64 s[2:3], 0
.LBB164_200:
	s_and_b64 vcc, exec, s[2:3]
	s_cbranch_vccz .LBB164_218
; %bb.201:
	s_cmp_lt_i32 s12, 27
	s_cbranch_scc1 .LBB164_204
; %bb.202:
	s_cmp_gt_i32 s12, 27
	s_cbranch_scc0 .LBB164_205
; %bb.203:
	global_load_dword v3, v[1:2], off
	s_movk_i32 s0, 0x7fff
	s_waitcnt vmcnt(0)
	v_cvt_f32_u32_e32 v3, v3
	v_bfe_u32 v4, v3, 16, 1
	v_add3_u32 v3, v3, v4, s0
	v_lshrrev_b32_e32 v3, 16, v3
	s_mov_b64 s[0:1], 0
	s_branch .LBB164_206
.LBB164_204:
	s_mov_b64 s[0:1], -1
                                        ; implicit-def: $vgpr3
	s_branch .LBB164_209
.LBB164_205:
	s_mov_b64 s[0:1], -1
                                        ; implicit-def: $vgpr3
.LBB164_206:
	s_andn2_b64 vcc, exec, s[0:1]
	s_cbranch_vccnz .LBB164_208
; %bb.207:
	global_load_ushort v3, v[1:2], off
	s_movk_i32 s0, 0x7fff
	s_waitcnt vmcnt(0)
	v_cvt_f32_u32_e32 v3, v3
	v_bfe_u32 v4, v3, 16, 1
	v_add3_u32 v3, v3, v4, s0
	v_lshrrev_b32_e32 v3, 16, v3
.LBB164_208:
	s_mov_b64 s[0:1], 0
.LBB164_209:
	s_andn2_b64 vcc, exec, s[0:1]
	s_cbranch_vccnz .LBB164_217
; %bb.210:
	global_load_ubyte v3, v[1:2], off
	s_movk_i32 s0, 0x7f
	s_waitcnt vmcnt(0)
	v_cmp_lt_i16_e32 vcc, s0, v3
	s_mov_b64 s[0:1], 0
	s_and_saveexec_b64 s[2:3], vcc
	s_xor_b64 s[2:3], exec, s[2:3]
	s_cbranch_execz .LBB164_230
; %bb.211:
	s_movk_i32 s0, 0x80
	v_cmp_eq_u16_e32 vcc, s0, v3
	s_mov_b64 s[0:1], -1
	s_and_saveexec_b64 s[10:11], vcc
; %bb.212:
	s_xor_b64 s[0:1], exec, -1
; %bb.213:
	s_or_b64 exec, exec, s[10:11]
	s_and_b64 s[0:1], s[0:1], exec
	s_or_saveexec_b64 s[2:3], s[2:3]
	v_mov_b32_e32 v4, 0x7f800001
	s_xor_b64 exec, exec, s[2:3]
	s_cbranch_execnz .LBB164_231
.LBB164_214:
	s_or_b64 exec, exec, s[2:3]
	s_and_saveexec_b64 s[2:3], s[0:1]
	s_cbranch_execz .LBB164_216
.LBB164_215:
	v_lshlrev_b32_e32 v4, 24, v3
	v_and_b32_e32 v3, 0xffff, v3
	v_and_b32_e32 v5, 7, v3
	v_ffbh_u32_e32 v7, v5
	v_min_u32_e32 v7, 32, v7
	v_subrev_u32_e32 v9, 28, v7
	v_bfe_u32 v6, v3, 3, 4
	v_lshlrev_b32_e32 v3, v9, v3
	v_sub_u32_e32 v7, 29, v7
	v_and_b32_e32 v3, 7, v3
	v_cmp_eq_u32_e32 vcc, 0, v6
	v_cndmask_b32_e32 v6, v6, v7, vcc
	v_cndmask_b32_e32 v3, v5, v3, vcc
	v_mov_b32_e32 v5, 0x3b800000
	v_lshlrev_b32_e32 v3, 20, v3
	v_and_b32_e32 v4, 0x80000000, v4
	v_lshl_add_u32 v5, v6, 23, v5
	v_or3_b32 v4, v4, v5, v3
.LBB164_216:
	s_or_b64 exec, exec, s[2:3]
	v_bfe_u32 v3, v4, 16, 1
	s_movk_i32 s0, 0x7fff
	v_add3_u32 v3, v4, v3, s0
	v_cmp_o_f32_e32 vcc, v4, v4
	v_mov_b32_e32 v4, 0x7fc0
	v_cndmask_b32_sdwa v3, v4, v3, vcc dst_sel:DWORD dst_unused:UNUSED_PAD src0_sel:DWORD src1_sel:WORD_1
.LBB164_217:
	s_mov_b64 s[0:1], -1
.LBB164_218:
	s_branch .LBB164_253
.LBB164_219:
	s_cmp_gt_i32 s12, 22
	s_cbranch_scc0 .LBB164_229
; %bb.220:
	s_cmp_lt_i32 s12, 24
	s_cbranch_scc1 .LBB164_232
; %bb.221:
	s_cmp_gt_i32 s12, 24
	s_cbranch_scc0 .LBB164_233
; %bb.222:
	global_load_ubyte v3, v[1:2], off
	s_movk_i32 s0, 0x7f
	s_waitcnt vmcnt(0)
	v_cmp_lt_i16_e32 vcc, s0, v3
	s_mov_b64 s[0:1], 0
	s_and_saveexec_b64 s[2:3], vcc
	s_xor_b64 s[2:3], exec, s[2:3]
	s_cbranch_execz .LBB164_245
; %bb.223:
	s_movk_i32 s0, 0x80
	v_cmp_eq_u16_e32 vcc, s0, v3
	s_mov_b64 s[0:1], -1
	s_and_saveexec_b64 s[10:11], vcc
; %bb.224:
	s_xor_b64 s[0:1], exec, -1
; %bb.225:
	s_or_b64 exec, exec, s[10:11]
	s_and_b64 s[0:1], s[0:1], exec
	s_or_saveexec_b64 s[2:3], s[2:3]
	v_mov_b32_e32 v4, 0x7f800001
	s_xor_b64 exec, exec, s[2:3]
	s_cbranch_execnz .LBB164_246
.LBB164_226:
	s_or_b64 exec, exec, s[2:3]
	s_and_saveexec_b64 s[2:3], s[0:1]
	s_cbranch_execz .LBB164_228
.LBB164_227:
	v_lshlrev_b32_e32 v4, 24, v3
	v_and_b32_e32 v3, 0xffff, v3
	v_and_b32_e32 v5, 3, v3
	v_ffbh_u32_e32 v7, v5
	v_min_u32_e32 v7, 32, v7
	v_subrev_u32_e32 v9, 29, v7
	v_bfe_u32 v6, v3, 2, 5
	v_lshlrev_b32_e32 v3, v9, v3
	v_sub_u32_e32 v7, 30, v7
	v_and_b32_e32 v3, 3, v3
	v_cmp_eq_u32_e32 vcc, 0, v6
	v_cndmask_b32_e32 v6, v6, v7, vcc
	v_cndmask_b32_e32 v3, v5, v3, vcc
	v_mov_b32_e32 v5, 0x37800000
	v_lshlrev_b32_e32 v3, 21, v3
	v_and_b32_e32 v4, 0x80000000, v4
	v_lshl_add_u32 v5, v6, 23, v5
	v_or3_b32 v4, v4, v5, v3
.LBB164_228:
	s_or_b64 exec, exec, s[2:3]
	v_bfe_u32 v3, v4, 16, 1
	s_movk_i32 s0, 0x7fff
	v_add3_u32 v3, v4, v3, s0
	v_cmp_o_f32_e32 vcc, v4, v4
	v_mov_b32_e32 v4, 0x7fc0
	v_cndmask_b32_sdwa v3, v4, v3, vcc dst_sel:DWORD dst_unused:UNUSED_PAD src0_sel:DWORD src1_sel:WORD_1
	s_mov_b64 s[0:1], 0
	s_branch .LBB164_234
.LBB164_229:
	s_mov_b64 s[2:3], -1
                                        ; implicit-def: $vgpr3
	s_branch .LBB164_240
.LBB164_230:
	s_or_saveexec_b64 s[2:3], s[2:3]
	v_mov_b32_e32 v4, 0x7f800001
	s_xor_b64 exec, exec, s[2:3]
	s_cbranch_execz .LBB164_214
.LBB164_231:
	v_cmp_ne_u16_e32 vcc, 0, v3
	s_andn2_b64 s[0:1], s[0:1], exec
	s_and_b64 s[10:11], vcc, exec
	v_mov_b32_e32 v4, 0
	s_or_b64 s[0:1], s[0:1], s[10:11]
	s_or_b64 exec, exec, s[2:3]
	s_and_saveexec_b64 s[2:3], s[0:1]
	s_cbranch_execnz .LBB164_215
	s_branch .LBB164_216
.LBB164_232:
	s_mov_b64 s[0:1], -1
                                        ; implicit-def: $vgpr3
	s_branch .LBB164_237
.LBB164_233:
	s_mov_b64 s[0:1], -1
                                        ; implicit-def: $vgpr3
.LBB164_234:
	s_and_b64 vcc, exec, s[0:1]
	s_cbranch_vccz .LBB164_236
; %bb.235:
	global_load_ubyte v3, v[1:2], off
	s_mov_b32 s0, 0x7f800000
	s_brev_b32 s1, 1
	s_movk_i32 s2, 0x7fff
	s_waitcnt vmcnt(0)
	v_lshlrev_b32_e32 v3, 24, v3
	v_and_b32_e32 v4, 0x7f000000, v3
	v_ffbh_u32_e32 v5, v4
	v_min_u32_e32 v5, 32, v5
	v_sub_u32_e64 v5, v5, 4 clamp
	v_lshlrev_b32_e32 v7, v5, v4
	v_lshlrev_b32_e32 v5, 23, v5
	v_lshrrev_b32_e32 v7, 4, v7
	v_add_u32_e32 v6, 0x1000000, v4
	v_sub_u32_e32 v5, v7, v5
	v_ashrrev_i32_e32 v6, 8, v6
	v_add_u32_e32 v5, 0x3c000000, v5
	v_and_or_b32 v5, v6, s0, v5
	v_cmp_ne_u32_e32 vcc, 0, v4
	v_cndmask_b32_e32 v4, 0, v5, vcc
	v_and_or_b32 v3, v3, s1, v4
	v_bfe_u32 v4, v4, 16, 1
	v_add3_u32 v4, v3, v4, s2
	v_cmp_o_f32_e32 vcc, v3, v3
	v_mov_b32_e32 v3, 0x7fc0
	v_cndmask_b32_sdwa v3, v3, v4, vcc dst_sel:DWORD dst_unused:UNUSED_PAD src0_sel:DWORD src1_sel:WORD_1
.LBB164_236:
	s_mov_b64 s[0:1], 0
.LBB164_237:
	s_andn2_b64 vcc, exec, s[0:1]
	s_cbranch_vccnz .LBB164_239
; %bb.238:
	global_load_ubyte v3, v[1:2], off
	s_movk_i32 s0, 0x7f00
	s_brev_b32 s1, 16
	s_brev_b32 s2, 1
	s_movk_i32 s3, 0x7fff
	s_waitcnt vmcnt(0)
	v_lshlrev_b16_e32 v4, 8, v3
	v_lshlrev_b32_e32 v3, 25, v3
	v_lshrrev_b32_e32 v5, 4, v3
	v_and_or_b32 v6, v4, s0, 0.5
	v_or_b32_e32 v5, 0x70000000, v5
	v_add_f32_e32 v6, -0.5, v6
	v_mul_f32_e32 v5, 0x7800000, v5
	v_cmp_gt_u32_e32 vcc, s1, v3
	v_bfe_i32 v4, v4, 0, 16
	v_cndmask_b32_e32 v3, v5, v6, vcc
	v_and_or_b32 v4, v4, s2, v3
	v_bfe_u32 v3, v3, 16, 1
	v_add3_u32 v3, v4, v3, s3
	v_cmp_o_f32_e32 vcc, v4, v4
	v_mov_b32_e32 v4, 0x7fc0
	v_cndmask_b32_sdwa v3, v4, v3, vcc dst_sel:DWORD dst_unused:UNUSED_PAD src0_sel:DWORD src1_sel:WORD_1
.LBB164_239:
	s_mov_b64 s[2:3], 0
	s_mov_b64 s[0:1], -1
.LBB164_240:
	s_andn2_b64 vcc, exec, s[2:3]
	s_cbranch_vccnz .LBB164_253
; %bb.241:
	s_cmp_gt_i32 s12, 14
	s_cbranch_scc0 .LBB164_244
; %bb.242:
	s_cmp_eq_u32 s12, 15
	s_cbranch_scc0 .LBB164_247
; %bb.243:
	global_load_ushort v3, v[1:2], off
	s_mov_b64 s[0:1], -1
	s_mov_b64 s[8:9], 0
	s_branch .LBB164_248
.LBB164_244:
	s_mov_b64 s[2:3], -1
                                        ; implicit-def: $vgpr3
	s_branch .LBB164_249
.LBB164_245:
	s_or_saveexec_b64 s[2:3], s[2:3]
	v_mov_b32_e32 v4, 0x7f800001
	s_xor_b64 exec, exec, s[2:3]
	s_cbranch_execz .LBB164_226
.LBB164_246:
	v_cmp_ne_u16_e32 vcc, 0, v3
	s_andn2_b64 s[0:1], s[0:1], exec
	s_and_b64 s[10:11], vcc, exec
	v_mov_b32_e32 v4, 0
	s_or_b64 s[0:1], s[0:1], s[10:11]
	s_or_b64 exec, exec, s[2:3]
	s_and_saveexec_b64 s[2:3], s[0:1]
	s_cbranch_execnz .LBB164_227
	s_branch .LBB164_228
.LBB164_247:
	s_mov_b64 s[8:9], -1
                                        ; implicit-def: $vgpr3
.LBB164_248:
	s_mov_b64 s[2:3], 0
.LBB164_249:
	s_and_b64 vcc, exec, s[2:3]
	s_cbranch_vccz .LBB164_253
; %bb.250:
	s_cmp_eq_u32 s12, 11
	s_cbranch_scc0 .LBB164_252
; %bb.251:
	global_load_ubyte v3, v[1:2], off
	s_mov_b64 s[0:1], -1
	s_mov_b64 s[8:9], 0
	s_waitcnt vmcnt(0)
	v_cmp_ne_u16_e32 vcc, 0, v3
	v_cndmask_b32_e64 v3, 0, 1.0, vcc
	v_lshrrev_b32_e32 v3, 16, v3
	s_branch .LBB164_253
.LBB164_252:
	s_mov_b64 s[8:9], -1
                                        ; implicit-def: $vgpr3
.LBB164_253:
	s_branch .LBB164_24
.LBB164_254:
	s_cmp_lt_i32 s12, 5
	s_cbranch_scc1 .LBB164_259
; %bb.255:
	s_cmp_lt_i32 s12, 8
	s_cbranch_scc1 .LBB164_260
; %bb.256:
	;; [unrolled: 3-line block ×3, first 2 shown]
	s_cmp_gt_i32 s12, 9
	s_cbranch_scc0 .LBB164_262
; %bb.258:
	global_load_dwordx2 v[3:4], v[1:2], off
	s_movk_i32 s0, 0x7fff
	s_waitcnt vmcnt(0)
	v_cvt_f32_f64_e32 v3, v[3:4]
	v_mov_b32_e32 v4, 0x7fc0
	v_bfe_u32 v5, v3, 16, 1
	v_cmp_o_f32_e32 vcc, v3, v3
	v_add3_u32 v3, v3, v5, s0
	v_cndmask_b32_sdwa v3, v4, v3, vcc dst_sel:DWORD dst_unused:UNUSED_PAD src0_sel:DWORD src1_sel:WORD_1
	s_mov_b64 s[0:1], 0
	s_branch .LBB164_263
.LBB164_259:
                                        ; implicit-def: $vgpr3
	s_branch .LBB164_281
.LBB164_260:
	s_mov_b64 s[0:1], -1
                                        ; implicit-def: $vgpr3
	s_branch .LBB164_269
.LBB164_261:
	s_mov_b64 s[0:1], -1
                                        ; implicit-def: $vgpr3
	s_branch .LBB164_266
.LBB164_262:
	s_mov_b64 s[0:1], -1
                                        ; implicit-def: $vgpr3
.LBB164_263:
	s_andn2_b64 vcc, exec, s[0:1]
	s_cbranch_vccnz .LBB164_265
; %bb.264:
	global_load_dword v3, v[1:2], off
	s_movk_i32 s0, 0x7fff
	v_mov_b32_e32 v4, 0x7fc0
	s_waitcnt vmcnt(0)
	v_bfe_u32 v5, v3, 16, 1
	v_cmp_o_f32_e32 vcc, v3, v3
	v_add3_u32 v3, v3, v5, s0
	v_cndmask_b32_sdwa v3, v4, v3, vcc dst_sel:DWORD dst_unused:UNUSED_PAD src0_sel:DWORD src1_sel:WORD_1
.LBB164_265:
	s_mov_b64 s[0:1], 0
.LBB164_266:
	s_andn2_b64 vcc, exec, s[0:1]
	s_cbranch_vccnz .LBB164_268
; %bb.267:
	global_load_dword v3, v[1:2], off
	s_movk_i32 s0, 0x7fff
	v_mov_b32_e32 v5, 0x7fc0
	s_waitcnt vmcnt(0)
	v_cvt_f32_f16_e32 v4, v3
	v_cmp_o_f16_e32 vcc, v3, v3
	v_bfe_u32 v3, v4, 16, 1
	v_add3_u32 v3, v4, v3, s0
	v_cndmask_b32_sdwa v3, v5, v3, vcc dst_sel:DWORD dst_unused:UNUSED_PAD src0_sel:DWORD src1_sel:WORD_1
.LBB164_268:
	s_mov_b64 s[0:1], 0
.LBB164_269:
	s_andn2_b64 vcc, exec, s[0:1]
	s_cbranch_vccnz .LBB164_280
; %bb.270:
	s_cmp_lt_i32 s12, 6
	s_cbranch_scc1 .LBB164_273
; %bb.271:
	s_cmp_gt_i32 s12, 6
	s_cbranch_scc0 .LBB164_274
; %bb.272:
	global_load_dwordx2 v[3:4], v[1:2], off
	s_movk_i32 s0, 0x7fff
	s_waitcnt vmcnt(0)
	v_cvt_f32_f64_e32 v3, v[3:4]
	v_mov_b32_e32 v4, 0x7fc0
	v_bfe_u32 v5, v3, 16, 1
	v_cmp_o_f32_e32 vcc, v3, v3
	v_add3_u32 v3, v3, v5, s0
	v_cndmask_b32_sdwa v3, v4, v3, vcc dst_sel:DWORD dst_unused:UNUSED_PAD src0_sel:DWORD src1_sel:WORD_1
	s_mov_b64 s[0:1], 0
	s_branch .LBB164_275
.LBB164_273:
	s_mov_b64 s[0:1], -1
                                        ; implicit-def: $vgpr3
	s_branch .LBB164_278
.LBB164_274:
	s_mov_b64 s[0:1], -1
                                        ; implicit-def: $vgpr3
.LBB164_275:
	s_andn2_b64 vcc, exec, s[0:1]
	s_cbranch_vccnz .LBB164_277
; %bb.276:
	global_load_dword v3, v[1:2], off
	s_movk_i32 s0, 0x7fff
	v_mov_b32_e32 v4, 0x7fc0
	s_waitcnt vmcnt(0)
	v_bfe_u32 v5, v3, 16, 1
	v_cmp_o_f32_e32 vcc, v3, v3
	v_add3_u32 v3, v3, v5, s0
	v_cndmask_b32_sdwa v3, v4, v3, vcc dst_sel:DWORD dst_unused:UNUSED_PAD src0_sel:DWORD src1_sel:WORD_1
.LBB164_277:
	s_mov_b64 s[0:1], 0
.LBB164_278:
	s_andn2_b64 vcc, exec, s[0:1]
	s_cbranch_vccnz .LBB164_280
; %bb.279:
	global_load_ushort v3, v[1:2], off
	s_movk_i32 s0, 0x7fff
	v_mov_b32_e32 v5, 0x7fc0
	s_waitcnt vmcnt(0)
	v_cvt_f32_f16_e32 v4, v3
	v_cmp_o_f16_e32 vcc, v3, v3
	v_bfe_u32 v3, v4, 16, 1
	v_add3_u32 v3, v4, v3, s0
	v_cndmask_b32_sdwa v3, v5, v3, vcc dst_sel:DWORD dst_unused:UNUSED_PAD src0_sel:DWORD src1_sel:WORD_1
.LBB164_280:
	s_cbranch_execnz .LBB164_300
.LBB164_281:
	s_cmp_lt_i32 s12, 2
	s_cbranch_scc1 .LBB164_285
; %bb.282:
	s_cmp_lt_i32 s12, 3
	s_cbranch_scc1 .LBB164_286
; %bb.283:
	s_cmp_gt_i32 s12, 3
	s_cbranch_scc0 .LBB164_287
; %bb.284:
	global_load_dwordx2 v[3:4], v[1:2], off
	s_movk_i32 s0, 0x7fff
	s_waitcnt vmcnt(0)
	v_xor_b32_e32 v6, v3, v4
	v_ffbh_i32_e32 v5, v4
	v_ashrrev_i32_e32 v6, 31, v6
	v_add_u32_e32 v5, -1, v5
	v_add_u32_e32 v6, 32, v6
	v_min_u32_e32 v5, v5, v6
	v_lshlrev_b64 v[3:4], v5, v[3:4]
	v_min_u32_e32 v3, 1, v3
	v_or_b32_e32 v3, v4, v3
	v_cvt_f32_i32_e32 v3, v3
	v_sub_u32_e32 v4, 32, v5
	v_ldexp_f32 v3, v3, v4
	v_bfe_u32 v4, v3, 16, 1
	v_add3_u32 v3, v3, v4, s0
	v_lshrrev_b32_e32 v3, 16, v3
	s_mov_b64 s[0:1], 0
	s_branch .LBB164_288
.LBB164_285:
	s_mov_b64 s[0:1], -1
                                        ; implicit-def: $vgpr3
	s_branch .LBB164_294
.LBB164_286:
	s_mov_b64 s[0:1], -1
                                        ; implicit-def: $vgpr3
	s_branch .LBB164_291
.LBB164_287:
	s_mov_b64 s[0:1], -1
                                        ; implicit-def: $vgpr3
.LBB164_288:
	s_andn2_b64 vcc, exec, s[0:1]
	s_cbranch_vccnz .LBB164_290
; %bb.289:
	global_load_dword v3, v[1:2], off
	s_movk_i32 s0, 0x7fff
	s_waitcnt vmcnt(0)
	v_cvt_f32_i32_e32 v3, v3
	v_bfe_u32 v4, v3, 16, 1
	v_add3_u32 v3, v3, v4, s0
	v_lshrrev_b32_e32 v3, 16, v3
.LBB164_290:
	s_mov_b64 s[0:1], 0
.LBB164_291:
	s_andn2_b64 vcc, exec, s[0:1]
	s_cbranch_vccnz .LBB164_293
; %bb.292:
	global_load_sshort v3, v[1:2], off
	s_movk_i32 s0, 0x7fff
	s_waitcnt vmcnt(0)
	v_cvt_f32_i32_e32 v3, v3
	v_bfe_u32 v4, v3, 16, 1
	v_add3_u32 v3, v3, v4, s0
	v_lshrrev_b32_e32 v3, 16, v3
.LBB164_293:
	s_mov_b64 s[0:1], 0
.LBB164_294:
	s_andn2_b64 vcc, exec, s[0:1]
	s_cbranch_vccnz .LBB164_300
; %bb.295:
	s_cmp_gt_i32 s12, 0
	s_cbranch_scc0 .LBB164_297
; %bb.296:
	global_load_sbyte v3, v[1:2], off
	s_movk_i32 s0, 0x7fff
	s_waitcnt vmcnt(0)
	v_cvt_f32_i32_e32 v3, v3
	v_bfe_u32 v4, v3, 16, 1
	v_add3_u32 v3, v3, v4, s0
	v_lshrrev_b32_e32 v3, 16, v3
	s_mov_b64 s[0:1], 0
	s_branch .LBB164_298
.LBB164_297:
	s_mov_b64 s[0:1], -1
                                        ; implicit-def: $vgpr3
.LBB164_298:
	s_andn2_b64 vcc, exec, s[0:1]
	s_cbranch_vccnz .LBB164_300
; %bb.299:
	global_load_ubyte v1, v[1:2], off
	s_movk_i32 s0, 0x7fff
	s_waitcnt vmcnt(0)
	v_cvt_f32_ubyte0_e32 v1, v1
	v_bfe_u32 v2, v1, 16, 1
	v_add3_u32 v1, v1, v2, s0
	v_lshrrev_b32_e32 v3, 16, v1
.LBB164_300:
	s_branch .LBB164_25
.LBB164_301:
	s_mov_b64 s[0:1], 0
.LBB164_302:
	s_mov_b64 s[2:3], 0
                                        ; implicit-def: $vgpr8
.LBB164_303:
	s_and_b64 s[52:53], s[0:1], exec
	s_and_b64 s[54:55], s[8:9], exec
	s_orn2_b64 s[2:3], s[2:3], exec
.LBB164_304:
	s_or_b64 exec, exec, s[56:57]
	s_mov_b64 s[10:11], 0
	s_mov_b64 s[0:1], 0
                                        ; implicit-def: $vgpr1_vgpr2
                                        ; implicit-def: $vgpr0
                                        ; implicit-def: $vgpr4
	s_and_saveexec_b64 s[56:57], s[2:3]
	s_cbranch_execz .LBB164_311
; %bb.305:
	v_cmp_gt_i32_e32 vcc, s70, v8
	s_mov_b64 s[0:1], -1
	s_mov_b64 s[58:59], s[54:55]
	s_mov_b64 s[60:61], s[52:53]
	s_and_saveexec_b64 s[62:63], vcc
	s_cbranch_execz .LBB164_618
; %bb.306:
	s_andn2_b64 vcc, exec, s[40:41]
	s_cbranch_vccnz .LBB164_314
; %bb.307:
	s_andn2_b64 vcc, exec, s[50:51]
	s_cbranch_vccnz .LBB164_315
; %bb.308:
	s_add_i32 s65, s75, 1
	s_cmp_eq_u32 s72, 2
	s_cbranch_scc1 .LBB164_316
; %bb.309:
	s_and_b32 s64, s65, 28
	v_mov_b32_e32 v2, 0
	s_mov_b32 s66, 0
	s_mov_b64 s[58:59], s[34:35]
	s_mov_b64 s[60:61], s[48:49]
	v_mov_b32_e32 v0, 0
	v_mov_b32_e32 v1, v8
.LBB164_310:                            ; =>This Inner Loop Header: Depth=1
	s_load_dwordx8 s[16:23], s[58:59], 0x4
	s_load_dwordx4 s[0:3], s[58:59], 0x24
	s_load_dwordx8 s[8:15], s[60:61], 0x0
	s_add_u32 s58, s58, 48
	s_addc_u32 s59, s59, 0
	s_waitcnt vmcnt(0) lgkmcnt(0)
	v_mul_hi_u32 v3, s17, v1
	s_add_i32 s66, s66, 4
	s_add_u32 s60, s60, 32
	s_addc_u32 s61, s61, 0
	v_add_u32_e32 v3, v1, v3
	v_lshrrev_b32_e32 v3, s18, v3
	v_mul_lo_u32 v4, v3, s16
	v_mul_hi_u32 v5, s20, v3
	s_cmp_eq_u32 s64, s66
	v_sub_u32_e32 v1, v1, v4
	v_add_u32_e32 v4, v3, v5
	v_mul_lo_u32 v5, v1, s8
	v_mul_lo_u32 v6, v1, s9
	v_lshrrev_b32_e32 v1, s21, v4
	v_mul_lo_u32 v4, v1, s19
	v_mul_hi_u32 v7, s23, v1
	v_sub_u32_e32 v3, v3, v4
	v_add_u32_e32 v4, v1, v7
	v_lshrrev_b32_e32 v4, s0, v4
	v_mul_hi_u32 v9, s2, v4
	v_mul_lo_u32 v10, v4, s22
	v_mul_lo_u32 v7, v3, s10
	;; [unrolled: 1-line block ×3, first 2 shown]
	v_sub_u32_e32 v10, v1, v10
	v_add_u32_e32 v1, v4, v9
	v_lshrrev_b32_e32 v1, s3, v1
	v_mul_lo_u32 v9, v1, s1
	v_mul_lo_u32 v11, v10, s12
	;; [unrolled: 1-line block ×3, first 2 shown]
	v_add3_u32 v0, v5, v0, v7
	v_sub_u32_e32 v4, v4, v9
	v_mul_lo_u32 v9, v4, s14
	v_mul_lo_u32 v4, v4, s15
	v_add3_u32 v2, v6, v2, v3
	v_add3_u32 v0, v11, v0, v9
	;; [unrolled: 1-line block ×3, first 2 shown]
	s_cbranch_scc0 .LBB164_310
	s_branch .LBB164_317
.LBB164_311:
	s_or_b64 exec, exec, s[56:57]
	s_mov_b64 s[8:9], 0
	s_and_saveexec_b64 s[2:3], s[54:55]
	s_cbranch_execnz .LBB164_1032
.LBB164_312:
	s_or_b64 exec, exec, s[2:3]
	s_and_saveexec_b64 s[2:3], s[60:61]
	s_xor_b64 s[2:3], exec, s[2:3]
	s_cbranch_execz .LBB164_1033
.LBB164_313:
	global_load_ubyte v3, v[1:2], off
	s_or_b64 s[0:1], s[0:1], exec
	s_waitcnt vmcnt(0)
	v_cmp_ne_u16_e32 vcc, 0, v3
	v_cndmask_b32_e64 v3, 0, 1.0, vcc
	v_lshrrev_b32_e32 v4, 16, v3
	s_or_b64 exec, exec, s[2:3]
	s_and_saveexec_b64 s[2:3], s[10:11]
	s_cbranch_execz .LBB164_1079
	s_branch .LBB164_1034
.LBB164_314:
                                        ; implicit-def: $vgpr0
                                        ; implicit-def: $vgpr2
	s_andn2_b64 vcc, exec, s[0:1]
	s_cbranch_vccz .LBB164_321
	s_branch .LBB164_323
.LBB164_315:
	v_mov_b32_e32 v0, 0
	v_mov_b32_e32 v2, 0
	s_branch .LBB164_320
.LBB164_316:
	s_mov_b32 s64, 0
	v_mov_b32_e32 v0, 0
	v_mov_b32_e32 v2, 0
	;; [unrolled: 1-line block ×3, first 2 shown]
.LBB164_317:
	s_and_b32 s8, s65, 3
	s_cmp_eq_u32 s8, 0
	s_cbranch_scc1 .LBB164_320
; %bb.318:
	s_lshl_b32 s0, s64, 3
	s_add_u32 s0, s34, s0
	s_addc_u32 s1, s35, 0
	s_add_u32 s0, s0, 0xc4
	s_addc_u32 s1, s1, 0
	s_mul_i32 s2, s64, 12
	s_add_u32 s2, s34, s2
	s_addc_u32 s3, s35, 0
.LBB164_319:                            ; =>This Inner Loop Header: Depth=1
	s_load_dwordx2 s[10:11], s[2:3], 0x4
	s_load_dword s9, s[2:3], 0xc
	s_load_dwordx2 s[12:13], s[0:1], 0x0
	s_add_u32 s2, s2, 12
	s_addc_u32 s3, s3, 0
	s_waitcnt vmcnt(0) lgkmcnt(0)
	v_mul_hi_u32 v3, s11, v1
	s_add_u32 s0, s0, 8
	s_addc_u32 s1, s1, 0
	s_add_i32 s8, s8, -1
	v_add_u32_e32 v3, v1, v3
	v_lshrrev_b32_e32 v4, s9, v3
	v_mul_lo_u32 v3, v4, s10
	s_cmp_lg_u32 s8, 0
	v_sub_u32_e32 v3, v1, v3
	v_mad_u64_u32 v[0:1], s[10:11], v3, s12, v[0:1]
	v_mad_u64_u32 v[2:3], s[10:11], v3, s13, v[2:3]
	v_mov_b32_e32 v1, v4
	s_cbranch_scc1 .LBB164_319
.LBB164_320:
	s_cbranch_execnz .LBB164_323
.LBB164_321:
	s_waitcnt lgkmcnt(0)
	v_mul_hi_u32 v0, s37, v8
	s_andn2_b64 vcc, exec, s[46:47]
	v_add_u32_e32 v0, v8, v0
	v_lshrrev_b32_e32 v1, s38, v0
	v_mul_lo_u32 v0, v1, s36
	v_sub_u32_e32 v2, v8, v0
	v_mul_lo_u32 v0, v2, s28
	v_mul_lo_u32 v2, v2, s29
	s_cbranch_vccnz .LBB164_323
; %bb.322:
	s_waitcnt vmcnt(0)
	v_mul_hi_u32 v3, s44, v1
	v_add_u32_e32 v3, v1, v3
	v_lshrrev_b32_e32 v3, s45, v3
	v_mul_lo_u32 v3, v3, s39
	v_sub_u32_e32 v3, v1, v3
	v_mad_u64_u32 v[0:1], s[0:1], v3, s30, v[0:1]
	v_mad_u64_u32 v[2:3], s[0:1], v3, s31, v[2:3]
.LBB164_323:
	s_waitcnt vmcnt(0) lgkmcnt(0)
	v_mov_b32_e32 v3, s27
	s_and_b32 s12, 0xffff, s74
	v_add_co_u32_e32 v1, vcc, s26, v2
	s_cmp_lt_i32 s12, 11
	v_addc_co_u32_e32 v2, vcc, 0, v3, vcc
	s_cbranch_scc1 .LBB164_330
; %bb.324:
	s_cmp_gt_i32 s12, 25
	s_cbranch_scc0 .LBB164_377
; %bb.325:
	s_cmp_gt_i32 s12, 28
	s_cbranch_scc0 .LBB164_379
	;; [unrolled: 3-line block ×4, first 2 shown]
; %bb.328:
	s_cmp_eq_u32 s12, 46
	s_mov_b64 s[2:3], 0
	s_cbranch_scc0 .LBB164_389
; %bb.329:
	global_load_dword v3, v[1:2], off
	s_mov_b64 s[0:1], -1
	s_mov_b64 s[8:9], 0
	s_branch .LBB164_390
.LBB164_330:
	s_mov_b64 s[0:1], 0
                                        ; implicit-def: $vgpr3
	s_mov_b64 s[8:9], s[54:55]
	s_cbranch_execnz .LBB164_567
.LBB164_331:
	s_andn2_b64 vcc, exec, s[0:1]
	s_cbranch_vccnz .LBB164_615
.LBB164_332:
	s_waitcnt vmcnt(0)
	v_lshlrev_b32_e32 v1, 16, v3
	s_mov_b32 s0, 0x3c800000
	v_and_b32_e32 v2, 0x7fffffff, v1
	v_cmp_nlt_f32_e64 s[0:1], |v1|, s0
                                        ; implicit-def: $vgpr3
	s_and_saveexec_b64 s[2:3], s[0:1]
	s_xor_b64 s[2:3], exec, s[2:3]
	s_cbranch_execz .LBB164_362
; %bb.333:
	v_cmp_nlt_f32_e64 s[0:1], |v1|, 2.0
                                        ; implicit-def: $vgpr3
	s_and_saveexec_b64 s[10:11], s[0:1]
	s_xor_b64 s[10:11], exec, s[10:11]
	s_cbranch_execz .LBB164_343
; %bb.334:
	s_mov_b32 s0, 0x41000000
	v_cmp_nlt_f32_e64 s[0:1], |v1|, s0
                                        ; implicit-def: $vgpr3
	s_and_saveexec_b64 s[12:13], s[0:1]
	s_xor_b64 s[12:13], exec, s[12:13]
	s_cbranch_execz .LBB164_340
; %bb.335:
	s_mov_b32 s0, 0x5c800000
	v_cmp_nlt_f32_e64 s[0:1], |v1|, s0
                                        ; implicit-def: $vgpr3
	s_and_saveexec_b64 s[14:15], s[0:1]
	s_xor_b64 s[14:15], exec, s[14:15]
	s_cbranch_execz .LBB164_337
; %bb.336:
	s_mov_b32 s0, 0x800000
	v_cmp_lt_f32_e64 vcc, |v1|, s0
	v_cndmask_b32_e64 v3, 0, 32, vcc
	v_ldexp_f32 v3, |v1|, v3
	v_log_f32_e32 v3, v3
	s_mov_b32 s0, 0x3f317217
	s_mov_b32 s1, 0x7f800000
	v_mul_f32_e32 v4, 0x3f317217, v3
	v_fma_f32 v5, v3, s0, -v4
	v_fmac_f32_e32 v5, 0x3377d1cf, v3
	v_add_f32_e32 v4, v4, v5
	v_cmp_lt_f32_e64 s[0:1], |v3|, s1
	v_cndmask_b32_e64 v3, v3, v4, s[0:1]
	v_mov_b32_e32 v4, 0x41b17218
	v_cndmask_b32_e32 v4, 0, v4, vcc
	v_sub_f32_e32 v3, v3, v4
	v_fma_f32 v3, |v1|, v3, -|v1|
.LBB164_337:
	s_andn2_saveexec_b64 s[14:15], s[14:15]
	s_cbranch_execz .LBB164_339
; %bb.338:
	v_rcp_f32_e64 v4, |v1|
	v_mov_b32_e32 v3, 0x3a5b3dd2
	v_mov_b32_e32 v5, 0xba1c065c
	;; [unrolled: 1-line block ×3, first 2 shown]
	v_mul_f32_e32 v7, v4, v4
	v_fmac_f32_e32 v3, 0xbad5c4e8, v7
	v_fmac_f32_e32 v5, v7, v3
	s_mov_b32 s0, 0x800000
	v_fmac_f32_e32 v6, v7, v5
	v_mov_b32_e32 v3, 0xbb360b61
	v_cmp_lt_f32_e64 vcc, |v1|, s0
	v_fmac_f32_e32 v3, v7, v6
	v_cndmask_b32_e64 v6, 0, 32, vcc
	v_ldexp_f32 v6, |v1|, v6
	v_log_f32_e32 v6, v6
	v_mov_b32_e32 v5, 0x3daaaaab
	v_fmac_f32_e32 v5, v7, v3
	v_mov_b32_e32 v3, 0x3ed67f1d
	v_fmac_f32_e32 v3, v4, v5
	s_mov_b32 s0, 0x3f317217
	v_mul_f32_e32 v5, 0x3f317217, v6
	v_fma_f32 v7, v6, s0, -v5
	v_fmac_f32_e32 v7, 0x3377d1cf, v6
	s_mov_b32 s0, 0x7f800000
	v_add_f32_e32 v5, v5, v7
	v_cmp_lt_f32_e64 s[0:1], |v6|, s0
	v_cndmask_b32_e64 v5, v6, v5, s[0:1]
	v_mov_b32_e32 v6, 0x41b17218
	v_cndmask_b32_e32 v6, 0, v6, vcc
	v_sub_f32_e32 v5, v5, v6
	v_add_f32_e64 v4, |v1|, -0.5
	v_add_f32_e32 v5, -1.0, v5
	v_fmac_f32_e32 v3, v4, v5
.LBB164_339:
	s_or_b64 exec, exec, s[14:15]
.LBB164_340:
	s_andn2_saveexec_b64 s[12:13], s[12:13]
	s_cbranch_execz .LBB164_342
; %bb.341:
	v_cvt_i32_f32_e32 v3, v2
	v_mov_b32_e32 v4, 0x3af135b4
	v_mov_b32_e32 v5, 0x3cda40e4
	;; [unrolled: 1-line block ×3, first 2 shown]
	v_cvt_f32_i32_e32 v7, v3
	v_mov_b32_e32 v9, 0x3ea6cc7a
	v_mov_b32_e32 v10, 0x3e5c245a
	v_cmp_lt_i32_e32 vcc, 2, v3
	v_sub_f32_e64 v7, |v1|, v7
	v_fmac_f32_e32 v4, 0x3805ff67, v7
	v_fmac_f32_e32 v5, v7, v4
	;; [unrolled: 1-line block ×3, first 2 shown]
	v_mov_b32_e32 v5, 0x3a4beed6
	v_fmac_f32_e32 v9, v7, v6
	v_fmac_f32_e32 v5, 0x36f5d7bd, v7
	v_mov_b32_e32 v6, 0x3c98bf54
	v_fmac_f32_e32 v6, v7, v5
	v_mov_b32_e32 v5, 0x3e300f6e
	;; [unrolled: 2-line block ×4, first 2 shown]
	v_fmac_f32_e32 v5, v7, v6
	v_add_f32_e32 v6, 2.0, v7
	v_mov_b32_e32 v11, 0xbd9e233f
	v_fmac_f32_e32 v10, v7, v9
	v_add_f32_e32 v9, 0x40400000, v7
	v_cndmask_b32_e32 v6, 1.0, v6, vcc
	v_cmp_lt_i32_e32 vcc, 3, v3
	v_fmac_f32_e32 v11, v7, v10
	v_add_f32_e32 v10, 4.0, v7
	v_cndmask_b32_e32 v9, 1.0, v9, vcc
	v_cmp_lt_i32_e32 vcc, 4, v3
	v_mul_f32_e32 v4, v7, v11
	v_add_f32_e32 v11, 0x40a00000, v7
	v_mul_f32_e32 v6, v6, v9
	v_cndmask_b32_e32 v9, 1.0, v10, vcc
	v_cmp_lt_i32_e32 vcc, 5, v3
	v_add_f32_e32 v12, 0x40c00000, v7
	v_mul_f32_e32 v6, v9, v6
	v_cndmask_b32_e32 v9, 1.0, v11, vcc
	v_cmp_lt_i32_e32 vcc, 6, v3
	v_mul_f32_e32 v6, v9, v6
	v_cndmask_b32_e32 v3, 1.0, v12, vcc
	v_mul_f32_e32 v3, v3, v6
	s_mov_b32 s0, 0x800000
	v_cmp_gt_f32_e32 vcc, s0, v3
	v_cndmask_b32_e64 v6, 0, 32, vcc
	v_fma_f32 v5, v7, v5, 1.0
	v_ldexp_f32 v3, v3, v6
	v_rcp_f32_e32 v5, v5
	v_log_f32_e32 v3, v3
	s_mov_b32 s0, 0x3f317217
	v_mul_f32_e32 v4, v4, v5
	v_mul_f32_e32 v5, 0x3f317217, v3
	v_fma_f32 v6, v3, s0, -v5
	v_fmac_f32_e32 v6, 0x3377d1cf, v3
	s_mov_b32 s0, 0x7f800000
	v_add_f32_e32 v5, v5, v6
	v_cmp_lt_f32_e64 s[0:1], |v3|, s0
	v_cndmask_b32_e64 v3, v3, v5, s[0:1]
	v_mov_b32_e32 v5, 0x41b17218
	v_cndmask_b32_e32 v5, 0, v5, vcc
	v_fmac_f32_e32 v4, 0.5, v7
	v_sub_f32_e32 v3, v3, v5
	v_add_f32_e32 v3, v3, v4
.LBB164_342:
	s_or_b64 exec, exec, s[12:13]
.LBB164_343:
	s_andn2_saveexec_b64 s[10:11], s[10:11]
	s_cbranch_execz .LBB164_361
; %bb.344:
	s_mov_b32 s0, 0x3f666666
	v_cmp_le_f32_e64 s[0:1], |v1|, s0
                                        ; implicit-def: $vgpr3
                                        ; implicit-def: $vgpr5
                                        ; implicit-def: $vgpr4
	s_and_saveexec_b64 s[12:13], s[0:1]
	s_xor_b64 s[12:13], exec, s[12:13]
	s_cbranch_execz .LBB164_346
; %bb.345:
	s_mov_b32 s0, 0x800000
	v_cmp_lt_f32_e64 vcc, |v1|, s0
	v_cndmask_b32_e64 v3, 0, 32, vcc
	v_ldexp_f32 v3, |v1|, v3
	v_log_f32_e32 v3, v3
	s_mov_b32 s0, 0x3f317217
	s_mov_b32 s1, 0x7f800000
	v_mul_f32_e32 v4, 0x3f317217, v3
	v_fma_f32 v5, v3, s0, -v4
	v_fmac_f32_e32 v5, 0x3377d1cf, v3
	v_add_f32_e32 v4, v4, v5
	v_cmp_lt_f32_e64 s[0:1], |v3|, s1
	v_cndmask_b32_e64 v3, v3, v4, s[0:1]
	v_mov_b32_e32 v4, 0x41b17218
	v_cndmask_b32_e32 v4, 0, v4, vcc
	s_mov_b32 s0, 0x3f3b4a23
	s_mov_b32 s1, 0xbeec5b0c
	v_sub_f32_e32 v3, v3, v4
	v_sub_f32_e64 v4, 1.0, |v1|
	v_add_f32_e64 v5, |v1|, s1
	v_cmp_lt_f32_e64 vcc, |v1|, s0
	s_mov_b32 s0, 0x3e6d3309
	v_cndmask_b32_e32 v4, v4, v5, vcc
	v_cndmask_b32_e64 v5, 0, 1, vcc
	v_cmp_lt_f32_e64 s[0:1], |v1|, s0
	v_xor_b32_e32 v3, 0x80000000, v3
	v_cndmask_b32_e64 v4, v4, |v1|, s[0:1]
	v_cndmask_b32_e64 v5, v5, 2, s[0:1]
.LBB164_346:
	s_andn2_saveexec_b64 s[0:1], s[12:13]
	s_cbranch_execz .LBB164_348
; %bb.347:
	s_mov_b32 s12, 0x3fdda512
	s_mov_b32 s13, 0xbfbb16c3
	v_sub_f32_e64 v3, 2.0, |v1|
	v_add_f32_e64 v4, |v1|, s13
	v_cmp_lt_f32_e64 vcc, |v1|, s12
	v_cndmask_b32_e32 v4, v3, v4, vcc
	v_cndmask_b32_e64 v3, v3, 1.0, vcc
	v_cvt_i32_f32_e32 v3, v3
	s_mov_b32 s12, 0x3f9d70a4
	v_add_f32_e64 v5, |v1|, -1.0
	v_cmp_lt_f32_e64 vcc, |v1|, s12
	v_cndmask_b32_e32 v4, v4, v5, vcc
	v_cndmask_b32_e64 v5, v3, 2, vcc
	v_mov_b32_e32 v3, 0
.LBB164_348:
	s_or_b64 exec, exec, s[0:1]
	v_cmp_lt_i32_e32 vcc, 0, v5
	s_and_saveexec_b64 s[0:1], vcc
	s_xor_b64 s[0:1], exec, s[0:1]
	s_cbranch_execz .LBB164_356
; %bb.349:
	v_cmp_lt_i32_e32 vcc, 1, v5
	s_and_saveexec_b64 s[12:13], vcc
	s_xor_b64 s[12:13], exec, s[12:13]
	s_cbranch_execz .LBB164_353
; %bb.350:
	v_cmp_eq_u32_e32 vcc, 2, v5
	s_and_saveexec_b64 s[14:15], vcc
	s_cbranch_execz .LBB164_352
; %bb.351:
	v_mov_b32_e32 v5, 0x3e6a7578
	v_fmac_f32_e32 v5, 0x3c5b3c5e, v4
	v_mov_b32_e32 v6, 0x3f7a4bb2
	v_fmac_f32_e32 v6, v4, v5
	;; [unrolled: 2-line block ×8, first 2 shown]
	v_fma_f32 v5, v4, v7, 1.0
	v_rcp_f32_e32 v5, v5
	v_mov_b32_e32 v7, 0xbd9e233f
	v_fmac_f32_e32 v7, v4, v6
	v_mul_f32_e32 v6, v4, v7
	v_mul_f32_e32 v5, v6, v5
	v_fmac_f32_e32 v5, -0.5, v4
	v_add_f32_e32 v3, v3, v5
.LBB164_352:
	s_or_b64 exec, exec, s[14:15]
                                        ; implicit-def: $vgpr4
.LBB164_353:
	s_andn2_saveexec_b64 s[12:13], s[12:13]
	s_cbranch_execz .LBB164_355
; %bb.354:
	v_mul_f32_e32 v5, v4, v4
	v_mul_f32_e32 v6, v4, v5
	v_mov_b32_e32 v7, 0xbab7f476
	v_fmac_f32_e32 v7, 0x39a57b6b, v6
	v_mov_b32_e32 v9, 0x3bc7e707
	v_fmac_f32_e32 v9, v6, v7
	v_mov_b32_e32 v7, 0xbd064d47
	v_fmac_f32_e32 v7, v6, v9
	v_mov_b32_e32 v9, 0x3ef7b95e
	v_fmac_f32_e32 v9, v6, v7
	v_mov_b32_e32 v7, 0x3a66f867
	v_fmac_f32_e32 v7, 0xb9a3f927, v6
	v_mov_b32_e32 v10, 0xbb7177fe
	v_fmac_f32_e32 v10, v6, v7
	v_mov_b32_e32 v7, 0x3c93373d
	v_fmac_f32_e32 v7, v6, v10
	v_mov_b32_e32 v10, 0xbe17213c
	v_fmac_f32_e32 v10, v6, v7
	v_mov_b32_e32 v7, 0xba0d3085
	v_fmac_f32_e32 v7, 0x39afe9f7, v6
	v_mov_b32_e32 v11, 0x3b141699
	v_fmac_f32_e32 v11, v6, v7
	v_mov_b32_e32 v7, 0xbc28fcfe
	v_fmac_f32_e32 v7, v6, v11
	v_mov_b32_e32 v11, 0x3d845a15
	v_fmac_f32_e32 v11, v6, v7
	v_fmac_f32_e32 v10, v4, v11
	s_mov_b32 s14, 0xa2863e55
	v_fma_f32 v4, v6, -v10, s14
	v_fma_f32 v4, v5, v9, -v4
	v_add_f32_e32 v4, 0xbdf8cdce, v4
	v_add_f32_e32 v3, v3, v4
.LBB164_355:
	s_or_b64 exec, exec, s[12:13]
                                        ; implicit-def: $vgpr5
                                        ; implicit-def: $vgpr4
.LBB164_356:
	s_andn2_saveexec_b64 s[0:1], s[0:1]
	s_cbranch_execz .LBB164_360
; %bb.357:
	v_cmp_eq_u32_e32 vcc, 0, v5
	s_and_saveexec_b64 s[12:13], vcc
	s_cbranch_execz .LBB164_359
; %bb.358:
	v_mul_f32_e32 v5, v4, v4
	v_mov_b32_e32 v6, 0x39679767
	v_fmac_f32_e32 v6, 0x37d383a2, v5
	v_mov_b32_e32 v7, 0x3a9c54a1
	v_fmac_f32_e32 v7, v5, v6
	;; [unrolled: 2-line block ×10, first 2 shown]
	v_mul_f32_e32 v5, v5, v7
	v_fmac_f32_e32 v5, v4, v6
	v_fmac_f32_e32 v5, -0.5, v4
	v_add_f32_e32 v3, v3, v5
.LBB164_359:
	s_or_b64 exec, exec, s[12:13]
.LBB164_360:
	s_or_b64 exec, exec, s[0:1]
.LBB164_361:
	s_or_b64 exec, exec, s[10:11]
.LBB164_362:
	s_andn2_saveexec_b64 s[2:3], s[2:3]
	s_cbranch_execz .LBB164_364
; %bb.363:
	s_mov_b32 s0, 0x3e8a8991
	v_mov_b32_e32 v3, 0xbecd26ab
	v_fma_f32 v3, |v1|, s0, v3
	s_mov_b32 s0, 0x3f528d33
	v_fma_f32 v3, |v1|, v3, s0
	s_mov_b32 s0, 0x800000
	v_cmp_lt_f32_e64 vcc, |v1|, s0
	v_cndmask_b32_e64 v4, 0, 32, vcc
	v_ldexp_f32 v4, |v1|, v4
	v_log_f32_e32 v4, v4
	s_mov_b32 s0, 0xbf13c468
	v_fma_f32 v3, |v1|, v3, s0
	s_mov_b32 s0, 0x3f317217
	v_mul_f32_e32 v5, 0x3f317217, v4
	v_fma_f32 v6, v4, s0, -v5
	v_fmac_f32_e32 v6, 0x3377d1cf, v4
	s_mov_b32 s0, 0x7f800000
	v_add_f32_e32 v5, v5, v6
	v_cmp_lt_f32_e64 s[0:1], |v4|, s0
	v_cndmask_b32_e64 v4, v4, v5, s[0:1]
	v_mov_b32_e32 v5, 0x41b17218
	v_cndmask_b32_e32 v5, 0, v5, vcc
	v_sub_f32_e32 v4, v4, v5
	v_fma_f32 v3, |v1|, v3, -v4
.LBB164_364:
	s_or_b64 exec, exec, s[2:3]
	v_cmp_le_f32_e32 vcc, 0, v1
	v_cmp_nle_f32_e64 s[0:1], 0, v1
	s_and_saveexec_b64 s[2:3], s[0:1]
	s_xor_b64 s[10:11], exec, s[2:3]
	s_cbranch_execz .LBB164_368
; %bb.365:
	s_mov_b32 s0, 0x4b000000
	s_mov_b32 s2, 0x35000000
	v_cmp_lt_f32_e64 s[0:1], |v1|, s0
	v_cmp_gt_f32_e64 s[2:3], |v1|, s2
	s_and_b64 s[0:1], s[0:1], s[2:3]
	s_and_saveexec_b64 s[12:13], s[0:1]
	s_cbranch_execz .LBB164_367
; %bb.366:
	v_mul_f32_e64 v4, |v1|, 0.5
	v_floor_f32_e32 v5, v4
	v_sub_f32_e32 v5, v4, v5
	v_min_f32_e32 v5, 0x3f7fffff, v5
	s_mov_b32 s2, 0x7f800000
	v_add_f32_e32 v5, v5, v5
	v_cmp_neq_f32_e64 s[0:1], s2, v4
	v_cndmask_b32_e64 v4, 0, v5, s[0:1]
	v_cmp_gt_f32_e64 s[0:1], |v1|, 1.0
	v_cndmask_b32_e64 v4, |v1|, v4, s[0:1]
	v_add_f32_e32 v5, v4, v4
	v_rndne_f32_e32 v5, v5
	v_fmac_f32_e32 v4, -0.5, v5
	v_mul_f32_e32 v6, v4, v4
	v_mov_b32_e32 v7, 0xbf1f24be
	v_fmac_f32_e32 v7, 0x3e75aa41, v6
	v_mov_b32_e32 v9, 0x40234736
	v_fmac_f32_e32 v9, v6, v7
	;; [unrolled: 2-line block ×3, first 2 shown]
	v_mul_f32_e32 v9, v4, v6
	v_mul_f32_e32 v7, v9, v7
	v_fmac_f32_e32 v7, 0x40490fdb, v4
	v_mov_b32_e32 v4, 0x3e642e9d
	v_cvt_i32_f32_e32 v5, v5
	v_fmac_f32_e32 v4, 0x3d4be544, v6
	v_mov_b32_e32 v9, 0xbfaad1da
	v_fmac_f32_e32 v9, v6, v4
	v_mov_b32_e32 v4, 0x4081e0d3
	;; [unrolled: 2-line block ×3, first 2 shown]
	v_fmac_f32_e32 v9, v6, v4
	v_fma_f32 v4, v6, v9, 1.0
	v_and_b32_e32 v6, 1, v5
	v_cmp_eq_u32_e64 s[0:1], 0, v6
	v_cndmask_b32_e64 v4, v4, v7, s[0:1]
	v_lshlrev_b32_e32 v5, 30, v5
	s_brev_b32 s0, 1
	v_and_or_b32 v2, v5, s0, v2
	v_xor_b32_e32 v2, v2, v4
	v_xor_b32_e32 v2, v2, v1
	v_mul_f32_e32 v2, v1, v2
	v_frexp_mant_f32_e64 v4, |v2|
	v_rcp_f32_e32 v4, v4
	v_frexp_exp_i32_f32_e32 v2, v2
	v_sub_u32_e32 v2, 2, v2
	s_mov_b32 s0, 0x800000
	v_mul_f32_e32 v4, 0x3f490fdb, v4
	v_ldexp_f32 v2, v4, v2
	v_cmp_gt_f32_e64 s[0:1], s0, v2
	v_cndmask_b32_e64 v4, 0, 32, s[0:1]
	v_ldexp_f32 v2, v2, v4
	v_log_f32_e32 v2, v2
	s_mov_b32 s3, 0x3f317217
	v_mul_f32_e32 v4, 0x3f317217, v2
	v_fma_f32 v5, v2, s3, -v4
	v_fmac_f32_e32 v5, 0x3377d1cf, v2
	v_add_f32_e32 v4, v4, v5
	v_cmp_lt_f32_e64 s[2:3], |v2|, s2
	v_cndmask_b32_e64 v2, v2, v4, s[2:3]
	v_mov_b32_e32 v4, 0x41b17218
	v_cndmask_b32_e64 v4, 0, v4, s[0:1]
	v_sub_f32_e32 v2, v2, v4
	v_sub_f32_e32 v2, v2, v3
	v_floor_f32_e32 v3, v1
	v_sub_f32_e32 v3, v1, v3
	v_min_f32_e32 v3, 0x3f7fffff, v3
	v_mov_b32_e32 v4, 0x7f800000
	v_cmp_neq_f32_e64 s[0:1], 0, v3
	v_cndmask_b32_e64 v3, v4, v2, s[0:1]
.LBB164_367:
	s_or_b64 exec, exec, s[12:13]
.LBB164_368:
	s_andn2_saveexec_b64 s[10:11], s[10:11]
; %bb.369:
	v_cmp_eq_f32_e64 s[0:1], 1.0, v1
	v_cmp_eq_f32_e64 s[2:3], 2.0, v1
	s_or_b64 s[0:1], s[0:1], s[2:3]
	v_cndmask_b32_e64 v3, v3, 0, s[0:1]
; %bb.370:
	s_or_b64 exec, exec, s[10:11]
	s_mov_b32 s0, 0x4b000000
	v_cmp_lt_f32_e64 s[0:1], |v1|, s0
	v_mov_b32_e32 v2, 0x264
	v_mov_b32_e32 v4, 0x7f800000
	s_or_b64 vcc, vcc, s[0:1]
	v_cndmask_b32_e32 v3, v4, v3, vcc
	v_cmp_class_f32_e32 vcc, v1, v2
	v_cndmask_b32_e32 v2, v3, v4, vcc
	v_cmp_u_f32_e32 vcc, v1, v1
	v_cndmask_b32_e32 v1, v2, v1, vcc
	v_bfe_u32 v2, v1, 16, 1
	s_movk_i32 s0, 0x7fff
	v_add3_u32 v2, v1, v2, s0
	v_cmp_o_f32_e32 vcc, v1, v1
	v_mov_b32_e32 v1, 0x7fc0
	v_cndmask_b32_sdwa v2, v1, v2, vcc dst_sel:DWORD dst_unused:UNUSED_PAD src0_sel:DWORD src1_sel:WORD_1
	v_mov_b32_e32 v1, s25
	s_and_b32 s14, s73, 0xff
	v_add_co_u32_e32 v0, vcc, s24, v0
	s_cmp_lt_i32 s14, 11
	v_addc_co_u32_e32 v1, vcc, 0, v1, vcc
	s_cbranch_scc1 .LBB164_378
; %bb.371:
	s_and_b32 s15, 0xffff, s14
	s_cmp_gt_i32 s15, 25
	s_cbranch_scc0 .LBB164_380
; %bb.372:
	s_cmp_gt_i32 s15, 28
	s_cbranch_scc0 .LBB164_382
; %bb.373:
	;; [unrolled: 3-line block ×4, first 2 shown]
	s_mov_b64 s[10:11], 0
	s_mov_b64 s[0:1], -1
	s_cmp_eq_u32 s15, 46
	s_mov_b64 s[2:3], 0
	s_cbranch_scc0 .LBB164_394
; %bb.376:
	v_and_b32_e32 v3, 0xffff, v2
	global_store_dword v[0:1], v3, off
	s_mov_b64 s[2:3], -1
	s_mov_b64 s[0:1], 0
	s_branch .LBB164_394
.LBB164_377:
	s_mov_b64 s[2:3], -1
	s_mov_b64 s[0:1], 0
	s_mov_b64 s[8:9], s[54:55]
                                        ; implicit-def: $vgpr3
	s_branch .LBB164_531
.LBB164_378:
	s_mov_b64 s[10:11], -1
	s_mov_b64 s[2:3], 0
	s_mov_b64 s[0:1], s[52:53]
	s_branch .LBB164_463
.LBB164_379:
	s_mov_b64 s[2:3], -1
	s_mov_b64 s[0:1], 0
	s_mov_b64 s[8:9], s[54:55]
                                        ; implicit-def: $vgpr3
	s_branch .LBB164_512
.LBB164_380:
	s_mov_b64 s[10:11], -1
	s_mov_b64 s[2:3], 0
	s_mov_b64 s[0:1], s[52:53]
	s_branch .LBB164_421
.LBB164_381:
	s_mov_b64 s[2:3], -1
	s_mov_b64 s[0:1], 0
	s_mov_b64 s[8:9], s[54:55]
                                        ; implicit-def: $vgpr3
	s_branch .LBB164_507
.LBB164_382:
	s_mov_b64 s[10:11], -1
	s_mov_b64 s[2:3], 0
	s_mov_b64 s[0:1], s[52:53]
	s_branch .LBB164_404
.LBB164_383:
	s_andn2_saveexec_b64 s[12:13], s[12:13]
	s_cbranch_execz .LBB164_106
.LBB164_384:
	s_mov_b32 s16, 0x46000000
	v_add_f32_e64 v4, |v5|, s16
	v_and_b32_e32 v4, 0xff, v4
	v_cmp_ne_u32_e32 vcc, 0, v4
	s_andn2_b64 s[10:11], s[10:11], exec
	s_and_b64 s[16:17], vcc, exec
	s_or_b64 s[10:11], s[10:11], s[16:17]
	s_or_b64 exec, exec, s[12:13]
	v_mov_b32_e32 v6, 0
	s_and_saveexec_b64 s[12:13], s[10:11]
	s_cbranch_execnz .LBB164_107
	s_branch .LBB164_108
.LBB164_385:
	s_mov_b64 s[2:3], -1
	s_mov_b64 s[0:1], 0
	s_mov_b64 s[8:9], s[54:55]
                                        ; implicit-def: $vgpr3
	s_branch .LBB164_390
.LBB164_386:
	s_mov_b64 s[10:11], -1
	s_mov_b64 s[2:3], 0
	s_mov_b64 s[0:1], s[52:53]
	s_branch .LBB164_400
.LBB164_387:
	s_andn2_saveexec_b64 s[12:13], s[12:13]
	s_cbranch_execz .LBB164_119
.LBB164_388:
	s_mov_b32 s16, 0x42800000
	v_add_f32_e64 v4, |v5|, s16
	v_and_b32_e32 v4, 0xff, v4
	v_cmp_ne_u32_e32 vcc, 0, v4
	s_andn2_b64 s[10:11], s[10:11], exec
	s_and_b64 s[16:17], vcc, exec
	s_or_b64 s[10:11], s[10:11], s[16:17]
	s_or_b64 exec, exec, s[12:13]
	v_mov_b32_e32 v6, 0
	s_and_saveexec_b64 s[12:13], s[10:11]
	s_cbranch_execnz .LBB164_120
	s_branch .LBB164_121
.LBB164_389:
	s_mov_b64 s[8:9], -1
                                        ; implicit-def: $vgpr3
	s_mov_b64 s[0:1], 0
.LBB164_390:
	s_and_b64 vcc, exec, s[2:3]
	s_cbranch_vccz .LBB164_506
; %bb.391:
	s_cmp_eq_u32 s12, 44
	s_cbranch_scc0 .LBB164_505
; %bb.392:
	global_load_ubyte v3, v[1:2], off
	s_movk_i32 s2, 0xff
	v_mov_b32_e32 v4, 0x7f800001
	v_mov_b32_e32 v5, 0x400000
	;; [unrolled: 1-line block ×3, first 2 shown]
	s_mov_b64 s[0:1], -1
	s_mov_b64 s[8:9], 0
	s_waitcnt vmcnt(0)
	v_lshlrev_b32_e32 v7, 23, v3
	v_cmp_ne_u32_e32 vcc, s2, v3
	v_cndmask_b32_e32 v4, v4, v7, vcc
	v_cmp_ne_u32_e32 vcc, 0, v3
	v_cndmask_b32_e32 v3, v5, v4, vcc
	v_add_u32_e32 v4, 0x7fff, v3
	v_cmp_o_f32_e32 vcc, v3, v3
	v_cndmask_b32_sdwa v3, v6, v4, vcc dst_sel:DWORD dst_unused:UNUSED_PAD src0_sel:DWORD src1_sel:WORD_1
	s_branch .LBB164_506
.LBB164_393:
	s_mov_b64 s[10:11], -1
	s_mov_b64 s[2:3], 0
	s_mov_b64 s[0:1], s[52:53]
.LBB164_394:
	s_and_b64 vcc, exec, s[10:11]
	s_cbranch_vccz .LBB164_399
; %bb.395:
	s_cmp_eq_u32 s15, 44
	s_mov_b64 s[0:1], -1
	s_cbranch_scc0 .LBB164_399
; %bb.396:
	v_and_b32_e32 v4, 0xffff, v2
	v_bfe_u32 v3, v4, 7, 8
	s_movk_i32 s0, 0xff
	v_cmp_ne_u32_e32 vcc, s0, v3
	v_mov_b32_e32 v5, 0xff
	s_and_saveexec_b64 s[2:3], vcc
	s_cbranch_execz .LBB164_398
; %bb.397:
	v_lshlrev_b32_e32 v6, 16, v4
	s_mov_b32 s0, 0x3f0000
	v_lshrrev_b32_e32 v5, 7, v4
	v_and_b32_e32 v4, 64, v4
	v_and_or_b32 v3, v6, s0, v3
	v_cmp_ne_u32_e32 vcc, 0, v4
	v_cmp_ne_u32_e64 s[0:1], 0, v3
	s_and_b64 s[0:1], vcc, s[0:1]
	v_cndmask_b32_e64 v3, 0, 1, s[0:1]
	v_add_u32_e32 v5, v5, v3
.LBB164_398:
	s_or_b64 exec, exec, s[2:3]
	s_mov_b64 s[2:3], -1
	s_mov_b64 s[0:1], 0
	global_store_byte v[0:1], v5, off
.LBB164_399:
	s_mov_b64 s[10:11], 0
.LBB164_400:
	s_and_b64 vcc, exec, s[10:11]
	s_cbranch_vccz .LBB164_403
; %bb.401:
	s_cmp_eq_u32 s15, 29
	s_mov_b64 s[0:1], -1
	s_cbranch_scc0 .LBB164_403
; %bb.402:
	v_lshlrev_b32_e32 v3, 16, v2
	v_trunc_f32_e32 v3, v3
	v_mul_f32_e32 v4, 0x2f800000, v3
	v_floor_f32_e32 v5, v4
	v_fmac_f32_e32 v3, 0xcf800000, v5
	v_cvt_u32_f32_e32 v4, v5
	v_cvt_u32_f32_e32 v3, v3
	s_mov_b64 s[2:3], -1
	s_mov_b64 s[0:1], 0
	s_mov_b64 s[10:11], 0
	global_store_dwordx2 v[0:1], v[3:4], off
	s_branch .LBB164_404
.LBB164_403:
	s_mov_b64 s[10:11], 0
.LBB164_404:
	s_and_b64 vcc, exec, s[10:11]
	s_cbranch_vccz .LBB164_420
; %bb.405:
	s_cmp_lt_i32 s15, 27
	s_mov_b64 s[2:3], -1
	s_cbranch_scc1 .LBB164_411
; %bb.406:
	s_cmp_gt_i32 s15, 27
	s_cbranch_scc0 .LBB164_408
; %bb.407:
	v_lshlrev_b32_e32 v3, 16, v2
	v_cvt_u32_f32_e32 v3, v3
	s_mov_b64 s[2:3], 0
	global_store_dword v[0:1], v3, off
.LBB164_408:
	s_andn2_b64 vcc, exec, s[2:3]
	s_cbranch_vccnz .LBB164_410
; %bb.409:
	v_lshlrev_b32_e32 v3, 16, v2
	v_cvt_u32_f32_e32 v3, v3
	global_store_short v[0:1], v3, off
.LBB164_410:
	s_mov_b64 s[2:3], 0
.LBB164_411:
	s_andn2_b64 vcc, exec, s[2:3]
	s_cbranch_vccnz .LBB164_419
; %bb.412:
	v_lshlrev_b32_e32 v5, 16, v2
	v_and_b32_e32 v4, 0x7fffffff, v5
	s_mov_b32 s2, 0x43800000
	v_cmp_gt_u32_e32 vcc, s2, v4
	v_mov_b32_e32 v6, 0x80
	s_and_saveexec_b64 s[2:3], vcc
	s_cbranch_execz .LBB164_418
; %bb.413:
	s_mov_b32 s10, 0x3bffffff
	v_and_b32_e32 v3, 0xffff, v2
	v_cmp_lt_u32_e32 vcc, s10, v4
	s_mov_b64 s[10:11], 0
                                        ; implicit-def: $vgpr4
	s_and_saveexec_b64 s[12:13], vcc
	s_xor_b64 s[12:13], exec, s[12:13]
	s_cbranch_execz .LBB164_646
; %bb.414:
	v_bfe_u32 v4, v3, 4, 1
	s_mov_b32 s16, 0x487ffff
	v_add3_u32 v4, v5, v4, s16
	s_mov_b64 s[10:11], exec
	v_lshrrev_b32_e32 v4, 20, v4
                                        ; implicit-def: $vgpr5
	s_andn2_saveexec_b64 s[12:13], s[12:13]
	s_cbranch_execnz .LBB164_647
.LBB164_415:
	s_or_b64 exec, exec, s[12:13]
	v_mov_b32_e32 v6, 0
	s_and_saveexec_b64 s[12:13], s[10:11]
.LBB164_416:
	v_lshrrev_b32_e32 v3, 8, v3
	s_movk_i32 s10, 0x80
	v_and_or_b32 v6, v3, s10, v4
.LBB164_417:
	s_or_b64 exec, exec, s[12:13]
.LBB164_418:
	s_or_b64 exec, exec, s[2:3]
	global_store_byte v[0:1], v6, off
.LBB164_419:
	s_mov_b64 s[2:3], -1
.LBB164_420:
	s_mov_b64 s[10:11], 0
.LBB164_421:
	s_and_b64 vcc, exec, s[10:11]
	s_cbranch_vccz .LBB164_462
; %bb.422:
	s_cmp_gt_i32 s15, 22
	s_mov_b64 s[10:11], -1
	s_cbranch_scc0 .LBB164_454
; %bb.423:
	s_cmp_lt_i32 s15, 24
	s_mov_b64 s[2:3], -1
	s_cbranch_scc1 .LBB164_443
; %bb.424:
	s_cmp_gt_i32 s15, 24
	s_cbranch_scc0 .LBB164_432
; %bb.425:
	v_lshlrev_b32_e32 v5, 16, v2
	v_and_b32_e32 v4, 0x7fffffff, v5
	s_mov_b32 s2, 0x47800000
	v_cmp_gt_u32_e32 vcc, s2, v4
	v_mov_b32_e32 v6, 0x80
	s_and_saveexec_b64 s[2:3], vcc
	s_cbranch_execz .LBB164_431
; %bb.426:
	s_mov_b32 s10, 0x37ffffff
	v_and_b32_e32 v3, 0xffff, v2
	v_cmp_lt_u32_e32 vcc, s10, v4
	s_mov_b64 s[10:11], 0
                                        ; implicit-def: $vgpr4
	s_and_saveexec_b64 s[12:13], vcc
	s_xor_b64 s[12:13], exec, s[12:13]
	s_cbranch_execz .LBB164_649
; %bb.427:
	v_bfe_u32 v4, v3, 5, 1
	s_mov_b32 s16, 0x88fffff
	v_add3_u32 v4, v5, v4, s16
	s_mov_b64 s[10:11], exec
	v_lshrrev_b32_e32 v4, 21, v4
                                        ; implicit-def: $vgpr5
	s_andn2_saveexec_b64 s[12:13], s[12:13]
	s_cbranch_execnz .LBB164_650
.LBB164_428:
	s_or_b64 exec, exec, s[12:13]
	v_mov_b32_e32 v6, 0
	s_and_saveexec_b64 s[12:13], s[10:11]
.LBB164_429:
	v_lshrrev_b32_e32 v3, 8, v3
	s_movk_i32 s10, 0x80
	v_and_or_b32 v6, v3, s10, v4
.LBB164_430:
	s_or_b64 exec, exec, s[12:13]
.LBB164_431:
	s_or_b64 exec, exec, s[2:3]
	s_mov_b64 s[2:3], 0
	global_store_byte v[0:1], v6, off
.LBB164_432:
	s_and_b64 vcc, exec, s[2:3]
	s_cbranch_vccz .LBB164_442
; %bb.433:
	v_lshlrev_b32_e32 v5, 16, v2
	v_and_b32_e32 v6, 0x7fffffff, v5
	s_mov_b32 s2, 0x43f00000
	v_and_b32_e32 v3, 0xffff, v2
	v_cmp_gt_u32_e32 vcc, s2, v6
                                        ; implicit-def: $vgpr4
	s_and_saveexec_b64 s[2:3], vcc
	s_xor_b64 s[2:3], exec, s[2:3]
	s_cbranch_execz .LBB164_439
; %bb.434:
	s_mov_b32 s10, 0x3c7fffff
	v_cmp_lt_u32_e32 vcc, s10, v6
                                        ; implicit-def: $vgpr4
	s_and_saveexec_b64 s[10:11], vcc
	s_xor_b64 s[10:11], exec, s[10:11]
; %bb.435:
	v_bfe_u32 v4, v3, 4, 1
	s_mov_b32 s12, 0x407ffff
	v_add3_u32 v4, v5, v4, s12
	v_lshrrev_b32_e32 v5, 20, v4
	v_and_b32_e32 v4, 0xff00000, v4
	s_mov_b32 s12, 0x7f00000
	v_mov_b32_e32 v6, 0x7e
	v_cmp_ne_u32_e32 vcc, s12, v4
	v_cndmask_b32_e32 v4, v6, v5, vcc
                                        ; implicit-def: $vgpr5
; %bb.436:
	s_andn2_saveexec_b64 s[10:11], s[10:11]
; %bb.437:
	s_mov_b32 s12, 0x46800000
	v_add_f32_e64 v4, |v5|, s12
; %bb.438:
	s_or_b64 exec, exec, s[10:11]
                                        ; implicit-def: $vgpr6
.LBB164_439:
	s_andn2_saveexec_b64 s[2:3], s[2:3]
; %bb.440:
	s_mov_b32 s10, 0x7f800000
	v_mov_b32_e32 v4, 0x7e
	v_mov_b32_e32 v5, 0x7f
	v_cmp_lt_u32_e32 vcc, s10, v6
	v_cndmask_b32_e32 v4, v4, v5, vcc
; %bb.441:
	s_or_b64 exec, exec, s[2:3]
	v_lshrrev_b32_e32 v3, 8, v3
	s_movk_i32 s2, 0x80
	v_and_or_b32 v3, v3, s2, v4
	global_store_byte v[0:1], v3, off
.LBB164_442:
	s_mov_b64 s[2:3], 0
.LBB164_443:
	s_andn2_b64 vcc, exec, s[2:3]
	s_cbranch_vccnz .LBB164_453
; %bb.444:
	v_lshlrev_b32_e32 v5, 16, v2
	v_and_b32_e32 v6, 0x7fffffff, v5
	s_mov_b32 s2, 0x47800000
	v_and_b32_e32 v3, 0xffff, v2
	v_cmp_gt_u32_e32 vcc, s2, v6
                                        ; implicit-def: $vgpr4
	s_and_saveexec_b64 s[2:3], vcc
	s_xor_b64 s[2:3], exec, s[2:3]
	s_cbranch_execz .LBB164_450
; %bb.445:
	s_mov_b32 s10, 0x387fffff
	v_cmp_lt_u32_e32 vcc, s10, v6
                                        ; implicit-def: $vgpr4
	s_and_saveexec_b64 s[10:11], vcc
	s_xor_b64 s[10:11], exec, s[10:11]
; %bb.446:
	v_bfe_u32 v4, v3, 5, 1
	s_mov_b32 s12, 0x80fffff
	v_add3_u32 v4, v5, v4, s12
	v_lshrrev_b32_e32 v4, 21, v4
                                        ; implicit-def: $vgpr5
; %bb.447:
	s_andn2_saveexec_b64 s[10:11], s[10:11]
; %bb.448:
	s_mov_b32 s12, 0x43000000
	v_add_f32_e64 v4, |v5|, s12
; %bb.449:
	s_or_b64 exec, exec, s[10:11]
                                        ; implicit-def: $vgpr6
.LBB164_450:
	s_andn2_saveexec_b64 s[2:3], s[2:3]
; %bb.451:
	s_mov_b32 s10, 0x7f800000
	v_mov_b32_e32 v4, 0x7c
	v_mov_b32_e32 v5, 0x7f
	v_cmp_lt_u32_e32 vcc, s10, v6
	v_cndmask_b32_e32 v4, v4, v5, vcc
; %bb.452:
	s_or_b64 exec, exec, s[2:3]
	v_lshrrev_b32_e32 v3, 8, v3
	s_movk_i32 s2, 0x80
	v_and_or_b32 v3, v3, s2, v4
	global_store_byte v[0:1], v3, off
.LBB164_453:
	s_mov_b64 s[10:11], 0
	s_mov_b64 s[2:3], -1
.LBB164_454:
	s_andn2_b64 vcc, exec, s[10:11]
	s_cbranch_vccnz .LBB164_462
; %bb.455:
	s_cmp_gt_i32 s15, 14
	s_mov_b64 s[10:11], -1
	s_cbranch_scc0 .LBB164_459
; %bb.456:
	s_cmp_eq_u32 s15, 15
	s_mov_b64 s[0:1], -1
	s_cbranch_scc0 .LBB164_458
; %bb.457:
	global_store_short v[0:1], v2, off
	s_mov_b64 s[2:3], -1
	s_mov_b64 s[0:1], 0
.LBB164_458:
	s_mov_b64 s[10:11], 0
.LBB164_459:
	s_and_b64 vcc, exec, s[10:11]
	s_cbranch_vccz .LBB164_462
; %bb.460:
	s_cmp_eq_u32 s15, 11
	s_mov_b64 s[0:1], -1
	s_cbranch_scc0 .LBB164_462
; %bb.461:
	v_and_b32_e32 v3, 0x7fff, v2
	v_cmp_ne_u16_e32 vcc, 0, v3
	v_cndmask_b32_e64 v3, 0, 1, vcc
	s_mov_b64 s[2:3], -1
	s_mov_b64 s[0:1], 0
	global_store_byte v[0:1], v3, off
.LBB164_462:
	s_mov_b64 s[10:11], 0
.LBB164_463:
	s_and_b64 vcc, exec, s[10:11]
	s_cbranch_vccz .LBB164_502
; %bb.464:
	s_and_b32 s10, 0xffff, s14
	s_cmp_lt_i32 s10, 5
	s_mov_b64 s[2:3], -1
	s_cbranch_scc1 .LBB164_485
; %bb.465:
	s_cmp_lt_i32 s10, 8
	s_cbranch_scc1 .LBB164_475
; %bb.466:
	s_cmp_lt_i32 s10, 9
	s_cbranch_scc1 .LBB164_472
; %bb.467:
	s_cmp_gt_i32 s10, 9
	s_cbranch_scc0 .LBB164_469
; %bb.468:
	v_lshlrev_b32_e32 v3, 16, v2
	v_cvt_f64_f32_e32 v[3:4], v3
	v_mov_b32_e32 v5, 0
	v_mov_b32_e32 v6, v5
	s_mov_b64 s[2:3], 0
	global_store_dwordx4 v[0:1], v[3:6], off
.LBB164_469:
	s_andn2_b64 vcc, exec, s[2:3]
	s_cbranch_vccnz .LBB164_471
; %bb.470:
	v_lshlrev_b32_e32 v3, 16, v2
	v_mov_b32_e32 v4, 0
	global_store_dwordx2 v[0:1], v[3:4], off
.LBB164_471:
	s_mov_b64 s[2:3], 0
.LBB164_472:
	s_andn2_b64 vcc, exec, s[2:3]
	s_cbranch_vccnz .LBB164_474
; %bb.473:
	v_lshlrev_b32_e32 v3, 16, v2
	v_cvt_f16_f32_e32 v3, v3
	global_store_dword v[0:1], v3, off
.LBB164_474:
	s_mov_b64 s[2:3], 0
.LBB164_475:
	s_andn2_b64 vcc, exec, s[2:3]
	s_cbranch_vccnz .LBB164_484
; %bb.476:
	s_cmp_lt_i32 s10, 6
	s_mov_b64 s[2:3], -1
	s_cbranch_scc1 .LBB164_482
; %bb.477:
	s_cmp_gt_i32 s10, 6
	s_cbranch_scc0 .LBB164_479
; %bb.478:
	v_lshlrev_b32_e32 v3, 16, v2
	v_cvt_f64_f32_e32 v[3:4], v3
	s_mov_b64 s[2:3], 0
	global_store_dwordx2 v[0:1], v[3:4], off
.LBB164_479:
	s_andn2_b64 vcc, exec, s[2:3]
	s_cbranch_vccnz .LBB164_481
; %bb.480:
	v_lshlrev_b32_e32 v3, 16, v2
	global_store_dword v[0:1], v3, off
.LBB164_481:
	s_mov_b64 s[2:3], 0
.LBB164_482:
	s_andn2_b64 vcc, exec, s[2:3]
	s_cbranch_vccnz .LBB164_484
; %bb.483:
	v_lshlrev_b32_e32 v3, 16, v2
	v_cvt_f16_f32_e32 v3, v3
	global_store_short v[0:1], v3, off
.LBB164_484:
	s_mov_b64 s[2:3], 0
.LBB164_485:
	s_andn2_b64 vcc, exec, s[2:3]
	s_cbranch_vccnz .LBB164_501
; %bb.486:
	s_cmp_lt_i32 s10, 2
	s_mov_b64 s[2:3], -1
	s_cbranch_scc1 .LBB164_496
; %bb.487:
	s_cmp_lt_i32 s10, 3
	s_cbranch_scc1 .LBB164_493
; %bb.488:
	s_cmp_gt_i32 s10, 3
	s_cbranch_scc0 .LBB164_490
; %bb.489:
	v_lshlrev_b32_e32 v3, 16, v2
	v_trunc_f32_e32 v3, v3
	s_mov_b32 s2, 0x2f800000
	v_mul_f32_e64 v4, |v3|, s2
	v_floor_f32_e32 v4, v4
	s_mov_b32 s2, 0xcf800000
	v_cvt_u32_f32_e32 v5, v4
	v_fma_f32 v4, v4, s2, |v3|
	v_cvt_u32_f32_e32 v4, v4
	v_ashrrev_i32_e32 v6, 31, v3
	v_xor_b32_e32 v5, v5, v6
	s_mov_b64 s[2:3], 0
	v_xor_b32_e32 v3, v4, v6
	v_sub_co_u32_e32 v3, vcc, v3, v6
	v_subb_co_u32_e32 v4, vcc, v5, v6, vcc
	global_store_dwordx2 v[0:1], v[3:4], off
.LBB164_490:
	s_andn2_b64 vcc, exec, s[2:3]
	s_cbranch_vccnz .LBB164_492
; %bb.491:
	v_lshlrev_b32_e32 v3, 16, v2
	v_cvt_i32_f32_e32 v3, v3
	global_store_dword v[0:1], v3, off
.LBB164_492:
	s_mov_b64 s[2:3], 0
.LBB164_493:
	s_andn2_b64 vcc, exec, s[2:3]
	s_cbranch_vccnz .LBB164_495
; %bb.494:
	v_lshlrev_b32_e32 v3, 16, v2
	v_cvt_i32_f32_e32 v3, v3
	global_store_short v[0:1], v3, off
.LBB164_495:
	s_mov_b64 s[2:3], 0
.LBB164_496:
	s_andn2_b64 vcc, exec, s[2:3]
	s_cbranch_vccnz .LBB164_501
; %bb.497:
	s_mov_b64 s[2:3], -1
	s_cmp_gt_i32 s10, 0
	v_lshlrev_b32_e32 v2, 16, v2
	s_cbranch_scc0 .LBB164_499
; %bb.498:
	v_cvt_i32_f32_e32 v3, v2
	s_mov_b64 s[2:3], 0
	global_store_byte v[0:1], v3, off
.LBB164_499:
	s_andn2_b64 vcc, exec, s[2:3]
	s_cbranch_vccnz .LBB164_501
; %bb.500:
	v_trunc_f32_e32 v2, v2
	s_mov_b32 s2, 0x2f800000
	v_mul_f32_e64 v3, |v2|, s2
	v_floor_f32_e32 v3, v3
	s_mov_b32 s2, 0xcf800000
	v_fma_f32 v3, v3, s2, |v2|
	v_cvt_u32_f32_e32 v3, v3
	v_ashrrev_i32_e32 v2, 31, v2
	v_xor_b32_e32 v3, v3, v2
	v_sub_u32_e32 v2, v3, v2
	global_store_byte v[0:1], v2, off
.LBB164_501:
	s_mov_b64 s[2:3], -1
.LBB164_502:
	s_andn2_b64 vcc, exec, s[2:3]
	s_cbranch_vccnz .LBB164_504
; %bb.503:
	v_add_u32_e32 v8, 0x80, v8
	s_mov_b64 s[2:3], -1
	s_branch .LBB164_617
.LBB164_504:
	s_mov_b64 s[2:3], 0
	s_branch .LBB164_616
.LBB164_505:
	s_mov_b64 s[8:9], -1
                                        ; implicit-def: $vgpr3
.LBB164_506:
	s_mov_b64 s[2:3], 0
.LBB164_507:
	s_and_b64 vcc, exec, s[2:3]
	s_cbranch_vccz .LBB164_511
; %bb.508:
	s_cmp_eq_u32 s12, 29
	s_cbranch_scc0 .LBB164_510
; %bb.509:
	global_load_dwordx2 v[3:4], v[1:2], off
	s_movk_i32 s2, 0x7fff
	s_mov_b64 s[0:1], -1
	s_mov_b64 s[8:9], 0
	s_waitcnt vmcnt(0)
	v_ffbh_u32_e32 v5, v4
	v_min_u32_e32 v5, 32, v5
	v_lshlrev_b64 v[3:4], v5, v[3:4]
	v_min_u32_e32 v3, 1, v3
	v_or_b32_e32 v3, v4, v3
	v_cvt_f32_u32_e32 v3, v3
	v_sub_u32_e32 v4, 32, v5
	v_ldexp_f32 v3, v3, v4
	v_bfe_u32 v4, v3, 16, 1
	v_add3_u32 v3, v3, v4, s2
	v_lshrrev_b32_e32 v3, 16, v3
	s_branch .LBB164_511
.LBB164_510:
	s_mov_b64 s[8:9], -1
                                        ; implicit-def: $vgpr3
.LBB164_511:
	s_mov_b64 s[2:3], 0
.LBB164_512:
	s_and_b64 vcc, exec, s[2:3]
	s_cbranch_vccz .LBB164_530
; %bb.513:
	s_cmp_lt_i32 s12, 27
	s_cbranch_scc1 .LBB164_516
; %bb.514:
	s_cmp_gt_i32 s12, 27
	s_cbranch_scc0 .LBB164_517
; %bb.515:
	global_load_dword v3, v[1:2], off
	s_movk_i32 s0, 0x7fff
	s_waitcnt vmcnt(0)
	v_cvt_f32_u32_e32 v3, v3
	v_bfe_u32 v4, v3, 16, 1
	v_add3_u32 v3, v3, v4, s0
	v_lshrrev_b32_e32 v3, 16, v3
	s_mov_b64 s[0:1], 0
	s_branch .LBB164_518
.LBB164_516:
	s_mov_b64 s[0:1], -1
                                        ; implicit-def: $vgpr3
	s_branch .LBB164_521
.LBB164_517:
	s_mov_b64 s[0:1], -1
                                        ; implicit-def: $vgpr3
.LBB164_518:
	s_andn2_b64 vcc, exec, s[0:1]
	s_cbranch_vccnz .LBB164_520
; %bb.519:
	global_load_ushort v3, v[1:2], off
	s_movk_i32 s0, 0x7fff
	s_waitcnt vmcnt(0)
	v_cvt_f32_u32_e32 v3, v3
	v_bfe_u32 v4, v3, 16, 1
	v_add3_u32 v3, v3, v4, s0
	v_lshrrev_b32_e32 v3, 16, v3
.LBB164_520:
	s_mov_b64 s[0:1], 0
.LBB164_521:
	s_andn2_b64 vcc, exec, s[0:1]
	s_cbranch_vccnz .LBB164_529
; %bb.522:
	global_load_ubyte v3, v[1:2], off
	s_movk_i32 s0, 0x7f
	s_waitcnt vmcnt(0)
	v_cmp_lt_i16_e32 vcc, s0, v3
	s_mov_b64 s[0:1], 0
	s_and_saveexec_b64 s[2:3], vcc
	s_xor_b64 s[2:3], exec, s[2:3]
	s_cbranch_execz .LBB164_543
; %bb.523:
	s_movk_i32 s0, 0x80
	v_cmp_eq_u16_e32 vcc, s0, v3
	s_mov_b64 s[0:1], -1
	s_and_saveexec_b64 s[10:11], vcc
; %bb.524:
	s_xor_b64 s[0:1], exec, -1
; %bb.525:
	s_or_b64 exec, exec, s[10:11]
	s_and_b64 s[0:1], s[0:1], exec
	s_or_saveexec_b64 s[2:3], s[2:3]
	v_mov_b32_e32 v4, 0x7f800001
	s_xor_b64 exec, exec, s[2:3]
	s_cbranch_execnz .LBB164_544
.LBB164_526:
	s_or_b64 exec, exec, s[2:3]
	s_and_saveexec_b64 s[2:3], s[0:1]
	s_cbranch_execz .LBB164_528
.LBB164_527:
	v_lshlrev_b32_e32 v4, 24, v3
	v_and_b32_e32 v3, 0xffff, v3
	v_and_b32_e32 v5, 7, v3
	v_ffbh_u32_e32 v7, v5
	v_min_u32_e32 v7, 32, v7
	v_subrev_u32_e32 v9, 28, v7
	v_bfe_u32 v6, v3, 3, 4
	v_lshlrev_b32_e32 v3, v9, v3
	v_sub_u32_e32 v7, 29, v7
	v_and_b32_e32 v3, 7, v3
	v_cmp_eq_u32_e32 vcc, 0, v6
	v_cndmask_b32_e32 v6, v6, v7, vcc
	v_cndmask_b32_e32 v3, v5, v3, vcc
	v_mov_b32_e32 v5, 0x3b800000
	v_lshlrev_b32_e32 v3, 20, v3
	v_and_b32_e32 v4, 0x80000000, v4
	v_lshl_add_u32 v5, v6, 23, v5
	v_or3_b32 v4, v4, v5, v3
.LBB164_528:
	s_or_b64 exec, exec, s[2:3]
	v_bfe_u32 v3, v4, 16, 1
	s_movk_i32 s0, 0x7fff
	v_add3_u32 v3, v4, v3, s0
	v_cmp_o_f32_e32 vcc, v4, v4
	v_mov_b32_e32 v4, 0x7fc0
	v_cndmask_b32_sdwa v3, v4, v3, vcc dst_sel:DWORD dst_unused:UNUSED_PAD src0_sel:DWORD src1_sel:WORD_1
.LBB164_529:
	s_mov_b64 s[0:1], -1
.LBB164_530:
	s_mov_b64 s[2:3], 0
.LBB164_531:
	s_and_b64 vcc, exec, s[2:3]
	s_cbranch_vccz .LBB164_566
; %bb.532:
	s_cmp_gt_i32 s12, 22
	s_cbranch_scc0 .LBB164_542
; %bb.533:
	s_cmp_lt_i32 s12, 24
	s_cbranch_scc1 .LBB164_545
; %bb.534:
	s_cmp_gt_i32 s12, 24
	s_cbranch_scc0 .LBB164_546
; %bb.535:
	global_load_ubyte v3, v[1:2], off
	s_movk_i32 s0, 0x7f
	s_waitcnt vmcnt(0)
	v_cmp_lt_i16_e32 vcc, s0, v3
	s_mov_b64 s[0:1], 0
	s_and_saveexec_b64 s[2:3], vcc
	s_xor_b64 s[2:3], exec, s[2:3]
	s_cbranch_execz .LBB164_558
; %bb.536:
	s_movk_i32 s0, 0x80
	v_cmp_eq_u16_e32 vcc, s0, v3
	s_mov_b64 s[0:1], -1
	s_and_saveexec_b64 s[10:11], vcc
; %bb.537:
	s_xor_b64 s[0:1], exec, -1
; %bb.538:
	s_or_b64 exec, exec, s[10:11]
	s_and_b64 s[0:1], s[0:1], exec
	s_or_saveexec_b64 s[2:3], s[2:3]
	v_mov_b32_e32 v4, 0x7f800001
	s_xor_b64 exec, exec, s[2:3]
	s_cbranch_execnz .LBB164_559
.LBB164_539:
	s_or_b64 exec, exec, s[2:3]
	s_and_saveexec_b64 s[2:3], s[0:1]
	s_cbranch_execz .LBB164_541
.LBB164_540:
	v_lshlrev_b32_e32 v4, 24, v3
	v_and_b32_e32 v3, 0xffff, v3
	v_and_b32_e32 v5, 3, v3
	v_ffbh_u32_e32 v7, v5
	v_min_u32_e32 v7, 32, v7
	v_subrev_u32_e32 v9, 29, v7
	v_bfe_u32 v6, v3, 2, 5
	v_lshlrev_b32_e32 v3, v9, v3
	v_sub_u32_e32 v7, 30, v7
	v_and_b32_e32 v3, 3, v3
	v_cmp_eq_u32_e32 vcc, 0, v6
	v_cndmask_b32_e32 v6, v6, v7, vcc
	v_cndmask_b32_e32 v3, v5, v3, vcc
	v_mov_b32_e32 v5, 0x37800000
	v_lshlrev_b32_e32 v3, 21, v3
	v_and_b32_e32 v4, 0x80000000, v4
	v_lshl_add_u32 v5, v6, 23, v5
	v_or3_b32 v4, v4, v5, v3
.LBB164_541:
	s_or_b64 exec, exec, s[2:3]
	v_bfe_u32 v3, v4, 16, 1
	s_movk_i32 s0, 0x7fff
	v_add3_u32 v3, v4, v3, s0
	v_cmp_o_f32_e32 vcc, v4, v4
	v_mov_b32_e32 v4, 0x7fc0
	v_cndmask_b32_sdwa v3, v4, v3, vcc dst_sel:DWORD dst_unused:UNUSED_PAD src0_sel:DWORD src1_sel:WORD_1
	s_mov_b64 s[0:1], 0
	s_branch .LBB164_547
.LBB164_542:
	s_mov_b64 s[2:3], -1
                                        ; implicit-def: $vgpr3
	s_branch .LBB164_553
.LBB164_543:
	s_or_saveexec_b64 s[2:3], s[2:3]
	v_mov_b32_e32 v4, 0x7f800001
	s_xor_b64 exec, exec, s[2:3]
	s_cbranch_execz .LBB164_526
.LBB164_544:
	v_cmp_ne_u16_e32 vcc, 0, v3
	s_andn2_b64 s[0:1], s[0:1], exec
	s_and_b64 s[10:11], vcc, exec
	v_mov_b32_e32 v4, 0
	s_or_b64 s[0:1], s[0:1], s[10:11]
	s_or_b64 exec, exec, s[2:3]
	s_and_saveexec_b64 s[2:3], s[0:1]
	s_cbranch_execnz .LBB164_527
	s_branch .LBB164_528
.LBB164_545:
	s_mov_b64 s[0:1], -1
                                        ; implicit-def: $vgpr3
	s_branch .LBB164_550
.LBB164_546:
	s_mov_b64 s[0:1], -1
                                        ; implicit-def: $vgpr3
.LBB164_547:
	s_and_b64 vcc, exec, s[0:1]
	s_cbranch_vccz .LBB164_549
; %bb.548:
	global_load_ubyte v3, v[1:2], off
	s_mov_b32 s0, 0x7f800000
	s_brev_b32 s1, 1
	s_movk_i32 s2, 0x7fff
	s_waitcnt vmcnt(0)
	v_lshlrev_b32_e32 v3, 24, v3
	v_and_b32_e32 v4, 0x7f000000, v3
	v_ffbh_u32_e32 v5, v4
	v_min_u32_e32 v5, 32, v5
	v_sub_u32_e64 v5, v5, 4 clamp
	v_lshlrev_b32_e32 v7, v5, v4
	v_lshlrev_b32_e32 v5, 23, v5
	v_lshrrev_b32_e32 v7, 4, v7
	v_add_u32_e32 v6, 0x1000000, v4
	v_sub_u32_e32 v5, v7, v5
	v_ashrrev_i32_e32 v6, 8, v6
	v_add_u32_e32 v5, 0x3c000000, v5
	v_and_or_b32 v5, v6, s0, v5
	v_cmp_ne_u32_e32 vcc, 0, v4
	v_cndmask_b32_e32 v4, 0, v5, vcc
	v_and_or_b32 v3, v3, s1, v4
	v_bfe_u32 v4, v4, 16, 1
	v_add3_u32 v4, v3, v4, s2
	v_cmp_o_f32_e32 vcc, v3, v3
	v_mov_b32_e32 v3, 0x7fc0
	v_cndmask_b32_sdwa v3, v3, v4, vcc dst_sel:DWORD dst_unused:UNUSED_PAD src0_sel:DWORD src1_sel:WORD_1
.LBB164_549:
	s_mov_b64 s[0:1], 0
.LBB164_550:
	s_andn2_b64 vcc, exec, s[0:1]
	s_cbranch_vccnz .LBB164_552
; %bb.551:
	global_load_ubyte v3, v[1:2], off
	s_movk_i32 s0, 0x7f00
	s_brev_b32 s1, 16
	s_brev_b32 s2, 1
	s_movk_i32 s3, 0x7fff
	s_waitcnt vmcnt(0)
	v_lshlrev_b16_e32 v4, 8, v3
	v_lshlrev_b32_e32 v3, 25, v3
	v_lshrrev_b32_e32 v5, 4, v3
	v_and_or_b32 v6, v4, s0, 0.5
	v_or_b32_e32 v5, 0x70000000, v5
	v_add_f32_e32 v6, -0.5, v6
	v_mul_f32_e32 v5, 0x7800000, v5
	v_cmp_gt_u32_e32 vcc, s1, v3
	v_bfe_i32 v4, v4, 0, 16
	v_cndmask_b32_e32 v3, v5, v6, vcc
	v_and_or_b32 v4, v4, s2, v3
	v_bfe_u32 v3, v3, 16, 1
	v_add3_u32 v3, v4, v3, s3
	v_cmp_o_f32_e32 vcc, v4, v4
	v_mov_b32_e32 v4, 0x7fc0
	v_cndmask_b32_sdwa v3, v4, v3, vcc dst_sel:DWORD dst_unused:UNUSED_PAD src0_sel:DWORD src1_sel:WORD_1
.LBB164_552:
	s_mov_b64 s[2:3], 0
	s_mov_b64 s[0:1], -1
.LBB164_553:
	s_andn2_b64 vcc, exec, s[2:3]
	s_cbranch_vccnz .LBB164_566
; %bb.554:
	s_cmp_gt_i32 s12, 14
	s_cbranch_scc0 .LBB164_557
; %bb.555:
	s_cmp_eq_u32 s12, 15
	s_cbranch_scc0 .LBB164_560
; %bb.556:
	global_load_ushort v3, v[1:2], off
	s_mov_b64 s[0:1], -1
	s_mov_b64 s[8:9], 0
	s_branch .LBB164_561
.LBB164_557:
	s_mov_b64 s[2:3], -1
                                        ; implicit-def: $vgpr3
	s_branch .LBB164_562
.LBB164_558:
	s_or_saveexec_b64 s[2:3], s[2:3]
	v_mov_b32_e32 v4, 0x7f800001
	s_xor_b64 exec, exec, s[2:3]
	s_cbranch_execz .LBB164_539
.LBB164_559:
	v_cmp_ne_u16_e32 vcc, 0, v3
	s_andn2_b64 s[0:1], s[0:1], exec
	s_and_b64 s[10:11], vcc, exec
	v_mov_b32_e32 v4, 0
	s_or_b64 s[0:1], s[0:1], s[10:11]
	s_or_b64 exec, exec, s[2:3]
	s_and_saveexec_b64 s[2:3], s[0:1]
	s_cbranch_execnz .LBB164_540
	s_branch .LBB164_541
.LBB164_560:
	s_mov_b64 s[8:9], -1
                                        ; implicit-def: $vgpr3
.LBB164_561:
	s_mov_b64 s[2:3], 0
.LBB164_562:
	s_and_b64 vcc, exec, s[2:3]
	s_cbranch_vccz .LBB164_566
; %bb.563:
	s_cmp_eq_u32 s12, 11
	s_cbranch_scc0 .LBB164_565
; %bb.564:
	global_load_ubyte v3, v[1:2], off
	s_mov_b64 s[0:1], -1
	s_mov_b64 s[8:9], 0
	s_waitcnt vmcnt(0)
	v_cmp_ne_u16_e32 vcc, 0, v3
	v_cndmask_b32_e64 v3, 0, 1.0, vcc
	v_lshrrev_b32_e32 v3, 16, v3
	s_branch .LBB164_566
.LBB164_565:
	s_mov_b64 s[8:9], -1
                                        ; implicit-def: $vgpr3
.LBB164_566:
	s_branch .LBB164_331
.LBB164_567:
	s_cmp_lt_i32 s12, 5
	s_cbranch_scc1 .LBB164_572
; %bb.568:
	s_cmp_lt_i32 s12, 8
	s_cbranch_scc1 .LBB164_573
; %bb.569:
	;; [unrolled: 3-line block ×3, first 2 shown]
	s_cmp_gt_i32 s12, 9
	s_cbranch_scc0 .LBB164_575
; %bb.571:
	global_load_dwordx2 v[3:4], v[1:2], off
	s_movk_i32 s0, 0x7fff
	s_waitcnt vmcnt(0)
	v_cvt_f32_f64_e32 v3, v[3:4]
	v_mov_b32_e32 v4, 0x7fc0
	v_bfe_u32 v5, v3, 16, 1
	v_cmp_o_f32_e32 vcc, v3, v3
	v_add3_u32 v3, v3, v5, s0
	v_cndmask_b32_sdwa v3, v4, v3, vcc dst_sel:DWORD dst_unused:UNUSED_PAD src0_sel:DWORD src1_sel:WORD_1
	s_mov_b64 s[0:1], 0
	s_branch .LBB164_576
.LBB164_572:
	s_mov_b64 s[0:1], -1
                                        ; implicit-def: $vgpr3
	s_branch .LBB164_594
.LBB164_573:
	s_mov_b64 s[0:1], -1
                                        ; implicit-def: $vgpr3
	s_branch .LBB164_582
.LBB164_574:
	s_mov_b64 s[0:1], -1
                                        ; implicit-def: $vgpr3
	s_branch .LBB164_579
.LBB164_575:
	s_mov_b64 s[0:1], -1
                                        ; implicit-def: $vgpr3
.LBB164_576:
	s_andn2_b64 vcc, exec, s[0:1]
	s_cbranch_vccnz .LBB164_578
; %bb.577:
	global_load_dword v3, v[1:2], off
	s_movk_i32 s0, 0x7fff
	v_mov_b32_e32 v4, 0x7fc0
	s_waitcnt vmcnt(0)
	v_bfe_u32 v5, v3, 16, 1
	v_cmp_o_f32_e32 vcc, v3, v3
	v_add3_u32 v3, v3, v5, s0
	v_cndmask_b32_sdwa v3, v4, v3, vcc dst_sel:DWORD dst_unused:UNUSED_PAD src0_sel:DWORD src1_sel:WORD_1
.LBB164_578:
	s_mov_b64 s[0:1], 0
.LBB164_579:
	s_andn2_b64 vcc, exec, s[0:1]
	s_cbranch_vccnz .LBB164_581
; %bb.580:
	global_load_dword v3, v[1:2], off
	s_movk_i32 s0, 0x7fff
	v_mov_b32_e32 v5, 0x7fc0
	s_waitcnt vmcnt(0)
	v_cvt_f32_f16_e32 v4, v3
	v_cmp_o_f16_e32 vcc, v3, v3
	v_bfe_u32 v3, v4, 16, 1
	v_add3_u32 v3, v4, v3, s0
	v_cndmask_b32_sdwa v3, v5, v3, vcc dst_sel:DWORD dst_unused:UNUSED_PAD src0_sel:DWORD src1_sel:WORD_1
.LBB164_581:
	s_mov_b64 s[0:1], 0
.LBB164_582:
	s_andn2_b64 vcc, exec, s[0:1]
	s_cbranch_vccnz .LBB164_593
; %bb.583:
	s_cmp_lt_i32 s12, 6
	s_cbranch_scc1 .LBB164_586
; %bb.584:
	s_cmp_gt_i32 s12, 6
	s_cbranch_scc0 .LBB164_587
; %bb.585:
	global_load_dwordx2 v[3:4], v[1:2], off
	s_movk_i32 s0, 0x7fff
	s_waitcnt vmcnt(0)
	v_cvt_f32_f64_e32 v3, v[3:4]
	v_mov_b32_e32 v4, 0x7fc0
	v_bfe_u32 v5, v3, 16, 1
	v_cmp_o_f32_e32 vcc, v3, v3
	v_add3_u32 v3, v3, v5, s0
	v_cndmask_b32_sdwa v3, v4, v3, vcc dst_sel:DWORD dst_unused:UNUSED_PAD src0_sel:DWORD src1_sel:WORD_1
	s_mov_b64 s[0:1], 0
	s_branch .LBB164_588
.LBB164_586:
	s_mov_b64 s[0:1], -1
                                        ; implicit-def: $vgpr3
	s_branch .LBB164_591
.LBB164_587:
	s_mov_b64 s[0:1], -1
                                        ; implicit-def: $vgpr3
.LBB164_588:
	s_andn2_b64 vcc, exec, s[0:1]
	s_cbranch_vccnz .LBB164_590
; %bb.589:
	global_load_dword v3, v[1:2], off
	s_movk_i32 s0, 0x7fff
	v_mov_b32_e32 v4, 0x7fc0
	s_waitcnt vmcnt(0)
	v_bfe_u32 v5, v3, 16, 1
	v_cmp_o_f32_e32 vcc, v3, v3
	v_add3_u32 v3, v3, v5, s0
	v_cndmask_b32_sdwa v3, v4, v3, vcc dst_sel:DWORD dst_unused:UNUSED_PAD src0_sel:DWORD src1_sel:WORD_1
.LBB164_590:
	s_mov_b64 s[0:1], 0
.LBB164_591:
	s_andn2_b64 vcc, exec, s[0:1]
	s_cbranch_vccnz .LBB164_593
; %bb.592:
	global_load_ushort v3, v[1:2], off
	s_movk_i32 s0, 0x7fff
	v_mov_b32_e32 v5, 0x7fc0
	s_waitcnt vmcnt(0)
	v_cvt_f32_f16_e32 v4, v3
	v_cmp_o_f16_e32 vcc, v3, v3
	v_bfe_u32 v3, v4, 16, 1
	v_add3_u32 v3, v4, v3, s0
	v_cndmask_b32_sdwa v3, v5, v3, vcc dst_sel:DWORD dst_unused:UNUSED_PAD src0_sel:DWORD src1_sel:WORD_1
.LBB164_593:
	s_mov_b64 s[0:1], 0
.LBB164_594:
	s_andn2_b64 vcc, exec, s[0:1]
	s_cbranch_vccnz .LBB164_614
; %bb.595:
	s_cmp_lt_i32 s12, 2
	s_cbranch_scc1 .LBB164_599
; %bb.596:
	s_cmp_lt_i32 s12, 3
	s_cbranch_scc1 .LBB164_600
; %bb.597:
	s_cmp_gt_i32 s12, 3
	s_cbranch_scc0 .LBB164_601
; %bb.598:
	global_load_dwordx2 v[3:4], v[1:2], off
	s_movk_i32 s0, 0x7fff
	s_waitcnt vmcnt(0)
	v_xor_b32_e32 v6, v3, v4
	v_ffbh_i32_e32 v5, v4
	v_ashrrev_i32_e32 v6, 31, v6
	v_add_u32_e32 v5, -1, v5
	v_add_u32_e32 v6, 32, v6
	v_min_u32_e32 v5, v5, v6
	v_lshlrev_b64 v[3:4], v5, v[3:4]
	v_min_u32_e32 v3, 1, v3
	v_or_b32_e32 v3, v4, v3
	v_cvt_f32_i32_e32 v3, v3
	v_sub_u32_e32 v4, 32, v5
	v_ldexp_f32 v3, v3, v4
	v_bfe_u32 v4, v3, 16, 1
	v_add3_u32 v3, v3, v4, s0
	v_lshrrev_b32_e32 v3, 16, v3
	s_mov_b64 s[0:1], 0
	s_branch .LBB164_602
.LBB164_599:
	s_mov_b64 s[0:1], -1
                                        ; implicit-def: $vgpr3
	s_branch .LBB164_608
.LBB164_600:
	s_mov_b64 s[0:1], -1
                                        ; implicit-def: $vgpr3
	s_branch .LBB164_605
.LBB164_601:
	s_mov_b64 s[0:1], -1
                                        ; implicit-def: $vgpr3
.LBB164_602:
	s_andn2_b64 vcc, exec, s[0:1]
	s_cbranch_vccnz .LBB164_604
; %bb.603:
	global_load_dword v3, v[1:2], off
	s_movk_i32 s0, 0x7fff
	s_waitcnt vmcnt(0)
	v_cvt_f32_i32_e32 v3, v3
	v_bfe_u32 v4, v3, 16, 1
	v_add3_u32 v3, v3, v4, s0
	v_lshrrev_b32_e32 v3, 16, v3
.LBB164_604:
	s_mov_b64 s[0:1], 0
.LBB164_605:
	s_andn2_b64 vcc, exec, s[0:1]
	s_cbranch_vccnz .LBB164_607
; %bb.606:
	global_load_sshort v3, v[1:2], off
	s_movk_i32 s0, 0x7fff
	s_waitcnt vmcnt(0)
	v_cvt_f32_i32_e32 v3, v3
	v_bfe_u32 v4, v3, 16, 1
	v_add3_u32 v3, v3, v4, s0
	v_lshrrev_b32_e32 v3, 16, v3
.LBB164_607:
	s_mov_b64 s[0:1], 0
.LBB164_608:
	s_andn2_b64 vcc, exec, s[0:1]
	s_cbranch_vccnz .LBB164_614
; %bb.609:
	s_cmp_gt_i32 s12, 0
	s_cbranch_scc0 .LBB164_611
; %bb.610:
	global_load_sbyte v3, v[1:2], off
	s_movk_i32 s0, 0x7fff
	s_waitcnt vmcnt(0)
	v_cvt_f32_i32_e32 v3, v3
	v_bfe_u32 v4, v3, 16, 1
	v_add3_u32 v3, v3, v4, s0
	v_lshrrev_b32_e32 v3, 16, v3
	s_mov_b64 s[0:1], 0
	s_branch .LBB164_612
.LBB164_611:
	s_mov_b64 s[0:1], -1
                                        ; implicit-def: $vgpr3
.LBB164_612:
	s_andn2_b64 vcc, exec, s[0:1]
	s_cbranch_vccnz .LBB164_614
; %bb.613:
	global_load_ubyte v1, v[1:2], off
	s_movk_i32 s0, 0x7fff
	s_waitcnt vmcnt(0)
	v_cvt_f32_ubyte0_e32 v1, v1
	v_bfe_u32 v2, v1, 16, 1
	v_add3_u32 v1, v1, v2, s0
	v_lshrrev_b32_e32 v3, 16, v1
.LBB164_614:
	s_branch .LBB164_332
.LBB164_615:
	s_mov_b64 s[2:3], 0
	s_mov_b64 s[0:1], s[52:53]
.LBB164_616:
                                        ; implicit-def: $vgpr8
.LBB164_617:
	s_andn2_b64 s[10:11], s[52:53], exec
	s_and_b64 s[0:1], s[0:1], exec
	s_or_b64 s[60:61], s[10:11], s[0:1]
	s_andn2_b64 s[0:1], s[54:55], exec
	s_and_b64 s[8:9], s[8:9], exec
	s_or_b64 s[58:59], s[0:1], s[8:9]
	s_orn2_b64 s[0:1], s[2:3], exec
.LBB164_618:
	s_or_b64 exec, exec, s[62:63]
	s_mov_b64 s[2:3], 0
	s_mov_b64 s[8:9], 0
	;; [unrolled: 1-line block ×3, first 2 shown]
                                        ; implicit-def: $vgpr1_vgpr2
                                        ; implicit-def: $vgpr0
                                        ; implicit-def: $vgpr4
	s_and_saveexec_b64 s[62:63], s[0:1]
	s_cbranch_execz .LBB164_1031
; %bb.619:
	v_cmp_gt_i32_e32 vcc, s70, v8
	s_mov_b64 s[2:3], -1
	s_mov_b64 s[66:67], s[58:59]
	s_mov_b64 s[68:69], s[60:61]
	s_and_saveexec_b64 s[64:65], vcc
	s_cbranch_execz .LBB164_931
; %bb.620:
	s_andn2_b64 vcc, exec, s[40:41]
	s_cbranch_vccnz .LBB164_625
; %bb.621:
	s_andn2_b64 vcc, exec, s[50:51]
	s_cbranch_vccnz .LBB164_626
; %bb.622:
	s_add_i32 s76, s75, 1
	s_cmp_eq_u32 s72, 2
	s_cbranch_scc1 .LBB164_627
; %bb.623:
	s_and_b32 s71, s76, 28
	v_mov_b32_e32 v2, 0
	s_mov_b32 s77, 0
	s_mov_b64 s[66:67], s[34:35]
	s_mov_b64 s[68:69], s[48:49]
	v_mov_b32_e32 v0, 0
	v_mov_b32_e32 v1, v8
.LBB164_624:                            ; =>This Inner Loop Header: Depth=1
	s_load_dwordx8 s[16:23], s[66:67], 0x4
	s_load_dwordx4 s[0:3], s[66:67], 0x24
	s_load_dwordx8 s[8:15], s[68:69], 0x0
	s_add_u32 s66, s66, 48
	s_addc_u32 s67, s67, 0
	s_waitcnt vmcnt(0) lgkmcnt(0)
	v_mul_hi_u32 v3, s17, v1
	s_add_i32 s77, s77, 4
	s_add_u32 s68, s68, 32
	s_addc_u32 s69, s69, 0
	v_add_u32_e32 v3, v1, v3
	v_lshrrev_b32_e32 v3, s18, v3
	v_mul_lo_u32 v4, v3, s16
	v_mul_hi_u32 v5, s20, v3
	s_cmp_eq_u32 s71, s77
	v_sub_u32_e32 v1, v1, v4
	v_add_u32_e32 v4, v3, v5
	v_mul_lo_u32 v5, v1, s8
	v_mul_lo_u32 v6, v1, s9
	v_lshrrev_b32_e32 v1, s21, v4
	v_mul_lo_u32 v4, v1, s19
	v_mul_hi_u32 v7, s23, v1
	v_sub_u32_e32 v3, v3, v4
	v_add_u32_e32 v4, v1, v7
	v_lshrrev_b32_e32 v4, s0, v4
	v_mul_hi_u32 v9, s2, v4
	v_mul_lo_u32 v10, v4, s22
	v_mul_lo_u32 v7, v3, s10
	;; [unrolled: 1-line block ×3, first 2 shown]
	v_sub_u32_e32 v10, v1, v10
	v_add_u32_e32 v1, v4, v9
	v_lshrrev_b32_e32 v1, s3, v1
	v_mul_lo_u32 v9, v1, s1
	v_mul_lo_u32 v11, v10, s12
	;; [unrolled: 1-line block ×3, first 2 shown]
	v_add3_u32 v0, v5, v0, v7
	v_sub_u32_e32 v4, v4, v9
	v_mul_lo_u32 v9, v4, s14
	v_mul_lo_u32 v4, v4, s15
	v_add3_u32 v2, v6, v2, v3
	v_add3_u32 v0, v11, v0, v9
	;; [unrolled: 1-line block ×3, first 2 shown]
	s_cbranch_scc0 .LBB164_624
	s_branch .LBB164_628
.LBB164_625:
	s_mov_b64 s[0:1], -1
                                        ; implicit-def: $vgpr0
                                        ; implicit-def: $vgpr2
	s_branch .LBB164_632
.LBB164_626:
	v_mov_b32_e32 v0, 0
	v_mov_b32_e32 v2, 0
	s_branch .LBB164_631
.LBB164_627:
	s_mov_b32 s71, 0
	v_mov_b32_e32 v0, 0
	v_mov_b32_e32 v2, 0
	;; [unrolled: 1-line block ×3, first 2 shown]
.LBB164_628:
	s_and_b32 s8, s76, 3
	s_cmp_eq_u32 s8, 0
	s_cbranch_scc1 .LBB164_631
; %bb.629:
	s_lshl_b32 s0, s71, 3
	s_add_u32 s0, s34, s0
	s_addc_u32 s1, s35, 0
	s_add_u32 s0, s0, 0xc4
	s_addc_u32 s1, s1, 0
	s_mul_i32 s2, s71, 12
	s_add_u32 s2, s34, s2
	s_addc_u32 s3, s35, 0
.LBB164_630:                            ; =>This Inner Loop Header: Depth=1
	s_load_dwordx2 s[10:11], s[2:3], 0x4
	s_load_dword s9, s[2:3], 0xc
	s_load_dwordx2 s[12:13], s[0:1], 0x0
	s_add_u32 s2, s2, 12
	s_addc_u32 s3, s3, 0
	s_waitcnt vmcnt(0) lgkmcnt(0)
	v_mul_hi_u32 v3, s11, v1
	s_add_u32 s0, s0, 8
	s_addc_u32 s1, s1, 0
	s_add_i32 s8, s8, -1
	v_add_u32_e32 v3, v1, v3
	v_lshrrev_b32_e32 v4, s9, v3
	v_mul_lo_u32 v3, v4, s10
	s_cmp_lg_u32 s8, 0
	v_sub_u32_e32 v3, v1, v3
	v_mad_u64_u32 v[0:1], s[10:11], v3, s12, v[0:1]
	v_mad_u64_u32 v[2:3], s[10:11], v3, s13, v[2:3]
	v_mov_b32_e32 v1, v4
	s_cbranch_scc1 .LBB164_630
.LBB164_631:
	s_mov_b64 s[0:1], 0
.LBB164_632:
	s_andn2_b64 vcc, exec, s[0:1]
	s_cbranch_vccnz .LBB164_635
; %bb.633:
	s_waitcnt lgkmcnt(0)
	v_mul_hi_u32 v0, s37, v8
	s_andn2_b64 vcc, exec, s[46:47]
	v_add_u32_e32 v0, v8, v0
	v_lshrrev_b32_e32 v1, s38, v0
	v_mul_lo_u32 v0, v1, s36
	v_sub_u32_e32 v2, v8, v0
	v_mul_lo_u32 v0, v2, s28
	v_mul_lo_u32 v2, v2, s29
	s_cbranch_vccnz .LBB164_635
; %bb.634:
	s_waitcnt vmcnt(0)
	v_mul_hi_u32 v3, s44, v1
	v_add_u32_e32 v3, v1, v3
	v_lshrrev_b32_e32 v3, s45, v3
	v_mul_lo_u32 v3, v3, s39
	v_sub_u32_e32 v3, v1, v3
	v_mad_u64_u32 v[0:1], s[0:1], v3, s30, v[0:1]
	v_mad_u64_u32 v[2:3], s[0:1], v3, s31, v[2:3]
.LBB164_635:
	s_waitcnt vmcnt(0) lgkmcnt(0)
	v_mov_b32_e32 v3, s27
	s_and_b32 s12, 0xffff, s74
	v_add_co_u32_e32 v1, vcc, s26, v2
	s_cmp_lt_i32 s12, 11
	v_addc_co_u32_e32 v2, vcc, 0, v3, vcc
	s_cbranch_scc1 .LBB164_642
; %bb.636:
	s_cmp_gt_i32 s12, 25
	s_cbranch_scc0 .LBB164_643
; %bb.637:
	s_cmp_gt_i32 s12, 28
	s_cbranch_scc0 .LBB164_644
	;; [unrolled: 3-line block ×4, first 2 shown]
; %bb.640:
	s_cmp_eq_u32 s12, 46
	s_mov_b64 s[2:3], 0
	s_cbranch_scc0 .LBB164_651
; %bb.641:
	global_load_dword v3, v[1:2], off
	s_mov_b64 s[0:1], -1
	s_mov_b64 s[8:9], 0
	s_branch .LBB164_652
.LBB164_642:
	s_mov_b64 s[2:3], -1
	s_mov_b64 s[0:1], 0
                                        ; implicit-def: $vgpr3
	s_mov_b64 s[8:9], s[58:59]
	s_branch .LBB164_717
.LBB164_643:
	s_mov_b64 s[2:3], -1
	s_mov_b64 s[0:1], 0
	s_mov_b64 s[8:9], s[58:59]
                                        ; implicit-def: $vgpr3
	s_branch .LBB164_681
.LBB164_644:
	s_mov_b64 s[2:3], -1
	s_mov_b64 s[0:1], 0
	s_mov_b64 s[8:9], s[58:59]
                                        ; implicit-def: $vgpr3
	s_branch .LBB164_662
.LBB164_645:
	s_mov_b64 s[2:3], -1
	s_mov_b64 s[0:1], 0
	s_mov_b64 s[8:9], s[58:59]
                                        ; implicit-def: $vgpr3
	s_branch .LBB164_657
.LBB164_646:
	s_andn2_saveexec_b64 s[12:13], s[12:13]
	s_cbranch_execz .LBB164_415
.LBB164_647:
	s_mov_b32 s16, 0x46000000
	v_add_f32_e64 v4, |v5|, s16
	v_and_b32_e32 v4, 0xff, v4
	v_cmp_ne_u32_e32 vcc, 0, v4
	s_andn2_b64 s[10:11], s[10:11], exec
	s_and_b64 s[16:17], vcc, exec
	s_or_b64 s[10:11], s[10:11], s[16:17]
	s_or_b64 exec, exec, s[12:13]
	v_mov_b32_e32 v6, 0
	s_and_saveexec_b64 s[12:13], s[10:11]
	s_cbranch_execnz .LBB164_416
	s_branch .LBB164_417
.LBB164_648:
	s_mov_b64 s[2:3], -1
	s_mov_b64 s[0:1], 0
	s_mov_b64 s[8:9], s[58:59]
                                        ; implicit-def: $vgpr3
	s_branch .LBB164_652
.LBB164_649:
	s_andn2_saveexec_b64 s[12:13], s[12:13]
	s_cbranch_execz .LBB164_428
.LBB164_650:
	s_mov_b32 s16, 0x42800000
	v_add_f32_e64 v4, |v5|, s16
	v_and_b32_e32 v4, 0xff, v4
	v_cmp_ne_u32_e32 vcc, 0, v4
	s_andn2_b64 s[10:11], s[10:11], exec
	s_and_b64 s[16:17], vcc, exec
	s_or_b64 s[10:11], s[10:11], s[16:17]
	s_or_b64 exec, exec, s[12:13]
	v_mov_b32_e32 v6, 0
	s_and_saveexec_b64 s[12:13], s[10:11]
	s_cbranch_execnz .LBB164_429
	s_branch .LBB164_430
.LBB164_651:
	s_mov_b64 s[8:9], -1
                                        ; implicit-def: $vgpr3
	s_mov_b64 s[0:1], 0
.LBB164_652:
	s_and_b64 vcc, exec, s[2:3]
	s_cbranch_vccz .LBB164_656
; %bb.653:
	s_cmp_eq_u32 s12, 44
	s_cbranch_scc0 .LBB164_655
; %bb.654:
	global_load_ubyte v3, v[1:2], off
	s_movk_i32 s2, 0xff
	v_mov_b32_e32 v4, 0x7f800001
	v_mov_b32_e32 v5, 0x400000
	;; [unrolled: 1-line block ×3, first 2 shown]
	s_mov_b64 s[0:1], -1
	s_mov_b64 s[8:9], 0
	s_waitcnt vmcnt(0)
	v_lshlrev_b32_e32 v7, 23, v3
	v_cmp_ne_u32_e32 vcc, s2, v3
	v_cndmask_b32_e32 v4, v4, v7, vcc
	v_cmp_ne_u32_e32 vcc, 0, v3
	v_cndmask_b32_e32 v3, v5, v4, vcc
	v_add_u32_e32 v4, 0x7fff, v3
	v_cmp_o_f32_e32 vcc, v3, v3
	v_cndmask_b32_sdwa v3, v6, v4, vcc dst_sel:DWORD dst_unused:UNUSED_PAD src0_sel:DWORD src1_sel:WORD_1
	s_branch .LBB164_656
.LBB164_655:
	s_mov_b64 s[8:9], -1
                                        ; implicit-def: $vgpr3
.LBB164_656:
	s_mov_b64 s[2:3], 0
.LBB164_657:
	s_and_b64 vcc, exec, s[2:3]
	s_cbranch_vccz .LBB164_661
; %bb.658:
	s_cmp_eq_u32 s12, 29
	s_cbranch_scc0 .LBB164_660
; %bb.659:
	global_load_dwordx2 v[3:4], v[1:2], off
	s_movk_i32 s2, 0x7fff
	s_mov_b64 s[0:1], -1
	s_mov_b64 s[8:9], 0
	s_waitcnt vmcnt(0)
	v_ffbh_u32_e32 v5, v4
	v_min_u32_e32 v5, 32, v5
	v_lshlrev_b64 v[3:4], v5, v[3:4]
	v_min_u32_e32 v3, 1, v3
	v_or_b32_e32 v3, v4, v3
	v_cvt_f32_u32_e32 v3, v3
	v_sub_u32_e32 v4, 32, v5
	v_ldexp_f32 v3, v3, v4
	v_bfe_u32 v4, v3, 16, 1
	v_add3_u32 v3, v3, v4, s2
	v_lshrrev_b32_e32 v3, 16, v3
	s_branch .LBB164_661
.LBB164_660:
	s_mov_b64 s[8:9], -1
                                        ; implicit-def: $vgpr3
.LBB164_661:
	s_mov_b64 s[2:3], 0
.LBB164_662:
	s_and_b64 vcc, exec, s[2:3]
	s_cbranch_vccz .LBB164_680
; %bb.663:
	s_cmp_lt_i32 s12, 27
	s_cbranch_scc1 .LBB164_666
; %bb.664:
	s_cmp_gt_i32 s12, 27
	s_cbranch_scc0 .LBB164_667
; %bb.665:
	global_load_dword v3, v[1:2], off
	s_movk_i32 s0, 0x7fff
	s_waitcnt vmcnt(0)
	v_cvt_f32_u32_e32 v3, v3
	v_bfe_u32 v4, v3, 16, 1
	v_add3_u32 v3, v3, v4, s0
	v_lshrrev_b32_e32 v3, 16, v3
	s_mov_b64 s[0:1], 0
	s_branch .LBB164_668
.LBB164_666:
	s_mov_b64 s[0:1], -1
                                        ; implicit-def: $vgpr3
	s_branch .LBB164_671
.LBB164_667:
	s_mov_b64 s[0:1], -1
                                        ; implicit-def: $vgpr3
.LBB164_668:
	s_andn2_b64 vcc, exec, s[0:1]
	s_cbranch_vccnz .LBB164_670
; %bb.669:
	global_load_ushort v3, v[1:2], off
	s_movk_i32 s0, 0x7fff
	s_waitcnt vmcnt(0)
	v_cvt_f32_u32_e32 v3, v3
	v_bfe_u32 v4, v3, 16, 1
	v_add3_u32 v3, v3, v4, s0
	v_lshrrev_b32_e32 v3, 16, v3
.LBB164_670:
	s_mov_b64 s[0:1], 0
.LBB164_671:
	s_andn2_b64 vcc, exec, s[0:1]
	s_cbranch_vccnz .LBB164_679
; %bb.672:
	global_load_ubyte v3, v[1:2], off
	s_movk_i32 s0, 0x7f
	s_waitcnt vmcnt(0)
	v_cmp_lt_i16_e32 vcc, s0, v3
	s_mov_b64 s[0:1], 0
	s_and_saveexec_b64 s[2:3], vcc
	s_xor_b64 s[2:3], exec, s[2:3]
	s_cbranch_execz .LBB164_693
; %bb.673:
	s_movk_i32 s0, 0x80
	v_cmp_eq_u16_e32 vcc, s0, v3
	s_mov_b64 s[0:1], -1
	s_and_saveexec_b64 s[10:11], vcc
; %bb.674:
	s_xor_b64 s[0:1], exec, -1
; %bb.675:
	s_or_b64 exec, exec, s[10:11]
	s_and_b64 s[0:1], s[0:1], exec
	s_or_saveexec_b64 s[2:3], s[2:3]
	v_mov_b32_e32 v4, 0x7f800001
	s_xor_b64 exec, exec, s[2:3]
	s_cbranch_execnz .LBB164_694
.LBB164_676:
	s_or_b64 exec, exec, s[2:3]
	s_and_saveexec_b64 s[2:3], s[0:1]
	s_cbranch_execz .LBB164_678
.LBB164_677:
	v_lshlrev_b32_e32 v4, 24, v3
	v_and_b32_e32 v3, 0xffff, v3
	v_and_b32_e32 v5, 7, v3
	v_ffbh_u32_e32 v7, v5
	v_min_u32_e32 v7, 32, v7
	v_subrev_u32_e32 v9, 28, v7
	v_bfe_u32 v6, v3, 3, 4
	v_lshlrev_b32_e32 v3, v9, v3
	v_sub_u32_e32 v7, 29, v7
	v_and_b32_e32 v3, 7, v3
	v_cmp_eq_u32_e32 vcc, 0, v6
	v_cndmask_b32_e32 v6, v6, v7, vcc
	v_cndmask_b32_e32 v3, v5, v3, vcc
	v_mov_b32_e32 v5, 0x3b800000
	v_lshlrev_b32_e32 v3, 20, v3
	v_and_b32_e32 v4, 0x80000000, v4
	v_lshl_add_u32 v5, v6, 23, v5
	v_or3_b32 v4, v4, v5, v3
.LBB164_678:
	s_or_b64 exec, exec, s[2:3]
	v_bfe_u32 v3, v4, 16, 1
	s_movk_i32 s0, 0x7fff
	v_add3_u32 v3, v4, v3, s0
	v_cmp_o_f32_e32 vcc, v4, v4
	v_mov_b32_e32 v4, 0x7fc0
	v_cndmask_b32_sdwa v3, v4, v3, vcc dst_sel:DWORD dst_unused:UNUSED_PAD src0_sel:DWORD src1_sel:WORD_1
.LBB164_679:
	s_mov_b64 s[0:1], -1
.LBB164_680:
	s_mov_b64 s[2:3], 0
.LBB164_681:
	s_and_b64 vcc, exec, s[2:3]
	s_cbranch_vccz .LBB164_716
; %bb.682:
	s_cmp_gt_i32 s12, 22
	s_cbranch_scc0 .LBB164_692
; %bb.683:
	s_cmp_lt_i32 s12, 24
	s_cbranch_scc1 .LBB164_695
; %bb.684:
	s_cmp_gt_i32 s12, 24
	s_cbranch_scc0 .LBB164_696
; %bb.685:
	global_load_ubyte v3, v[1:2], off
	s_movk_i32 s0, 0x7f
	s_waitcnt vmcnt(0)
	v_cmp_lt_i16_e32 vcc, s0, v3
	s_mov_b64 s[0:1], 0
	s_and_saveexec_b64 s[2:3], vcc
	s_xor_b64 s[2:3], exec, s[2:3]
	s_cbranch_execz .LBB164_708
; %bb.686:
	s_movk_i32 s0, 0x80
	v_cmp_eq_u16_e32 vcc, s0, v3
	s_mov_b64 s[0:1], -1
	s_and_saveexec_b64 s[10:11], vcc
; %bb.687:
	s_xor_b64 s[0:1], exec, -1
; %bb.688:
	s_or_b64 exec, exec, s[10:11]
	s_and_b64 s[0:1], s[0:1], exec
	s_or_saveexec_b64 s[2:3], s[2:3]
	v_mov_b32_e32 v4, 0x7f800001
	s_xor_b64 exec, exec, s[2:3]
	s_cbranch_execnz .LBB164_709
.LBB164_689:
	s_or_b64 exec, exec, s[2:3]
	s_and_saveexec_b64 s[2:3], s[0:1]
	s_cbranch_execz .LBB164_691
.LBB164_690:
	v_lshlrev_b32_e32 v4, 24, v3
	v_and_b32_e32 v3, 0xffff, v3
	v_and_b32_e32 v5, 3, v3
	v_ffbh_u32_e32 v7, v5
	v_min_u32_e32 v7, 32, v7
	v_subrev_u32_e32 v9, 29, v7
	v_bfe_u32 v6, v3, 2, 5
	v_lshlrev_b32_e32 v3, v9, v3
	v_sub_u32_e32 v7, 30, v7
	v_and_b32_e32 v3, 3, v3
	v_cmp_eq_u32_e32 vcc, 0, v6
	v_cndmask_b32_e32 v6, v6, v7, vcc
	v_cndmask_b32_e32 v3, v5, v3, vcc
	v_mov_b32_e32 v5, 0x37800000
	v_lshlrev_b32_e32 v3, 21, v3
	v_and_b32_e32 v4, 0x80000000, v4
	v_lshl_add_u32 v5, v6, 23, v5
	v_or3_b32 v4, v4, v5, v3
.LBB164_691:
	s_or_b64 exec, exec, s[2:3]
	v_bfe_u32 v3, v4, 16, 1
	s_movk_i32 s0, 0x7fff
	v_add3_u32 v3, v4, v3, s0
	v_cmp_o_f32_e32 vcc, v4, v4
	v_mov_b32_e32 v4, 0x7fc0
	v_cndmask_b32_sdwa v3, v4, v3, vcc dst_sel:DWORD dst_unused:UNUSED_PAD src0_sel:DWORD src1_sel:WORD_1
	s_mov_b64 s[0:1], 0
	s_branch .LBB164_697
.LBB164_692:
	s_mov_b64 s[2:3], -1
                                        ; implicit-def: $vgpr3
	s_branch .LBB164_703
.LBB164_693:
	s_or_saveexec_b64 s[2:3], s[2:3]
	v_mov_b32_e32 v4, 0x7f800001
	s_xor_b64 exec, exec, s[2:3]
	s_cbranch_execz .LBB164_676
.LBB164_694:
	v_cmp_ne_u16_e32 vcc, 0, v3
	s_andn2_b64 s[0:1], s[0:1], exec
	s_and_b64 s[10:11], vcc, exec
	v_mov_b32_e32 v4, 0
	s_or_b64 s[0:1], s[0:1], s[10:11]
	s_or_b64 exec, exec, s[2:3]
	s_and_saveexec_b64 s[2:3], s[0:1]
	s_cbranch_execnz .LBB164_677
	s_branch .LBB164_678
.LBB164_695:
	s_mov_b64 s[0:1], -1
                                        ; implicit-def: $vgpr3
	s_branch .LBB164_700
.LBB164_696:
	s_mov_b64 s[0:1], -1
                                        ; implicit-def: $vgpr3
.LBB164_697:
	s_and_b64 vcc, exec, s[0:1]
	s_cbranch_vccz .LBB164_699
; %bb.698:
	global_load_ubyte v3, v[1:2], off
	s_mov_b32 s0, 0x7f800000
	s_brev_b32 s1, 1
	s_movk_i32 s2, 0x7fff
	s_waitcnt vmcnt(0)
	v_lshlrev_b32_e32 v3, 24, v3
	v_and_b32_e32 v4, 0x7f000000, v3
	v_ffbh_u32_e32 v5, v4
	v_min_u32_e32 v5, 32, v5
	v_sub_u32_e64 v5, v5, 4 clamp
	v_lshlrev_b32_e32 v7, v5, v4
	v_lshlrev_b32_e32 v5, 23, v5
	v_lshrrev_b32_e32 v7, 4, v7
	v_add_u32_e32 v6, 0x1000000, v4
	v_sub_u32_e32 v5, v7, v5
	v_ashrrev_i32_e32 v6, 8, v6
	v_add_u32_e32 v5, 0x3c000000, v5
	v_and_or_b32 v5, v6, s0, v5
	v_cmp_ne_u32_e32 vcc, 0, v4
	v_cndmask_b32_e32 v4, 0, v5, vcc
	v_and_or_b32 v3, v3, s1, v4
	v_bfe_u32 v4, v4, 16, 1
	v_add3_u32 v4, v3, v4, s2
	v_cmp_o_f32_e32 vcc, v3, v3
	v_mov_b32_e32 v3, 0x7fc0
	v_cndmask_b32_sdwa v3, v3, v4, vcc dst_sel:DWORD dst_unused:UNUSED_PAD src0_sel:DWORD src1_sel:WORD_1
.LBB164_699:
	s_mov_b64 s[0:1], 0
.LBB164_700:
	s_andn2_b64 vcc, exec, s[0:1]
	s_cbranch_vccnz .LBB164_702
; %bb.701:
	global_load_ubyte v3, v[1:2], off
	s_movk_i32 s0, 0x7f00
	s_brev_b32 s1, 16
	s_brev_b32 s2, 1
	s_movk_i32 s3, 0x7fff
	s_waitcnt vmcnt(0)
	v_lshlrev_b16_e32 v4, 8, v3
	v_lshlrev_b32_e32 v3, 25, v3
	v_lshrrev_b32_e32 v5, 4, v3
	v_and_or_b32 v6, v4, s0, 0.5
	v_or_b32_e32 v5, 0x70000000, v5
	v_add_f32_e32 v6, -0.5, v6
	v_mul_f32_e32 v5, 0x7800000, v5
	v_cmp_gt_u32_e32 vcc, s1, v3
	v_bfe_i32 v4, v4, 0, 16
	v_cndmask_b32_e32 v3, v5, v6, vcc
	v_and_or_b32 v4, v4, s2, v3
	v_bfe_u32 v3, v3, 16, 1
	v_add3_u32 v3, v4, v3, s3
	v_cmp_o_f32_e32 vcc, v4, v4
	v_mov_b32_e32 v4, 0x7fc0
	v_cndmask_b32_sdwa v3, v4, v3, vcc dst_sel:DWORD dst_unused:UNUSED_PAD src0_sel:DWORD src1_sel:WORD_1
.LBB164_702:
	s_mov_b64 s[2:3], 0
	s_mov_b64 s[0:1], -1
.LBB164_703:
	s_andn2_b64 vcc, exec, s[2:3]
	s_cbranch_vccnz .LBB164_716
; %bb.704:
	s_cmp_gt_i32 s12, 14
	s_cbranch_scc0 .LBB164_707
; %bb.705:
	s_cmp_eq_u32 s12, 15
	s_cbranch_scc0 .LBB164_710
; %bb.706:
	global_load_ushort v3, v[1:2], off
	s_mov_b64 s[0:1], -1
	s_mov_b64 s[8:9], 0
	s_branch .LBB164_711
.LBB164_707:
	s_mov_b64 s[2:3], -1
                                        ; implicit-def: $vgpr3
	s_branch .LBB164_712
.LBB164_708:
	s_or_saveexec_b64 s[2:3], s[2:3]
	v_mov_b32_e32 v4, 0x7f800001
	s_xor_b64 exec, exec, s[2:3]
	s_cbranch_execz .LBB164_689
.LBB164_709:
	v_cmp_ne_u16_e32 vcc, 0, v3
	s_andn2_b64 s[0:1], s[0:1], exec
	s_and_b64 s[10:11], vcc, exec
	v_mov_b32_e32 v4, 0
	s_or_b64 s[0:1], s[0:1], s[10:11]
	s_or_b64 exec, exec, s[2:3]
	s_and_saveexec_b64 s[2:3], s[0:1]
	s_cbranch_execnz .LBB164_690
	s_branch .LBB164_691
.LBB164_710:
	s_mov_b64 s[8:9], -1
                                        ; implicit-def: $vgpr3
.LBB164_711:
	s_mov_b64 s[2:3], 0
.LBB164_712:
	s_and_b64 vcc, exec, s[2:3]
	s_cbranch_vccz .LBB164_716
; %bb.713:
	s_cmp_eq_u32 s12, 11
	s_cbranch_scc0 .LBB164_715
; %bb.714:
	global_load_ubyte v3, v[1:2], off
	s_mov_b64 s[0:1], -1
	s_mov_b64 s[8:9], 0
	s_waitcnt vmcnt(0)
	v_cmp_ne_u16_e32 vcc, 0, v3
	v_cndmask_b32_e64 v3, 0, 1.0, vcc
	v_lshrrev_b32_e32 v3, 16, v3
	s_branch .LBB164_716
.LBB164_715:
	s_mov_b64 s[8:9], -1
                                        ; implicit-def: $vgpr3
.LBB164_716:
	s_mov_b64 s[2:3], 0
.LBB164_717:
	s_and_b64 vcc, exec, s[2:3]
	s_cbranch_vccz .LBB164_766
; %bb.718:
	s_cmp_lt_i32 s12, 5
	s_cbranch_scc1 .LBB164_723
; %bb.719:
	s_cmp_lt_i32 s12, 8
	s_cbranch_scc1 .LBB164_724
	;; [unrolled: 3-line block ×3, first 2 shown]
; %bb.721:
	s_cmp_gt_i32 s12, 9
	s_cbranch_scc0 .LBB164_726
; %bb.722:
	global_load_dwordx2 v[3:4], v[1:2], off
	s_movk_i32 s0, 0x7fff
	s_waitcnt vmcnt(0)
	v_cvt_f32_f64_e32 v3, v[3:4]
	v_mov_b32_e32 v4, 0x7fc0
	v_bfe_u32 v5, v3, 16, 1
	v_cmp_o_f32_e32 vcc, v3, v3
	v_add3_u32 v3, v3, v5, s0
	v_cndmask_b32_sdwa v3, v4, v3, vcc dst_sel:DWORD dst_unused:UNUSED_PAD src0_sel:DWORD src1_sel:WORD_1
	s_mov_b64 s[0:1], 0
	s_branch .LBB164_727
.LBB164_723:
	s_mov_b64 s[0:1], -1
                                        ; implicit-def: $vgpr3
	s_branch .LBB164_745
.LBB164_724:
	s_mov_b64 s[0:1], -1
                                        ; implicit-def: $vgpr3
	s_branch .LBB164_733
.LBB164_725:
	s_mov_b64 s[0:1], -1
                                        ; implicit-def: $vgpr3
	s_branch .LBB164_730
.LBB164_726:
	s_mov_b64 s[0:1], -1
                                        ; implicit-def: $vgpr3
.LBB164_727:
	s_andn2_b64 vcc, exec, s[0:1]
	s_cbranch_vccnz .LBB164_729
; %bb.728:
	global_load_dword v3, v[1:2], off
	s_movk_i32 s0, 0x7fff
	v_mov_b32_e32 v4, 0x7fc0
	s_waitcnt vmcnt(0)
	v_bfe_u32 v5, v3, 16, 1
	v_cmp_o_f32_e32 vcc, v3, v3
	v_add3_u32 v3, v3, v5, s0
	v_cndmask_b32_sdwa v3, v4, v3, vcc dst_sel:DWORD dst_unused:UNUSED_PAD src0_sel:DWORD src1_sel:WORD_1
.LBB164_729:
	s_mov_b64 s[0:1], 0
.LBB164_730:
	s_andn2_b64 vcc, exec, s[0:1]
	s_cbranch_vccnz .LBB164_732
; %bb.731:
	global_load_dword v3, v[1:2], off
	s_movk_i32 s0, 0x7fff
	v_mov_b32_e32 v5, 0x7fc0
	s_waitcnt vmcnt(0)
	v_cvt_f32_f16_e32 v4, v3
	v_cmp_o_f16_e32 vcc, v3, v3
	v_bfe_u32 v3, v4, 16, 1
	v_add3_u32 v3, v4, v3, s0
	v_cndmask_b32_sdwa v3, v5, v3, vcc dst_sel:DWORD dst_unused:UNUSED_PAD src0_sel:DWORD src1_sel:WORD_1
.LBB164_732:
	s_mov_b64 s[0:1], 0
.LBB164_733:
	s_andn2_b64 vcc, exec, s[0:1]
	s_cbranch_vccnz .LBB164_744
; %bb.734:
	s_cmp_lt_i32 s12, 6
	s_cbranch_scc1 .LBB164_737
; %bb.735:
	s_cmp_gt_i32 s12, 6
	s_cbranch_scc0 .LBB164_738
; %bb.736:
	global_load_dwordx2 v[3:4], v[1:2], off
	s_movk_i32 s0, 0x7fff
	s_waitcnt vmcnt(0)
	v_cvt_f32_f64_e32 v3, v[3:4]
	v_mov_b32_e32 v4, 0x7fc0
	v_bfe_u32 v5, v3, 16, 1
	v_cmp_o_f32_e32 vcc, v3, v3
	v_add3_u32 v3, v3, v5, s0
	v_cndmask_b32_sdwa v3, v4, v3, vcc dst_sel:DWORD dst_unused:UNUSED_PAD src0_sel:DWORD src1_sel:WORD_1
	s_mov_b64 s[0:1], 0
	s_branch .LBB164_739
.LBB164_737:
	s_mov_b64 s[0:1], -1
                                        ; implicit-def: $vgpr3
	s_branch .LBB164_742
.LBB164_738:
	s_mov_b64 s[0:1], -1
                                        ; implicit-def: $vgpr3
.LBB164_739:
	s_andn2_b64 vcc, exec, s[0:1]
	s_cbranch_vccnz .LBB164_741
; %bb.740:
	global_load_dword v3, v[1:2], off
	s_movk_i32 s0, 0x7fff
	v_mov_b32_e32 v4, 0x7fc0
	s_waitcnt vmcnt(0)
	v_bfe_u32 v5, v3, 16, 1
	v_cmp_o_f32_e32 vcc, v3, v3
	v_add3_u32 v3, v3, v5, s0
	v_cndmask_b32_sdwa v3, v4, v3, vcc dst_sel:DWORD dst_unused:UNUSED_PAD src0_sel:DWORD src1_sel:WORD_1
.LBB164_741:
	s_mov_b64 s[0:1], 0
.LBB164_742:
	s_andn2_b64 vcc, exec, s[0:1]
	s_cbranch_vccnz .LBB164_744
; %bb.743:
	global_load_ushort v3, v[1:2], off
	s_movk_i32 s0, 0x7fff
	v_mov_b32_e32 v5, 0x7fc0
	s_waitcnt vmcnt(0)
	v_cvt_f32_f16_e32 v4, v3
	v_cmp_o_f16_e32 vcc, v3, v3
	v_bfe_u32 v3, v4, 16, 1
	v_add3_u32 v3, v4, v3, s0
	v_cndmask_b32_sdwa v3, v5, v3, vcc dst_sel:DWORD dst_unused:UNUSED_PAD src0_sel:DWORD src1_sel:WORD_1
.LBB164_744:
	s_mov_b64 s[0:1], 0
.LBB164_745:
	s_andn2_b64 vcc, exec, s[0:1]
	s_cbranch_vccnz .LBB164_765
; %bb.746:
	s_cmp_lt_i32 s12, 2
	s_cbranch_scc1 .LBB164_750
; %bb.747:
	s_cmp_lt_i32 s12, 3
	s_cbranch_scc1 .LBB164_751
; %bb.748:
	s_cmp_gt_i32 s12, 3
	s_cbranch_scc0 .LBB164_752
; %bb.749:
	global_load_dwordx2 v[3:4], v[1:2], off
	s_movk_i32 s0, 0x7fff
	s_waitcnt vmcnt(0)
	v_xor_b32_e32 v6, v3, v4
	v_ffbh_i32_e32 v5, v4
	v_ashrrev_i32_e32 v6, 31, v6
	v_add_u32_e32 v5, -1, v5
	v_add_u32_e32 v6, 32, v6
	v_min_u32_e32 v5, v5, v6
	v_lshlrev_b64 v[3:4], v5, v[3:4]
	v_min_u32_e32 v3, 1, v3
	v_or_b32_e32 v3, v4, v3
	v_cvt_f32_i32_e32 v3, v3
	v_sub_u32_e32 v4, 32, v5
	v_ldexp_f32 v3, v3, v4
	v_bfe_u32 v4, v3, 16, 1
	v_add3_u32 v3, v3, v4, s0
	v_lshrrev_b32_e32 v3, 16, v3
	s_mov_b64 s[0:1], 0
	s_branch .LBB164_753
.LBB164_750:
	s_mov_b64 s[0:1], -1
                                        ; implicit-def: $vgpr3
	s_branch .LBB164_759
.LBB164_751:
	s_mov_b64 s[0:1], -1
                                        ; implicit-def: $vgpr3
	s_branch .LBB164_756
.LBB164_752:
	s_mov_b64 s[0:1], -1
                                        ; implicit-def: $vgpr3
.LBB164_753:
	s_andn2_b64 vcc, exec, s[0:1]
	s_cbranch_vccnz .LBB164_755
; %bb.754:
	global_load_dword v3, v[1:2], off
	s_movk_i32 s0, 0x7fff
	s_waitcnt vmcnt(0)
	v_cvt_f32_i32_e32 v3, v3
	v_bfe_u32 v4, v3, 16, 1
	v_add3_u32 v3, v3, v4, s0
	v_lshrrev_b32_e32 v3, 16, v3
.LBB164_755:
	s_mov_b64 s[0:1], 0
.LBB164_756:
	s_andn2_b64 vcc, exec, s[0:1]
	s_cbranch_vccnz .LBB164_758
; %bb.757:
	global_load_sshort v3, v[1:2], off
	s_movk_i32 s0, 0x7fff
	s_waitcnt vmcnt(0)
	v_cvt_f32_i32_e32 v3, v3
	v_bfe_u32 v4, v3, 16, 1
	v_add3_u32 v3, v3, v4, s0
	v_lshrrev_b32_e32 v3, 16, v3
.LBB164_758:
	s_mov_b64 s[0:1], 0
.LBB164_759:
	s_andn2_b64 vcc, exec, s[0:1]
	s_cbranch_vccnz .LBB164_765
; %bb.760:
	s_cmp_gt_i32 s12, 0
	s_cbranch_scc0 .LBB164_762
; %bb.761:
	global_load_sbyte v3, v[1:2], off
	s_movk_i32 s0, 0x7fff
	s_waitcnt vmcnt(0)
	v_cvt_f32_i32_e32 v3, v3
	v_bfe_u32 v4, v3, 16, 1
	v_add3_u32 v3, v3, v4, s0
	v_lshrrev_b32_e32 v3, 16, v3
	s_mov_b64 s[0:1], 0
	s_branch .LBB164_763
.LBB164_762:
	s_mov_b64 s[0:1], -1
                                        ; implicit-def: $vgpr3
.LBB164_763:
	s_andn2_b64 vcc, exec, s[0:1]
	s_cbranch_vccnz .LBB164_765
; %bb.764:
	global_load_ubyte v1, v[1:2], off
	s_movk_i32 s0, 0x7fff
	s_waitcnt vmcnt(0)
	v_cvt_f32_ubyte0_e32 v1, v1
	v_bfe_u32 v2, v1, 16, 1
	v_add3_u32 v1, v1, v2, s0
	v_lshrrev_b32_e32 v3, 16, v1
.LBB164_765:
	s_mov_b64 s[0:1], -1
.LBB164_766:
	s_andn2_b64 vcc, exec, s[0:1]
	s_cbranch_vccnz .LBB164_812
; %bb.767:
	s_waitcnt vmcnt(0)
	v_lshlrev_b32_e32 v1, 16, v3
	s_mov_b32 s0, 0x3c800000
	v_and_b32_e32 v2, 0x7fffffff, v1
	v_cmp_nlt_f32_e64 s[0:1], |v1|, s0
                                        ; implicit-def: $vgpr3
	s_and_saveexec_b64 s[2:3], s[0:1]
	s_xor_b64 s[2:3], exec, s[2:3]
	s_cbranch_execz .LBB164_797
; %bb.768:
	v_cmp_nlt_f32_e64 s[0:1], |v1|, 2.0
                                        ; implicit-def: $vgpr3
	s_and_saveexec_b64 s[10:11], s[0:1]
	s_xor_b64 s[10:11], exec, s[10:11]
	s_cbranch_execz .LBB164_778
; %bb.769:
	s_mov_b32 s0, 0x41000000
	v_cmp_nlt_f32_e64 s[0:1], |v1|, s0
                                        ; implicit-def: $vgpr3
	s_and_saveexec_b64 s[12:13], s[0:1]
	s_xor_b64 s[12:13], exec, s[12:13]
	s_cbranch_execz .LBB164_775
; %bb.770:
	s_mov_b32 s0, 0x5c800000
	v_cmp_nlt_f32_e64 s[0:1], |v1|, s0
                                        ; implicit-def: $vgpr3
	s_and_saveexec_b64 s[14:15], s[0:1]
	s_xor_b64 s[14:15], exec, s[14:15]
	s_cbranch_execz .LBB164_772
; %bb.771:
	s_mov_b32 s0, 0x800000
	v_cmp_lt_f32_e64 vcc, |v1|, s0
	v_cndmask_b32_e64 v3, 0, 32, vcc
	v_ldexp_f32 v3, |v1|, v3
	v_log_f32_e32 v3, v3
	s_mov_b32 s0, 0x3f317217
	s_mov_b32 s1, 0x7f800000
	v_mul_f32_e32 v4, 0x3f317217, v3
	v_fma_f32 v5, v3, s0, -v4
	v_fmac_f32_e32 v5, 0x3377d1cf, v3
	v_add_f32_e32 v4, v4, v5
	v_cmp_lt_f32_e64 s[0:1], |v3|, s1
	v_cndmask_b32_e64 v3, v3, v4, s[0:1]
	v_mov_b32_e32 v4, 0x41b17218
	v_cndmask_b32_e32 v4, 0, v4, vcc
	v_sub_f32_e32 v3, v3, v4
	v_fma_f32 v3, |v1|, v3, -|v1|
.LBB164_772:
	s_andn2_saveexec_b64 s[14:15], s[14:15]
	s_cbranch_execz .LBB164_774
; %bb.773:
	v_rcp_f32_e64 v4, |v1|
	v_mov_b32_e32 v3, 0x3a5b3dd2
	v_mov_b32_e32 v5, 0xba1c065c
	;; [unrolled: 1-line block ×3, first 2 shown]
	v_mul_f32_e32 v7, v4, v4
	v_fmac_f32_e32 v3, 0xbad5c4e8, v7
	v_fmac_f32_e32 v5, v7, v3
	s_mov_b32 s0, 0x800000
	v_fmac_f32_e32 v6, v7, v5
	v_mov_b32_e32 v3, 0xbb360b61
	v_cmp_lt_f32_e64 vcc, |v1|, s0
	v_fmac_f32_e32 v3, v7, v6
	v_cndmask_b32_e64 v6, 0, 32, vcc
	v_ldexp_f32 v6, |v1|, v6
	v_log_f32_e32 v6, v6
	v_mov_b32_e32 v5, 0x3daaaaab
	v_fmac_f32_e32 v5, v7, v3
	v_mov_b32_e32 v3, 0x3ed67f1d
	v_fmac_f32_e32 v3, v4, v5
	s_mov_b32 s0, 0x3f317217
	v_mul_f32_e32 v5, 0x3f317217, v6
	v_fma_f32 v7, v6, s0, -v5
	v_fmac_f32_e32 v7, 0x3377d1cf, v6
	s_mov_b32 s0, 0x7f800000
	v_add_f32_e32 v5, v5, v7
	v_cmp_lt_f32_e64 s[0:1], |v6|, s0
	v_cndmask_b32_e64 v5, v6, v5, s[0:1]
	v_mov_b32_e32 v6, 0x41b17218
	v_cndmask_b32_e32 v6, 0, v6, vcc
	v_sub_f32_e32 v5, v5, v6
	v_add_f32_e64 v4, |v1|, -0.5
	v_add_f32_e32 v5, -1.0, v5
	v_fmac_f32_e32 v3, v4, v5
.LBB164_774:
	s_or_b64 exec, exec, s[14:15]
.LBB164_775:
	s_andn2_saveexec_b64 s[12:13], s[12:13]
	s_cbranch_execz .LBB164_777
; %bb.776:
	v_cvt_i32_f32_e32 v3, v2
	v_mov_b32_e32 v4, 0x3af135b4
	v_mov_b32_e32 v5, 0x3cda40e4
	;; [unrolled: 1-line block ×3, first 2 shown]
	v_cvt_f32_i32_e32 v7, v3
	v_mov_b32_e32 v9, 0x3ea6cc7a
	v_mov_b32_e32 v10, 0x3e5c245a
	v_cmp_lt_i32_e32 vcc, 2, v3
	v_sub_f32_e64 v7, |v1|, v7
	v_fmac_f32_e32 v4, 0x3805ff67, v7
	v_fmac_f32_e32 v5, v7, v4
	;; [unrolled: 1-line block ×3, first 2 shown]
	v_mov_b32_e32 v5, 0x3a4beed6
	v_fmac_f32_e32 v9, v7, v6
	v_fmac_f32_e32 v5, 0x36f5d7bd, v7
	v_mov_b32_e32 v6, 0x3c98bf54
	v_fmac_f32_e32 v6, v7, v5
	v_mov_b32_e32 v5, 0x3e300f6e
	;; [unrolled: 2-line block ×4, first 2 shown]
	v_fmac_f32_e32 v5, v7, v6
	v_add_f32_e32 v6, 2.0, v7
	v_mov_b32_e32 v11, 0xbd9e233f
	v_fmac_f32_e32 v10, v7, v9
	v_add_f32_e32 v9, 0x40400000, v7
	v_cndmask_b32_e32 v6, 1.0, v6, vcc
	v_cmp_lt_i32_e32 vcc, 3, v3
	v_fmac_f32_e32 v11, v7, v10
	v_add_f32_e32 v10, 4.0, v7
	v_cndmask_b32_e32 v9, 1.0, v9, vcc
	v_cmp_lt_i32_e32 vcc, 4, v3
	v_mul_f32_e32 v4, v7, v11
	v_add_f32_e32 v11, 0x40a00000, v7
	v_mul_f32_e32 v6, v6, v9
	v_cndmask_b32_e32 v9, 1.0, v10, vcc
	v_cmp_lt_i32_e32 vcc, 5, v3
	v_add_f32_e32 v12, 0x40c00000, v7
	v_mul_f32_e32 v6, v9, v6
	v_cndmask_b32_e32 v9, 1.0, v11, vcc
	v_cmp_lt_i32_e32 vcc, 6, v3
	v_mul_f32_e32 v6, v9, v6
	v_cndmask_b32_e32 v3, 1.0, v12, vcc
	v_mul_f32_e32 v3, v3, v6
	s_mov_b32 s0, 0x800000
	v_cmp_gt_f32_e32 vcc, s0, v3
	v_cndmask_b32_e64 v6, 0, 32, vcc
	v_fma_f32 v5, v7, v5, 1.0
	v_ldexp_f32 v3, v3, v6
	v_rcp_f32_e32 v5, v5
	v_log_f32_e32 v3, v3
	s_mov_b32 s0, 0x3f317217
	v_mul_f32_e32 v4, v4, v5
	v_mul_f32_e32 v5, 0x3f317217, v3
	v_fma_f32 v6, v3, s0, -v5
	v_fmac_f32_e32 v6, 0x3377d1cf, v3
	s_mov_b32 s0, 0x7f800000
	v_add_f32_e32 v5, v5, v6
	v_cmp_lt_f32_e64 s[0:1], |v3|, s0
	v_cndmask_b32_e64 v3, v3, v5, s[0:1]
	v_mov_b32_e32 v5, 0x41b17218
	v_cndmask_b32_e32 v5, 0, v5, vcc
	v_fmac_f32_e32 v4, 0.5, v7
	v_sub_f32_e32 v3, v3, v5
	v_add_f32_e32 v3, v3, v4
.LBB164_777:
	s_or_b64 exec, exec, s[12:13]
.LBB164_778:
	s_andn2_saveexec_b64 s[10:11], s[10:11]
	s_cbranch_execz .LBB164_796
; %bb.779:
	s_mov_b32 s0, 0x3f666666
	v_cmp_le_f32_e64 s[0:1], |v1|, s0
                                        ; implicit-def: $vgpr3
                                        ; implicit-def: $vgpr5
                                        ; implicit-def: $vgpr4
	s_and_saveexec_b64 s[12:13], s[0:1]
	s_xor_b64 s[12:13], exec, s[12:13]
	s_cbranch_execz .LBB164_781
; %bb.780:
	s_mov_b32 s0, 0x800000
	v_cmp_lt_f32_e64 vcc, |v1|, s0
	v_cndmask_b32_e64 v3, 0, 32, vcc
	v_ldexp_f32 v3, |v1|, v3
	v_log_f32_e32 v3, v3
	s_mov_b32 s0, 0x3f317217
	s_mov_b32 s1, 0x7f800000
	v_mul_f32_e32 v4, 0x3f317217, v3
	v_fma_f32 v5, v3, s0, -v4
	v_fmac_f32_e32 v5, 0x3377d1cf, v3
	v_add_f32_e32 v4, v4, v5
	v_cmp_lt_f32_e64 s[0:1], |v3|, s1
	v_cndmask_b32_e64 v3, v3, v4, s[0:1]
	v_mov_b32_e32 v4, 0x41b17218
	v_cndmask_b32_e32 v4, 0, v4, vcc
	s_mov_b32 s0, 0x3f3b4a23
	s_mov_b32 s1, 0xbeec5b0c
	v_sub_f32_e32 v3, v3, v4
	v_sub_f32_e64 v4, 1.0, |v1|
	v_add_f32_e64 v5, |v1|, s1
	v_cmp_lt_f32_e64 vcc, |v1|, s0
	s_mov_b32 s0, 0x3e6d3309
	v_cndmask_b32_e32 v4, v4, v5, vcc
	v_cndmask_b32_e64 v5, 0, 1, vcc
	v_cmp_lt_f32_e64 s[0:1], |v1|, s0
	v_xor_b32_e32 v3, 0x80000000, v3
	v_cndmask_b32_e64 v4, v4, |v1|, s[0:1]
	v_cndmask_b32_e64 v5, v5, 2, s[0:1]
.LBB164_781:
	s_andn2_saveexec_b64 s[0:1], s[12:13]
	s_cbranch_execz .LBB164_783
; %bb.782:
	s_mov_b32 s12, 0x3fdda512
	s_mov_b32 s13, 0xbfbb16c3
	v_sub_f32_e64 v3, 2.0, |v1|
	v_add_f32_e64 v4, |v1|, s13
	v_cmp_lt_f32_e64 vcc, |v1|, s12
	v_cndmask_b32_e32 v4, v3, v4, vcc
	v_cndmask_b32_e64 v3, v3, 1.0, vcc
	v_cvt_i32_f32_e32 v3, v3
	s_mov_b32 s12, 0x3f9d70a4
	v_add_f32_e64 v5, |v1|, -1.0
	v_cmp_lt_f32_e64 vcc, |v1|, s12
	v_cndmask_b32_e32 v4, v4, v5, vcc
	v_cndmask_b32_e64 v5, v3, 2, vcc
	v_mov_b32_e32 v3, 0
.LBB164_783:
	s_or_b64 exec, exec, s[0:1]
	v_cmp_lt_i32_e32 vcc, 0, v5
	s_and_saveexec_b64 s[0:1], vcc
	s_xor_b64 s[0:1], exec, s[0:1]
	s_cbranch_execz .LBB164_791
; %bb.784:
	v_cmp_lt_i32_e32 vcc, 1, v5
	s_and_saveexec_b64 s[12:13], vcc
	s_xor_b64 s[12:13], exec, s[12:13]
	s_cbranch_execz .LBB164_788
; %bb.785:
	v_cmp_eq_u32_e32 vcc, 2, v5
	s_and_saveexec_b64 s[14:15], vcc
	s_cbranch_execz .LBB164_787
; %bb.786:
	v_mov_b32_e32 v5, 0x3e6a7578
	v_fmac_f32_e32 v5, 0x3c5b3c5e, v4
	v_mov_b32_e32 v6, 0x3f7a4bb2
	v_fmac_f32_e32 v6, v4, v5
	;; [unrolled: 2-line block ×8, first 2 shown]
	v_fma_f32 v5, v4, v7, 1.0
	v_rcp_f32_e32 v5, v5
	v_mov_b32_e32 v7, 0xbd9e233f
	v_fmac_f32_e32 v7, v4, v6
	v_mul_f32_e32 v6, v4, v7
	v_mul_f32_e32 v5, v6, v5
	v_fmac_f32_e32 v5, -0.5, v4
	v_add_f32_e32 v3, v3, v5
.LBB164_787:
	s_or_b64 exec, exec, s[14:15]
                                        ; implicit-def: $vgpr4
.LBB164_788:
	s_andn2_saveexec_b64 s[12:13], s[12:13]
	s_cbranch_execz .LBB164_790
; %bb.789:
	v_mul_f32_e32 v5, v4, v4
	v_mul_f32_e32 v6, v4, v5
	v_mov_b32_e32 v7, 0xbab7f476
	v_fmac_f32_e32 v7, 0x39a57b6b, v6
	v_mov_b32_e32 v9, 0x3bc7e707
	v_fmac_f32_e32 v9, v6, v7
	;; [unrolled: 2-line block ×12, first 2 shown]
	v_fmac_f32_e32 v10, v4, v11
	s_mov_b32 s14, 0xa2863e55
	v_fma_f32 v4, v6, -v10, s14
	v_fma_f32 v4, v5, v9, -v4
	v_add_f32_e32 v4, 0xbdf8cdce, v4
	v_add_f32_e32 v3, v3, v4
.LBB164_790:
	s_or_b64 exec, exec, s[12:13]
                                        ; implicit-def: $vgpr5
                                        ; implicit-def: $vgpr4
.LBB164_791:
	s_andn2_saveexec_b64 s[0:1], s[0:1]
	s_cbranch_execz .LBB164_795
; %bb.792:
	v_cmp_eq_u32_e32 vcc, 0, v5
	s_and_saveexec_b64 s[12:13], vcc
	s_cbranch_execz .LBB164_794
; %bb.793:
	v_mul_f32_e32 v5, v4, v4
	v_mov_b32_e32 v6, 0x39679767
	v_fmac_f32_e32 v6, 0x37d383a2, v5
	v_mov_b32_e32 v7, 0x3a9c54a1
	v_fmac_f32_e32 v7, v5, v6
	;; [unrolled: 2-line block ×10, first 2 shown]
	v_mul_f32_e32 v5, v5, v7
	v_fmac_f32_e32 v5, v4, v6
	v_fmac_f32_e32 v5, -0.5, v4
	v_add_f32_e32 v3, v3, v5
.LBB164_794:
	s_or_b64 exec, exec, s[12:13]
.LBB164_795:
	s_or_b64 exec, exec, s[0:1]
.LBB164_796:
	s_or_b64 exec, exec, s[10:11]
.LBB164_797:
	s_andn2_saveexec_b64 s[2:3], s[2:3]
	s_cbranch_execz .LBB164_799
; %bb.798:
	s_mov_b32 s0, 0x3e8a8991
	v_mov_b32_e32 v3, 0xbecd26ab
	v_fma_f32 v3, |v1|, s0, v3
	s_mov_b32 s0, 0x3f528d33
	v_fma_f32 v3, |v1|, v3, s0
	s_mov_b32 s0, 0x800000
	v_cmp_lt_f32_e64 vcc, |v1|, s0
	v_cndmask_b32_e64 v4, 0, 32, vcc
	v_ldexp_f32 v4, |v1|, v4
	v_log_f32_e32 v4, v4
	s_mov_b32 s0, 0xbf13c468
	v_fma_f32 v3, |v1|, v3, s0
	s_mov_b32 s0, 0x3f317217
	v_mul_f32_e32 v5, 0x3f317217, v4
	v_fma_f32 v6, v4, s0, -v5
	v_fmac_f32_e32 v6, 0x3377d1cf, v4
	s_mov_b32 s0, 0x7f800000
	v_add_f32_e32 v5, v5, v6
	v_cmp_lt_f32_e64 s[0:1], |v4|, s0
	v_cndmask_b32_e64 v4, v4, v5, s[0:1]
	v_mov_b32_e32 v5, 0x41b17218
	v_cndmask_b32_e32 v5, 0, v5, vcc
	v_sub_f32_e32 v4, v4, v5
	v_fma_f32 v3, |v1|, v3, -v4
.LBB164_799:
	s_or_b64 exec, exec, s[2:3]
	v_cmp_le_f32_e32 vcc, 0, v1
	v_cmp_nle_f32_e64 s[0:1], 0, v1
	s_and_saveexec_b64 s[2:3], s[0:1]
	s_xor_b64 s[10:11], exec, s[2:3]
	s_cbranch_execz .LBB164_803
; %bb.800:
	s_mov_b32 s0, 0x4b000000
	s_mov_b32 s2, 0x35000000
	v_cmp_lt_f32_e64 s[0:1], |v1|, s0
	v_cmp_gt_f32_e64 s[2:3], |v1|, s2
	s_and_b64 s[0:1], s[0:1], s[2:3]
	s_and_saveexec_b64 s[12:13], s[0:1]
	s_cbranch_execz .LBB164_802
; %bb.801:
	v_mul_f32_e64 v4, |v1|, 0.5
	v_floor_f32_e32 v5, v4
	v_sub_f32_e32 v5, v4, v5
	v_min_f32_e32 v5, 0x3f7fffff, v5
	s_mov_b32 s2, 0x7f800000
	v_add_f32_e32 v5, v5, v5
	v_cmp_neq_f32_e64 s[0:1], s2, v4
	v_cndmask_b32_e64 v4, 0, v5, s[0:1]
	v_cmp_gt_f32_e64 s[0:1], |v1|, 1.0
	v_cndmask_b32_e64 v4, |v1|, v4, s[0:1]
	v_add_f32_e32 v5, v4, v4
	v_rndne_f32_e32 v5, v5
	v_fmac_f32_e32 v4, -0.5, v5
	v_mul_f32_e32 v6, v4, v4
	v_mov_b32_e32 v7, 0xbf1f24be
	v_fmac_f32_e32 v7, 0x3e75aa41, v6
	v_mov_b32_e32 v9, 0x40234736
	v_fmac_f32_e32 v9, v6, v7
	;; [unrolled: 2-line block ×3, first 2 shown]
	v_mul_f32_e32 v9, v4, v6
	v_mul_f32_e32 v7, v9, v7
	v_fmac_f32_e32 v7, 0x40490fdb, v4
	v_mov_b32_e32 v4, 0x3e642e9d
	v_cvt_i32_f32_e32 v5, v5
	v_fmac_f32_e32 v4, 0x3d4be544, v6
	v_mov_b32_e32 v9, 0xbfaad1da
	v_fmac_f32_e32 v9, v6, v4
	v_mov_b32_e32 v4, 0x4081e0d3
	;; [unrolled: 2-line block ×3, first 2 shown]
	v_fmac_f32_e32 v9, v6, v4
	v_fma_f32 v4, v6, v9, 1.0
	v_and_b32_e32 v6, 1, v5
	v_cmp_eq_u32_e64 s[0:1], 0, v6
	v_cndmask_b32_e64 v4, v4, v7, s[0:1]
	v_lshlrev_b32_e32 v5, 30, v5
	s_brev_b32 s0, 1
	v_and_or_b32 v2, v5, s0, v2
	v_xor_b32_e32 v2, v2, v4
	v_xor_b32_e32 v2, v2, v1
	v_mul_f32_e32 v2, v1, v2
	v_frexp_mant_f32_e64 v4, |v2|
	v_rcp_f32_e32 v4, v4
	v_frexp_exp_i32_f32_e32 v2, v2
	v_sub_u32_e32 v2, 2, v2
	s_mov_b32 s0, 0x800000
	v_mul_f32_e32 v4, 0x3f490fdb, v4
	v_ldexp_f32 v2, v4, v2
	v_cmp_gt_f32_e64 s[0:1], s0, v2
	v_cndmask_b32_e64 v4, 0, 32, s[0:1]
	v_ldexp_f32 v2, v2, v4
	v_log_f32_e32 v2, v2
	s_mov_b32 s3, 0x3f317217
	v_mul_f32_e32 v4, 0x3f317217, v2
	v_fma_f32 v5, v2, s3, -v4
	v_fmac_f32_e32 v5, 0x3377d1cf, v2
	v_add_f32_e32 v4, v4, v5
	v_cmp_lt_f32_e64 s[2:3], |v2|, s2
	v_cndmask_b32_e64 v2, v2, v4, s[2:3]
	v_mov_b32_e32 v4, 0x41b17218
	v_cndmask_b32_e64 v4, 0, v4, s[0:1]
	v_sub_f32_e32 v2, v2, v4
	v_sub_f32_e32 v2, v2, v3
	v_floor_f32_e32 v3, v1
	v_sub_f32_e32 v3, v1, v3
	v_min_f32_e32 v3, 0x3f7fffff, v3
	v_mov_b32_e32 v4, 0x7f800000
	v_cmp_neq_f32_e64 s[0:1], 0, v3
	v_cndmask_b32_e64 v3, v4, v2, s[0:1]
.LBB164_802:
	s_or_b64 exec, exec, s[12:13]
.LBB164_803:
	s_andn2_saveexec_b64 s[10:11], s[10:11]
; %bb.804:
	v_cmp_eq_f32_e64 s[0:1], 1.0, v1
	v_cmp_eq_f32_e64 s[2:3], 2.0, v1
	s_or_b64 s[0:1], s[0:1], s[2:3]
	v_cndmask_b32_e64 v3, v3, 0, s[0:1]
; %bb.805:
	s_or_b64 exec, exec, s[10:11]
	s_mov_b32 s0, 0x4b000000
	v_cmp_lt_f32_e64 s[0:1], |v1|, s0
	v_mov_b32_e32 v2, 0x264
	v_mov_b32_e32 v4, 0x7f800000
	s_or_b64 vcc, vcc, s[0:1]
	v_cndmask_b32_e32 v3, v4, v3, vcc
	v_cmp_class_f32_e32 vcc, v1, v2
	v_cndmask_b32_e32 v2, v3, v4, vcc
	v_cmp_u_f32_e32 vcc, v1, v1
	v_cndmask_b32_e32 v1, v2, v1, vcc
	v_bfe_u32 v2, v1, 16, 1
	s_movk_i32 s0, 0x7fff
	v_add3_u32 v2, v1, v2, s0
	v_cmp_o_f32_e32 vcc, v1, v1
	v_mov_b32_e32 v1, 0x7fc0
	v_cndmask_b32_sdwa v2, v1, v2, vcc dst_sel:DWORD dst_unused:UNUSED_PAD src0_sel:DWORD src1_sel:WORD_1
	v_mov_b32_e32 v1, s25
	s_and_b32 s14, s73, 0xff
	v_add_co_u32_e32 v0, vcc, s24, v0
	s_cmp_lt_i32 s14, 11
	v_addc_co_u32_e32 v1, vcc, 0, v1, vcc
	s_cbranch_scc1 .LBB164_813
; %bb.806:
	s_and_b32 s15, 0xffff, s14
	s_cmp_gt_i32 s15, 25
	s_cbranch_scc0 .LBB164_814
; %bb.807:
	s_cmp_gt_i32 s15, 28
	s_cbranch_scc0 .LBB164_815
; %bb.808:
	;; [unrolled: 3-line block ×4, first 2 shown]
	s_mov_b64 s[10:11], 0
	s_mov_b64 s[0:1], -1
	s_cmp_eq_u32 s15, 46
	s_mov_b64 s[2:3], 0
	s_cbranch_scc0 .LBB164_818
; %bb.811:
	v_and_b32_e32 v3, 0xffff, v2
	global_store_dword v[0:1], v3, off
	s_mov_b64 s[2:3], -1
	s_mov_b64 s[0:1], 0
	s_branch .LBB164_818
.LBB164_812:
	s_mov_b64 s[2:3], 0
	s_mov_b64 s[0:1], s[60:61]
	s_branch .LBB164_929
.LBB164_813:
	s_mov_b64 s[10:11], -1
	s_mov_b64 s[2:3], 0
	s_mov_b64 s[0:1], s[60:61]
	s_branch .LBB164_887
.LBB164_814:
	s_mov_b64 s[10:11], -1
	s_mov_b64 s[2:3], 0
	s_mov_b64 s[0:1], s[60:61]
	s_branch .LBB164_845
.LBB164_815:
	s_mov_b64 s[10:11], -1
	s_mov_b64 s[2:3], 0
	s_mov_b64 s[0:1], s[60:61]
	s_branch .LBB164_828
.LBB164_816:
	s_mov_b64 s[10:11], -1
	s_mov_b64 s[2:3], 0
	s_mov_b64 s[0:1], s[60:61]
	s_branch .LBB164_824
.LBB164_817:
	s_mov_b64 s[10:11], -1
	s_mov_b64 s[2:3], 0
	s_mov_b64 s[0:1], s[60:61]
.LBB164_818:
	s_and_b64 vcc, exec, s[10:11]
	s_cbranch_vccz .LBB164_823
; %bb.819:
	s_cmp_eq_u32 s15, 44
	s_mov_b64 s[0:1], -1
	s_cbranch_scc0 .LBB164_823
; %bb.820:
	v_and_b32_e32 v4, 0xffff, v2
	v_bfe_u32 v3, v4, 7, 8
	s_movk_i32 s0, 0xff
	v_cmp_ne_u32_e32 vcc, s0, v3
	v_mov_b32_e32 v5, 0xff
	s_and_saveexec_b64 s[2:3], vcc
	s_cbranch_execz .LBB164_822
; %bb.821:
	v_lshlrev_b32_e32 v6, 16, v4
	s_mov_b32 s0, 0x3f0000
	v_lshrrev_b32_e32 v5, 7, v4
	v_and_b32_e32 v4, 64, v4
	v_and_or_b32 v3, v6, s0, v3
	v_cmp_ne_u32_e32 vcc, 0, v4
	v_cmp_ne_u32_e64 s[0:1], 0, v3
	s_and_b64 s[0:1], vcc, s[0:1]
	v_cndmask_b32_e64 v3, 0, 1, s[0:1]
	v_add_u32_e32 v5, v5, v3
.LBB164_822:
	s_or_b64 exec, exec, s[2:3]
	s_mov_b64 s[2:3], -1
	s_mov_b64 s[0:1], 0
	global_store_byte v[0:1], v5, off
.LBB164_823:
	s_mov_b64 s[10:11], 0
.LBB164_824:
	s_and_b64 vcc, exec, s[10:11]
	s_cbranch_vccz .LBB164_827
; %bb.825:
	s_cmp_eq_u32 s15, 29
	s_mov_b64 s[0:1], -1
	s_cbranch_scc0 .LBB164_827
; %bb.826:
	v_lshlrev_b32_e32 v3, 16, v2
	v_trunc_f32_e32 v3, v3
	v_mul_f32_e32 v4, 0x2f800000, v3
	v_floor_f32_e32 v5, v4
	v_fmac_f32_e32 v3, 0xcf800000, v5
	v_cvt_u32_f32_e32 v4, v5
	v_cvt_u32_f32_e32 v3, v3
	s_mov_b64 s[2:3], -1
	s_mov_b64 s[0:1], 0
	s_mov_b64 s[10:11], 0
	global_store_dwordx2 v[0:1], v[3:4], off
	s_branch .LBB164_828
.LBB164_827:
	s_mov_b64 s[10:11], 0
.LBB164_828:
	s_and_b64 vcc, exec, s[10:11]
	s_cbranch_vccz .LBB164_844
; %bb.829:
	s_cmp_lt_i32 s15, 27
	s_mov_b64 s[2:3], -1
	s_cbranch_scc1 .LBB164_835
; %bb.830:
	s_cmp_gt_i32 s15, 27
	s_cbranch_scc0 .LBB164_832
; %bb.831:
	v_lshlrev_b32_e32 v3, 16, v2
	v_cvt_u32_f32_e32 v3, v3
	s_mov_b64 s[2:3], 0
	global_store_dword v[0:1], v3, off
.LBB164_832:
	s_andn2_b64 vcc, exec, s[2:3]
	s_cbranch_vccnz .LBB164_834
; %bb.833:
	v_lshlrev_b32_e32 v3, 16, v2
	v_cvt_u32_f32_e32 v3, v3
	global_store_short v[0:1], v3, off
.LBB164_834:
	s_mov_b64 s[2:3], 0
.LBB164_835:
	s_andn2_b64 vcc, exec, s[2:3]
	s_cbranch_vccnz .LBB164_843
; %bb.836:
	v_lshlrev_b32_e32 v5, 16, v2
	v_and_b32_e32 v4, 0x7fffffff, v5
	s_mov_b32 s2, 0x43800000
	v_cmp_gt_u32_e32 vcc, s2, v4
	v_mov_b32_e32 v6, 0x80
	s_and_saveexec_b64 s[2:3], vcc
	s_cbranch_execz .LBB164_842
; %bb.837:
	s_mov_b32 s10, 0x3bffffff
	v_and_b32_e32 v3, 0xffff, v2
	v_cmp_lt_u32_e32 vcc, s10, v4
	s_mov_b64 s[10:11], 0
                                        ; implicit-def: $vgpr4
	s_and_saveexec_b64 s[12:13], vcc
	s_xor_b64 s[12:13], exec, s[12:13]
	s_cbranch_execz .LBB164_959
; %bb.838:
	v_bfe_u32 v4, v3, 4, 1
	s_mov_b32 s16, 0x487ffff
	v_add3_u32 v4, v5, v4, s16
	s_mov_b64 s[10:11], exec
	v_lshrrev_b32_e32 v4, 20, v4
                                        ; implicit-def: $vgpr5
	s_andn2_saveexec_b64 s[12:13], s[12:13]
	s_cbranch_execnz .LBB164_960
.LBB164_839:
	s_or_b64 exec, exec, s[12:13]
	v_mov_b32_e32 v6, 0
	s_and_saveexec_b64 s[12:13], s[10:11]
.LBB164_840:
	v_lshrrev_b32_e32 v3, 8, v3
	s_movk_i32 s10, 0x80
	v_and_or_b32 v6, v3, s10, v4
.LBB164_841:
	s_or_b64 exec, exec, s[12:13]
.LBB164_842:
	s_or_b64 exec, exec, s[2:3]
	global_store_byte v[0:1], v6, off
.LBB164_843:
	s_mov_b64 s[2:3], -1
.LBB164_844:
	s_mov_b64 s[10:11], 0
.LBB164_845:
	s_and_b64 vcc, exec, s[10:11]
	s_cbranch_vccz .LBB164_886
; %bb.846:
	s_cmp_gt_i32 s15, 22
	s_mov_b64 s[10:11], -1
	s_cbranch_scc0 .LBB164_878
; %bb.847:
	s_cmp_lt_i32 s15, 24
	s_mov_b64 s[2:3], -1
	s_cbranch_scc1 .LBB164_867
; %bb.848:
	s_cmp_gt_i32 s15, 24
	s_cbranch_scc0 .LBB164_856
; %bb.849:
	v_lshlrev_b32_e32 v5, 16, v2
	v_and_b32_e32 v4, 0x7fffffff, v5
	s_mov_b32 s2, 0x47800000
	v_cmp_gt_u32_e32 vcc, s2, v4
	v_mov_b32_e32 v6, 0x80
	s_and_saveexec_b64 s[2:3], vcc
	s_cbranch_execz .LBB164_855
; %bb.850:
	s_mov_b32 s10, 0x37ffffff
	v_and_b32_e32 v3, 0xffff, v2
	v_cmp_lt_u32_e32 vcc, s10, v4
	s_mov_b64 s[10:11], 0
                                        ; implicit-def: $vgpr4
	s_and_saveexec_b64 s[12:13], vcc
	s_xor_b64 s[12:13], exec, s[12:13]
	s_cbranch_execz .LBB164_962
; %bb.851:
	v_bfe_u32 v4, v3, 5, 1
	s_mov_b32 s16, 0x88fffff
	v_add3_u32 v4, v5, v4, s16
	s_mov_b64 s[10:11], exec
	v_lshrrev_b32_e32 v4, 21, v4
                                        ; implicit-def: $vgpr5
	s_andn2_saveexec_b64 s[12:13], s[12:13]
	s_cbranch_execnz .LBB164_963
.LBB164_852:
	s_or_b64 exec, exec, s[12:13]
	v_mov_b32_e32 v6, 0
	s_and_saveexec_b64 s[12:13], s[10:11]
.LBB164_853:
	v_lshrrev_b32_e32 v3, 8, v3
	s_movk_i32 s10, 0x80
	v_and_or_b32 v6, v3, s10, v4
.LBB164_854:
	s_or_b64 exec, exec, s[12:13]
.LBB164_855:
	s_or_b64 exec, exec, s[2:3]
	s_mov_b64 s[2:3], 0
	global_store_byte v[0:1], v6, off
.LBB164_856:
	s_and_b64 vcc, exec, s[2:3]
	s_cbranch_vccz .LBB164_866
; %bb.857:
	v_lshlrev_b32_e32 v5, 16, v2
	v_and_b32_e32 v6, 0x7fffffff, v5
	s_mov_b32 s2, 0x43f00000
	v_and_b32_e32 v3, 0xffff, v2
	v_cmp_gt_u32_e32 vcc, s2, v6
                                        ; implicit-def: $vgpr4
	s_and_saveexec_b64 s[2:3], vcc
	s_xor_b64 s[2:3], exec, s[2:3]
	s_cbranch_execz .LBB164_863
; %bb.858:
	s_mov_b32 s10, 0x3c7fffff
	v_cmp_lt_u32_e32 vcc, s10, v6
                                        ; implicit-def: $vgpr4
	s_and_saveexec_b64 s[10:11], vcc
	s_xor_b64 s[10:11], exec, s[10:11]
; %bb.859:
	v_bfe_u32 v4, v3, 4, 1
	s_mov_b32 s12, 0x407ffff
	v_add3_u32 v4, v5, v4, s12
	v_lshrrev_b32_e32 v5, 20, v4
	v_and_b32_e32 v4, 0xff00000, v4
	s_mov_b32 s12, 0x7f00000
	v_mov_b32_e32 v6, 0x7e
	v_cmp_ne_u32_e32 vcc, s12, v4
	v_cndmask_b32_e32 v4, v6, v5, vcc
                                        ; implicit-def: $vgpr5
; %bb.860:
	s_andn2_saveexec_b64 s[10:11], s[10:11]
; %bb.861:
	s_mov_b32 s12, 0x46800000
	v_add_f32_e64 v4, |v5|, s12
; %bb.862:
	s_or_b64 exec, exec, s[10:11]
                                        ; implicit-def: $vgpr6
.LBB164_863:
	s_andn2_saveexec_b64 s[2:3], s[2:3]
; %bb.864:
	s_mov_b32 s10, 0x7f800000
	v_mov_b32_e32 v4, 0x7e
	v_mov_b32_e32 v5, 0x7f
	v_cmp_lt_u32_e32 vcc, s10, v6
	v_cndmask_b32_e32 v4, v4, v5, vcc
; %bb.865:
	s_or_b64 exec, exec, s[2:3]
	v_lshrrev_b32_e32 v3, 8, v3
	s_movk_i32 s2, 0x80
	v_and_or_b32 v3, v3, s2, v4
	global_store_byte v[0:1], v3, off
.LBB164_866:
	s_mov_b64 s[2:3], 0
.LBB164_867:
	s_andn2_b64 vcc, exec, s[2:3]
	s_cbranch_vccnz .LBB164_877
; %bb.868:
	v_lshlrev_b32_e32 v5, 16, v2
	v_and_b32_e32 v6, 0x7fffffff, v5
	s_mov_b32 s2, 0x47800000
	v_and_b32_e32 v3, 0xffff, v2
	v_cmp_gt_u32_e32 vcc, s2, v6
                                        ; implicit-def: $vgpr4
	s_and_saveexec_b64 s[2:3], vcc
	s_xor_b64 s[2:3], exec, s[2:3]
	s_cbranch_execz .LBB164_874
; %bb.869:
	s_mov_b32 s10, 0x387fffff
	v_cmp_lt_u32_e32 vcc, s10, v6
                                        ; implicit-def: $vgpr4
	s_and_saveexec_b64 s[10:11], vcc
	s_xor_b64 s[10:11], exec, s[10:11]
; %bb.870:
	v_bfe_u32 v4, v3, 5, 1
	s_mov_b32 s12, 0x80fffff
	v_add3_u32 v4, v5, v4, s12
	v_lshrrev_b32_e32 v4, 21, v4
                                        ; implicit-def: $vgpr5
; %bb.871:
	s_andn2_saveexec_b64 s[10:11], s[10:11]
; %bb.872:
	s_mov_b32 s12, 0x43000000
	v_add_f32_e64 v4, |v5|, s12
; %bb.873:
	s_or_b64 exec, exec, s[10:11]
                                        ; implicit-def: $vgpr6
.LBB164_874:
	s_andn2_saveexec_b64 s[2:3], s[2:3]
; %bb.875:
	s_mov_b32 s10, 0x7f800000
	v_mov_b32_e32 v4, 0x7c
	v_mov_b32_e32 v5, 0x7f
	v_cmp_lt_u32_e32 vcc, s10, v6
	v_cndmask_b32_e32 v4, v4, v5, vcc
; %bb.876:
	s_or_b64 exec, exec, s[2:3]
	v_lshrrev_b32_e32 v3, 8, v3
	s_movk_i32 s2, 0x80
	v_and_or_b32 v3, v3, s2, v4
	global_store_byte v[0:1], v3, off
.LBB164_877:
	s_mov_b64 s[10:11], 0
	s_mov_b64 s[2:3], -1
.LBB164_878:
	s_andn2_b64 vcc, exec, s[10:11]
	s_cbranch_vccnz .LBB164_886
; %bb.879:
	s_cmp_gt_i32 s15, 14
	s_mov_b64 s[10:11], -1
	s_cbranch_scc0 .LBB164_883
; %bb.880:
	s_cmp_eq_u32 s15, 15
	s_mov_b64 s[0:1], -1
	s_cbranch_scc0 .LBB164_882
; %bb.881:
	global_store_short v[0:1], v2, off
	s_mov_b64 s[2:3], -1
	s_mov_b64 s[0:1], 0
.LBB164_882:
	s_mov_b64 s[10:11], 0
.LBB164_883:
	s_and_b64 vcc, exec, s[10:11]
	s_cbranch_vccz .LBB164_886
; %bb.884:
	s_cmp_eq_u32 s15, 11
	s_mov_b64 s[0:1], -1
	s_cbranch_scc0 .LBB164_886
; %bb.885:
	v_and_b32_e32 v3, 0x7fff, v2
	v_cmp_ne_u16_e32 vcc, 0, v3
	v_cndmask_b32_e64 v3, 0, 1, vcc
	s_mov_b64 s[2:3], -1
	s_mov_b64 s[0:1], 0
	global_store_byte v[0:1], v3, off
.LBB164_886:
	s_mov_b64 s[10:11], 0
.LBB164_887:
	s_and_b64 vcc, exec, s[10:11]
	s_cbranch_vccz .LBB164_926
; %bb.888:
	s_and_b32 s10, 0xffff, s14
	s_cmp_lt_i32 s10, 5
	s_mov_b64 s[2:3], -1
	s_cbranch_scc1 .LBB164_909
; %bb.889:
	s_cmp_lt_i32 s10, 8
	s_cbranch_scc1 .LBB164_899
; %bb.890:
	s_cmp_lt_i32 s10, 9
	s_cbranch_scc1 .LBB164_896
; %bb.891:
	s_cmp_gt_i32 s10, 9
	s_cbranch_scc0 .LBB164_893
; %bb.892:
	v_lshlrev_b32_e32 v3, 16, v2
	v_cvt_f64_f32_e32 v[3:4], v3
	v_mov_b32_e32 v5, 0
	v_mov_b32_e32 v6, v5
	s_mov_b64 s[2:3], 0
	global_store_dwordx4 v[0:1], v[3:6], off
.LBB164_893:
	s_andn2_b64 vcc, exec, s[2:3]
	s_cbranch_vccnz .LBB164_895
; %bb.894:
	v_lshlrev_b32_e32 v3, 16, v2
	v_mov_b32_e32 v4, 0
	global_store_dwordx2 v[0:1], v[3:4], off
.LBB164_895:
	s_mov_b64 s[2:3], 0
.LBB164_896:
	s_andn2_b64 vcc, exec, s[2:3]
	s_cbranch_vccnz .LBB164_898
; %bb.897:
	v_lshlrev_b32_e32 v3, 16, v2
	v_cvt_f16_f32_e32 v3, v3
	global_store_dword v[0:1], v3, off
.LBB164_898:
	s_mov_b64 s[2:3], 0
.LBB164_899:
	s_andn2_b64 vcc, exec, s[2:3]
	s_cbranch_vccnz .LBB164_908
; %bb.900:
	s_cmp_lt_i32 s10, 6
	s_mov_b64 s[2:3], -1
	s_cbranch_scc1 .LBB164_906
; %bb.901:
	s_cmp_gt_i32 s10, 6
	s_cbranch_scc0 .LBB164_903
; %bb.902:
	v_lshlrev_b32_e32 v3, 16, v2
	v_cvt_f64_f32_e32 v[3:4], v3
	s_mov_b64 s[2:3], 0
	global_store_dwordx2 v[0:1], v[3:4], off
.LBB164_903:
	s_andn2_b64 vcc, exec, s[2:3]
	s_cbranch_vccnz .LBB164_905
; %bb.904:
	v_lshlrev_b32_e32 v3, 16, v2
	global_store_dword v[0:1], v3, off
.LBB164_905:
	s_mov_b64 s[2:3], 0
.LBB164_906:
	s_andn2_b64 vcc, exec, s[2:3]
	s_cbranch_vccnz .LBB164_908
; %bb.907:
	v_lshlrev_b32_e32 v3, 16, v2
	v_cvt_f16_f32_e32 v3, v3
	global_store_short v[0:1], v3, off
.LBB164_908:
	s_mov_b64 s[2:3], 0
.LBB164_909:
	s_andn2_b64 vcc, exec, s[2:3]
	s_cbranch_vccnz .LBB164_925
; %bb.910:
	s_cmp_lt_i32 s10, 2
	s_mov_b64 s[2:3], -1
	s_cbranch_scc1 .LBB164_920
; %bb.911:
	s_cmp_lt_i32 s10, 3
	s_cbranch_scc1 .LBB164_917
; %bb.912:
	s_cmp_gt_i32 s10, 3
	s_cbranch_scc0 .LBB164_914
; %bb.913:
	v_lshlrev_b32_e32 v3, 16, v2
	v_trunc_f32_e32 v3, v3
	s_mov_b32 s2, 0x2f800000
	v_mul_f32_e64 v4, |v3|, s2
	v_floor_f32_e32 v4, v4
	s_mov_b32 s2, 0xcf800000
	v_cvt_u32_f32_e32 v5, v4
	v_fma_f32 v4, v4, s2, |v3|
	v_cvt_u32_f32_e32 v4, v4
	v_ashrrev_i32_e32 v6, 31, v3
	v_xor_b32_e32 v5, v5, v6
	s_mov_b64 s[2:3], 0
	v_xor_b32_e32 v3, v4, v6
	v_sub_co_u32_e32 v3, vcc, v3, v6
	v_subb_co_u32_e32 v4, vcc, v5, v6, vcc
	global_store_dwordx2 v[0:1], v[3:4], off
.LBB164_914:
	s_andn2_b64 vcc, exec, s[2:3]
	s_cbranch_vccnz .LBB164_916
; %bb.915:
	v_lshlrev_b32_e32 v3, 16, v2
	v_cvt_i32_f32_e32 v3, v3
	global_store_dword v[0:1], v3, off
.LBB164_916:
	s_mov_b64 s[2:3], 0
.LBB164_917:
	s_andn2_b64 vcc, exec, s[2:3]
	s_cbranch_vccnz .LBB164_919
; %bb.918:
	v_lshlrev_b32_e32 v3, 16, v2
	v_cvt_i32_f32_e32 v3, v3
	global_store_short v[0:1], v3, off
.LBB164_919:
	s_mov_b64 s[2:3], 0
.LBB164_920:
	s_andn2_b64 vcc, exec, s[2:3]
	s_cbranch_vccnz .LBB164_925
; %bb.921:
	s_mov_b64 s[2:3], -1
	s_cmp_gt_i32 s10, 0
	v_lshlrev_b32_e32 v2, 16, v2
	s_cbranch_scc0 .LBB164_923
; %bb.922:
	v_cvt_i32_f32_e32 v3, v2
	s_mov_b64 s[2:3], 0
	global_store_byte v[0:1], v3, off
.LBB164_923:
	s_andn2_b64 vcc, exec, s[2:3]
	s_cbranch_vccnz .LBB164_925
; %bb.924:
	v_trunc_f32_e32 v2, v2
	s_mov_b32 s2, 0x2f800000
	v_mul_f32_e64 v3, |v2|, s2
	v_floor_f32_e32 v3, v3
	s_mov_b32 s2, 0xcf800000
	v_fma_f32 v3, v3, s2, |v2|
	v_cvt_u32_f32_e32 v3, v3
	v_ashrrev_i32_e32 v2, 31, v2
	v_xor_b32_e32 v3, v3, v2
	v_sub_u32_e32 v2, v3, v2
	global_store_byte v[0:1], v2, off
.LBB164_925:
	s_mov_b64 s[2:3], -1
.LBB164_926:
	s_andn2_b64 vcc, exec, s[2:3]
	s_cbranch_vccnz .LBB164_928
; %bb.927:
	v_add_u32_e32 v8, 0x80, v8
	s_mov_b64 s[2:3], -1
	s_branch .LBB164_930
.LBB164_928:
	s_mov_b64 s[2:3], 0
.LBB164_929:
                                        ; implicit-def: $vgpr8
.LBB164_930:
	s_andn2_b64 s[10:11], s[60:61], exec
	s_and_b64 s[0:1], s[0:1], exec
	s_or_b64 s[68:69], s[10:11], s[0:1]
	s_andn2_b64 s[0:1], s[58:59], exec
	s_and_b64 s[8:9], s[8:9], exec
	s_or_b64 s[66:67], s[0:1], s[8:9]
	s_orn2_b64 s[2:3], s[2:3], exec
.LBB164_931:
	s_or_b64 exec, exec, s[64:65]
	s_mov_b64 s[0:1], 0
	s_mov_b64 s[8:9], 0
	;; [unrolled: 1-line block ×3, first 2 shown]
                                        ; implicit-def: $vgpr1_vgpr2
                                        ; implicit-def: $vgpr0
                                        ; implicit-def: $vgpr4
	s_and_saveexec_b64 s[64:65], s[2:3]
	s_cbranch_execz .LBB164_1030
; %bb.932:
	v_cmp_gt_i32_e32 vcc, s70, v8
	s_mov_b64 s[2:3], 0
	s_mov_b64 s[12:13], s[66:67]
                                        ; implicit-def: $vgpr1_vgpr2
                                        ; implicit-def: $vgpr0
                                        ; implicit-def: $vgpr4
	s_and_saveexec_b64 s[70:71], vcc
	s_cbranch_execz .LBB164_1029
; %bb.933:
	s_andn2_b64 vcc, exec, s[40:41]
	s_cbranch_vccnz .LBB164_938
; %bb.934:
	s_andn2_b64 vcc, exec, s[50:51]
	s_cbranch_vccnz .LBB164_939
; %bb.935:
	s_add_i32 s76, s75, 1
	s_cmp_eq_u32 s72, 2
	s_cbranch_scc1 .LBB164_940
; %bb.936:
	s_and_b32 s75, s76, 28
	v_mov_b32_e32 v2, 0
	s_mov_b32 s77, 0
	s_mov_b64 s[50:51], s[34:35]
	v_mov_b32_e32 v0, 0
	v_mov_b32_e32 v1, v8
.LBB164_937:                            ; =>This Inner Loop Header: Depth=1
	s_load_dwordx8 s[16:23], s[50:51], 0x4
	s_load_dwordx4 s[0:3], s[50:51], 0x24
	s_load_dwordx8 s[8:15], s[48:49], 0x0
	s_add_u32 s50, s50, 48
	s_addc_u32 s51, s51, 0
	s_waitcnt vmcnt(0) lgkmcnt(0)
	v_mul_hi_u32 v3, s17, v1
	s_add_i32 s77, s77, 4
	s_add_u32 s48, s48, 32
	s_addc_u32 s49, s49, 0
	v_add_u32_e32 v3, v1, v3
	v_lshrrev_b32_e32 v3, s18, v3
	v_mul_lo_u32 v4, v3, s16
	v_mul_hi_u32 v5, s20, v3
	s_cmp_eq_u32 s75, s77
	v_sub_u32_e32 v1, v1, v4
	v_add_u32_e32 v4, v3, v5
	v_mul_lo_u32 v5, v1, s8
	v_mul_lo_u32 v6, v1, s9
	v_lshrrev_b32_e32 v1, s21, v4
	v_mul_lo_u32 v4, v1, s19
	v_mul_hi_u32 v7, s23, v1
	v_sub_u32_e32 v3, v3, v4
	v_add_u32_e32 v4, v1, v7
	v_lshrrev_b32_e32 v4, s0, v4
	v_mul_hi_u32 v9, s2, v4
	v_mul_lo_u32 v10, v4, s22
	v_mul_lo_u32 v7, v3, s10
	;; [unrolled: 1-line block ×3, first 2 shown]
	v_sub_u32_e32 v10, v1, v10
	v_add_u32_e32 v1, v4, v9
	v_lshrrev_b32_e32 v1, s3, v1
	v_mul_lo_u32 v9, v1, s1
	v_mul_lo_u32 v11, v10, s12
	;; [unrolled: 1-line block ×3, first 2 shown]
	v_add3_u32 v0, v5, v0, v7
	v_sub_u32_e32 v4, v4, v9
	v_mul_lo_u32 v9, v4, s14
	v_mul_lo_u32 v4, v4, s15
	v_add3_u32 v2, v6, v2, v3
	v_add3_u32 v0, v11, v0, v9
	;; [unrolled: 1-line block ×3, first 2 shown]
	s_cbranch_scc0 .LBB164_937
	s_branch .LBB164_941
.LBB164_938:
	s_mov_b64 s[0:1], -1
                                        ; implicit-def: $vgpr0
                                        ; implicit-def: $vgpr2
	s_branch .LBB164_945
.LBB164_939:
	v_mov_b32_e32 v0, 0
	v_mov_b32_e32 v2, 0
	s_branch .LBB164_944
.LBB164_940:
	s_mov_b32 s75, 0
	v_mov_b32_e32 v0, 0
	v_mov_b32_e32 v2, 0
	;; [unrolled: 1-line block ×3, first 2 shown]
.LBB164_941:
	s_and_b32 s8, s76, 3
	s_cmp_eq_u32 s8, 0
	s_cbranch_scc1 .LBB164_944
; %bb.942:
	s_lshl_b32 s0, s75, 3
	s_add_u32 s0, s34, s0
	s_addc_u32 s1, s35, 0
	s_add_u32 s0, s0, 0xc4
	s_addc_u32 s1, s1, 0
	s_mul_i32 s2, s75, 12
	s_add_u32 s2, s34, s2
	s_addc_u32 s3, s35, 0
.LBB164_943:                            ; =>This Inner Loop Header: Depth=1
	s_load_dwordx2 s[10:11], s[2:3], 0x4
	s_load_dword s9, s[2:3], 0xc
	s_load_dwordx2 s[12:13], s[0:1], 0x0
	s_add_u32 s2, s2, 12
	s_addc_u32 s3, s3, 0
	s_waitcnt vmcnt(0) lgkmcnt(0)
	v_mul_hi_u32 v3, s11, v1
	s_add_u32 s0, s0, 8
	s_addc_u32 s1, s1, 0
	s_add_i32 s8, s8, -1
	v_add_u32_e32 v3, v1, v3
	v_lshrrev_b32_e32 v4, s9, v3
	v_mul_lo_u32 v3, v4, s10
	s_cmp_lg_u32 s8, 0
	v_sub_u32_e32 v3, v1, v3
	v_mad_u64_u32 v[0:1], s[10:11], v3, s12, v[0:1]
	v_mad_u64_u32 v[2:3], s[10:11], v3, s13, v[2:3]
	v_mov_b32_e32 v1, v4
	s_cbranch_scc1 .LBB164_943
.LBB164_944:
	s_mov_b64 s[0:1], 0
.LBB164_945:
	s_andn2_b64 vcc, exec, s[0:1]
	s_cbranch_vccnz .LBB164_948
; %bb.946:
	s_waitcnt lgkmcnt(0)
	v_mul_hi_u32 v0, s37, v8
	s_andn2_b64 vcc, exec, s[46:47]
	v_add_u32_e32 v0, v8, v0
	v_lshrrev_b32_e32 v1, s38, v0
	v_mul_lo_u32 v0, v1, s36
	v_sub_u32_e32 v2, v8, v0
	v_mul_lo_u32 v0, v2, s28
	v_mul_lo_u32 v2, v2, s29
	s_cbranch_vccnz .LBB164_948
; %bb.947:
	s_waitcnt vmcnt(0)
	v_mul_hi_u32 v3, s44, v1
	v_add_u32_e32 v3, v1, v3
	v_lshrrev_b32_e32 v3, s45, v3
	v_mul_lo_u32 v3, v3, s39
	v_sub_u32_e32 v3, v1, v3
	v_mad_u64_u32 v[0:1], s[0:1], v3, s30, v[0:1]
	v_mad_u64_u32 v[2:3], s[0:1], v3, s31, v[2:3]
.LBB164_948:
	s_waitcnt vmcnt(0) lgkmcnt(0)
	v_mov_b32_e32 v3, s27
	s_and_b32 s14, 0xffff, s74
	v_add_co_u32_e32 v1, vcc, s26, v2
	s_cmp_lt_i32 s14, 11
	v_addc_co_u32_e32 v2, vcc, 0, v3, vcc
	s_cbranch_scc1 .LBB164_955
; %bb.949:
	s_cmp_gt_i32 s14, 25
	s_mov_b64 s[2:3], 0
	s_cbranch_scc0 .LBB164_956
; %bb.950:
	s_cmp_gt_i32 s14, 28
	s_cbranch_scc0 .LBB164_957
; %bb.951:
	s_cmp_gt_i32 s14, 43
	;; [unrolled: 3-line block ×3, first 2 shown]
	s_cbranch_scc0 .LBB164_961
; %bb.953:
	s_cmp_eq_u32 s14, 46
	s_mov_b64 s[10:11], 0
	s_cbranch_scc0 .LBB164_964
; %bb.954:
	global_load_dword v4, v[1:2], off
	s_mov_b64 s[0:1], 0
	s_mov_b64 s[8:9], -1
	s_branch .LBB164_965
.LBB164_955:
	s_mov_b64 s[12:13], -1
	s_mov_b64 s[8:9], 0
	s_mov_b64 s[2:3], 0
	;; [unrolled: 1-line block ×3, first 2 shown]
                                        ; implicit-def: $vgpr4
	s_branch .LBB164_1028
.LBB164_956:
	s_mov_b64 s[10:11], -1
	s_mov_b64 s[8:9], 0
	s_mov_b64 s[0:1], s[66:67]
                                        ; implicit-def: $vgpr4
	s_branch .LBB164_994
.LBB164_957:
	s_mov_b64 s[10:11], -1
	s_mov_b64 s[8:9], 0
	s_mov_b64 s[0:1], s[66:67]
                                        ; implicit-def: $vgpr4
	s_branch .LBB164_975
.LBB164_958:
	s_mov_b64 s[10:11], -1
	s_mov_b64 s[8:9], 0
	s_mov_b64 s[0:1], s[66:67]
                                        ; implicit-def: $vgpr4
	s_branch .LBB164_970
.LBB164_959:
	s_andn2_saveexec_b64 s[12:13], s[12:13]
	s_cbranch_execz .LBB164_839
.LBB164_960:
	s_mov_b32 s16, 0x46000000
	v_add_f32_e64 v4, |v5|, s16
	v_and_b32_e32 v4, 0xff, v4
	v_cmp_ne_u32_e32 vcc, 0, v4
	s_andn2_b64 s[10:11], s[10:11], exec
	s_and_b64 s[16:17], vcc, exec
	s_or_b64 s[10:11], s[10:11], s[16:17]
	s_or_b64 exec, exec, s[12:13]
	v_mov_b32_e32 v6, 0
	s_and_saveexec_b64 s[12:13], s[10:11]
	s_cbranch_execnz .LBB164_840
	s_branch .LBB164_841
.LBB164_961:
	s_mov_b64 s[10:11], -1
	s_mov_b64 s[8:9], 0
	s_mov_b64 s[0:1], s[66:67]
                                        ; implicit-def: $vgpr4
	s_branch .LBB164_965
.LBB164_962:
	s_andn2_saveexec_b64 s[12:13], s[12:13]
	s_cbranch_execz .LBB164_852
.LBB164_963:
	s_mov_b32 s16, 0x42800000
	v_add_f32_e64 v4, |v5|, s16
	v_and_b32_e32 v4, 0xff, v4
	v_cmp_ne_u32_e32 vcc, 0, v4
	s_andn2_b64 s[10:11], s[10:11], exec
	s_and_b64 s[16:17], vcc, exec
	s_or_b64 s[10:11], s[10:11], s[16:17]
	s_or_b64 exec, exec, s[12:13]
	v_mov_b32_e32 v6, 0
	s_and_saveexec_b64 s[12:13], s[10:11]
	s_cbranch_execnz .LBB164_853
	s_branch .LBB164_854
.LBB164_964:
	s_mov_b64 s[0:1], -1
                                        ; implicit-def: $vgpr4
	s_mov_b64 s[8:9], 0
.LBB164_965:
	s_and_b64 vcc, exec, s[10:11]
	s_cbranch_vccz .LBB164_969
; %bb.966:
	s_cmp_eq_u32 s14, 44
	s_cbranch_scc0 .LBB164_968
; %bb.967:
	global_load_ubyte v3, v[1:2], off
	s_movk_i32 s8, 0xff
	s_waitcnt vmcnt(1)
	v_mov_b32_e32 v4, 0x7f800001
	v_mov_b32_e32 v5, 0x400000
	;; [unrolled: 1-line block ×3, first 2 shown]
	s_mov_b64 s[0:1], 0
	s_waitcnt vmcnt(0)
	v_lshlrev_b32_e32 v7, 23, v3
	v_cmp_ne_u32_e32 vcc, s8, v3
	v_cndmask_b32_e32 v4, v4, v7, vcc
	v_cmp_ne_u32_e32 vcc, 0, v3
	v_cndmask_b32_e32 v3, v5, v4, vcc
	v_add_u32_e32 v4, 0x7fff, v3
	v_cmp_o_f32_e32 vcc, v3, v3
	v_cndmask_b32_sdwa v4, v6, v4, vcc dst_sel:DWORD dst_unused:UNUSED_PAD src0_sel:DWORD src1_sel:WORD_1
	s_mov_b64 s[8:9], -1
	s_branch .LBB164_969
.LBB164_968:
	s_mov_b64 s[0:1], -1
                                        ; implicit-def: $vgpr4
.LBB164_969:
	s_mov_b64 s[10:11], 0
.LBB164_970:
	s_and_b64 vcc, exec, s[10:11]
	s_cbranch_vccz .LBB164_974
; %bb.971:
	s_cmp_eq_u32 s14, 29
	s_cbranch_scc0 .LBB164_973
; %bb.972:
	global_load_dwordx2 v[3:4], v[1:2], off
	s_movk_i32 s8, 0x7fff
	s_mov_b64 s[0:1], 0
	s_mov_b64 s[10:11], 0
	s_waitcnt vmcnt(0)
	v_ffbh_u32_e32 v5, v4
	v_min_u32_e32 v5, 32, v5
	v_lshlrev_b64 v[3:4], v5, v[3:4]
	v_min_u32_e32 v3, 1, v3
	v_or_b32_e32 v3, v4, v3
	v_cvt_f32_u32_e32 v3, v3
	v_sub_u32_e32 v4, 32, v5
	v_ldexp_f32 v3, v3, v4
	v_bfe_u32 v4, v3, 16, 1
	v_add3_u32 v3, v3, v4, s8
	v_lshrrev_b32_e32 v4, 16, v3
	s_mov_b64 s[8:9], -1
	s_branch .LBB164_975
.LBB164_973:
	s_mov_b64 s[0:1], -1
                                        ; implicit-def: $vgpr4
.LBB164_974:
	s_mov_b64 s[10:11], 0
.LBB164_975:
	s_and_b64 vcc, exec, s[10:11]
	s_cbranch_vccz .LBB164_993
; %bb.976:
	s_cmp_lt_i32 s14, 27
	s_cbranch_scc1 .LBB164_979
; %bb.977:
	s_cmp_gt_i32 s14, 27
	s_cbranch_scc0 .LBB164_980
; %bb.978:
	global_load_dword v3, v[1:2], off
	s_movk_i32 s8, 0x7fff
	s_waitcnt vmcnt(0)
	v_cvt_f32_u32_e32 v3, v3
	v_bfe_u32 v4, v3, 16, 1
	v_add3_u32 v3, v3, v4, s8
	v_lshrrev_b32_e32 v4, 16, v3
	s_mov_b64 s[8:9], 0
	s_branch .LBB164_981
.LBB164_979:
	s_mov_b64 s[8:9], -1
                                        ; implicit-def: $vgpr4
	s_branch .LBB164_984
.LBB164_980:
	s_mov_b64 s[8:9], -1
                                        ; implicit-def: $vgpr4
.LBB164_981:
	s_andn2_b64 vcc, exec, s[8:9]
	s_cbranch_vccnz .LBB164_983
; %bb.982:
	global_load_ushort v3, v[1:2], off
	s_movk_i32 s8, 0x7fff
	s_waitcnt vmcnt(0)
	v_cvt_f32_u32_e32 v3, v3
	v_bfe_u32 v4, v3, 16, 1
	v_add3_u32 v3, v3, v4, s8
	v_lshrrev_b32_e32 v4, 16, v3
.LBB164_983:
	s_mov_b64 s[8:9], 0
.LBB164_984:
	s_andn2_b64 vcc, exec, s[8:9]
	s_cbranch_vccnz .LBB164_992
; %bb.985:
	global_load_ubyte v3, v[1:2], off
	s_movk_i32 s8, 0x7f
	s_waitcnt vmcnt(0)
	v_cmp_lt_i16_e32 vcc, s8, v3
	s_mov_b64 s[8:9], 0
	s_and_saveexec_b64 s[10:11], vcc
	s_xor_b64 s[10:11], exec, s[10:11]
	s_cbranch_execz .LBB164_1006
; %bb.986:
	s_movk_i32 s8, 0x80
	v_cmp_eq_u16_e32 vcc, s8, v3
	s_mov_b64 s[8:9], -1
	s_and_saveexec_b64 s[12:13], vcc
; %bb.987:
	s_xor_b64 s[8:9], exec, -1
; %bb.988:
	s_or_b64 exec, exec, s[12:13]
	s_and_b64 s[8:9], s[8:9], exec
	s_or_saveexec_b64 s[10:11], s[10:11]
	v_mov_b32_e32 v4, 0x7f800001
	s_xor_b64 exec, exec, s[10:11]
	s_cbranch_execnz .LBB164_1007
.LBB164_989:
	s_or_b64 exec, exec, s[10:11]
	s_and_saveexec_b64 s[10:11], s[8:9]
	s_cbranch_execz .LBB164_991
.LBB164_990:
	v_lshlrev_b32_e32 v4, 24, v3
	v_and_b32_e32 v3, 0xffff, v3
	v_and_b32_e32 v5, 7, v3
	v_ffbh_u32_e32 v7, v5
	v_min_u32_e32 v7, 32, v7
	v_subrev_u32_e32 v8, 28, v7
	v_bfe_u32 v6, v3, 3, 4
	v_lshlrev_b32_e32 v3, v8, v3
	v_sub_u32_e32 v7, 29, v7
	v_and_b32_e32 v3, 7, v3
	v_cmp_eq_u32_e32 vcc, 0, v6
	v_cndmask_b32_e32 v6, v6, v7, vcc
	v_cndmask_b32_e32 v3, v5, v3, vcc
	v_mov_b32_e32 v5, 0x3b800000
	v_lshlrev_b32_e32 v3, 20, v3
	v_and_b32_e32 v4, 0x80000000, v4
	v_lshl_add_u32 v5, v6, 23, v5
	v_or3_b32 v4, v4, v5, v3
.LBB164_991:
	s_or_b64 exec, exec, s[10:11]
	v_bfe_u32 v3, v4, 16, 1
	s_movk_i32 s8, 0x7fff
	v_add3_u32 v3, v4, v3, s8
	v_cmp_o_f32_e32 vcc, v4, v4
	v_mov_b32_e32 v4, 0x7fc0
	v_cndmask_b32_sdwa v4, v4, v3, vcc dst_sel:DWORD dst_unused:UNUSED_PAD src0_sel:DWORD src1_sel:WORD_1
.LBB164_992:
	s_mov_b64 s[8:9], -1
.LBB164_993:
	s_mov_b64 s[10:11], 0
.LBB164_994:
	s_and_b64 vcc, exec, s[10:11]
	s_cbranch_vccz .LBB164_1027
; %bb.995:
	s_cmp_gt_i32 s14, 22
	s_cbranch_scc0 .LBB164_1005
; %bb.996:
	s_cmp_lt_i32 s14, 24
	s_cbranch_scc1 .LBB164_1008
; %bb.997:
	s_cmp_gt_i32 s14, 24
	s_cbranch_scc0 .LBB164_1009
; %bb.998:
	global_load_ubyte v3, v[1:2], off
	s_movk_i32 s2, 0x7f
	s_waitcnt vmcnt(0)
	v_cmp_lt_i16_e32 vcc, s2, v3
	s_mov_b64 s[2:3], 0
	s_and_saveexec_b64 s[8:9], vcc
	s_xor_b64 s[8:9], exec, s[8:9]
	s_cbranch_execz .LBB164_1021
; %bb.999:
	s_movk_i32 s2, 0x80
	v_cmp_eq_u16_e32 vcc, s2, v3
	s_mov_b64 s[2:3], -1
	s_and_saveexec_b64 s[10:11], vcc
; %bb.1000:
	s_xor_b64 s[2:3], exec, -1
; %bb.1001:
	s_or_b64 exec, exec, s[10:11]
	s_and_b64 s[2:3], s[2:3], exec
	s_or_saveexec_b64 s[8:9], s[8:9]
	v_mov_b32_e32 v4, 0x7f800001
	s_xor_b64 exec, exec, s[8:9]
	s_cbranch_execnz .LBB164_1022
.LBB164_1002:
	s_or_b64 exec, exec, s[8:9]
	s_and_saveexec_b64 s[8:9], s[2:3]
	s_cbranch_execz .LBB164_1004
.LBB164_1003:
	v_lshlrev_b32_e32 v4, 24, v3
	v_and_b32_e32 v3, 0xffff, v3
	v_and_b32_e32 v5, 3, v3
	v_ffbh_u32_e32 v7, v5
	v_min_u32_e32 v7, 32, v7
	v_subrev_u32_e32 v8, 29, v7
	v_bfe_u32 v6, v3, 2, 5
	v_lshlrev_b32_e32 v3, v8, v3
	v_sub_u32_e32 v7, 30, v7
	v_and_b32_e32 v3, 3, v3
	v_cmp_eq_u32_e32 vcc, 0, v6
	v_cndmask_b32_e32 v6, v6, v7, vcc
	v_cndmask_b32_e32 v3, v5, v3, vcc
	v_mov_b32_e32 v5, 0x37800000
	v_lshlrev_b32_e32 v3, 21, v3
	v_and_b32_e32 v4, 0x80000000, v4
	v_lshl_add_u32 v5, v6, 23, v5
	v_or3_b32 v4, v4, v5, v3
.LBB164_1004:
	s_or_b64 exec, exec, s[8:9]
	v_bfe_u32 v3, v4, 16, 1
	s_movk_i32 s2, 0x7fff
	v_add3_u32 v3, v4, v3, s2
	v_cmp_o_f32_e32 vcc, v4, v4
	v_mov_b32_e32 v4, 0x7fc0
	v_cndmask_b32_sdwa v4, v4, v3, vcc dst_sel:DWORD dst_unused:UNUSED_PAD src0_sel:DWORD src1_sel:WORD_1
	s_mov_b64 s[2:3], 0
	s_branch .LBB164_1010
.LBB164_1005:
	s_mov_b64 s[2:3], -1
                                        ; implicit-def: $vgpr4
	s_branch .LBB164_1016
.LBB164_1006:
	s_or_saveexec_b64 s[10:11], s[10:11]
	v_mov_b32_e32 v4, 0x7f800001
	s_xor_b64 exec, exec, s[10:11]
	s_cbranch_execz .LBB164_989
.LBB164_1007:
	v_cmp_ne_u16_e32 vcc, 0, v3
	s_andn2_b64 s[8:9], s[8:9], exec
	s_and_b64 s[12:13], vcc, exec
	v_mov_b32_e32 v4, 0
	s_or_b64 s[8:9], s[8:9], s[12:13]
	s_or_b64 exec, exec, s[10:11]
	s_and_saveexec_b64 s[10:11], s[8:9]
	s_cbranch_execnz .LBB164_990
	s_branch .LBB164_991
.LBB164_1008:
	s_mov_b64 s[2:3], -1
                                        ; implicit-def: $vgpr4
	s_branch .LBB164_1013
.LBB164_1009:
	s_mov_b64 s[2:3], -1
                                        ; implicit-def: $vgpr4
.LBB164_1010:
	s_and_b64 vcc, exec, s[2:3]
	s_cbranch_vccz .LBB164_1012
; %bb.1011:
	global_load_ubyte v3, v[1:2], off
	s_mov_b32 s2, 0x7f800000
	s_brev_b32 s3, 1
	s_movk_i32 s8, 0x7fff
	s_waitcnt vmcnt(0)
	v_lshlrev_b32_e32 v3, 24, v3
	v_and_b32_e32 v4, 0x7f000000, v3
	v_ffbh_u32_e32 v5, v4
	v_min_u32_e32 v5, 32, v5
	v_sub_u32_e64 v5, v5, 4 clamp
	v_lshlrev_b32_e32 v7, v5, v4
	v_lshlrev_b32_e32 v5, 23, v5
	v_lshrrev_b32_e32 v7, 4, v7
	v_add_u32_e32 v6, 0x1000000, v4
	v_sub_u32_e32 v5, v7, v5
	v_ashrrev_i32_e32 v6, 8, v6
	v_add_u32_e32 v5, 0x3c000000, v5
	v_and_or_b32 v5, v6, s2, v5
	v_cmp_ne_u32_e32 vcc, 0, v4
	v_cndmask_b32_e32 v4, 0, v5, vcc
	v_and_or_b32 v3, v3, s3, v4
	v_bfe_u32 v4, v4, 16, 1
	v_add3_u32 v4, v3, v4, s8
	v_cmp_o_f32_e32 vcc, v3, v3
	v_mov_b32_e32 v3, 0x7fc0
	v_cndmask_b32_sdwa v4, v3, v4, vcc dst_sel:DWORD dst_unused:UNUSED_PAD src0_sel:DWORD src1_sel:WORD_1
.LBB164_1012:
	s_mov_b64 s[2:3], 0
.LBB164_1013:
	s_andn2_b64 vcc, exec, s[2:3]
	s_cbranch_vccnz .LBB164_1015
; %bb.1014:
	global_load_ubyte v3, v[1:2], off
	s_movk_i32 s2, 0x7f00
	s_brev_b32 s3, 16
	s_brev_b32 s8, 1
	s_movk_i32 s9, 0x7fff
	s_waitcnt vmcnt(0)
	v_lshlrev_b16_e32 v4, 8, v3
	v_lshlrev_b32_e32 v3, 25, v3
	v_lshrrev_b32_e32 v5, 4, v3
	v_and_or_b32 v6, v4, s2, 0.5
	v_or_b32_e32 v5, 0x70000000, v5
	v_add_f32_e32 v6, -0.5, v6
	v_mul_f32_e32 v5, 0x7800000, v5
	v_cmp_gt_u32_e32 vcc, s3, v3
	v_bfe_i32 v4, v4, 0, 16
	v_cndmask_b32_e32 v3, v5, v6, vcc
	v_and_or_b32 v4, v4, s8, v3
	v_bfe_u32 v3, v3, 16, 1
	v_add3_u32 v3, v4, v3, s9
	v_cmp_o_f32_e32 vcc, v4, v4
	v_mov_b32_e32 v4, 0x7fc0
	v_cndmask_b32_sdwa v4, v4, v3, vcc dst_sel:DWORD dst_unused:UNUSED_PAD src0_sel:DWORD src1_sel:WORD_1
.LBB164_1015:
	s_mov_b64 s[2:3], 0
	s_mov_b64 s[8:9], -1
.LBB164_1016:
	s_andn2_b64 vcc, exec, s[2:3]
	s_mov_b64 s[2:3], 0
	s_cbranch_vccnz .LBB164_1027
; %bb.1017:
	s_cmp_gt_i32 s14, 14
	s_cbranch_scc0 .LBB164_1020
; %bb.1018:
	s_cmp_eq_u32 s14, 15
	s_cbranch_scc0 .LBB164_1023
; %bb.1019:
	global_load_ushort v4, v[1:2], off
	s_mov_b64 s[0:1], 0
	s_mov_b64 s[8:9], -1
	s_branch .LBB164_1024
.LBB164_1020:
	s_mov_b64 s[10:11], -1
                                        ; implicit-def: $vgpr4
	s_branch .LBB164_1025
.LBB164_1021:
	s_or_saveexec_b64 s[8:9], s[8:9]
	v_mov_b32_e32 v4, 0x7f800001
	s_xor_b64 exec, exec, s[8:9]
	s_cbranch_execz .LBB164_1002
.LBB164_1022:
	v_cmp_ne_u16_e32 vcc, 0, v3
	s_andn2_b64 s[2:3], s[2:3], exec
	s_and_b64 s[10:11], vcc, exec
	v_mov_b32_e32 v4, 0
	s_or_b64 s[2:3], s[2:3], s[10:11]
	s_or_b64 exec, exec, s[8:9]
	s_and_saveexec_b64 s[8:9], s[2:3]
	s_cbranch_execnz .LBB164_1003
	s_branch .LBB164_1004
.LBB164_1023:
	s_mov_b64 s[0:1], -1
                                        ; implicit-def: $vgpr4
.LBB164_1024:
	s_mov_b64 s[10:11], 0
.LBB164_1025:
	s_and_b64 vcc, exec, s[10:11]
	s_cbranch_vccz .LBB164_1027
; %bb.1026:
	s_cmp_lg_u32 s14, 11
	s_cselect_b64 s[10:11], -1, 0
	s_andn2_b64 s[0:1], s[0:1], exec
	s_and_b64 s[10:11], s[10:11], exec
	s_mov_b64 s[2:3], -1
	s_or_b64 s[0:1], s[0:1], s[10:11]
.LBB164_1027:
	s_mov_b64 s[12:13], 0
.LBB164_1028:
	s_and_b64 s[10:11], s[8:9], exec
	s_and_b64 s[8:9], s[12:13], exec
	s_andn2_b64 s[12:13], s[66:67], exec
	s_and_b64 s[0:1], s[0:1], exec
	s_and_b64 s[2:3], s[2:3], exec
	s_or_b64 s[12:13], s[12:13], s[0:1]
.LBB164_1029:
	s_or_b64 exec, exec, s[70:71]
	s_and_b64 s[0:1], s[2:3], exec
	s_andn2_b64 s[2:3], s[66:67], exec
	s_and_b64 s[12:13], s[12:13], exec
	s_and_b64 s[10:11], s[10:11], exec
	;; [unrolled: 1-line block ×3, first 2 shown]
	s_or_b64 s[66:67], s[2:3], s[12:13]
.LBB164_1030:
	s_or_b64 exec, exec, s[64:65]
	s_andn2_b64 s[2:3], s[60:61], exec
	s_and_b64 s[12:13], s[68:69], exec
	s_or_b64 s[60:61], s[2:3], s[12:13]
	s_and_b64 s[2:3], s[0:1], exec
	s_andn2_b64 s[0:1], s[58:59], exec
	s_and_b64 s[12:13], s[66:67], exec
	s_and_b64 s[10:11], s[10:11], exec
	;; [unrolled: 1-line block ×3, first 2 shown]
	s_or_b64 s[58:59], s[0:1], s[12:13]
.LBB164_1031:
	s_or_b64 exec, exec, s[62:63]
	s_andn2_b64 s[0:1], s[52:53], exec
	s_and_b64 s[12:13], s[60:61], exec
	s_or_b64 s[52:53], s[0:1], s[12:13]
	s_and_b64 s[0:1], s[10:11], exec
	s_and_b64 s[10:11], s[8:9], exec
	;; [unrolled: 1-line block ×3, first 2 shown]
	s_andn2_b64 s[2:3], s[54:55], exec
	s_and_b64 s[8:9], s[58:59], exec
	s_or_b64 s[54:55], s[2:3], s[8:9]
	s_or_b64 exec, exec, s[56:57]
	s_mov_b64 s[8:9], 0
	s_and_saveexec_b64 s[2:3], s[54:55]
	s_cbranch_execz .LBB164_312
.LBB164_1032:
	s_mov_b64 s[8:9], exec
	s_andn2_b64 s[60:61], s[60:61], exec
	s_trap 2
	s_or_b64 exec, exec, s[2:3]
	s_and_saveexec_b64 s[2:3], s[60:61]
	s_xor_b64 s[2:3], exec, s[2:3]
	s_cbranch_execnz .LBB164_313
.LBB164_1033:
	s_or_b64 exec, exec, s[2:3]
	s_and_saveexec_b64 s[2:3], s[10:11]
	s_cbranch_execz .LBB164_1079
.LBB164_1034:
	s_sext_i32_i16 s10, s74
	s_cmp_lt_i32 s10, 5
	s_cbranch_scc1 .LBB164_1039
; %bb.1035:
	s_cmp_lt_i32 s10, 8
	s_cbranch_scc1 .LBB164_1040
; %bb.1036:
	;; [unrolled: 3-line block ×3, first 2 shown]
	s_cmp_gt_i32 s10, 9
	s_cbranch_scc0 .LBB164_1042
; %bb.1038:
	global_load_dwordx2 v[3:4], v[1:2], off
	s_movk_i32 s10, 0x7fff
	s_waitcnt vmcnt(0)
	v_cvt_f32_f64_e32 v3, v[3:4]
	v_mov_b32_e32 v4, 0x7fc0
	v_bfe_u32 v5, v3, 16, 1
	v_cmp_o_f32_e32 vcc, v3, v3
	v_add3_u32 v3, v3, v5, s10
	v_cndmask_b32_sdwa v4, v4, v3, vcc dst_sel:DWORD dst_unused:UNUSED_PAD src0_sel:DWORD src1_sel:WORD_1
	s_mov_b64 s[10:11], 0
	s_branch .LBB164_1043
.LBB164_1039:
                                        ; implicit-def: $vgpr4
	s_branch .LBB164_1060
.LBB164_1040:
                                        ; implicit-def: $vgpr4
	s_branch .LBB164_1049
.LBB164_1041:
	s_mov_b64 s[10:11], -1
                                        ; implicit-def: $vgpr4
	s_branch .LBB164_1046
.LBB164_1042:
	s_mov_b64 s[10:11], -1
                                        ; implicit-def: $vgpr4
.LBB164_1043:
	s_andn2_b64 vcc, exec, s[10:11]
	s_cbranch_vccnz .LBB164_1045
; %bb.1044:
	global_load_dword v3, v[1:2], off
	s_movk_i32 s10, 0x7fff
	s_waitcnt vmcnt(1)
	v_mov_b32_e32 v4, 0x7fc0
	s_waitcnt vmcnt(0)
	v_bfe_u32 v5, v3, 16, 1
	v_cmp_o_f32_e32 vcc, v3, v3
	v_add3_u32 v3, v3, v5, s10
	v_cndmask_b32_sdwa v4, v4, v3, vcc dst_sel:DWORD dst_unused:UNUSED_PAD src0_sel:DWORD src1_sel:WORD_1
.LBB164_1045:
	s_mov_b64 s[10:11], 0
.LBB164_1046:
	s_andn2_b64 vcc, exec, s[10:11]
	s_cbranch_vccnz .LBB164_1048
; %bb.1047:
	global_load_dword v3, v[1:2], off
	s_movk_i32 s10, 0x7fff
	v_mov_b32_e32 v5, 0x7fc0
	s_waitcnt vmcnt(0)
	v_cvt_f32_f16_e32 v4, v3
	v_cmp_o_f16_e32 vcc, v3, v3
	v_bfe_u32 v3, v4, 16, 1
	v_add3_u32 v3, v4, v3, s10
	v_cndmask_b32_sdwa v4, v5, v3, vcc dst_sel:DWORD dst_unused:UNUSED_PAD src0_sel:DWORD src1_sel:WORD_1
.LBB164_1048:
	s_cbranch_execnz .LBB164_1059
.LBB164_1049:
	s_sext_i32_i16 s10, s74
	s_cmp_lt_i32 s10, 6
	s_cbranch_scc1 .LBB164_1052
; %bb.1050:
	s_cmp_gt_i32 s10, 6
	s_cbranch_scc0 .LBB164_1053
; %bb.1051:
	global_load_dwordx2 v[3:4], v[1:2], off
	s_movk_i32 s10, 0x7fff
	s_waitcnt vmcnt(0)
	v_cvt_f32_f64_e32 v3, v[3:4]
	v_mov_b32_e32 v4, 0x7fc0
	v_bfe_u32 v5, v3, 16, 1
	v_cmp_o_f32_e32 vcc, v3, v3
	v_add3_u32 v3, v3, v5, s10
	v_cndmask_b32_sdwa v4, v4, v3, vcc dst_sel:DWORD dst_unused:UNUSED_PAD src0_sel:DWORD src1_sel:WORD_1
	s_mov_b64 s[10:11], 0
	s_branch .LBB164_1054
.LBB164_1052:
	s_mov_b64 s[10:11], -1
                                        ; implicit-def: $vgpr4
	s_branch .LBB164_1057
.LBB164_1053:
	s_mov_b64 s[10:11], -1
                                        ; implicit-def: $vgpr4
.LBB164_1054:
	s_andn2_b64 vcc, exec, s[10:11]
	s_cbranch_vccnz .LBB164_1056
; %bb.1055:
	global_load_dword v3, v[1:2], off
	s_movk_i32 s10, 0x7fff
	s_waitcnt vmcnt(1)
	v_mov_b32_e32 v4, 0x7fc0
	s_waitcnt vmcnt(0)
	v_bfe_u32 v5, v3, 16, 1
	v_cmp_o_f32_e32 vcc, v3, v3
	v_add3_u32 v3, v3, v5, s10
	v_cndmask_b32_sdwa v4, v4, v3, vcc dst_sel:DWORD dst_unused:UNUSED_PAD src0_sel:DWORD src1_sel:WORD_1
.LBB164_1056:
	s_mov_b64 s[10:11], 0
.LBB164_1057:
	s_andn2_b64 vcc, exec, s[10:11]
	s_cbranch_vccnz .LBB164_1059
; %bb.1058:
	global_load_ushort v3, v[1:2], off
	s_movk_i32 s10, 0x7fff
	v_mov_b32_e32 v5, 0x7fc0
	s_waitcnt vmcnt(0)
	v_cvt_f32_f16_e32 v4, v3
	v_cmp_o_f16_e32 vcc, v3, v3
	v_bfe_u32 v3, v4, 16, 1
	v_add3_u32 v3, v4, v3, s10
	v_cndmask_b32_sdwa v4, v5, v3, vcc dst_sel:DWORD dst_unused:UNUSED_PAD src0_sel:DWORD src1_sel:WORD_1
.LBB164_1059:
	s_cbranch_execnz .LBB164_1078
.LBB164_1060:
	s_sext_i32_i16 s10, s74
	s_cmp_lt_i32 s10, 2
	s_cbranch_scc1 .LBB164_1064
; %bb.1061:
	s_cmp_lt_i32 s10, 3
	s_cbranch_scc1 .LBB164_1065
; %bb.1062:
	s_cmp_gt_i32 s10, 3
	s_cbranch_scc0 .LBB164_1066
; %bb.1063:
	global_load_dwordx2 v[3:4], v[1:2], off
	s_movk_i32 s10, 0x7fff
	s_waitcnt vmcnt(0)
	v_xor_b32_e32 v6, v3, v4
	v_ffbh_i32_e32 v5, v4
	v_ashrrev_i32_e32 v6, 31, v6
	v_add_u32_e32 v5, -1, v5
	v_add_u32_e32 v6, 32, v6
	v_min_u32_e32 v5, v5, v6
	v_lshlrev_b64 v[3:4], v5, v[3:4]
	v_min_u32_e32 v3, 1, v3
	v_or_b32_e32 v3, v4, v3
	v_cvt_f32_i32_e32 v3, v3
	v_sub_u32_e32 v4, 32, v5
	v_ldexp_f32 v3, v3, v4
	v_bfe_u32 v4, v3, 16, 1
	v_add3_u32 v3, v3, v4, s10
	v_lshrrev_b32_e32 v4, 16, v3
	s_mov_b64 s[10:11], 0
	s_branch .LBB164_1067
.LBB164_1064:
                                        ; implicit-def: $vgpr4
	s_branch .LBB164_1073
.LBB164_1065:
	s_mov_b64 s[10:11], -1
                                        ; implicit-def: $vgpr4
	s_branch .LBB164_1070
.LBB164_1066:
	s_mov_b64 s[10:11], -1
                                        ; implicit-def: $vgpr4
.LBB164_1067:
	s_andn2_b64 vcc, exec, s[10:11]
	s_cbranch_vccnz .LBB164_1069
; %bb.1068:
	global_load_dword v3, v[1:2], off
	s_movk_i32 s10, 0x7fff
	s_waitcnt vmcnt(0)
	v_cvt_f32_i32_e32 v3, v3
	v_bfe_u32 v4, v3, 16, 1
	v_add3_u32 v3, v3, v4, s10
	v_lshrrev_b32_e32 v4, 16, v3
.LBB164_1069:
	s_mov_b64 s[10:11], 0
.LBB164_1070:
	s_andn2_b64 vcc, exec, s[10:11]
	s_cbranch_vccnz .LBB164_1072
; %bb.1071:
	global_load_sshort v3, v[1:2], off
	s_movk_i32 s10, 0x7fff
	s_waitcnt vmcnt(0)
	v_cvt_f32_i32_e32 v3, v3
	v_bfe_u32 v4, v3, 16, 1
	v_add3_u32 v3, v3, v4, s10
	v_lshrrev_b32_e32 v4, 16, v3
.LBB164_1072:
	s_cbranch_execnz .LBB164_1078
.LBB164_1073:
	s_sext_i32_i16 s10, s74
	s_cmp_gt_i32 s10, 0
	s_cbranch_scc0 .LBB164_1075
; %bb.1074:
	global_load_sbyte v3, v[1:2], off
	s_movk_i32 s10, 0x7fff
	s_waitcnt vmcnt(0)
	v_cvt_f32_i32_e32 v3, v3
	v_bfe_u32 v4, v3, 16, 1
	v_add3_u32 v3, v3, v4, s10
	v_lshrrev_b32_e32 v4, 16, v3
	s_mov_b64 s[10:11], 0
	s_branch .LBB164_1076
.LBB164_1075:
	s_mov_b64 s[10:11], -1
                                        ; implicit-def: $vgpr4
.LBB164_1076:
	s_andn2_b64 vcc, exec, s[10:11]
	s_cbranch_vccnz .LBB164_1078
; %bb.1077:
	global_load_ubyte v1, v[1:2], off
	s_movk_i32 s10, 0x7fff
	s_waitcnt vmcnt(0)
	v_cvt_f32_ubyte0_e32 v1, v1
	v_bfe_u32 v2, v1, 16, 1
	v_add3_u32 v1, v1, v2, s10
	v_lshrrev_b32_e32 v4, 16, v1
.LBB164_1078:
	s_or_b64 s[0:1], s[0:1], exec
.LBB164_1079:
	s_or_b64 exec, exec, s[2:3]
	s_mov_b64 s[12:13], 0
	s_mov_b64 s[2:3], 0
                                        ; implicit-def: $sgpr18
                                        ; implicit-def: $vgpr1_vgpr2
                                        ; implicit-def: $vgpr3
	s_and_saveexec_b64 s[10:11], s[0:1]
	s_cbranch_execz .LBB164_1135
; %bb.1080:
	s_waitcnt vmcnt(0)
	v_lshlrev_b32_e32 v1, 16, v4
	s_mov_b32 s0, 0x3c800000
	v_and_b32_e32 v2, 0x7fffffff, v1
	v_cmp_nlt_f32_e64 s[0:1], |v1|, s0
                                        ; implicit-def: $vgpr3
	s_and_saveexec_b64 s[2:3], s[0:1]
	s_xor_b64 s[2:3], exec, s[2:3]
	s_cbranch_execz .LBB164_1110
; %bb.1081:
	v_cmp_nlt_f32_e64 s[0:1], |v1|, 2.0
                                        ; implicit-def: $vgpr3
	s_and_saveexec_b64 s[12:13], s[0:1]
	s_xor_b64 s[12:13], exec, s[12:13]
	s_cbranch_execz .LBB164_1091
; %bb.1082:
	s_mov_b32 s0, 0x41000000
	v_cmp_nlt_f32_e64 s[0:1], |v1|, s0
                                        ; implicit-def: $vgpr3
	s_and_saveexec_b64 s[14:15], s[0:1]
	s_xor_b64 s[14:15], exec, s[14:15]
	s_cbranch_execz .LBB164_1088
; %bb.1083:
	s_mov_b32 s0, 0x5c800000
	v_cmp_nlt_f32_e64 s[0:1], |v1|, s0
                                        ; implicit-def: $vgpr3
	s_and_saveexec_b64 s[16:17], s[0:1]
	s_xor_b64 s[16:17], exec, s[16:17]
	s_cbranch_execz .LBB164_1085
; %bb.1084:
	s_mov_b32 s0, 0x800000
	v_cmp_lt_f32_e64 vcc, |v1|, s0
	v_cndmask_b32_e64 v3, 0, 32, vcc
	v_ldexp_f32 v3, |v1|, v3
	v_log_f32_e32 v3, v3
	s_mov_b32 s0, 0x3f317217
	s_mov_b32 s1, 0x7f800000
	v_mul_f32_e32 v4, 0x3f317217, v3
	v_fma_f32 v5, v3, s0, -v4
	v_fmac_f32_e32 v5, 0x3377d1cf, v3
	v_add_f32_e32 v4, v4, v5
	v_cmp_lt_f32_e64 s[0:1], |v3|, s1
	v_cndmask_b32_e64 v3, v3, v4, s[0:1]
	v_mov_b32_e32 v4, 0x41b17218
	v_cndmask_b32_e32 v4, 0, v4, vcc
	v_sub_f32_e32 v3, v3, v4
	v_fma_f32 v3, |v1|, v3, -|v1|
.LBB164_1085:
	s_andn2_saveexec_b64 s[16:17], s[16:17]
	s_cbranch_execz .LBB164_1087
; %bb.1086:
	v_rcp_f32_e64 v4, |v1|
	v_mov_b32_e32 v3, 0x3a5b3dd2
	v_mov_b32_e32 v5, 0xba1c065c
	;; [unrolled: 1-line block ×3, first 2 shown]
	v_mul_f32_e32 v7, v4, v4
	v_fmac_f32_e32 v3, 0xbad5c4e8, v7
	v_fmac_f32_e32 v5, v7, v3
	s_mov_b32 s0, 0x800000
	v_fmac_f32_e32 v6, v7, v5
	v_mov_b32_e32 v3, 0xbb360b61
	v_cmp_lt_f32_e64 vcc, |v1|, s0
	v_fmac_f32_e32 v3, v7, v6
	v_cndmask_b32_e64 v6, 0, 32, vcc
	v_ldexp_f32 v6, |v1|, v6
	v_log_f32_e32 v6, v6
	v_mov_b32_e32 v5, 0x3daaaaab
	v_fmac_f32_e32 v5, v7, v3
	v_mov_b32_e32 v3, 0x3ed67f1d
	v_fmac_f32_e32 v3, v4, v5
	s_mov_b32 s0, 0x3f317217
	v_mul_f32_e32 v5, 0x3f317217, v6
	v_fma_f32 v7, v6, s0, -v5
	v_fmac_f32_e32 v7, 0x3377d1cf, v6
	s_mov_b32 s0, 0x7f800000
	v_add_f32_e32 v5, v5, v7
	v_cmp_lt_f32_e64 s[0:1], |v6|, s0
	v_cndmask_b32_e64 v5, v6, v5, s[0:1]
	v_mov_b32_e32 v6, 0x41b17218
	v_cndmask_b32_e32 v6, 0, v6, vcc
	v_sub_f32_e32 v5, v5, v6
	v_add_f32_e64 v4, |v1|, -0.5
	v_add_f32_e32 v5, -1.0, v5
	v_fmac_f32_e32 v3, v4, v5
.LBB164_1087:
	s_or_b64 exec, exec, s[16:17]
.LBB164_1088:
	s_andn2_saveexec_b64 s[14:15], s[14:15]
	s_cbranch_execz .LBB164_1090
; %bb.1089:
	v_cvt_i32_f32_e32 v3, v2
	v_mov_b32_e32 v4, 0x3af135b4
	v_mov_b32_e32 v5, 0x3cda40e4
	v_mov_b32_e32 v6, 0x3e15dce6
	v_cvt_f32_i32_e32 v7, v3
	v_mov_b32_e32 v8, 0x3ea6cc7a
	v_mov_b32_e32 v9, 0x3e5c245a
	v_cmp_lt_i32_e32 vcc, 2, v3
	v_sub_f32_e64 v7, |v1|, v7
	v_fmac_f32_e32 v4, 0x3805ff67, v7
	v_fmac_f32_e32 v5, v7, v4
	;; [unrolled: 1-line block ×3, first 2 shown]
	v_mov_b32_e32 v5, 0x3a4beed6
	v_fmac_f32_e32 v8, v7, v6
	v_fmac_f32_e32 v5, 0x36f5d7bd, v7
	v_mov_b32_e32 v6, 0x3c98bf54
	v_fmac_f32_e32 v6, v7, v5
	v_mov_b32_e32 v5, 0x3e300f6e
	;; [unrolled: 2-line block ×4, first 2 shown]
	v_fmac_f32_e32 v5, v7, v6
	v_add_f32_e32 v6, 2.0, v7
	v_mov_b32_e32 v10, 0xbd9e233f
	v_fmac_f32_e32 v9, v7, v8
	v_add_f32_e32 v8, 0x40400000, v7
	v_cndmask_b32_e32 v6, 1.0, v6, vcc
	v_cmp_lt_i32_e32 vcc, 3, v3
	v_fmac_f32_e32 v10, v7, v9
	v_add_f32_e32 v9, 4.0, v7
	v_cndmask_b32_e32 v8, 1.0, v8, vcc
	v_cmp_lt_i32_e32 vcc, 4, v3
	v_mul_f32_e32 v4, v7, v10
	v_add_f32_e32 v10, 0x40a00000, v7
	v_mul_f32_e32 v6, v6, v8
	v_cndmask_b32_e32 v8, 1.0, v9, vcc
	v_cmp_lt_i32_e32 vcc, 5, v3
	v_add_f32_e32 v11, 0x40c00000, v7
	v_mul_f32_e32 v6, v8, v6
	v_cndmask_b32_e32 v8, 1.0, v10, vcc
	v_cmp_lt_i32_e32 vcc, 6, v3
	v_mul_f32_e32 v6, v8, v6
	v_cndmask_b32_e32 v3, 1.0, v11, vcc
	v_mul_f32_e32 v3, v3, v6
	s_mov_b32 s0, 0x800000
	v_cmp_gt_f32_e32 vcc, s0, v3
	v_cndmask_b32_e64 v6, 0, 32, vcc
	v_fma_f32 v5, v7, v5, 1.0
	v_ldexp_f32 v3, v3, v6
	v_rcp_f32_e32 v5, v5
	v_log_f32_e32 v3, v3
	s_mov_b32 s0, 0x3f317217
	v_mul_f32_e32 v4, v4, v5
	v_mul_f32_e32 v5, 0x3f317217, v3
	v_fma_f32 v6, v3, s0, -v5
	v_fmac_f32_e32 v6, 0x3377d1cf, v3
	s_mov_b32 s0, 0x7f800000
	v_add_f32_e32 v5, v5, v6
	v_cmp_lt_f32_e64 s[0:1], |v3|, s0
	v_cndmask_b32_e64 v3, v3, v5, s[0:1]
	v_mov_b32_e32 v5, 0x41b17218
	v_cndmask_b32_e32 v5, 0, v5, vcc
	v_fmac_f32_e32 v4, 0.5, v7
	v_sub_f32_e32 v3, v3, v5
	v_add_f32_e32 v3, v3, v4
.LBB164_1090:
	s_or_b64 exec, exec, s[14:15]
.LBB164_1091:
	s_andn2_saveexec_b64 s[12:13], s[12:13]
	s_cbranch_execz .LBB164_1109
; %bb.1092:
	s_mov_b32 s0, 0x3f666666
	v_cmp_le_f32_e64 s[0:1], |v1|, s0
                                        ; implicit-def: $vgpr3
                                        ; implicit-def: $vgpr5
                                        ; implicit-def: $vgpr4
	s_and_saveexec_b64 s[14:15], s[0:1]
	s_xor_b64 s[14:15], exec, s[14:15]
	s_cbranch_execz .LBB164_1094
; %bb.1093:
	s_mov_b32 s0, 0x800000
	v_cmp_lt_f32_e64 vcc, |v1|, s0
	v_cndmask_b32_e64 v3, 0, 32, vcc
	v_ldexp_f32 v3, |v1|, v3
	v_log_f32_e32 v3, v3
	s_mov_b32 s0, 0x3f317217
	s_mov_b32 s1, 0x7f800000
	v_mul_f32_e32 v4, 0x3f317217, v3
	v_fma_f32 v5, v3, s0, -v4
	v_fmac_f32_e32 v5, 0x3377d1cf, v3
	v_add_f32_e32 v4, v4, v5
	v_cmp_lt_f32_e64 s[0:1], |v3|, s1
	v_cndmask_b32_e64 v3, v3, v4, s[0:1]
	v_mov_b32_e32 v4, 0x41b17218
	v_cndmask_b32_e32 v4, 0, v4, vcc
	s_mov_b32 s0, 0x3f3b4a23
	s_mov_b32 s1, 0xbeec5b0c
	v_sub_f32_e32 v3, v3, v4
	v_sub_f32_e64 v4, 1.0, |v1|
	v_add_f32_e64 v5, |v1|, s1
	v_cmp_lt_f32_e64 vcc, |v1|, s0
	s_mov_b32 s0, 0x3e6d3309
	v_cndmask_b32_e32 v4, v4, v5, vcc
	v_cndmask_b32_e64 v5, 0, 1, vcc
	v_cmp_lt_f32_e64 s[0:1], |v1|, s0
	v_xor_b32_e32 v3, 0x80000000, v3
	v_cndmask_b32_e64 v4, v4, |v1|, s[0:1]
	v_cndmask_b32_e64 v5, v5, 2, s[0:1]
.LBB164_1094:
	s_andn2_saveexec_b64 s[0:1], s[14:15]
	s_cbranch_execz .LBB164_1096
; %bb.1095:
	s_mov_b32 s14, 0x3fdda512
	s_mov_b32 s15, 0xbfbb16c3
	v_sub_f32_e64 v3, 2.0, |v1|
	v_add_f32_e64 v4, |v1|, s15
	v_cmp_lt_f32_e64 vcc, |v1|, s14
	v_cndmask_b32_e32 v4, v3, v4, vcc
	v_cndmask_b32_e64 v3, v3, 1.0, vcc
	v_cvt_i32_f32_e32 v3, v3
	s_mov_b32 s14, 0x3f9d70a4
	v_add_f32_e64 v5, |v1|, -1.0
	v_cmp_lt_f32_e64 vcc, |v1|, s14
	v_cndmask_b32_e32 v4, v4, v5, vcc
	v_cndmask_b32_e64 v5, v3, 2, vcc
	v_mov_b32_e32 v3, 0
.LBB164_1096:
	s_or_b64 exec, exec, s[0:1]
	v_cmp_lt_i32_e32 vcc, 0, v5
	s_and_saveexec_b64 s[0:1], vcc
	s_xor_b64 s[0:1], exec, s[0:1]
	s_cbranch_execz .LBB164_1104
; %bb.1097:
	v_cmp_lt_i32_e32 vcc, 1, v5
	s_and_saveexec_b64 s[14:15], vcc
	s_xor_b64 s[14:15], exec, s[14:15]
	s_cbranch_execz .LBB164_1101
; %bb.1098:
	v_cmp_eq_u32_e32 vcc, 2, v5
	s_and_saveexec_b64 s[16:17], vcc
	s_cbranch_execz .LBB164_1100
; %bb.1099:
	v_mov_b32_e32 v5, 0x3e6a7578
	v_fmac_f32_e32 v5, 0x3c5b3c5e, v4
	v_mov_b32_e32 v6, 0x3f7a4bb2
	v_fmac_f32_e32 v6, v4, v5
	;; [unrolled: 2-line block ×8, first 2 shown]
	v_fma_f32 v5, v4, v7, 1.0
	v_rcp_f32_e32 v5, v5
	v_mov_b32_e32 v7, 0xbd9e233f
	v_fmac_f32_e32 v7, v4, v6
	v_mul_f32_e32 v6, v4, v7
	v_mul_f32_e32 v5, v6, v5
	v_fmac_f32_e32 v5, -0.5, v4
	v_add_f32_e32 v3, v3, v5
.LBB164_1100:
	s_or_b64 exec, exec, s[16:17]
                                        ; implicit-def: $vgpr4
.LBB164_1101:
	s_andn2_saveexec_b64 s[14:15], s[14:15]
	s_cbranch_execz .LBB164_1103
; %bb.1102:
	v_mul_f32_e32 v5, v4, v4
	v_mul_f32_e32 v6, v4, v5
	v_mov_b32_e32 v7, 0xbab7f476
	v_fmac_f32_e32 v7, 0x39a57b6b, v6
	v_mov_b32_e32 v8, 0x3bc7e707
	v_fmac_f32_e32 v8, v6, v7
	;; [unrolled: 2-line block ×12, first 2 shown]
	v_fmac_f32_e32 v9, v4, v10
	s_mov_b32 s16, 0xa2863e55
	v_fma_f32 v4, v6, -v9, s16
	v_fma_f32 v4, v5, v8, -v4
	v_add_f32_e32 v4, 0xbdf8cdce, v4
	v_add_f32_e32 v3, v3, v4
.LBB164_1103:
	s_or_b64 exec, exec, s[14:15]
                                        ; implicit-def: $vgpr5
                                        ; implicit-def: $vgpr4
.LBB164_1104:
	s_andn2_saveexec_b64 s[0:1], s[0:1]
	s_cbranch_execz .LBB164_1108
; %bb.1105:
	v_cmp_eq_u32_e32 vcc, 0, v5
	s_and_saveexec_b64 s[14:15], vcc
	s_cbranch_execz .LBB164_1107
; %bb.1106:
	v_mul_f32_e32 v5, v4, v4
	v_mov_b32_e32 v6, 0x39679767
	v_fmac_f32_e32 v6, 0x37d383a2, v5
	v_mov_b32_e32 v7, 0x3a9c54a1
	v_fmac_f32_e32 v7, v5, v6
	;; [unrolled: 2-line block ×10, first 2 shown]
	v_mul_f32_e32 v5, v5, v7
	v_fmac_f32_e32 v5, v4, v6
	v_fmac_f32_e32 v5, -0.5, v4
	v_add_f32_e32 v3, v3, v5
.LBB164_1107:
	s_or_b64 exec, exec, s[14:15]
.LBB164_1108:
	s_or_b64 exec, exec, s[0:1]
.LBB164_1109:
	s_or_b64 exec, exec, s[12:13]
.LBB164_1110:
	s_andn2_saveexec_b64 s[2:3], s[2:3]
	s_cbranch_execz .LBB164_1112
; %bb.1111:
	s_mov_b32 s0, 0x3e8a8991
	v_mov_b32_e32 v3, 0xbecd26ab
	v_fma_f32 v3, |v1|, s0, v3
	s_mov_b32 s0, 0x3f528d33
	v_fma_f32 v3, |v1|, v3, s0
	s_mov_b32 s0, 0x800000
	v_cmp_lt_f32_e64 vcc, |v1|, s0
	v_cndmask_b32_e64 v4, 0, 32, vcc
	v_ldexp_f32 v4, |v1|, v4
	v_log_f32_e32 v4, v4
	s_mov_b32 s0, 0xbf13c468
	v_fma_f32 v3, |v1|, v3, s0
	s_mov_b32 s0, 0x3f317217
	v_mul_f32_e32 v5, 0x3f317217, v4
	v_fma_f32 v6, v4, s0, -v5
	v_fmac_f32_e32 v6, 0x3377d1cf, v4
	s_mov_b32 s0, 0x7f800000
	v_add_f32_e32 v5, v5, v6
	v_cmp_lt_f32_e64 s[0:1], |v4|, s0
	v_cndmask_b32_e64 v4, v4, v5, s[0:1]
	v_mov_b32_e32 v5, 0x41b17218
	v_cndmask_b32_e32 v5, 0, v5, vcc
	v_sub_f32_e32 v4, v4, v5
	v_fma_f32 v3, |v1|, v3, -v4
.LBB164_1112:
	s_or_b64 exec, exec, s[2:3]
	v_cmp_le_f32_e32 vcc, 0, v1
	v_cmp_nle_f32_e64 s[0:1], 0, v1
	s_and_saveexec_b64 s[2:3], s[0:1]
	s_xor_b64 s[12:13], exec, s[2:3]
	s_cbranch_execz .LBB164_1116
; %bb.1113:
	s_mov_b32 s0, 0x4b000000
	s_mov_b32 s2, 0x35000000
	v_cmp_lt_f32_e64 s[0:1], |v1|, s0
	v_cmp_gt_f32_e64 s[2:3], |v1|, s2
	s_and_b64 s[0:1], s[0:1], s[2:3]
	s_and_saveexec_b64 s[14:15], s[0:1]
	s_cbranch_execz .LBB164_1115
; %bb.1114:
	v_mul_f32_e64 v4, |v1|, 0.5
	v_floor_f32_e32 v5, v4
	v_sub_f32_e32 v5, v4, v5
	v_min_f32_e32 v5, 0x3f7fffff, v5
	s_mov_b32 s2, 0x7f800000
	v_add_f32_e32 v5, v5, v5
	v_cmp_neq_f32_e64 s[0:1], s2, v4
	v_cndmask_b32_e64 v4, 0, v5, s[0:1]
	v_cmp_gt_f32_e64 s[0:1], |v1|, 1.0
	v_cndmask_b32_e64 v4, |v1|, v4, s[0:1]
	v_add_f32_e32 v5, v4, v4
	v_rndne_f32_e32 v5, v5
	v_fmac_f32_e32 v4, -0.5, v5
	v_mul_f32_e32 v6, v4, v4
	v_mov_b32_e32 v7, 0xbf1f24be
	v_fmac_f32_e32 v7, 0x3e75aa41, v6
	v_mov_b32_e32 v8, 0x40234736
	v_fmac_f32_e32 v8, v6, v7
	;; [unrolled: 2-line block ×3, first 2 shown]
	v_mul_f32_e32 v8, v4, v6
	v_mul_f32_e32 v7, v8, v7
	v_fmac_f32_e32 v7, 0x40490fdb, v4
	v_mov_b32_e32 v4, 0x3e642e9d
	v_cvt_i32_f32_e32 v5, v5
	v_fmac_f32_e32 v4, 0x3d4be544, v6
	v_mov_b32_e32 v8, 0xbfaad1da
	v_fmac_f32_e32 v8, v6, v4
	v_mov_b32_e32 v4, 0x4081e0d3
	;; [unrolled: 2-line block ×3, first 2 shown]
	v_fmac_f32_e32 v8, v6, v4
	v_fma_f32 v4, v6, v8, 1.0
	v_and_b32_e32 v6, 1, v5
	v_cmp_eq_u32_e64 s[0:1], 0, v6
	v_cndmask_b32_e64 v4, v4, v7, s[0:1]
	v_lshlrev_b32_e32 v5, 30, v5
	s_brev_b32 s0, 1
	v_and_or_b32 v2, v5, s0, v2
	v_xor_b32_e32 v2, v2, v4
	v_xor_b32_e32 v2, v2, v1
	v_mul_f32_e32 v2, v1, v2
	v_frexp_mant_f32_e64 v4, |v2|
	v_rcp_f32_e32 v4, v4
	v_frexp_exp_i32_f32_e32 v2, v2
	v_sub_u32_e32 v2, 2, v2
	s_mov_b32 s0, 0x800000
	v_mul_f32_e32 v4, 0x3f490fdb, v4
	v_ldexp_f32 v2, v4, v2
	v_cmp_gt_f32_e64 s[0:1], s0, v2
	v_cndmask_b32_e64 v4, 0, 32, s[0:1]
	v_ldexp_f32 v2, v2, v4
	v_log_f32_e32 v2, v2
	s_mov_b32 s3, 0x3f317217
	v_mul_f32_e32 v4, 0x3f317217, v2
	v_fma_f32 v5, v2, s3, -v4
	v_fmac_f32_e32 v5, 0x3377d1cf, v2
	v_add_f32_e32 v4, v4, v5
	v_cmp_lt_f32_e64 s[2:3], |v2|, s2
	v_cndmask_b32_e64 v2, v2, v4, s[2:3]
	v_mov_b32_e32 v4, 0x41b17218
	v_cndmask_b32_e64 v4, 0, v4, s[0:1]
	v_sub_f32_e32 v2, v2, v4
	v_sub_f32_e32 v2, v2, v3
	v_floor_f32_e32 v3, v1
	v_sub_f32_e32 v3, v1, v3
	v_min_f32_e32 v3, 0x3f7fffff, v3
	v_mov_b32_e32 v4, 0x7f800000
	v_cmp_neq_f32_e64 s[0:1], 0, v3
	v_cndmask_b32_e64 v3, v4, v2, s[0:1]
.LBB164_1115:
	s_or_b64 exec, exec, s[14:15]
.LBB164_1116:
	s_andn2_saveexec_b64 s[12:13], s[12:13]
; %bb.1117:
	v_cmp_eq_f32_e64 s[0:1], 1.0, v1
	v_cmp_eq_f32_e64 s[2:3], 2.0, v1
	s_or_b64 s[0:1], s[0:1], s[2:3]
	v_cndmask_b32_e64 v3, v3, 0, s[0:1]
; %bb.1118:
	s_or_b64 exec, exec, s[12:13]
	s_mov_b32 s0, 0x4b000000
	v_cmp_lt_f32_e64 s[0:1], |v1|, s0
	v_mov_b32_e32 v2, 0x264
	v_mov_b32_e32 v4, 0x7f800000
	s_or_b64 vcc, vcc, s[0:1]
	v_cndmask_b32_e32 v3, v4, v3, vcc
	v_cmp_class_f32_e32 vcc, v1, v2
	v_cndmask_b32_e32 v2, v3, v4, vcc
	v_cmp_u_f32_e32 vcc, v1, v1
	v_cndmask_b32_e32 v1, v2, v1, vcc
	v_bfe_u32 v2, v1, 16, 1
	s_movk_i32 s0, 0x7fff
	v_add3_u32 v2, v1, v2, s0
	v_cmp_o_f32_e32 vcc, v1, v1
	v_mov_b32_e32 v1, 0x7fc0
	v_cndmask_b32_sdwa v3, v1, v2, vcc dst_sel:DWORD dst_unused:UNUSED_PAD src0_sel:DWORD src1_sel:WORD_1
	s_waitcnt lgkmcnt(0)
	v_mov_b32_e32 v2, s25
	s_and_b32 s18, s73, 0xff
	v_add_co_u32_e32 v1, vcc, s24, v0
	s_cmp_lt_i32 s18, 11
	v_addc_co_u32_e32 v2, vcc, 0, v2, vcc
	s_cbranch_scc1 .LBB164_1138
; %bb.1119:
	s_and_b32 s19, 0xffff, s18
	s_mov_b64 s[12:13], -1
	s_cmp_gt_i32 s19, 25
	s_mov_b64 s[0:1], s[52:53]
	s_cbranch_scc0 .LBB164_1156
; %bb.1120:
	s_mov_b64 s[2:3], -1
	s_cmp_gt_i32 s19, 28
	s_mov_b64 s[0:1], s[52:53]
	s_cbranch_scc0 .LBB164_1140
; %bb.1121:
	s_cmp_gt_i32 s19, 43
	s_mov_b64 s[0:1], s[52:53]
	s_cbranch_scc0 .LBB164_1132
; %bb.1122:
	;; [unrolled: 4-line block ×3, first 2 shown]
	s_cmp_eq_u32 s19, 46
	s_mov_b64 s[0:1], -1
	s_cbranch_scc0 .LBB164_1125
; %bb.1124:
	v_and_b32_e32 v0, 0xffff, v3
	global_store_dword v[1:2], v0, off
	s_mov_b64 s[0:1], 0
.LBB164_1125:
	s_mov_b64 s[2:3], 0
.LBB164_1126:
	s_and_b64 vcc, exec, s[2:3]
	s_cbranch_vccz .LBB164_1131
; %bb.1127:
	s_cmp_eq_u32 s19, 44
	s_mov_b64 s[0:1], -1
	s_cbranch_scc0 .LBB164_1131
; %bb.1128:
	v_and_b32_e32 v4, 0xffff, v3
	v_bfe_u32 v0, v4, 7, 8
	s_movk_i32 s0, 0xff
	v_cmp_ne_u32_e32 vcc, s0, v0
	v_mov_b32_e32 v5, 0xff
	s_and_saveexec_b64 s[2:3], vcc
	s_cbranch_execz .LBB164_1130
; %bb.1129:
	v_lshlrev_b32_e32 v6, 16, v4
	s_mov_b32 s0, 0x3f0000
	v_lshrrev_b32_e32 v5, 7, v4
	v_and_b32_e32 v4, 64, v4
	v_and_or_b32 v0, v6, s0, v0
	v_cmp_ne_u32_e32 vcc, 0, v4
	v_cmp_ne_u32_e64 s[0:1], 0, v0
	s_and_b64 s[0:1], vcc, s[0:1]
	v_cndmask_b32_e64 v0, 0, 1, s[0:1]
	v_add_u32_e32 v5, v5, v0
.LBB164_1130:
	s_or_b64 exec, exec, s[2:3]
	s_mov_b64 s[0:1], 0
	global_store_byte v[1:2], v5, off
.LBB164_1131:
	s_mov_b64 s[2:3], 0
.LBB164_1132:
	s_and_b64 vcc, exec, s[2:3]
	s_cbranch_vccz .LBB164_1139
; %bb.1133:
	s_cmp_eq_u32 s19, 29
	s_mov_b64 s[0:1], -1
	s_cbranch_scc0 .LBB164_1139
; %bb.1134:
	v_lshlrev_b32_e32 v0, 16, v3
	v_trunc_f32_e32 v0, v0
	v_mul_f32_e32 v4, 0x2f800000, v0
	v_floor_f32_e32 v4, v4
	v_fmac_f32_e32 v0, 0xcf800000, v4
	v_cvt_u32_f32_e32 v5, v4
	v_cvt_u32_f32_e32 v4, v0
	s_mov_b64 s[0:1], 0
	s_mov_b64 s[2:3], 0
	global_store_dwordx2 v[1:2], v[4:5], off
	s_branch .LBB164_1140
.LBB164_1135:
	s_or_b64 exec, exec, s[10:11]
	s_and_saveexec_b64 s[0:1], s[52:53]
	s_cbranch_execnz .LBB164_1198
.LBB164_1136:
	s_or_b64 exec, exec, s[0:1]
	s_and_saveexec_b64 s[0:1], s[12:13]
	s_xor_b64 s[0:1], exec, s[0:1]
	s_cbranch_execz .LBB164_1199
.LBB164_1137:
	s_waitcnt vmcnt(0)
	v_and_b32_e32 v0, 0x7fff, v3
	v_cmp_ne_u16_e32 vcc, 0, v0
	v_cndmask_b32_e64 v0, 0, 1, vcc
	global_store_byte v[1:2], v0, off
	s_or_b64 exec, exec, s[0:1]
	s_and_saveexec_b64 s[0:1], s[2:3]
	s_xor_b64 s[0:1], exec, s[0:1]
	s_cbranch_execz .LBB164_1237
	s_branch .LBB164_1200
.LBB164_1138:
	s_mov_b64 s[12:13], 0
	s_mov_b64 s[2:3], -1
	s_mov_b64 s[0:1], s[52:53]
	s_branch .LBB164_1197
.LBB164_1139:
	s_mov_b64 s[2:3], 0
.LBB164_1140:
	s_and_b64 vcc, exec, s[2:3]
	s_cbranch_vccz .LBB164_1155
; %bb.1141:
	s_cmp_lt_i32 s19, 27
	s_mov_b64 s[2:3], -1
	s_cbranch_scc1 .LBB164_1147
; %bb.1142:
	s_cmp_gt_i32 s19, 27
	s_cbranch_scc0 .LBB164_1144
; %bb.1143:
	v_lshlrev_b32_e32 v0, 16, v3
	v_cvt_u32_f32_e32 v0, v0
	s_mov_b64 s[2:3], 0
	global_store_dword v[1:2], v0, off
.LBB164_1144:
	s_andn2_b64 vcc, exec, s[2:3]
	s_cbranch_vccnz .LBB164_1146
; %bb.1145:
	v_lshlrev_b32_e32 v0, 16, v3
	v_cvt_u32_f32_e32 v0, v0
	global_store_short v[1:2], v0, off
.LBB164_1146:
	s_mov_b64 s[2:3], 0
.LBB164_1147:
	s_andn2_b64 vcc, exec, s[2:3]
	s_cbranch_vccnz .LBB164_1155
; %bb.1148:
	v_lshlrev_b32_e32 v5, 16, v3
	v_and_b32_e32 v4, 0x7fffffff, v5
	s_mov_b32 s2, 0x43800000
	v_cmp_gt_u32_e32 vcc, s2, v4
	v_mov_b32_e32 v6, 0x80
	s_and_saveexec_b64 s[2:3], vcc
	s_cbranch_execz .LBB164_1154
; %bb.1149:
	s_mov_b32 s12, 0x3bffffff
	v_and_b32_e32 v0, 0xffff, v3
	v_cmp_lt_u32_e32 vcc, s12, v4
	s_mov_b64 s[12:13], 0
                                        ; implicit-def: $vgpr4
	s_and_saveexec_b64 s[14:15], vcc
	s_xor_b64 s[14:15], exec, s[14:15]
	s_cbranch_execz .LBB164_1308
; %bb.1150:
	v_bfe_u32 v4, v0, 4, 1
	s_mov_b32 s16, 0x487ffff
	v_add3_u32 v4, v5, v4, s16
	s_mov_b64 s[12:13], exec
	v_lshrrev_b32_e32 v4, 20, v4
                                        ; implicit-def: $vgpr5
	s_andn2_saveexec_b64 s[14:15], s[14:15]
	s_cbranch_execnz .LBB164_1309
.LBB164_1151:
	s_or_b64 exec, exec, s[14:15]
	v_mov_b32_e32 v6, 0
	s_and_saveexec_b64 s[14:15], s[12:13]
.LBB164_1152:
	v_lshrrev_b32_e32 v0, 8, v0
	s_movk_i32 s12, 0x80
	v_and_or_b32 v6, v0, s12, v4
.LBB164_1153:
	s_or_b64 exec, exec, s[14:15]
.LBB164_1154:
	s_or_b64 exec, exec, s[2:3]
	global_store_byte v[1:2], v6, off
.LBB164_1155:
	s_mov_b64 s[12:13], 0
.LBB164_1156:
	s_mov_b64 s[2:3], 0
	s_and_b64 vcc, exec, s[12:13]
	s_cbranch_vccz .LBB164_1196
; %bb.1157:
	s_cmp_gt_i32 s19, 22
	s_mov_b64 s[12:13], -1
	s_cbranch_scc0 .LBB164_1189
; %bb.1158:
	s_cmp_lt_i32 s19, 24
	s_cbranch_scc1 .LBB164_1178
; %bb.1159:
	s_cmp_gt_i32 s19, 24
	s_cbranch_scc0 .LBB164_1167
; %bb.1160:
	v_lshlrev_b32_e32 v5, 16, v3
	v_and_b32_e32 v4, 0x7fffffff, v5
	s_mov_b32 s12, 0x47800000
	v_cmp_gt_u32_e32 vcc, s12, v4
	v_mov_b32_e32 v6, 0x80
	s_and_saveexec_b64 s[12:13], vcc
	s_cbranch_execz .LBB164_1166
; %bb.1161:
	s_mov_b32 s14, 0x37ffffff
	v_and_b32_e32 v0, 0xffff, v3
	v_cmp_lt_u32_e32 vcc, s14, v4
	s_mov_b64 s[14:15], 0
                                        ; implicit-def: $vgpr4
	s_and_saveexec_b64 s[16:17], vcc
	s_xor_b64 s[16:17], exec, s[16:17]
	s_cbranch_execz .LBB164_1471
; %bb.1162:
	v_bfe_u32 v4, v0, 5, 1
	s_mov_b32 s20, 0x88fffff
	v_add3_u32 v4, v5, v4, s20
	s_mov_b64 s[14:15], exec
	v_lshrrev_b32_e32 v4, 21, v4
                                        ; implicit-def: $vgpr5
	s_andn2_saveexec_b64 s[16:17], s[16:17]
	s_cbranch_execnz .LBB164_1472
.LBB164_1163:
	s_or_b64 exec, exec, s[16:17]
	v_mov_b32_e32 v6, 0
	s_and_saveexec_b64 s[16:17], s[14:15]
.LBB164_1164:
	v_lshrrev_b32_e32 v0, 8, v0
	s_movk_i32 s14, 0x80
	v_and_or_b32 v6, v0, s14, v4
.LBB164_1165:
	s_or_b64 exec, exec, s[16:17]
.LBB164_1166:
	s_or_b64 exec, exec, s[12:13]
	s_mov_b64 s[12:13], 0
	global_store_byte v[1:2], v6, off
.LBB164_1167:
	s_and_b64 vcc, exec, s[12:13]
	s_cbranch_vccz .LBB164_1177
; %bb.1168:
	v_lshlrev_b32_e32 v5, 16, v3
	v_and_b32_e32 v6, 0x7fffffff, v5
	s_mov_b32 s12, 0x43f00000
	v_and_b32_e32 v0, 0xffff, v3
	v_cmp_gt_u32_e32 vcc, s12, v6
                                        ; implicit-def: $vgpr4
	s_and_saveexec_b64 s[12:13], vcc
	s_xor_b64 s[12:13], exec, s[12:13]
	s_cbranch_execz .LBB164_1174
; %bb.1169:
	s_mov_b32 s14, 0x3c7fffff
	v_cmp_lt_u32_e32 vcc, s14, v6
                                        ; implicit-def: $vgpr4
	s_and_saveexec_b64 s[14:15], vcc
	s_xor_b64 s[14:15], exec, s[14:15]
; %bb.1170:
	v_bfe_u32 v4, v0, 4, 1
	s_mov_b32 s16, 0x407ffff
	v_add3_u32 v4, v5, v4, s16
	v_lshrrev_b32_e32 v5, 20, v4
	v_and_b32_e32 v4, 0xff00000, v4
	s_mov_b32 s16, 0x7f00000
	v_mov_b32_e32 v6, 0x7e
	v_cmp_ne_u32_e32 vcc, s16, v4
	v_cndmask_b32_e32 v4, v6, v5, vcc
                                        ; implicit-def: $vgpr5
; %bb.1171:
	s_andn2_saveexec_b64 s[14:15], s[14:15]
; %bb.1172:
	s_mov_b32 s16, 0x46800000
	v_add_f32_e64 v4, |v5|, s16
; %bb.1173:
	s_or_b64 exec, exec, s[14:15]
                                        ; implicit-def: $vgpr6
.LBB164_1174:
	s_andn2_saveexec_b64 s[12:13], s[12:13]
; %bb.1175:
	s_mov_b32 s14, 0x7f800000
	v_mov_b32_e32 v4, 0x7e
	v_mov_b32_e32 v5, 0x7f
	v_cmp_lt_u32_e32 vcc, s14, v6
	v_cndmask_b32_e32 v4, v4, v5, vcc
; %bb.1176:
	s_or_b64 exec, exec, s[12:13]
	v_lshrrev_b32_e32 v0, 8, v0
	s_movk_i32 s12, 0x80
	v_and_or_b32 v0, v0, s12, v4
	global_store_byte v[1:2], v0, off
.LBB164_1177:
	s_mov_b64 s[12:13], 0
.LBB164_1178:
	s_andn2_b64 vcc, exec, s[12:13]
	s_cbranch_vccnz .LBB164_1188
; %bb.1179:
	v_lshlrev_b32_e32 v5, 16, v3
	v_and_b32_e32 v6, 0x7fffffff, v5
	s_mov_b32 s12, 0x47800000
	v_and_b32_e32 v0, 0xffff, v3
	v_cmp_gt_u32_e32 vcc, s12, v6
                                        ; implicit-def: $vgpr4
	s_and_saveexec_b64 s[12:13], vcc
	s_xor_b64 s[12:13], exec, s[12:13]
	s_cbranch_execz .LBB164_1185
; %bb.1180:
	s_mov_b32 s14, 0x387fffff
	v_cmp_lt_u32_e32 vcc, s14, v6
                                        ; implicit-def: $vgpr4
	s_and_saveexec_b64 s[14:15], vcc
	s_xor_b64 s[14:15], exec, s[14:15]
; %bb.1181:
	v_bfe_u32 v4, v0, 5, 1
	s_mov_b32 s16, 0x80fffff
	v_add3_u32 v4, v5, v4, s16
	v_lshrrev_b32_e32 v4, 21, v4
                                        ; implicit-def: $vgpr5
; %bb.1182:
	s_andn2_saveexec_b64 s[14:15], s[14:15]
; %bb.1183:
	s_mov_b32 s16, 0x43000000
	v_add_f32_e64 v4, |v5|, s16
; %bb.1184:
	s_or_b64 exec, exec, s[14:15]
                                        ; implicit-def: $vgpr6
.LBB164_1185:
	s_andn2_saveexec_b64 s[12:13], s[12:13]
; %bb.1186:
	s_mov_b32 s14, 0x7f800000
	v_mov_b32_e32 v4, 0x7c
	v_mov_b32_e32 v5, 0x7f
	v_cmp_lt_u32_e32 vcc, s14, v6
	v_cndmask_b32_e32 v4, v4, v5, vcc
; %bb.1187:
	s_or_b64 exec, exec, s[12:13]
	v_lshrrev_b32_e32 v0, 8, v0
	s_movk_i32 s12, 0x80
	v_and_or_b32 v0, v0, s12, v4
	global_store_byte v[1:2], v0, off
.LBB164_1188:
	s_mov_b64 s[12:13], 0
.LBB164_1189:
	s_andn2_b64 vcc, exec, s[12:13]
	s_mov_b64 s[12:13], 0
	s_cbranch_vccnz .LBB164_1197
; %bb.1190:
	s_cmp_gt_i32 s19, 14
	s_mov_b64 s[14:15], -1
	s_cbranch_scc0 .LBB164_1194
; %bb.1191:
	s_cmp_eq_u32 s19, 15
	s_mov_b64 s[0:1], -1
	s_cbranch_scc0 .LBB164_1193
; %bb.1192:
	global_store_short v[1:2], v3, off
	s_mov_b64 s[0:1], 0
.LBB164_1193:
	s_mov_b64 s[14:15], 0
.LBB164_1194:
	s_and_b64 vcc, exec, s[14:15]
	s_cbranch_vccz .LBB164_1197
; %bb.1195:
	s_cmp_lg_u32 s19, 11
	s_cselect_b64 s[14:15], -1, 0
	s_andn2_b64 s[0:1], s[0:1], exec
	s_and_b64 s[14:15], s[14:15], exec
	s_mov_b64 s[12:13], -1
	s_or_b64 s[0:1], s[0:1], s[14:15]
	s_branch .LBB164_1197
.LBB164_1196:
	s_mov_b64 s[12:13], 0
.LBB164_1197:
	s_andn2_b64 s[14:15], s[52:53], exec
	s_and_b64 s[0:1], s[0:1], exec
	s_and_b64 s[2:3], s[2:3], exec
	;; [unrolled: 1-line block ×3, first 2 shown]
	s_or_b64 s[52:53], s[14:15], s[0:1]
	s_or_b64 exec, exec, s[10:11]
	s_and_saveexec_b64 s[0:1], s[52:53]
	s_cbranch_execz .LBB164_1136
.LBB164_1198:
	s_or_b64 s[8:9], s[8:9], exec
	s_andn2_b64 s[12:13], s[12:13], exec
	s_trap 2
	s_or_b64 exec, exec, s[0:1]
	s_and_saveexec_b64 s[0:1], s[12:13]
	s_xor_b64 s[0:1], exec, s[0:1]
	s_cbranch_execnz .LBB164_1137
.LBB164_1199:
	s_or_b64 exec, exec, s[0:1]
	s_and_saveexec_b64 s[0:1], s[2:3]
	s_xor_b64 s[0:1], exec, s[0:1]
	s_cbranch_execz .LBB164_1237
.LBB164_1200:
	s_sext_i32_i16 s10, s18
	s_cmp_lt_i32 s10, 5
	s_mov_b64 s[2:3], -1
	s_cbranch_scc1 .LBB164_1221
; %bb.1201:
	s_cmp_lt_i32 s10, 8
	s_cbranch_scc1 .LBB164_1211
; %bb.1202:
	s_cmp_lt_i32 s10, 9
	s_cbranch_scc1 .LBB164_1208
; %bb.1203:
	s_cmp_gt_i32 s10, 9
	s_cbranch_scc0 .LBB164_1205
; %bb.1204:
	s_waitcnt vmcnt(0)
	v_lshlrev_b32_e32 v0, 16, v3
	v_cvt_f64_f32_e32 v[4:5], v0
	v_mov_b32_e32 v6, 0
	v_mov_b32_e32 v7, v6
	s_mov_b64 s[2:3], 0
	global_store_dwordx4 v[1:2], v[4:7], off
.LBB164_1205:
	s_andn2_b64 vcc, exec, s[2:3]
	s_cbranch_vccnz .LBB164_1207
; %bb.1206:
	s_waitcnt vmcnt(0)
	v_lshlrev_b32_e32 v4, 16, v3
	v_mov_b32_e32 v5, 0
	global_store_dwordx2 v[1:2], v[4:5], off
.LBB164_1207:
	s_mov_b64 s[2:3], 0
.LBB164_1208:
	s_andn2_b64 vcc, exec, s[2:3]
	s_cbranch_vccnz .LBB164_1210
; %bb.1209:
	s_waitcnt vmcnt(0)
	v_lshlrev_b32_e32 v0, 16, v3
	v_cvt_f16_f32_e32 v0, v0
	global_store_dword v[1:2], v0, off
.LBB164_1210:
	s_mov_b64 s[2:3], 0
.LBB164_1211:
	s_andn2_b64 vcc, exec, s[2:3]
	s_cbranch_vccnz .LBB164_1220
; %bb.1212:
	s_sext_i32_i16 s10, s18
	s_cmp_lt_i32 s10, 6
	s_mov_b64 s[2:3], -1
	s_cbranch_scc1 .LBB164_1218
; %bb.1213:
	s_cmp_gt_i32 s10, 6
	s_cbranch_scc0 .LBB164_1215
; %bb.1214:
	s_waitcnt vmcnt(0)
	v_lshlrev_b32_e32 v0, 16, v3
	v_cvt_f64_f32_e32 v[4:5], v0
	s_mov_b64 s[2:3], 0
	global_store_dwordx2 v[1:2], v[4:5], off
.LBB164_1215:
	s_andn2_b64 vcc, exec, s[2:3]
	s_cbranch_vccnz .LBB164_1217
; %bb.1216:
	s_waitcnt vmcnt(0)
	v_lshlrev_b32_e32 v0, 16, v3
	global_store_dword v[1:2], v0, off
.LBB164_1217:
	s_mov_b64 s[2:3], 0
.LBB164_1218:
	s_andn2_b64 vcc, exec, s[2:3]
	s_cbranch_vccnz .LBB164_1220
; %bb.1219:
	s_waitcnt vmcnt(0)
	v_lshlrev_b32_e32 v0, 16, v3
	v_cvt_f16_f32_e32 v0, v0
	global_store_short v[1:2], v0, off
.LBB164_1220:
	s_mov_b64 s[2:3], 0
.LBB164_1221:
	s_andn2_b64 vcc, exec, s[2:3]
	s_cbranch_vccnz .LBB164_1237
; %bb.1222:
	s_sext_i32_i16 s10, s18
	s_cmp_lt_i32 s10, 2
	s_mov_b64 s[2:3], -1
	s_cbranch_scc1 .LBB164_1232
; %bb.1223:
	s_cmp_lt_i32 s10, 3
	s_cbranch_scc1 .LBB164_1229
; %bb.1224:
	s_cmp_gt_i32 s10, 3
	s_cbranch_scc0 .LBB164_1226
; %bb.1225:
	s_waitcnt vmcnt(0)
	v_lshlrev_b32_e32 v0, 16, v3
	v_trunc_f32_e32 v0, v0
	s_mov_b32 s2, 0x2f800000
	v_mul_f32_e64 v4, |v0|, s2
	v_floor_f32_e32 v4, v4
	s_mov_b32 s2, 0xcf800000
	v_cvt_u32_f32_e32 v5, v4
	v_fma_f32 v4, v4, s2, |v0|
	v_cvt_u32_f32_e32 v4, v4
	v_ashrrev_i32_e32 v0, 31, v0
	v_xor_b32_e32 v5, v5, v0
	s_mov_b64 s[2:3], 0
	v_xor_b32_e32 v4, v4, v0
	v_sub_co_u32_e32 v4, vcc, v4, v0
	v_subb_co_u32_e32 v5, vcc, v5, v0, vcc
	global_store_dwordx2 v[1:2], v[4:5], off
.LBB164_1226:
	s_andn2_b64 vcc, exec, s[2:3]
	s_cbranch_vccnz .LBB164_1228
; %bb.1227:
	s_waitcnt vmcnt(0)
	v_lshlrev_b32_e32 v0, 16, v3
	v_cvt_i32_f32_e32 v0, v0
	global_store_dword v[1:2], v0, off
.LBB164_1228:
	s_mov_b64 s[2:3], 0
.LBB164_1229:
	s_andn2_b64 vcc, exec, s[2:3]
	s_cbranch_vccnz .LBB164_1231
; %bb.1230:
	s_waitcnt vmcnt(0)
	v_lshlrev_b32_e32 v0, 16, v3
	v_cvt_i32_f32_e32 v0, v0
	global_store_short v[1:2], v0, off
.LBB164_1231:
	s_mov_b64 s[2:3], 0
.LBB164_1232:
	s_andn2_b64 vcc, exec, s[2:3]
	s_cbranch_vccnz .LBB164_1237
; %bb.1233:
	s_sext_i32_i16 s2, s18
	s_cmp_gt_i32 s2, 0
	s_mov_b64 s[2:3], -1
	s_cbranch_scc0 .LBB164_1235
; %bb.1234:
	s_waitcnt vmcnt(0)
	v_lshlrev_b32_e32 v0, 16, v3
	v_cvt_i32_f32_e32 v0, v0
	s_mov_b64 s[2:3], 0
	global_store_byte v[1:2], v0, off
.LBB164_1235:
	s_andn2_b64 vcc, exec, s[2:3]
	s_cbranch_vccnz .LBB164_1237
; %bb.1236:
	s_waitcnt vmcnt(0)
	v_lshlrev_b32_e32 v0, 16, v3
	v_trunc_f32_e32 v0, v0
	s_mov_b32 s2, 0x2f800000
	v_mul_f32_e64 v3, |v0|, s2
	v_floor_f32_e32 v3, v3
	s_mov_b32 s2, 0xcf800000
	v_fma_f32 v3, v3, s2, |v0|
	v_cvt_u32_f32_e32 v3, v3
	v_ashrrev_i32_e32 v0, 31, v0
	v_xor_b32_e32 v3, v3, v0
	v_sub_u32_e32 v0, v3, v0
	global_store_byte v[1:2], v0, off
.LBB164_1237:
	s_or_b64 exec, exec, s[0:1]
	s_waitcnt lgkmcnt(0)
	s_and_b64 s[28:29], s[8:9], exec
                                        ; implicit-def: $vgpr15
                                        ; implicit-def: $vgpr8
.LBB164_1238:
	s_or_saveexec_b64 s[30:31], s[42:43]
	s_mov_b64 s[0:1], 0
                                        ; implicit-def: $vgpr0_vgpr1
                                        ; implicit-def: $sgpr18
                                        ; implicit-def: $vgpr2
	s_xor_b64 exec, exec, s[30:31]
	s_cbranch_execz .LBB164_2394
; %bb.1239:
	v_cndmask_b32_e64 v0, 0, 1, s[40:41]
	v_cmp_ne_u32_e64 s[0:1], 1, v0
	s_andn2_b64 vcc, exec, s[40:41]
	s_cbranch_vccnz .LBB164_1245
; %bb.1240:
	s_cmp_lg_u32 s33, 0
	s_mov_b32 s36, 0
	s_cbranch_scc0 .LBB164_1246
; %bb.1241:
	s_min_u32 s37, s72, 15
	s_add_i32 s37, s37, 1
	s_cmp_eq_u32 s72, 2
	s_cbranch_scc1 .LBB164_1247
; %bb.1242:
	s_and_b32 s36, s37, 28
	s_add_u32 s2, s34, 0xc4
	s_addc_u32 s3, s35, 0
	v_mov_b32_e32 v13, 0
	s_mov_b32 s38, 0
	s_mov_b64 s[6:7], s[34:35]
	v_mov_b32_e32 v6, 0
	v_mov_b32_e32 v0, v8
.LBB164_1243:                           ; =>This Inner Loop Header: Depth=1
	s_load_dwordx8 s[16:23], s[6:7], 0x4
	s_load_dwordx4 s[24:27], s[6:7], 0x24
	s_load_dwordx8 s[8:15], s[2:3], 0x0
	s_add_u32 s6, s6, 48
	s_addc_u32 s7, s7, 0
	s_waitcnt lgkmcnt(0)
	v_mul_hi_u32 v1, s17, v0
	s_add_i32 s38, s38, 4
	s_add_u32 s2, s2, 32
	s_addc_u32 s3, s3, 0
	v_add_u32_e32 v1, v0, v1
	v_lshrrev_b32_e32 v1, s18, v1
	v_mul_lo_u32 v2, v1, s16
	s_waitcnt vmcnt(0)
	v_mul_hi_u32 v3, s20, v1
	s_cmp_lg_u32 s36, s38
	v_sub_u32_e32 v0, v0, v2
	v_add_u32_e32 v2, v1, v3
	v_mul_lo_u32 v3, v0, s8
	v_mul_lo_u32 v4, v0, s9
	v_lshrrev_b32_e32 v0, s21, v2
	v_mul_lo_u32 v2, v0, s19
	v_mul_hi_u32 v5, s23, v0
	v_sub_u32_e32 v1, v1, v2
	v_add_u32_e32 v2, v0, v5
	v_lshrrev_b32_e32 v2, s24, v2
	v_mul_hi_u32 v7, s26, v2
	v_mul_lo_u32 v9, v2, s22
	v_mul_lo_u32 v5, v1, s10
	;; [unrolled: 1-line block ×3, first 2 shown]
	v_sub_u32_e32 v9, v0, v9
	v_add_u32_e32 v0, v2, v7
	v_lshrrev_b32_e32 v0, s27, v0
	v_mul_lo_u32 v7, v0, s25
	v_mul_lo_u32 v10, v9, s12
	v_mul_lo_u32 v9, v9, s13
	v_add3_u32 v3, v3, v6, v5
	v_sub_u32_e32 v2, v2, v7
	v_mul_lo_u32 v7, v2, s14
	v_mul_lo_u32 v2, v2, s15
	v_add3_u32 v1, v4, v13, v1
	v_add3_u32 v6, v10, v3, v7
	;; [unrolled: 1-line block ×3, first 2 shown]
	s_cbranch_scc1 .LBB164_1243
; %bb.1244:
	s_and_b32 s8, s37, 3
	s_cmp_eq_u32 s8, 0
	s_cbranch_scc0 .LBB164_1248
	s_branch .LBB164_1250
.LBB164_1245:
                                        ; implicit-def: $vgpr6
                                        ; implicit-def: $vgpr13
	s_branch .LBB164_1251
.LBB164_1246:
	v_mov_b32_e32 v6, 0
	v_mov_b32_e32 v13, 0
	s_branch .LBB164_1250
.LBB164_1247:
	v_mov_b32_e32 v6, 0
	v_mov_b32_e32 v13, 0
	;; [unrolled: 1-line block ×3, first 2 shown]
	s_and_b32 s8, s37, 3
	s_cmp_eq_u32 s8, 0
	s_cbranch_scc1 .LBB164_1250
.LBB164_1248:
	s_lshl_b32 s2, s36, 3
	s_add_u32 s2, s34, s2
	s_addc_u32 s3, s35, 0
	s_add_u32 s2, s2, 0xc4
	s_addc_u32 s3, s3, 0
	s_mul_i32 s6, s36, 12
	s_add_u32 s6, s34, s6
	s_addc_u32 s7, s35, 0
.LBB164_1249:                           ; =>This Inner Loop Header: Depth=1
	s_load_dwordx2 s[10:11], s[6:7], 0x4
	s_load_dword s9, s[6:7], 0xc
	s_load_dwordx2 s[12:13], s[2:3], 0x0
	s_add_u32 s6, s6, 12
	s_addc_u32 s7, s7, 0
	s_waitcnt lgkmcnt(0)
	v_mul_hi_u32 v1, s11, v0
	s_add_u32 s2, s2, 8
	s_addc_u32 s3, s3, 0
	s_add_i32 s8, s8, -1
	v_add_u32_e32 v1, v0, v1
	v_lshrrev_b32_e32 v1, s9, v1
	v_mul_lo_u32 v2, v1, s10
	s_cmp_lg_u32 s8, 0
	v_sub_u32_e32 v0, v0, v2
	v_mad_u64_u32 v[6:7], s[10:11], v0, s12, v[6:7]
	v_mad_u64_u32 v[13:14], s[10:11], v0, s13, v[13:14]
	v_mov_b32_e32 v0, v1
	s_cbranch_scc1 .LBB164_1249
.LBB164_1250:
	s_cbranch_execnz .LBB164_1253
.LBB164_1251:
	s_load_dwordx4 s[8:11], s[34:35], 0x4
	s_load_dwordx2 s[2:3], s[34:35], 0xc4
	s_cmp_lt_u32 s33, 2
	s_waitcnt lgkmcnt(0)
	v_mul_hi_u32 v0, s9, v8
	v_add_u32_e32 v0, v8, v0
	v_lshrrev_b32_e32 v0, s10, v0
	v_mul_lo_u32 v1, v0, s8
	v_sub_u32_e32 v1, v8, v1
	v_mul_lo_u32 v6, v1, s2
	v_mul_lo_u32 v13, v1, s3
	s_cbranch_scc1 .LBB164_1253
; %bb.1252:
	s_load_dwordx4 s[8:11], s[34:35], 0x10
	s_load_dwordx2 s[2:3], s[34:35], 0xcc
	s_waitcnt lgkmcnt(0)
	v_mul_hi_u32 v1, s9, v0
	v_add_u32_e32 v1, v0, v1
	v_lshrrev_b32_e32 v1, s10, v1
	v_mul_lo_u32 v1, v1, s8
	v_sub_u32_e32 v0, v0, v1
	v_mad_u64_u32 v[6:7], s[6:7], v0, s2, v[6:7]
	v_mad_u64_u32 v[13:14], s[2:3], v0, s3, v[13:14]
.LBB164_1253:
	s_and_b64 vcc, exec, s[0:1]
	v_add_u32_e32 v0, 0x80, v8
	s_cbranch_vccnz .LBB164_1259
; %bb.1254:
	s_cmp_lg_u32 s33, 0
	s_mov_b32 s36, 0
	s_cbranch_scc0 .LBB164_1260
; %bb.1255:
	s_min_u32 s37, s72, 15
	s_add_i32 s37, s37, 1
	s_cmp_eq_u32 s72, 2
	s_cbranch_scc1 .LBB164_1261
; %bb.1256:
	s_and_b32 s36, s37, 28
	s_add_u32 s2, s34, 0xc4
	s_addc_u32 s3, s35, 0
	v_mov_b32_e32 v11, 0
	s_mov_b32 s38, 0
	s_mov_b64 s[6:7], s[34:35]
	s_waitcnt vmcnt(0)
	v_mov_b32_e32 v4, 0
	v_mov_b32_e32 v1, v0
.LBB164_1257:                           ; =>This Inner Loop Header: Depth=1
	s_load_dwordx8 s[16:23], s[6:7], 0x4
	s_load_dwordx4 s[24:27], s[6:7], 0x24
	s_load_dwordx8 s[8:15], s[2:3], 0x0
	s_add_u32 s6, s6, 48
	s_addc_u32 s7, s7, 0
	s_waitcnt lgkmcnt(0)
	v_mul_hi_u32 v2, s17, v1
	s_add_i32 s38, s38, 4
	s_add_u32 s2, s2, 32
	s_addc_u32 s3, s3, 0
	v_add_u32_e32 v2, v1, v2
	v_lshrrev_b32_e32 v2, s18, v2
	v_mul_lo_u32 v3, v2, s16
	v_mul_hi_u32 v5, s20, v2
	s_cmp_lg_u32 s36, s38
	v_sub_u32_e32 v1, v1, v3
	v_add_u32_e32 v3, v2, v5
	v_mul_lo_u32 v5, v1, s8
	v_mul_lo_u32 v7, v1, s9
	v_lshrrev_b32_e32 v1, s21, v3
	v_mul_lo_u32 v3, v1, s19
	v_mul_hi_u32 v9, s23, v1
	v_sub_u32_e32 v2, v2, v3
	v_add_u32_e32 v3, v1, v9
	v_lshrrev_b32_e32 v3, s24, v3
	v_mul_hi_u32 v10, s26, v3
	v_mul_lo_u32 v12, v3, s22
	v_mul_lo_u32 v9, v2, s10
	;; [unrolled: 1-line block ×3, first 2 shown]
	v_sub_u32_e32 v12, v1, v12
	v_add_u32_e32 v1, v3, v10
	v_lshrrev_b32_e32 v1, s27, v1
	v_mul_lo_u32 v10, v1, s25
	v_mul_lo_u32 v14, v12, s12
	;; [unrolled: 1-line block ×3, first 2 shown]
	v_add3_u32 v4, v5, v4, v9
	v_sub_u32_e32 v3, v3, v10
	v_mul_lo_u32 v10, v3, s14
	v_mul_lo_u32 v3, v3, s15
	v_add3_u32 v2, v7, v11, v2
	v_add3_u32 v4, v14, v4, v10
	;; [unrolled: 1-line block ×3, first 2 shown]
	s_cbranch_scc1 .LBB164_1257
; %bb.1258:
	s_and_b32 s8, s37, 3
	s_cmp_eq_u32 s8, 0
	s_cbranch_scc0 .LBB164_1262
	s_branch .LBB164_1264
.LBB164_1259:
                                        ; implicit-def: $vgpr4
                                        ; implicit-def: $vgpr11
	s_branch .LBB164_1265
.LBB164_1260:
	s_waitcnt vmcnt(0)
	v_mov_b32_e32 v4, 0
	v_mov_b32_e32 v11, 0
	s_branch .LBB164_1264
.LBB164_1261:
	s_waitcnt vmcnt(0)
	v_mov_b32_e32 v4, 0
	v_mov_b32_e32 v11, 0
	;; [unrolled: 1-line block ×3, first 2 shown]
	s_and_b32 s8, s37, 3
	s_cmp_eq_u32 s8, 0
	s_cbranch_scc1 .LBB164_1264
.LBB164_1262:
	s_lshl_b32 s2, s36, 3
	s_add_u32 s2, s34, s2
	s_addc_u32 s3, s35, 0
	s_add_u32 s2, s2, 0xc4
	s_addc_u32 s3, s3, 0
	s_mul_i32 s6, s36, 12
	s_add_u32 s6, s34, s6
	s_addc_u32 s7, s35, 0
.LBB164_1263:                           ; =>This Inner Loop Header: Depth=1
	s_load_dwordx2 s[10:11], s[6:7], 0x4
	s_load_dword s9, s[6:7], 0xc
	s_load_dwordx2 s[12:13], s[2:3], 0x0
	s_add_u32 s6, s6, 12
	s_addc_u32 s7, s7, 0
	s_waitcnt lgkmcnt(0)
	v_mul_hi_u32 v2, s11, v1
	s_add_u32 s2, s2, 8
	s_addc_u32 s3, s3, 0
	s_add_i32 s8, s8, -1
	v_add_u32_e32 v2, v1, v2
	v_lshrrev_b32_e32 v2, s9, v2
	v_mul_lo_u32 v3, v2, s10
	s_cmp_lg_u32 s8, 0
	v_sub_u32_e32 v1, v1, v3
	v_mad_u64_u32 v[4:5], s[10:11], v1, s12, v[4:5]
	v_mad_u64_u32 v[11:12], s[10:11], v1, s13, v[11:12]
	v_mov_b32_e32 v1, v2
	s_cbranch_scc1 .LBB164_1263
.LBB164_1264:
	s_cbranch_execnz .LBB164_1267
.LBB164_1265:
	s_load_dwordx4 s[8:11], s[34:35], 0x4
	s_load_dwordx2 s[2:3], s[34:35], 0xc4
	s_cmp_lt_u32 s33, 2
	s_waitcnt lgkmcnt(0)
	v_mul_hi_u32 v1, s9, v0
	v_add_u32_e32 v1, v0, v1
	v_lshrrev_b32_e32 v1, s10, v1
	v_mul_lo_u32 v2, v1, s8
	v_sub_u32_e32 v0, v0, v2
	s_waitcnt vmcnt(0)
	v_mul_lo_u32 v4, v0, s2
	v_mul_lo_u32 v11, v0, s3
	s_cbranch_scc1 .LBB164_1267
; %bb.1266:
	s_load_dwordx4 s[8:11], s[34:35], 0x10
	s_load_dwordx2 s[2:3], s[34:35], 0xcc
	s_waitcnt lgkmcnt(0)
	v_mul_hi_u32 v0, s9, v1
	v_add_u32_e32 v0, v1, v0
	v_lshrrev_b32_e32 v0, s10, v0
	v_mul_lo_u32 v0, v0, s8
	v_sub_u32_e32 v0, v1, v0
	v_mad_u64_u32 v[4:5], s[6:7], v0, s2, v[4:5]
	v_mad_u64_u32 v[11:12], s[2:3], v0, s3, v[11:12]
.LBB164_1267:
	s_and_b64 vcc, exec, s[0:1]
	v_add_u32_e32 v0, 0x100, v8
	s_cbranch_vccnz .LBB164_1273
; %bb.1268:
	s_cmp_lg_u32 s33, 0
	s_mov_b32 s36, 0
	s_cbranch_scc0 .LBB164_1274
; %bb.1269:
	s_min_u32 s37, s72, 15
	s_add_i32 s37, s37, 1
	s_cmp_eq_u32 s72, 2
	s_cbranch_scc1 .LBB164_1275
; %bb.1270:
	s_and_b32 s36, s37, 28
	s_add_u32 s2, s34, 0xc4
	s_addc_u32 s3, s35, 0
	v_mov_b32_e32 v9, 0
	s_mov_b32 s38, 0
	s_mov_b64 s[6:7], s[34:35]
	v_mov_b32_e32 v2, 0
	v_mov_b32_e32 v1, v0
.LBB164_1271:                           ; =>This Inner Loop Header: Depth=1
	s_load_dwordx8 s[16:23], s[6:7], 0x4
	s_load_dwordx4 s[24:27], s[6:7], 0x24
	s_load_dwordx8 s[8:15], s[2:3], 0x0
	s_add_u32 s6, s6, 48
	s_addc_u32 s7, s7, 0
	s_waitcnt vmcnt(0) lgkmcnt(0)
	v_mul_hi_u32 v3, s17, v1
	s_add_i32 s38, s38, 4
	s_add_u32 s2, s2, 32
	s_addc_u32 s3, s3, 0
	v_add_u32_e32 v3, v1, v3
	v_lshrrev_b32_e32 v3, s18, v3
	v_mul_lo_u32 v5, v3, s16
	v_mul_hi_u32 v7, s20, v3
	s_cmp_lg_u32 s36, s38
	v_sub_u32_e32 v1, v1, v5
	v_add_u32_e32 v5, v3, v7
	v_mul_lo_u32 v7, v1, s8
	v_mul_lo_u32 v8, v1, s9
	v_lshrrev_b32_e32 v1, s21, v5
	v_mul_lo_u32 v5, v1, s19
	v_mul_hi_u32 v10, s23, v1
	v_sub_u32_e32 v3, v3, v5
	v_add_u32_e32 v5, v1, v10
	v_lshrrev_b32_e32 v5, s24, v5
	v_mul_hi_u32 v12, s26, v5
	v_mul_lo_u32 v14, v5, s22
	v_mul_lo_u32 v10, v3, s10
	v_mul_lo_u32 v3, v3, s11
	v_sub_u32_e32 v14, v1, v14
	v_add_u32_e32 v1, v5, v12
	v_lshrrev_b32_e32 v1, s27, v1
	v_mul_lo_u32 v12, v1, s25
	v_mul_lo_u32 v16, v14, s12
	;; [unrolled: 1-line block ×3, first 2 shown]
	v_add3_u32 v2, v7, v2, v10
	v_sub_u32_e32 v5, v5, v12
	v_mul_lo_u32 v12, v5, s14
	v_mul_lo_u32 v5, v5, s15
	v_add3_u32 v3, v8, v9, v3
	v_add3_u32 v2, v16, v2, v12
	;; [unrolled: 1-line block ×3, first 2 shown]
	s_cbranch_scc1 .LBB164_1271
; %bb.1272:
	s_and_b32 s8, s37, 3
	s_cmp_eq_u32 s8, 0
	s_cbranch_scc0 .LBB164_1276
	s_branch .LBB164_1278
.LBB164_1273:
                                        ; implicit-def: $vgpr2
                                        ; implicit-def: $vgpr9
	s_branch .LBB164_1279
.LBB164_1274:
	v_mov_b32_e32 v2, 0
	v_mov_b32_e32 v9, 0
	s_branch .LBB164_1278
.LBB164_1275:
	v_mov_b32_e32 v2, 0
	v_mov_b32_e32 v9, 0
	;; [unrolled: 1-line block ×3, first 2 shown]
	s_and_b32 s8, s37, 3
	s_cmp_eq_u32 s8, 0
	s_cbranch_scc1 .LBB164_1278
.LBB164_1276:
	s_lshl_b32 s2, s36, 3
	s_add_u32 s2, s34, s2
	s_addc_u32 s3, s35, 0
	s_add_u32 s2, s2, 0xc4
	s_addc_u32 s3, s3, 0
	s_mul_i32 s6, s36, 12
	s_add_u32 s6, s34, s6
	s_addc_u32 s7, s35, 0
.LBB164_1277:                           ; =>This Inner Loop Header: Depth=1
	s_load_dwordx2 s[10:11], s[6:7], 0x4
	s_load_dword s9, s[6:7], 0xc
	s_load_dwordx2 s[12:13], s[2:3], 0x0
	s_add_u32 s6, s6, 12
	s_addc_u32 s7, s7, 0
	s_waitcnt vmcnt(0) lgkmcnt(0)
	v_mul_hi_u32 v3, s11, v1
	s_add_u32 s2, s2, 8
	s_addc_u32 s3, s3, 0
	s_add_i32 s8, s8, -1
	v_add_u32_e32 v3, v1, v3
	v_lshrrev_b32_e32 v5, s9, v3
	v_mul_lo_u32 v3, v5, s10
	s_cmp_lg_u32 s8, 0
	v_sub_u32_e32 v1, v1, v3
	v_mad_u64_u32 v[2:3], s[10:11], v1, s12, v[2:3]
	v_mad_u64_u32 v[9:10], s[10:11], v1, s13, v[9:10]
	v_mov_b32_e32 v1, v5
	s_cbranch_scc1 .LBB164_1277
.LBB164_1278:
	s_cbranch_execnz .LBB164_1281
.LBB164_1279:
	s_load_dwordx4 s[8:11], s[34:35], 0x4
	s_load_dwordx2 s[2:3], s[34:35], 0xc4
	s_cmp_lt_u32 s33, 2
	s_waitcnt lgkmcnt(0)
	v_mul_hi_u32 v1, s9, v0
	v_add_u32_e32 v1, v0, v1
	v_lshrrev_b32_e32 v1, s10, v1
	v_mul_lo_u32 v2, v1, s8
	v_sub_u32_e32 v0, v0, v2
	v_mul_lo_u32 v2, v0, s2
	v_mul_lo_u32 v9, v0, s3
	s_cbranch_scc1 .LBB164_1281
; %bb.1280:
	s_load_dwordx4 s[8:11], s[34:35], 0x10
	s_load_dwordx2 s[2:3], s[34:35], 0xcc
	s_waitcnt lgkmcnt(0)
	v_mul_hi_u32 v0, s9, v1
	v_add_u32_e32 v0, v1, v0
	v_lshrrev_b32_e32 v0, s10, v0
	v_mul_lo_u32 v0, v0, s8
	v_sub_u32_e32 v0, v1, v0
	s_waitcnt vmcnt(0)
	v_mad_u64_u32 v[2:3], s[6:7], v0, s2, v[2:3]
	v_mad_u64_u32 v[9:10], s[2:3], v0, s3, v[9:10]
.LBB164_1281:
	s_and_b64 vcc, exec, s[0:1]
	s_cbranch_vccnz .LBB164_1287
; %bb.1282:
	s_cmp_lg_u32 s33, 0
	s_mov_b32 s26, 0
	s_cbranch_scc0 .LBB164_1288
; %bb.1283:
	s_min_u32 s27, s72, 15
	s_add_i32 s27, s27, 1
	s_cmp_eq_u32 s72, 2
	s_cbranch_scc1 .LBB164_1289
; %bb.1284:
	s_and_b32 s26, s27, 28
	s_add_u32 s6, s34, 0xc4
	s_addc_u32 s7, s35, 0
	v_mov_b32_e32 v7, 0
	s_mov_b32 s36, 0
	s_mov_b64 s[24:25], s[34:35]
	v_mov_b32_e32 v0, 0
	v_mov_b32_e32 v1, v15
.LBB164_1285:                           ; =>This Inner Loop Header: Depth=1
	s_load_dwordx8 s[16:23], s[24:25], 0x4
	s_load_dwordx4 s[0:3], s[24:25], 0x24
	s_load_dwordx8 s[8:15], s[6:7], 0x0
	s_add_u32 s24, s24, 48
	s_addc_u32 s25, s25, 0
	s_waitcnt vmcnt(0) lgkmcnt(0)
	v_mul_hi_u32 v3, s17, v1
	s_add_i32 s36, s36, 4
	s_add_u32 s6, s6, 32
	s_addc_u32 s7, s7, 0
	v_add_u32_e32 v3, v1, v3
	v_lshrrev_b32_e32 v3, s18, v3
	v_mul_lo_u32 v5, v3, s16
	v_mul_hi_u32 v8, s20, v3
	s_cmp_lg_u32 s26, s36
	v_sub_u32_e32 v1, v1, v5
	v_add_u32_e32 v5, v3, v8
	v_mul_lo_u32 v8, v1, s8
	v_mul_lo_u32 v10, v1, s9
	v_lshrrev_b32_e32 v1, s21, v5
	v_mul_lo_u32 v5, v1, s19
	v_mul_hi_u32 v12, s23, v1
	v_sub_u32_e32 v3, v3, v5
	v_add_u32_e32 v5, v1, v12
	v_lshrrev_b32_e32 v5, s0, v5
	v_mul_hi_u32 v14, s2, v5
	v_mul_lo_u32 v16, v5, s22
	v_mul_lo_u32 v12, v3, s10
	;; [unrolled: 1-line block ×3, first 2 shown]
	v_sub_u32_e32 v16, v1, v16
	v_add_u32_e32 v1, v5, v14
	v_lshrrev_b32_e32 v1, s3, v1
	v_mul_lo_u32 v14, v1, s1
	v_mul_lo_u32 v17, v16, s12
	v_mul_lo_u32 v16, v16, s13
	v_add3_u32 v0, v8, v0, v12
	v_sub_u32_e32 v5, v5, v14
	v_mul_lo_u32 v14, v5, s14
	v_mul_lo_u32 v5, v5, s15
	v_add3_u32 v3, v10, v7, v3
	v_add3_u32 v0, v17, v0, v14
	v_add3_u32 v7, v16, v3, v5
	s_cbranch_scc1 .LBB164_1285
; %bb.1286:
	s_and_b32 s6, s27, 3
	s_cmp_eq_u32 s6, 0
	s_cbranch_scc0 .LBB164_1290
	s_branch .LBB164_1292
.LBB164_1287:
                                        ; implicit-def: $vgpr0
                                        ; implicit-def: $vgpr7
	s_branch .LBB164_1293
.LBB164_1288:
	v_mov_b32_e32 v0, 0
	v_mov_b32_e32 v7, 0
	s_branch .LBB164_1292
.LBB164_1289:
	v_mov_b32_e32 v0, 0
	v_mov_b32_e32 v7, 0
	v_mov_b32_e32 v1, v15
	s_and_b32 s6, s27, 3
	s_cmp_eq_u32 s6, 0
	s_cbranch_scc1 .LBB164_1292
.LBB164_1290:
	s_lshl_b32 s0, s26, 3
	s_add_u32 s0, s34, s0
	s_addc_u32 s1, s35, 0
	s_add_u32 s0, s0, 0xc4
	s_addc_u32 s1, s1, 0
	s_mul_i32 s2, s26, 12
	s_add_u32 s2, s34, s2
	s_addc_u32 s3, s35, 0
.LBB164_1291:                           ; =>This Inner Loop Header: Depth=1
	s_load_dwordx2 s[8:9], s[2:3], 0x4
	s_load_dword s7, s[2:3], 0xc
	s_load_dwordx2 s[10:11], s[0:1], 0x0
	s_add_u32 s2, s2, 12
	s_addc_u32 s3, s3, 0
	s_waitcnt vmcnt(0) lgkmcnt(0)
	v_mul_hi_u32 v3, s9, v1
	s_add_u32 s0, s0, 8
	s_addc_u32 s1, s1, 0
	s_add_i32 s6, s6, -1
	v_add_u32_e32 v3, v1, v3
	v_lshrrev_b32_e32 v3, s7, v3
	v_mul_lo_u32 v5, v3, s8
	s_cmp_lg_u32 s6, 0
	v_sub_u32_e32 v5, v1, v5
	v_mad_u64_u32 v[0:1], s[8:9], v5, s10, v[0:1]
	v_mad_u64_u32 v[7:8], s[8:9], v5, s11, v[7:8]
	v_mov_b32_e32 v1, v3
	s_cbranch_scc1 .LBB164_1291
.LBB164_1292:
	s_cbranch_execnz .LBB164_1295
.LBB164_1293:
	s_load_dwordx4 s[0:3], s[34:35], 0x4
	s_load_dwordx2 s[6:7], s[34:35], 0xc4
	s_cmp_lt_u32 s33, 2
	s_waitcnt lgkmcnt(0)
	v_mul_hi_u32 v0, s1, v15
	v_add_u32_e32 v0, v15, v0
	v_lshrrev_b32_e32 v1, s2, v0
	v_mul_lo_u32 v0, v1, s0
	s_waitcnt vmcnt(0)
	v_sub_u32_e32 v3, v15, v0
	v_mul_lo_u32 v0, v3, s6
	v_mul_lo_u32 v7, v3, s7
	s_cbranch_scc1 .LBB164_1295
; %bb.1294:
	s_load_dwordx4 s[0:3], s[34:35], 0x10
	s_load_dwordx2 s[6:7], s[34:35], 0xcc
	s_waitcnt lgkmcnt(0)
	v_mul_hi_u32 v3, s1, v1
	v_add_u32_e32 v3, v1, v3
	v_lshrrev_b32_e32 v3, s2, v3
	v_mul_lo_u32 v3, v3, s0
	v_sub_u32_e32 v3, v1, v3
	v_mad_u64_u32 v[0:1], s[0:1], v3, s6, v[0:1]
	v_mad_u64_u32 v[7:8], s[0:1], v3, s7, v[7:8]
.LBB164_1295:
	s_load_dwordx4 s[12:15], s[34:35], 0x148
	s_load_dword s20, s[4:5], 0x160
	s_waitcnt lgkmcnt(0)
	v_mov_b32_e32 v1, s15
	s_bfe_u32 s16, s20, 0x80010
	v_add_co_u32_e32 v12, vcc, s14, v13
	s_cmp_lt_i32 s16, 11
	v_addc_co_u32_e32 v13, vcc, 0, v1, vcc
	s_cbranch_scc1 .LBB164_1302
; %bb.1296:
	s_and_b32 s10, 0xffff, s16
	s_cmp_gt_i32 s10, 25
	s_mov_b64 s[2:3], 0
	s_cbranch_scc0 .LBB164_1304
; %bb.1297:
	s_cmp_gt_i32 s10, 28
	s_cbranch_scc0 .LBB164_1305
; %bb.1298:
	s_cmp_gt_i32 s10, 43
	s_cbranch_scc0 .LBB164_1306
; %bb.1299:
	s_cmp_gt_i32 s10, 45
	s_cbranch_scc0 .LBB164_1307
; %bb.1300:
	s_cmp_eq_u32 s10, 46
	s_mov_b64 s[6:7], 0
	s_cbranch_scc0 .LBB164_1310
; %bb.1301:
	global_load_dword v1, v[12:13], off
	s_mov_b64 s[0:1], 0
	s_mov_b64 s[4:5], -1
	s_branch .LBB164_1311
.LBB164_1302:
	s_mov_b64 s[4:5], 0
                                        ; implicit-def: $vgpr1
	s_mov_b64 s[10:11], s[28:29]
	s_cbranch_execnz .LBB164_1374
.LBB164_1303:
	s_andn2_b64 vcc, exec, s[4:5]
	s_cbranch_vccz .LBB164_1419
	s_branch .LBB164_2392
.LBB164_1304:
	s_mov_b64 s[4:5], 0
	s_mov_b64 s[0:1], 0
                                        ; implicit-def: $vgpr1
	s_cbranch_execnz .LBB164_1339
	s_branch .LBB164_1370
.LBB164_1305:
	s_mov_b64 s[6:7], -1
	s_mov_b64 s[4:5], 0
	s_mov_b64 s[0:1], 0
                                        ; implicit-def: $vgpr1
	s_branch .LBB164_1320
.LBB164_1306:
	s_mov_b64 s[4:5], 0
	s_mov_b64 s[0:1], 0
                                        ; implicit-def: $vgpr1
	s_cbranch_execnz .LBB164_1316
	s_branch .LBB164_1319
.LBB164_1307:
	s_mov_b64 s[6:7], -1
	s_mov_b64 s[4:5], 0
	s_mov_b64 s[0:1], 0
                                        ; implicit-def: $vgpr1
	s_branch .LBB164_1311
.LBB164_1308:
	s_andn2_saveexec_b64 s[14:15], s[14:15]
	s_cbranch_execz .LBB164_1151
.LBB164_1309:
	s_mov_b32 s16, 0x46000000
	v_add_f32_e64 v4, |v5|, s16
	v_and_b32_e32 v4, 0xff, v4
	v_cmp_ne_u32_e32 vcc, 0, v4
	s_andn2_b64 s[12:13], s[12:13], exec
	s_and_b64 s[16:17], vcc, exec
	s_or_b64 s[12:13], s[12:13], s[16:17]
	s_or_b64 exec, exec, s[14:15]
	v_mov_b32_e32 v6, 0
	s_and_saveexec_b64 s[14:15], s[12:13]
	s_cbranch_execnz .LBB164_1152
	s_branch .LBB164_1153
.LBB164_1310:
	s_mov_b64 s[0:1], -1
                                        ; implicit-def: $vgpr1
	s_mov_b64 s[4:5], 0
.LBB164_1311:
	s_and_b64 vcc, exec, s[6:7]
	s_cbranch_vccz .LBB164_1314
; %bb.1312:
	s_cmp_eq_u32 s10, 44
	s_cbranch_scc0 .LBB164_1315
; %bb.1313:
	global_load_ubyte v1, v[12:13], off
	s_movk_i32 s4, 0xff
	s_waitcnt vmcnt(1)
	v_mov_b32_e32 v3, 0x7f800001
	v_mov_b32_e32 v5, 0x400000
	;; [unrolled: 1-line block ×3, first 2 shown]
	s_mov_b64 s[0:1], 0
	s_waitcnt vmcnt(0)
	v_lshlrev_b32_e32 v10, 23, v1
	v_cmp_ne_u32_e32 vcc, s4, v1
	v_cndmask_b32_e32 v3, v3, v10, vcc
	v_cmp_ne_u32_e32 vcc, 0, v1
	v_cndmask_b32_e32 v1, v5, v3, vcc
	v_add_u32_e32 v3, 0x7fff, v1
	v_cmp_o_f32_e32 vcc, v1, v1
	v_cndmask_b32_sdwa v1, v8, v3, vcc dst_sel:DWORD dst_unused:UNUSED_PAD src0_sel:DWORD src1_sel:WORD_1
	s_mov_b64 s[4:5], -1
.LBB164_1314:
	s_branch .LBB164_1319
.LBB164_1315:
	s_mov_b64 s[0:1], -1
                                        ; implicit-def: $vgpr1
	s_branch .LBB164_1319
.LBB164_1316:
	s_cmp_eq_u32 s10, 29
	s_cbranch_scc0 .LBB164_1318
; %bb.1317:
	global_load_dwordx2 v[14:15], v[12:13], off
	s_movk_i32 s4, 0x7fff
	s_mov_b64 s[0:1], 0
	s_mov_b64 s[6:7], 0
	s_waitcnt vmcnt(0)
	v_ffbh_u32_e32 v1, v15
	v_min_u32_e32 v1, 32, v1
	v_lshlrev_b64 v[14:15], v1, v[14:15]
	v_sub_u32_e32 v1, 32, v1
	v_min_u32_e32 v3, 1, v14
	v_or_b32_e32 v3, v15, v3
	v_cvt_f32_u32_e32 v3, v3
	v_ldexp_f32 v1, v3, v1
	v_bfe_u32 v3, v1, 16, 1
	v_add3_u32 v1, v1, v3, s4
	v_lshrrev_b32_e32 v1, 16, v1
	s_mov_b64 s[4:5], -1
	s_branch .LBB164_1320
.LBB164_1318:
	s_mov_b64 s[0:1], -1
                                        ; implicit-def: $vgpr1
.LBB164_1319:
	s_mov_b64 s[6:7], 0
.LBB164_1320:
	s_and_b64 vcc, exec, s[6:7]
	s_cbranch_vccz .LBB164_1338
; %bb.1321:
	s_cmp_lt_i32 s10, 27
	s_cbranch_scc1 .LBB164_1324
; %bb.1322:
	s_cmp_gt_i32 s10, 27
	s_cbranch_scc0 .LBB164_1325
; %bb.1323:
	global_load_dword v1, v[12:13], off
	s_movk_i32 s4, 0x7fff
	s_waitcnt vmcnt(0)
	v_cvt_f32_u32_e32 v1, v1
	v_bfe_u32 v3, v1, 16, 1
	v_add3_u32 v1, v1, v3, s4
	v_lshrrev_b32_e32 v1, 16, v1
	s_mov_b64 s[4:5], 0
	s_branch .LBB164_1326
.LBB164_1324:
	s_mov_b64 s[4:5], -1
                                        ; implicit-def: $vgpr1
	s_branch .LBB164_1329
.LBB164_1325:
	s_mov_b64 s[4:5], -1
                                        ; implicit-def: $vgpr1
.LBB164_1326:
	s_andn2_b64 vcc, exec, s[4:5]
	s_cbranch_vccnz .LBB164_1328
; %bb.1327:
	global_load_ushort v1, v[12:13], off
	s_movk_i32 s4, 0x7fff
	s_waitcnt vmcnt(0)
	v_cvt_f32_u32_e32 v1, v1
	v_bfe_u32 v3, v1, 16, 1
	v_add3_u32 v1, v1, v3, s4
	v_lshrrev_b32_e32 v1, 16, v1
.LBB164_1328:
	s_mov_b64 s[4:5], 0
.LBB164_1329:
	s_andn2_b64 vcc, exec, s[4:5]
	s_cbranch_vccnz .LBB164_1337
; %bb.1330:
	global_load_ubyte v1, v[12:13], off
	s_movk_i32 s4, 0x7f
	s_waitcnt vmcnt(0)
	v_cmp_lt_i16_e32 vcc, s4, v1
	s_mov_b64 s[4:5], 0
	s_and_saveexec_b64 s[6:7], vcc
	s_xor_b64 s[6:7], exec, s[6:7]
	s_cbranch_execz .LBB164_1350
; %bb.1331:
	s_movk_i32 s4, 0x80
	v_cmp_eq_u16_e32 vcc, s4, v1
	s_mov_b64 s[4:5], -1
	s_and_saveexec_b64 s[8:9], vcc
; %bb.1332:
	s_xor_b64 s[4:5], exec, -1
; %bb.1333:
	s_or_b64 exec, exec, s[8:9]
	s_and_b64 s[4:5], s[4:5], exec
	s_or_saveexec_b64 s[6:7], s[6:7]
	v_mov_b32_e32 v3, 0x7f800001
	s_xor_b64 exec, exec, s[6:7]
	s_cbranch_execnz .LBB164_1351
.LBB164_1334:
	s_or_b64 exec, exec, s[6:7]
	s_and_saveexec_b64 s[6:7], s[4:5]
	s_cbranch_execz .LBB164_1336
.LBB164_1335:
	v_lshlrev_b32_e32 v3, 24, v1
	v_and_b32_e32 v1, 0xffff, v1
	v_and_b32_e32 v5, 7, v1
	v_ffbh_u32_e32 v10, v5
	v_min_u32_e32 v10, 32, v10
	v_subrev_u32_e32 v14, 28, v10
	v_bfe_u32 v8, v1, 3, 4
	v_lshlrev_b32_e32 v1, v14, v1
	v_sub_u32_e32 v10, 29, v10
	v_and_b32_e32 v1, 7, v1
	v_cmp_eq_u32_e32 vcc, 0, v8
	v_cndmask_b32_e32 v8, v8, v10, vcc
	v_cndmask_b32_e32 v1, v5, v1, vcc
	v_mov_b32_e32 v5, 0x3b800000
	v_lshlrev_b32_e32 v1, 20, v1
	v_and_b32_e32 v3, 0x80000000, v3
	v_lshl_add_u32 v5, v8, 23, v5
	v_or3_b32 v3, v3, v5, v1
.LBB164_1336:
	s_or_b64 exec, exec, s[6:7]
	v_bfe_u32 v1, v3, 16, 1
	s_movk_i32 s4, 0x7fff
	v_add3_u32 v1, v3, v1, s4
	v_cmp_o_f32_e32 vcc, v3, v3
	v_mov_b32_e32 v3, 0x7fc0
	v_cndmask_b32_sdwa v1, v3, v1, vcc dst_sel:DWORD dst_unused:UNUSED_PAD src0_sel:DWORD src1_sel:WORD_1
.LBB164_1337:
	s_mov_b64 s[4:5], -1
.LBB164_1338:
	s_branch .LBB164_1370
.LBB164_1339:
	s_cmp_gt_i32 s10, 22
	s_cbranch_scc0 .LBB164_1349
; %bb.1340:
	s_cmp_lt_i32 s10, 24
	s_cbranch_scc1 .LBB164_1352
; %bb.1341:
	s_cmp_gt_i32 s10, 24
	s_cbranch_scc0 .LBB164_1353
; %bb.1342:
	global_load_ubyte v1, v[12:13], off
	s_movk_i32 s2, 0x7f
	s_waitcnt vmcnt(0)
	v_cmp_lt_i16_e32 vcc, s2, v1
	s_mov_b64 s[2:3], 0
	s_and_saveexec_b64 s[4:5], vcc
	s_xor_b64 s[4:5], exec, s[4:5]
	s_cbranch_execz .LBB164_1364
; %bb.1343:
	s_movk_i32 s2, 0x80
	v_cmp_eq_u16_e32 vcc, s2, v1
	s_mov_b64 s[2:3], -1
	s_and_saveexec_b64 s[6:7], vcc
; %bb.1344:
	s_xor_b64 s[2:3], exec, -1
; %bb.1345:
	s_or_b64 exec, exec, s[6:7]
	s_and_b64 s[2:3], s[2:3], exec
	s_or_saveexec_b64 s[4:5], s[4:5]
	v_mov_b32_e32 v3, 0x7f800001
	s_xor_b64 exec, exec, s[4:5]
	s_cbranch_execnz .LBB164_1365
.LBB164_1346:
	s_or_b64 exec, exec, s[4:5]
	s_and_saveexec_b64 s[4:5], s[2:3]
	s_cbranch_execz .LBB164_1348
.LBB164_1347:
	v_lshlrev_b32_e32 v3, 24, v1
	v_and_b32_e32 v1, 0xffff, v1
	v_and_b32_e32 v5, 3, v1
	v_ffbh_u32_e32 v10, v5
	v_min_u32_e32 v10, 32, v10
	v_subrev_u32_e32 v14, 29, v10
	v_bfe_u32 v8, v1, 2, 5
	v_lshlrev_b32_e32 v1, v14, v1
	v_sub_u32_e32 v10, 30, v10
	v_and_b32_e32 v1, 3, v1
	v_cmp_eq_u32_e32 vcc, 0, v8
	v_cndmask_b32_e32 v8, v8, v10, vcc
	v_cndmask_b32_e32 v1, v5, v1, vcc
	v_mov_b32_e32 v5, 0x37800000
	v_lshlrev_b32_e32 v1, 21, v1
	v_and_b32_e32 v3, 0x80000000, v3
	v_lshl_add_u32 v5, v8, 23, v5
	v_or3_b32 v3, v3, v5, v1
.LBB164_1348:
	s_or_b64 exec, exec, s[4:5]
	v_bfe_u32 v1, v3, 16, 1
	s_movk_i32 s2, 0x7fff
	v_add3_u32 v1, v3, v1, s2
	v_cmp_o_f32_e32 vcc, v3, v3
	v_mov_b32_e32 v3, 0x7fc0
	v_cndmask_b32_sdwa v1, v3, v1, vcc dst_sel:DWORD dst_unused:UNUSED_PAD src0_sel:DWORD src1_sel:WORD_1
	s_mov_b64 s[2:3], 0
	s_branch .LBB164_1354
.LBB164_1349:
                                        ; implicit-def: $vgpr1
	s_mov_b64 s[2:3], 0
	s_branch .LBB164_1360
.LBB164_1350:
	s_or_saveexec_b64 s[6:7], s[6:7]
	v_mov_b32_e32 v3, 0x7f800001
	s_xor_b64 exec, exec, s[6:7]
	s_cbranch_execz .LBB164_1334
.LBB164_1351:
	v_cmp_ne_u16_e32 vcc, 0, v1
	s_andn2_b64 s[4:5], s[4:5], exec
	s_and_b64 s[8:9], vcc, exec
	v_mov_b32_e32 v3, 0
	s_or_b64 s[4:5], s[4:5], s[8:9]
	s_or_b64 exec, exec, s[6:7]
	s_and_saveexec_b64 s[6:7], s[4:5]
	s_cbranch_execnz .LBB164_1335
	s_branch .LBB164_1336
.LBB164_1352:
	s_mov_b64 s[2:3], -1
                                        ; implicit-def: $vgpr1
	s_branch .LBB164_1357
.LBB164_1353:
	s_mov_b64 s[2:3], -1
                                        ; implicit-def: $vgpr1
.LBB164_1354:
	s_and_b64 vcc, exec, s[2:3]
	s_cbranch_vccz .LBB164_1356
; %bb.1355:
	global_load_ubyte v1, v[12:13], off
	s_mov_b32 s2, 0x7f800000
	s_brev_b32 s3, 1
	s_movk_i32 s4, 0x7fff
	s_waitcnt vmcnt(0)
	v_lshlrev_b32_e32 v1, 24, v1
	v_and_b32_e32 v3, 0x7f000000, v1
	v_ffbh_u32_e32 v5, v3
	v_min_u32_e32 v5, 32, v5
	v_sub_u32_e64 v5, v5, 4 clamp
	v_lshlrev_b32_e32 v10, v5, v3
	v_lshlrev_b32_e32 v5, 23, v5
	v_lshrrev_b32_e32 v10, 4, v10
	v_add_u32_e32 v8, 0x1000000, v3
	v_sub_u32_e32 v5, v10, v5
	v_ashrrev_i32_e32 v8, 8, v8
	v_add_u32_e32 v5, 0x3c000000, v5
	v_and_or_b32 v5, v8, s2, v5
	v_cmp_ne_u32_e32 vcc, 0, v3
	v_cndmask_b32_e32 v3, 0, v5, vcc
	v_and_or_b32 v1, v1, s3, v3
	v_bfe_u32 v3, v3, 16, 1
	v_add3_u32 v3, v1, v3, s4
	v_cmp_o_f32_e32 vcc, v1, v1
	v_mov_b32_e32 v1, 0x7fc0
	v_cndmask_b32_sdwa v1, v1, v3, vcc dst_sel:DWORD dst_unused:UNUSED_PAD src0_sel:DWORD src1_sel:WORD_1
.LBB164_1356:
	s_mov_b64 s[2:3], 0
.LBB164_1357:
	s_andn2_b64 vcc, exec, s[2:3]
	s_cbranch_vccnz .LBB164_1359
; %bb.1358:
	global_load_ubyte v1, v[12:13], off
	s_movk_i32 s2, 0x7f00
	s_brev_b32 s3, 16
	s_brev_b32 s4, 1
	s_movk_i32 s5, 0x7fff
	s_waitcnt vmcnt(0)
	v_lshlrev_b16_e32 v3, 8, v1
	v_lshlrev_b32_e32 v1, 25, v1
	v_lshrrev_b32_e32 v5, 4, v1
	v_and_or_b32 v8, v3, s2, 0.5
	v_or_b32_e32 v5, 0x70000000, v5
	v_add_f32_e32 v8, -0.5, v8
	v_mul_f32_e32 v5, 0x7800000, v5
	v_cmp_gt_u32_e32 vcc, s3, v1
	v_bfe_i32 v3, v3, 0, 16
	v_cndmask_b32_e32 v1, v5, v8, vcc
	v_and_or_b32 v3, v3, s4, v1
	v_bfe_u32 v1, v1, 16, 1
	v_add3_u32 v1, v3, v1, s5
	v_cmp_o_f32_e32 vcc, v3, v3
	v_mov_b32_e32 v3, 0x7fc0
	v_cndmask_b32_sdwa v1, v3, v1, vcc dst_sel:DWORD dst_unused:UNUSED_PAD src0_sel:DWORD src1_sel:WORD_1
.LBB164_1359:
	s_mov_b64 s[4:5], -1
	s_mov_b64 s[2:3], 0
	s_cbranch_execnz .LBB164_1370
.LBB164_1360:
	s_cmp_gt_i32 s10, 14
	s_cbranch_scc0 .LBB164_1363
; %bb.1361:
	s_cmp_eq_u32 s10, 15
	s_cbranch_scc0 .LBB164_1366
; %bb.1362:
	global_load_ushort v1, v[12:13], off
	s_mov_b64 s[0:1], 0
	s_mov_b64 s[4:5], -1
	s_branch .LBB164_1367
.LBB164_1363:
	s_mov_b64 s[6:7], -1
                                        ; implicit-def: $vgpr1
	s_branch .LBB164_1368
.LBB164_1364:
	s_or_saveexec_b64 s[4:5], s[4:5]
	v_mov_b32_e32 v3, 0x7f800001
	s_xor_b64 exec, exec, s[4:5]
	s_cbranch_execz .LBB164_1346
.LBB164_1365:
	v_cmp_ne_u16_e32 vcc, 0, v1
	s_andn2_b64 s[2:3], s[2:3], exec
	s_and_b64 s[6:7], vcc, exec
	v_mov_b32_e32 v3, 0
	s_or_b64 s[2:3], s[2:3], s[6:7]
	s_or_b64 exec, exec, s[4:5]
	s_and_saveexec_b64 s[4:5], s[2:3]
	s_cbranch_execnz .LBB164_1347
	s_branch .LBB164_1348
.LBB164_1366:
	s_mov_b64 s[0:1], -1
                                        ; implicit-def: $vgpr1
.LBB164_1367:
	s_mov_b64 s[6:7], 0
.LBB164_1368:
	s_and_b64 vcc, exec, s[6:7]
	s_cbranch_vccz .LBB164_1370
; %bb.1369:
	s_cmp_lg_u32 s10, 11
	s_mov_b64 s[2:3], -1
	s_cselect_b64 s[0:1], -1, 0
.LBB164_1370:
	s_and_b64 vcc, exec, s[0:1]
	s_mov_b64 s[10:11], s[28:29]
	s_cbranch_vccnz .LBB164_1469
; %bb.1371:
	s_andn2_b64 vcc, exec, s[2:3]
	s_cbranch_vccnz .LBB164_1373
.LBB164_1372:
	global_load_ubyte v1, v[12:13], off
	s_mov_b64 s[4:5], -1
	s_waitcnt vmcnt(0)
	v_cmp_ne_u16_e32 vcc, 0, v1
	v_cndmask_b32_e64 v1, 0, 1.0, vcc
	v_lshrrev_b32_e32 v1, 16, v1
.LBB164_1373:
	s_branch .LBB164_1303
.LBB164_1374:
	s_and_b32 s2, 0xffff, s16
	s_cmp_lt_i32 s2, 5
	s_cbranch_scc1 .LBB164_1379
; %bb.1375:
	s_cmp_lt_i32 s2, 8
	s_cbranch_scc1 .LBB164_1380
; %bb.1376:
	;; [unrolled: 3-line block ×3, first 2 shown]
	s_cmp_gt_i32 s2, 9
	s_cbranch_scc0 .LBB164_1382
; %bb.1378:
	global_load_dwordx2 v[14:15], v[12:13], off
	s_movk_i32 s0, 0x7fff
	s_waitcnt vmcnt(1)
	v_mov_b32_e32 v3, 0x7fc0
	s_waitcnt vmcnt(0)
	v_cvt_f32_f64_e32 v1, v[14:15]
	v_bfe_u32 v5, v1, 16, 1
	v_cmp_o_f32_e32 vcc, v1, v1
	v_add3_u32 v1, v1, v5, s0
	v_cndmask_b32_sdwa v1, v3, v1, vcc dst_sel:DWORD dst_unused:UNUSED_PAD src0_sel:DWORD src1_sel:WORD_1
	s_mov_b64 s[0:1], 0
	s_branch .LBB164_1383
.LBB164_1379:
                                        ; implicit-def: $vgpr1
	s_branch .LBB164_1400
.LBB164_1380:
                                        ; implicit-def: $vgpr1
	s_branch .LBB164_1389
.LBB164_1381:
	s_mov_b64 s[0:1], -1
                                        ; implicit-def: $vgpr1
	s_branch .LBB164_1386
.LBB164_1382:
	s_mov_b64 s[0:1], -1
                                        ; implicit-def: $vgpr1
.LBB164_1383:
	s_andn2_b64 vcc, exec, s[0:1]
	s_cbranch_vccnz .LBB164_1385
; %bb.1384:
	global_load_dword v1, v[12:13], off
	s_movk_i32 s0, 0x7fff
	s_waitcnt vmcnt(1)
	v_mov_b32_e32 v3, 0x7fc0
	s_waitcnt vmcnt(0)
	v_bfe_u32 v5, v1, 16, 1
	v_cmp_o_f32_e32 vcc, v1, v1
	v_add3_u32 v1, v1, v5, s0
	v_cndmask_b32_sdwa v1, v3, v1, vcc dst_sel:DWORD dst_unused:UNUSED_PAD src0_sel:DWORD src1_sel:WORD_1
.LBB164_1385:
	s_mov_b64 s[0:1], 0
.LBB164_1386:
	s_andn2_b64 vcc, exec, s[0:1]
	s_cbranch_vccnz .LBB164_1388
; %bb.1387:
	global_load_dword v1, v[12:13], off
	s_movk_i32 s0, 0x7fff
	v_mov_b32_e32 v5, 0x7fc0
	s_waitcnt vmcnt(0)
	v_cvt_f32_f16_e32 v3, v1
	v_cmp_o_f16_e32 vcc, v1, v1
	v_bfe_u32 v1, v3, 16, 1
	v_add3_u32 v1, v3, v1, s0
	v_cndmask_b32_sdwa v1, v5, v1, vcc dst_sel:DWORD dst_unused:UNUSED_PAD src0_sel:DWORD src1_sel:WORD_1
.LBB164_1388:
	s_cbranch_execnz .LBB164_1399
.LBB164_1389:
	s_cmp_lt_i32 s2, 6
	s_cbranch_scc1 .LBB164_1392
; %bb.1390:
	s_cmp_gt_i32 s2, 6
	s_cbranch_scc0 .LBB164_1393
; %bb.1391:
	global_load_dwordx2 v[14:15], v[12:13], off
	s_movk_i32 s0, 0x7fff
	s_waitcnt vmcnt(1)
	v_mov_b32_e32 v3, 0x7fc0
	s_waitcnt vmcnt(0)
	v_cvt_f32_f64_e32 v1, v[14:15]
	v_bfe_u32 v5, v1, 16, 1
	v_cmp_o_f32_e32 vcc, v1, v1
	v_add3_u32 v1, v1, v5, s0
	v_cndmask_b32_sdwa v1, v3, v1, vcc dst_sel:DWORD dst_unused:UNUSED_PAD src0_sel:DWORD src1_sel:WORD_1
	s_mov_b64 s[0:1], 0
	s_branch .LBB164_1394
.LBB164_1392:
	s_mov_b64 s[0:1], -1
                                        ; implicit-def: $vgpr1
	s_branch .LBB164_1397
.LBB164_1393:
	s_mov_b64 s[0:1], -1
                                        ; implicit-def: $vgpr1
.LBB164_1394:
	s_andn2_b64 vcc, exec, s[0:1]
	s_cbranch_vccnz .LBB164_1396
; %bb.1395:
	global_load_dword v1, v[12:13], off
	s_movk_i32 s0, 0x7fff
	s_waitcnt vmcnt(1)
	v_mov_b32_e32 v3, 0x7fc0
	s_waitcnt vmcnt(0)
	v_bfe_u32 v5, v1, 16, 1
	v_cmp_o_f32_e32 vcc, v1, v1
	v_add3_u32 v1, v1, v5, s0
	v_cndmask_b32_sdwa v1, v3, v1, vcc dst_sel:DWORD dst_unused:UNUSED_PAD src0_sel:DWORD src1_sel:WORD_1
.LBB164_1396:
	s_mov_b64 s[0:1], 0
.LBB164_1397:
	s_andn2_b64 vcc, exec, s[0:1]
	s_cbranch_vccnz .LBB164_1399
; %bb.1398:
	global_load_ushort v1, v[12:13], off
	s_movk_i32 s0, 0x7fff
	v_mov_b32_e32 v5, 0x7fc0
	s_waitcnt vmcnt(0)
	v_cvt_f32_f16_e32 v3, v1
	v_cmp_o_f16_e32 vcc, v1, v1
	v_bfe_u32 v1, v3, 16, 1
	v_add3_u32 v1, v3, v1, s0
	v_cndmask_b32_sdwa v1, v5, v1, vcc dst_sel:DWORD dst_unused:UNUSED_PAD src0_sel:DWORD src1_sel:WORD_1
.LBB164_1399:
	s_cbranch_execnz .LBB164_1418
.LBB164_1400:
	s_cmp_lt_i32 s2, 2
	s_cbranch_scc1 .LBB164_1404
; %bb.1401:
	s_cmp_lt_i32 s2, 3
	s_cbranch_scc1 .LBB164_1405
; %bb.1402:
	s_cmp_gt_i32 s2, 3
	s_cbranch_scc0 .LBB164_1406
; %bb.1403:
	global_load_dwordx2 v[14:15], v[12:13], off
	s_movk_i32 s0, 0x7fff
	s_waitcnt vmcnt(0)
	v_xor_b32_e32 v3, v14, v15
	v_ffbh_i32_e32 v1, v15
	v_ashrrev_i32_e32 v3, 31, v3
	v_add_u32_e32 v1, -1, v1
	v_add_u32_e32 v3, 32, v3
	v_min_u32_e32 v1, v1, v3
	v_lshlrev_b64 v[14:15], v1, v[14:15]
	v_sub_u32_e32 v1, 32, v1
	v_min_u32_e32 v3, 1, v14
	v_or_b32_e32 v3, v15, v3
	v_cvt_f32_i32_e32 v3, v3
	v_ldexp_f32 v1, v3, v1
	v_bfe_u32 v3, v1, 16, 1
	v_add3_u32 v1, v1, v3, s0
	v_lshrrev_b32_e32 v1, 16, v1
	s_mov_b64 s[0:1], 0
	s_branch .LBB164_1407
.LBB164_1404:
                                        ; implicit-def: $vgpr1
	s_branch .LBB164_1413
.LBB164_1405:
	s_mov_b64 s[0:1], -1
                                        ; implicit-def: $vgpr1
	s_branch .LBB164_1410
.LBB164_1406:
	s_mov_b64 s[0:1], -1
                                        ; implicit-def: $vgpr1
.LBB164_1407:
	s_andn2_b64 vcc, exec, s[0:1]
	s_cbranch_vccnz .LBB164_1409
; %bb.1408:
	global_load_dword v1, v[12:13], off
	s_movk_i32 s0, 0x7fff
	s_waitcnt vmcnt(0)
	v_cvt_f32_i32_e32 v1, v1
	v_bfe_u32 v3, v1, 16, 1
	v_add3_u32 v1, v1, v3, s0
	v_lshrrev_b32_e32 v1, 16, v1
.LBB164_1409:
	s_mov_b64 s[0:1], 0
.LBB164_1410:
	s_andn2_b64 vcc, exec, s[0:1]
	s_cbranch_vccnz .LBB164_1412
; %bb.1411:
	global_load_sshort v1, v[12:13], off
	s_movk_i32 s0, 0x7fff
	s_waitcnt vmcnt(0)
	v_cvt_f32_i32_e32 v1, v1
	v_bfe_u32 v3, v1, 16, 1
	v_add3_u32 v1, v1, v3, s0
	v_lshrrev_b32_e32 v1, 16, v1
.LBB164_1412:
	s_cbranch_execnz .LBB164_1418
.LBB164_1413:
	s_cmp_gt_i32 s2, 0
	s_cbranch_scc0 .LBB164_1415
; %bb.1414:
	global_load_sbyte v1, v[12:13], off
	s_movk_i32 s0, 0x7fff
	s_waitcnt vmcnt(0)
	v_cvt_f32_i32_e32 v1, v1
	v_bfe_u32 v3, v1, 16, 1
	v_add3_u32 v1, v1, v3, s0
	v_lshrrev_b32_e32 v1, 16, v1
	s_mov_b64 s[0:1], 0
	s_branch .LBB164_1416
.LBB164_1415:
	s_mov_b64 s[0:1], -1
                                        ; implicit-def: $vgpr1
.LBB164_1416:
	s_andn2_b64 vcc, exec, s[0:1]
	s_cbranch_vccnz .LBB164_1418
; %bb.1417:
	global_load_ubyte v1, v[12:13], off
	s_movk_i32 s0, 0x7fff
	s_waitcnt vmcnt(0)
	v_cvt_f32_ubyte0_e32 v1, v1
	v_bfe_u32 v3, v1, 16, 1
	v_add3_u32 v1, v1, v3, s0
	v_lshrrev_b32_e32 v1, 16, v1
.LBB164_1418:
.LBB164_1419:
	s_waitcnt vmcnt(0)
	v_lshlrev_b32_e32 v1, 16, v1
	s_mov_b32 s0, 0x3c800000
	v_and_b32_e32 v5, 0x7fffffff, v1
	v_cmp_nlt_f32_e64 s[0:1], |v1|, s0
                                        ; implicit-def: $vgpr3
	s_and_saveexec_b64 s[2:3], s[0:1]
	s_xor_b64 s[2:3], exec, s[2:3]
	s_cbranch_execz .LBB164_1449
; %bb.1420:
	v_cmp_nlt_f32_e64 s[0:1], |v1|, 2.0
                                        ; implicit-def: $vgpr3
	s_and_saveexec_b64 s[4:5], s[0:1]
	s_xor_b64 s[4:5], exec, s[4:5]
	s_cbranch_execz .LBB164_1430
; %bb.1421:
	s_mov_b32 s0, 0x41000000
	v_cmp_nlt_f32_e64 s[0:1], |v1|, s0
                                        ; implicit-def: $vgpr3
	s_and_saveexec_b64 s[6:7], s[0:1]
	s_xor_b64 s[6:7], exec, s[6:7]
	s_cbranch_execz .LBB164_1427
; %bb.1422:
	s_mov_b32 s0, 0x5c800000
	v_cmp_nlt_f32_e64 s[0:1], |v1|, s0
                                        ; implicit-def: $vgpr3
	s_and_saveexec_b64 s[8:9], s[0:1]
	s_xor_b64 s[8:9], exec, s[8:9]
	s_cbranch_execz .LBB164_1424
; %bb.1423:
	s_mov_b32 s0, 0x800000
	v_cmp_lt_f32_e64 vcc, |v1|, s0
	v_cndmask_b32_e64 v3, 0, 32, vcc
	v_ldexp_f32 v3, |v1|, v3
	v_log_f32_e32 v3, v3
	s_mov_b32 s0, 0x3f317217
	s_mov_b32 s1, 0x7f800000
	v_mul_f32_e32 v8, 0x3f317217, v3
	v_fma_f32 v10, v3, s0, -v8
	v_fmac_f32_e32 v10, 0x3377d1cf, v3
	v_add_f32_e32 v8, v8, v10
	v_cmp_lt_f32_e64 s[0:1], |v3|, s1
	v_cndmask_b32_e64 v3, v3, v8, s[0:1]
	v_mov_b32_e32 v8, 0x41b17218
	v_cndmask_b32_e32 v8, 0, v8, vcc
	v_sub_f32_e32 v3, v3, v8
	v_fma_f32 v3, |v1|, v3, -|v1|
.LBB164_1424:
	s_andn2_saveexec_b64 s[8:9], s[8:9]
	s_cbranch_execz .LBB164_1426
; %bb.1425:
	v_rcp_f32_e64 v8, |v1|
	v_mov_b32_e32 v3, 0x3a5b3dd2
	v_mov_b32_e32 v10, 0xba1c065c
	;; [unrolled: 1-line block ×3, first 2 shown]
	v_mul_f32_e32 v13, v8, v8
	v_fmac_f32_e32 v3, 0xbad5c4e8, v13
	v_fmac_f32_e32 v10, v13, v3
	s_mov_b32 s0, 0x800000
	v_fmac_f32_e32 v12, v13, v10
	v_mov_b32_e32 v3, 0xbb360b61
	v_cmp_lt_f32_e64 vcc, |v1|, s0
	v_fmac_f32_e32 v3, v13, v12
	v_cndmask_b32_e64 v12, 0, 32, vcc
	v_ldexp_f32 v12, |v1|, v12
	v_log_f32_e32 v12, v12
	v_mov_b32_e32 v10, 0x3daaaaab
	v_fmac_f32_e32 v10, v13, v3
	v_mov_b32_e32 v3, 0x3ed67f1d
	v_fmac_f32_e32 v3, v8, v10
	s_mov_b32 s0, 0x3f317217
	v_mul_f32_e32 v10, 0x3f317217, v12
	v_fma_f32 v13, v12, s0, -v10
	v_fmac_f32_e32 v13, 0x3377d1cf, v12
	s_mov_b32 s0, 0x7f800000
	v_add_f32_e32 v10, v10, v13
	v_cmp_lt_f32_e64 s[0:1], |v12|, s0
	v_cndmask_b32_e64 v10, v12, v10, s[0:1]
	v_mov_b32_e32 v12, 0x41b17218
	v_cndmask_b32_e32 v12, 0, v12, vcc
	v_sub_f32_e32 v10, v10, v12
	v_add_f32_e64 v8, |v1|, -0.5
	v_add_f32_e32 v10, -1.0, v10
	v_fmac_f32_e32 v3, v8, v10
.LBB164_1426:
	s_or_b64 exec, exec, s[8:9]
.LBB164_1427:
	s_andn2_saveexec_b64 s[6:7], s[6:7]
	s_cbranch_execz .LBB164_1429
; %bb.1428:
	v_cvt_i32_f32_e32 v3, v5
	v_mov_b32_e32 v8, 0x3af135b4
	v_mov_b32_e32 v10, 0x3cda40e4
	;; [unrolled: 1-line block ×3, first 2 shown]
	v_cvt_f32_i32_e32 v13, v3
	v_mov_b32_e32 v14, 0x3ea6cc7a
	v_mov_b32_e32 v15, 0x3e5c245a
	v_cmp_lt_i32_e32 vcc, 2, v3
	v_sub_f32_e64 v13, |v1|, v13
	v_fmac_f32_e32 v8, 0x3805ff67, v13
	v_fmac_f32_e32 v10, v13, v8
	;; [unrolled: 1-line block ×3, first 2 shown]
	v_mov_b32_e32 v10, 0x3a4beed6
	v_fmac_f32_e32 v14, v13, v12
	v_fmac_f32_e32 v10, 0x36f5d7bd, v13
	v_mov_b32_e32 v12, 0x3c98bf54
	v_fmac_f32_e32 v12, v13, v10
	v_mov_b32_e32 v10, 0x3e300f6e
	;; [unrolled: 2-line block ×4, first 2 shown]
	v_fmac_f32_e32 v10, v13, v12
	v_add_f32_e32 v12, 2.0, v13
	v_mov_b32_e32 v16, 0xbd9e233f
	v_fmac_f32_e32 v15, v13, v14
	v_add_f32_e32 v14, 0x40400000, v13
	v_cndmask_b32_e32 v12, 1.0, v12, vcc
	v_cmp_lt_i32_e32 vcc, 3, v3
	v_fmac_f32_e32 v16, v13, v15
	v_add_f32_e32 v15, 4.0, v13
	v_cndmask_b32_e32 v14, 1.0, v14, vcc
	v_cmp_lt_i32_e32 vcc, 4, v3
	v_mul_f32_e32 v8, v13, v16
	v_add_f32_e32 v16, 0x40a00000, v13
	v_mul_f32_e32 v12, v12, v14
	v_cndmask_b32_e32 v14, 1.0, v15, vcc
	v_cmp_lt_i32_e32 vcc, 5, v3
	v_add_f32_e32 v17, 0x40c00000, v13
	v_mul_f32_e32 v12, v14, v12
	v_cndmask_b32_e32 v14, 1.0, v16, vcc
	v_cmp_lt_i32_e32 vcc, 6, v3
	v_mul_f32_e32 v12, v14, v12
	v_cndmask_b32_e32 v3, 1.0, v17, vcc
	v_mul_f32_e32 v3, v3, v12
	s_mov_b32 s0, 0x800000
	v_cmp_gt_f32_e32 vcc, s0, v3
	v_cndmask_b32_e64 v12, 0, 32, vcc
	v_fma_f32 v10, v13, v10, 1.0
	v_ldexp_f32 v3, v3, v12
	v_rcp_f32_e32 v10, v10
	v_log_f32_e32 v3, v3
	s_mov_b32 s0, 0x3f317217
	v_mul_f32_e32 v8, v8, v10
	v_mul_f32_e32 v10, 0x3f317217, v3
	v_fma_f32 v12, v3, s0, -v10
	v_fmac_f32_e32 v12, 0x3377d1cf, v3
	s_mov_b32 s0, 0x7f800000
	v_add_f32_e32 v10, v10, v12
	v_cmp_lt_f32_e64 s[0:1], |v3|, s0
	v_cndmask_b32_e64 v3, v3, v10, s[0:1]
	v_mov_b32_e32 v10, 0x41b17218
	v_cndmask_b32_e32 v10, 0, v10, vcc
	v_fmac_f32_e32 v8, 0.5, v13
	v_sub_f32_e32 v3, v3, v10
	v_add_f32_e32 v3, v3, v8
.LBB164_1429:
	s_or_b64 exec, exec, s[6:7]
.LBB164_1430:
	s_andn2_saveexec_b64 s[4:5], s[4:5]
	s_cbranch_execz .LBB164_1448
; %bb.1431:
	s_mov_b32 s0, 0x3f666666
	v_cmp_le_f32_e64 s[0:1], |v1|, s0
                                        ; implicit-def: $vgpr3
                                        ; implicit-def: $vgpr10
                                        ; implicit-def: $vgpr8
	s_and_saveexec_b64 s[6:7], s[0:1]
	s_xor_b64 s[6:7], exec, s[6:7]
	s_cbranch_execz .LBB164_1433
; %bb.1432:
	s_mov_b32 s0, 0x800000
	v_cmp_lt_f32_e64 vcc, |v1|, s0
	v_cndmask_b32_e64 v3, 0, 32, vcc
	v_ldexp_f32 v3, |v1|, v3
	v_log_f32_e32 v3, v3
	s_mov_b32 s0, 0x3f317217
	s_mov_b32 s1, 0x7f800000
	v_mul_f32_e32 v8, 0x3f317217, v3
	v_fma_f32 v10, v3, s0, -v8
	v_fmac_f32_e32 v10, 0x3377d1cf, v3
	v_add_f32_e32 v8, v8, v10
	v_cmp_lt_f32_e64 s[0:1], |v3|, s1
	v_cndmask_b32_e64 v3, v3, v8, s[0:1]
	v_mov_b32_e32 v8, 0x41b17218
	v_cndmask_b32_e32 v8, 0, v8, vcc
	s_mov_b32 s0, 0x3f3b4a23
	s_mov_b32 s1, 0xbeec5b0c
	v_sub_f32_e32 v3, v3, v8
	v_sub_f32_e64 v8, 1.0, |v1|
	v_add_f32_e64 v10, |v1|, s1
	v_cmp_lt_f32_e64 vcc, |v1|, s0
	s_mov_b32 s0, 0x3e6d3309
	v_cndmask_b32_e32 v8, v8, v10, vcc
	v_cndmask_b32_e64 v10, 0, 1, vcc
	v_cmp_lt_f32_e64 s[0:1], |v1|, s0
	v_xor_b32_e32 v3, 0x80000000, v3
	v_cndmask_b32_e64 v8, v8, |v1|, s[0:1]
	v_cndmask_b32_e64 v10, v10, 2, s[0:1]
.LBB164_1433:
	s_andn2_saveexec_b64 s[0:1], s[6:7]
	s_cbranch_execz .LBB164_1435
; %bb.1434:
	s_mov_b32 s6, 0x3fdda512
	s_mov_b32 s7, 0xbfbb16c3
	v_sub_f32_e64 v3, 2.0, |v1|
	v_add_f32_e64 v8, |v1|, s7
	v_cmp_lt_f32_e64 vcc, |v1|, s6
	v_cndmask_b32_e32 v8, v3, v8, vcc
	v_cndmask_b32_e64 v3, v3, 1.0, vcc
	v_cvt_i32_f32_e32 v3, v3
	s_mov_b32 s6, 0x3f9d70a4
	v_add_f32_e64 v10, |v1|, -1.0
	v_cmp_lt_f32_e64 vcc, |v1|, s6
	v_cndmask_b32_e32 v8, v8, v10, vcc
	v_cndmask_b32_e64 v10, v3, 2, vcc
	v_mov_b32_e32 v3, 0
.LBB164_1435:
	s_or_b64 exec, exec, s[0:1]
	v_cmp_lt_i32_e32 vcc, 0, v10
	s_and_saveexec_b64 s[0:1], vcc
	s_xor_b64 s[0:1], exec, s[0:1]
	s_cbranch_execz .LBB164_1443
; %bb.1436:
	v_cmp_lt_i32_e32 vcc, 1, v10
	s_and_saveexec_b64 s[6:7], vcc
	s_xor_b64 s[6:7], exec, s[6:7]
	s_cbranch_execz .LBB164_1440
; %bb.1437:
	v_cmp_eq_u32_e32 vcc, 2, v10
	s_and_saveexec_b64 s[8:9], vcc
	s_cbranch_execz .LBB164_1439
; %bb.1438:
	v_mov_b32_e32 v10, 0x3e6a7578
	v_fmac_f32_e32 v10, 0x3c5b3c5e, v8
	v_mov_b32_e32 v12, 0x3f7a4bb2
	v_fmac_f32_e32 v12, v8, v10
	;; [unrolled: 2-line block ×8, first 2 shown]
	v_fma_f32 v10, v8, v13, 1.0
	v_rcp_f32_e32 v10, v10
	v_mov_b32_e32 v13, 0xbd9e233f
	v_fmac_f32_e32 v13, v8, v12
	v_mul_f32_e32 v12, v8, v13
	v_mul_f32_e32 v10, v12, v10
	v_fmac_f32_e32 v10, -0.5, v8
	v_add_f32_e32 v3, v3, v10
.LBB164_1439:
	s_or_b64 exec, exec, s[8:9]
                                        ; implicit-def: $vgpr8
.LBB164_1440:
	s_andn2_saveexec_b64 s[6:7], s[6:7]
	s_cbranch_execz .LBB164_1442
; %bb.1441:
	v_mul_f32_e32 v10, v8, v8
	v_mul_f32_e32 v12, v8, v10
	v_mov_b32_e32 v13, 0xbab7f476
	v_fmac_f32_e32 v13, 0x39a57b6b, v12
	v_mov_b32_e32 v14, 0x3bc7e707
	v_fmac_f32_e32 v14, v12, v13
	;; [unrolled: 2-line block ×12, first 2 shown]
	v_fmac_f32_e32 v15, v8, v16
	s_mov_b32 s8, 0xa2863e55
	v_fma_f32 v8, v12, -v15, s8
	v_fma_f32 v8, v10, v14, -v8
	v_add_f32_e32 v8, 0xbdf8cdce, v8
	v_add_f32_e32 v3, v3, v8
.LBB164_1442:
	s_or_b64 exec, exec, s[6:7]
                                        ; implicit-def: $vgpr10
                                        ; implicit-def: $vgpr8
.LBB164_1443:
	s_andn2_saveexec_b64 s[0:1], s[0:1]
	s_cbranch_execz .LBB164_1447
; %bb.1444:
	v_cmp_eq_u32_e32 vcc, 0, v10
	s_and_saveexec_b64 s[6:7], vcc
	s_cbranch_execz .LBB164_1446
; %bb.1445:
	v_mul_f32_e32 v10, v8, v8
	v_mov_b32_e32 v12, 0x39679767
	v_fmac_f32_e32 v12, 0x37d383a2, v10
	v_mov_b32_e32 v13, 0x3a9c54a1
	v_fmac_f32_e32 v13, v10, v12
	;; [unrolled: 2-line block ×10, first 2 shown]
	v_mul_f32_e32 v10, v10, v13
	v_fmac_f32_e32 v10, v8, v12
	v_fmac_f32_e32 v10, -0.5, v8
	v_add_f32_e32 v3, v3, v10
.LBB164_1446:
	s_or_b64 exec, exec, s[6:7]
.LBB164_1447:
	s_or_b64 exec, exec, s[0:1]
.LBB164_1448:
	s_or_b64 exec, exec, s[4:5]
.LBB164_1449:
	s_andn2_saveexec_b64 s[2:3], s[2:3]
	s_cbranch_execz .LBB164_1451
; %bb.1450:
	s_mov_b32 s0, 0x3e8a8991
	v_mov_b32_e32 v3, 0xbecd26ab
	v_fma_f32 v3, |v1|, s0, v3
	s_mov_b32 s0, 0x3f528d33
	v_fma_f32 v3, |v1|, v3, s0
	s_mov_b32 s0, 0x800000
	v_cmp_lt_f32_e64 vcc, |v1|, s0
	v_cndmask_b32_e64 v8, 0, 32, vcc
	v_ldexp_f32 v8, |v1|, v8
	v_log_f32_e32 v8, v8
	s_mov_b32 s0, 0xbf13c468
	v_fma_f32 v3, |v1|, v3, s0
	s_mov_b32 s0, 0x3f317217
	v_mul_f32_e32 v10, 0x3f317217, v8
	v_fma_f32 v12, v8, s0, -v10
	v_fmac_f32_e32 v12, 0x3377d1cf, v8
	s_mov_b32 s0, 0x7f800000
	v_add_f32_e32 v10, v10, v12
	v_cmp_lt_f32_e64 s[0:1], |v8|, s0
	v_cndmask_b32_e64 v8, v8, v10, s[0:1]
	v_mov_b32_e32 v10, 0x41b17218
	v_cndmask_b32_e32 v10, 0, v10, vcc
	v_sub_f32_e32 v8, v8, v10
	v_fma_f32 v3, |v1|, v3, -v8
.LBB164_1451:
	s_or_b64 exec, exec, s[2:3]
	v_cmp_le_f32_e64 s[0:1], 0, v1
	v_cmp_nle_f32_e32 vcc, 0, v1
	s_and_saveexec_b64 s[2:3], vcc
	s_xor_b64 s[4:5], exec, s[2:3]
	s_cbranch_execz .LBB164_1455
; %bb.1452:
	s_mov_b32 s2, 0x4b000000
	s_mov_b32 s6, 0x35000000
	v_cmp_lt_f32_e64 s[2:3], |v1|, s2
	v_cmp_gt_f32_e64 s[6:7], |v1|, s6
	s_and_b64 s[2:3], s[2:3], s[6:7]
	s_and_saveexec_b64 s[6:7], s[2:3]
	s_cbranch_execz .LBB164_1454
; %bb.1453:
	v_mul_f32_e64 v8, |v1|, 0.5
	v_floor_f32_e32 v10, v8
	v_sub_f32_e32 v10, v8, v10
	v_min_f32_e32 v10, 0x3f7fffff, v10
	s_mov_b32 s8, 0x7f800000
	v_add_f32_e32 v10, v10, v10
	v_cmp_neq_f32_e32 vcc, s8, v8
	v_cndmask_b32_e32 v8, 0, v10, vcc
	v_cmp_gt_f32_e64 s[2:3], |v1|, 1.0
	v_cndmask_b32_e64 v8, |v1|, v8, s[2:3]
	v_add_f32_e32 v10, v8, v8
	v_rndne_f32_e32 v10, v10
	v_fmac_f32_e32 v8, -0.5, v10
	v_mul_f32_e32 v12, v8, v8
	v_mov_b32_e32 v13, 0xbf1f24be
	v_fmac_f32_e32 v13, 0x3e75aa41, v12
	v_mov_b32_e32 v14, 0x40234736
	v_fmac_f32_e32 v14, v12, v13
	;; [unrolled: 2-line block ×3, first 2 shown]
	v_mul_f32_e32 v14, v8, v12
	v_mul_f32_e32 v13, v14, v13
	v_fmac_f32_e32 v13, 0x40490fdb, v8
	v_mov_b32_e32 v8, 0x3e642e9d
	v_cvt_i32_f32_e32 v10, v10
	v_fmac_f32_e32 v8, 0x3d4be544, v12
	v_mov_b32_e32 v14, 0xbfaad1da
	v_fmac_f32_e32 v14, v12, v8
	v_mov_b32_e32 v8, 0x4081e0d3
	;; [unrolled: 2-line block ×3, first 2 shown]
	v_fmac_f32_e32 v14, v12, v8
	v_fma_f32 v8, v12, v14, 1.0
	v_and_b32_e32 v12, 1, v10
	v_cmp_eq_u32_e32 vcc, 0, v12
	v_lshlrev_b32_e32 v10, 30, v10
	s_brev_b32 s2, 1
	v_cndmask_b32_e32 v8, v8, v13, vcc
	v_and_or_b32 v5, v10, s2, v5
	v_xor_b32_e32 v5, v5, v8
	v_xor_b32_e32 v5, v5, v1
	v_mul_f32_e32 v5, v1, v5
	v_frexp_mant_f32_e64 v8, |v5|
	v_rcp_f32_e32 v8, v8
	v_frexp_exp_i32_f32_e32 v5, v5
	v_sub_u32_e32 v5, 2, v5
	s_mov_b32 s2, 0x800000
	v_mul_f32_e32 v8, 0x3f490fdb, v8
	v_ldexp_f32 v5, v8, v5
	v_cmp_gt_f32_e32 vcc, s2, v5
	v_cndmask_b32_e64 v8, 0, 32, vcc
	v_ldexp_f32 v5, v5, v8
	v_log_f32_e32 v5, v5
	s_mov_b32 s2, 0x3f317217
	v_mul_f32_e32 v8, 0x3f317217, v5
	v_fma_f32 v10, v5, s2, -v8
	v_fmac_f32_e32 v10, 0x3377d1cf, v5
	v_add_f32_e32 v8, v8, v10
	v_cmp_lt_f32_e64 s[2:3], |v5|, s8
	v_cndmask_b32_e64 v5, v5, v8, s[2:3]
	v_mov_b32_e32 v8, 0x41b17218
	v_cndmask_b32_e32 v8, 0, v8, vcc
	v_sub_f32_e32 v5, v5, v8
	v_sub_f32_e32 v3, v5, v3
	v_floor_f32_e32 v5, v1
	v_sub_f32_e32 v5, v1, v5
	v_min_f32_e32 v5, 0x3f7fffff, v5
	v_mov_b32_e32 v8, 0x7f800000
	v_cmp_neq_f32_e32 vcc, 0, v5
	v_cndmask_b32_e32 v3, v8, v3, vcc
.LBB164_1454:
	s_or_b64 exec, exec, s[6:7]
.LBB164_1455:
	s_andn2_saveexec_b64 s[4:5], s[4:5]
; %bb.1456:
	v_cmp_eq_f32_e32 vcc, 1.0, v1
	v_cmp_eq_f32_e64 s[2:3], 2.0, v1
	s_or_b64 s[2:3], vcc, s[2:3]
	v_cndmask_b32_e64 v3, v3, 0, s[2:3]
; %bb.1457:
	s_or_b64 exec, exec, s[4:5]
	s_lshr_b32 s2, s20, 16
	v_mov_b32_e32 v5, s15
	s_and_b32 s21, s2, 0xff
	v_add_co_u32_e32 v10, vcc, s14, v11
	s_cmp_lt_i32 s21, 11
	v_addc_co_u32_e32 v11, vcc, 0, v5, vcc
	s_cbranch_scc1 .LBB164_1464
; %bb.1458:
	s_and_b32 s18, 0xffff, s21
	s_cmp_gt_i32 s18, 25
	s_mov_b64 s[4:5], 0
	s_cbranch_scc0 .LBB164_1466
; %bb.1459:
	s_cmp_gt_i32 s18, 28
	s_cbranch_scc0 .LBB164_1467
; %bb.1460:
	s_cmp_gt_i32 s18, 43
	;; [unrolled: 3-line block ×3, first 2 shown]
	s_cbranch_scc0 .LBB164_1470
; %bb.1462:
	s_cmp_eq_u32 s18, 46
	s_mov_b64 s[8:9], 0
	s_cbranch_scc0 .LBB164_1473
; %bb.1463:
	global_load_dword v5, v[10:11], off
	s_mov_b64 s[2:3], 0
	s_mov_b64 s[6:7], -1
	s_branch .LBB164_1474
.LBB164_1464:
	s_mov_b64 s[6:7], 0
                                        ; implicit-def: $vgpr5
	s_cbranch_execnz .LBB164_1539
.LBB164_1465:
	s_andn2_b64 vcc, exec, s[6:7]
	s_cbranch_vccnz .LBB164_2392
	s_branch .LBB164_1586
.LBB164_1466:
	s_mov_b64 s[6:7], 0
	s_mov_b64 s[2:3], 0
                                        ; implicit-def: $vgpr5
	s_cbranch_execnz .LBB164_1503
	s_branch .LBB164_1535
.LBB164_1467:
	s_mov_b64 s[8:9], -1
	s_mov_b64 s[6:7], 0
	s_mov_b64 s[2:3], 0
                                        ; implicit-def: $vgpr5
	s_branch .LBB164_1484
.LBB164_1468:
	s_mov_b64 s[8:9], -1
	s_mov_b64 s[6:7], 0
	s_mov_b64 s[2:3], 0
                                        ; implicit-def: $vgpr5
	s_branch .LBB164_1479
.LBB164_1469:
	s_or_b64 s[10:11], s[28:29], exec
	s_trap 2
	s_cbranch_execz .LBB164_1372
	s_branch .LBB164_1373
.LBB164_1470:
	s_mov_b64 s[8:9], -1
	s_mov_b64 s[6:7], 0
	s_mov_b64 s[2:3], 0
                                        ; implicit-def: $vgpr5
	s_branch .LBB164_1474
.LBB164_1471:
	s_andn2_saveexec_b64 s[16:17], s[16:17]
	s_cbranch_execz .LBB164_1163
.LBB164_1472:
	s_mov_b32 s20, 0x42800000
	v_add_f32_e64 v4, |v5|, s20
	v_and_b32_e32 v4, 0xff, v4
	v_cmp_ne_u32_e32 vcc, 0, v4
	s_andn2_b64 s[14:15], s[14:15], exec
	s_and_b64 s[20:21], vcc, exec
	s_or_b64 s[14:15], s[14:15], s[20:21]
	s_or_b64 exec, exec, s[16:17]
	v_mov_b32_e32 v6, 0
	s_and_saveexec_b64 s[16:17], s[14:15]
	s_cbranch_execnz .LBB164_1164
	s_branch .LBB164_1165
.LBB164_1473:
	s_mov_b64 s[2:3], -1
                                        ; implicit-def: $vgpr5
	s_mov_b64 s[6:7], 0
.LBB164_1474:
	s_and_b64 vcc, exec, s[8:9]
	s_cbranch_vccz .LBB164_1478
; %bb.1475:
	s_cmp_eq_u32 s18, 44
	s_cbranch_scc0 .LBB164_1477
; %bb.1476:
	global_load_ubyte v5, v[10:11], off
	s_movk_i32 s6, 0xff
	v_mov_b32_e32 v8, 0x7f800001
	v_mov_b32_e32 v12, 0x400000
	;; [unrolled: 1-line block ×3, first 2 shown]
	s_mov_b64 s[2:3], 0
	s_waitcnt vmcnt(0)
	v_lshlrev_b32_e32 v14, 23, v5
	v_cmp_ne_u32_e32 vcc, s6, v5
	v_cndmask_b32_e32 v8, v8, v14, vcc
	v_cmp_ne_u32_e32 vcc, 0, v5
	v_cndmask_b32_e32 v5, v12, v8, vcc
	v_add_u32_e32 v8, 0x7fff, v5
	v_cmp_o_f32_e32 vcc, v5, v5
	v_cndmask_b32_sdwa v5, v13, v8, vcc dst_sel:DWORD dst_unused:UNUSED_PAD src0_sel:DWORD src1_sel:WORD_1
	s_mov_b64 s[6:7], -1
	s_branch .LBB164_1478
.LBB164_1477:
	s_mov_b64 s[2:3], -1
                                        ; implicit-def: $vgpr5
.LBB164_1478:
	s_mov_b64 s[8:9], 0
.LBB164_1479:
	s_and_b64 vcc, exec, s[8:9]
	s_cbranch_vccz .LBB164_1483
; %bb.1480:
	s_cmp_eq_u32 s18, 29
	s_cbranch_scc0 .LBB164_1482
; %bb.1481:
	global_load_dwordx2 v[12:13], v[10:11], off
	s_movk_i32 s6, 0x7fff
	s_mov_b64 s[2:3], 0
	s_mov_b64 s[8:9], 0
	s_waitcnt vmcnt(0)
	v_ffbh_u32_e32 v5, v13
	v_min_u32_e32 v5, 32, v5
	v_lshlrev_b64 v[12:13], v5, v[12:13]
	v_sub_u32_e32 v5, 32, v5
	v_min_u32_e32 v8, 1, v12
	v_or_b32_e32 v8, v13, v8
	v_cvt_f32_u32_e32 v8, v8
	v_ldexp_f32 v5, v8, v5
	v_bfe_u32 v8, v5, 16, 1
	v_add3_u32 v5, v5, v8, s6
	v_lshrrev_b32_e32 v5, 16, v5
	s_mov_b64 s[6:7], -1
	s_branch .LBB164_1484
.LBB164_1482:
	s_mov_b64 s[2:3], -1
                                        ; implicit-def: $vgpr5
.LBB164_1483:
	s_mov_b64 s[8:9], 0
.LBB164_1484:
	s_and_b64 vcc, exec, s[8:9]
	s_cbranch_vccz .LBB164_1502
; %bb.1485:
	s_cmp_lt_i32 s18, 27
	s_cbranch_scc1 .LBB164_1488
; %bb.1486:
	s_cmp_gt_i32 s18, 27
	s_cbranch_scc0 .LBB164_1489
; %bb.1487:
	global_load_dword v5, v[10:11], off
	s_movk_i32 s6, 0x7fff
	s_waitcnt vmcnt(0)
	v_cvt_f32_u32_e32 v5, v5
	v_bfe_u32 v8, v5, 16, 1
	v_add3_u32 v5, v5, v8, s6
	v_lshrrev_b32_e32 v5, 16, v5
	s_mov_b64 s[6:7], 0
	s_branch .LBB164_1490
.LBB164_1488:
	s_mov_b64 s[6:7], -1
                                        ; implicit-def: $vgpr5
	s_branch .LBB164_1493
.LBB164_1489:
	s_mov_b64 s[6:7], -1
                                        ; implicit-def: $vgpr5
.LBB164_1490:
	s_andn2_b64 vcc, exec, s[6:7]
	s_cbranch_vccnz .LBB164_1492
; %bb.1491:
	global_load_ushort v5, v[10:11], off
	s_movk_i32 s6, 0x7fff
	s_waitcnt vmcnt(0)
	v_cvt_f32_u32_e32 v5, v5
	v_bfe_u32 v8, v5, 16, 1
	v_add3_u32 v5, v5, v8, s6
	v_lshrrev_b32_e32 v5, 16, v5
.LBB164_1492:
	s_mov_b64 s[6:7], 0
.LBB164_1493:
	s_andn2_b64 vcc, exec, s[6:7]
	s_cbranch_vccnz .LBB164_1501
; %bb.1494:
	global_load_ubyte v5, v[10:11], off
	s_movk_i32 s6, 0x7f
	s_waitcnt vmcnt(0)
	v_cmp_lt_i16_e32 vcc, s6, v5
	s_mov_b64 s[6:7], 0
	s_and_saveexec_b64 s[8:9], vcc
	s_xor_b64 s[8:9], exec, s[8:9]
	s_cbranch_execz .LBB164_1514
; %bb.1495:
	s_movk_i32 s6, 0x80
	v_cmp_eq_u16_e32 vcc, s6, v5
	s_mov_b64 s[6:7], -1
	s_and_saveexec_b64 s[16:17], vcc
; %bb.1496:
	s_xor_b64 s[6:7], exec, -1
; %bb.1497:
	s_or_b64 exec, exec, s[16:17]
	s_and_b64 s[6:7], s[6:7], exec
	s_or_saveexec_b64 s[8:9], s[8:9]
	v_mov_b32_e32 v8, 0x7f800001
	s_xor_b64 exec, exec, s[8:9]
	s_cbranch_execnz .LBB164_1515
.LBB164_1498:
	s_or_b64 exec, exec, s[8:9]
	s_and_saveexec_b64 s[8:9], s[6:7]
	s_cbranch_execz .LBB164_1500
.LBB164_1499:
	v_lshlrev_b32_e32 v8, 24, v5
	v_and_b32_e32 v5, 0xffff, v5
	v_and_b32_e32 v12, 7, v5
	v_ffbh_u32_e32 v14, v12
	v_min_u32_e32 v14, 32, v14
	v_subrev_u32_e32 v15, 28, v14
	v_bfe_u32 v13, v5, 3, 4
	v_lshlrev_b32_e32 v5, v15, v5
	v_sub_u32_e32 v14, 29, v14
	v_and_b32_e32 v5, 7, v5
	v_cmp_eq_u32_e32 vcc, 0, v13
	v_cndmask_b32_e32 v13, v13, v14, vcc
	v_cndmask_b32_e32 v5, v12, v5, vcc
	v_mov_b32_e32 v12, 0x3b800000
	v_lshlrev_b32_e32 v5, 20, v5
	v_and_b32_e32 v8, 0x80000000, v8
	v_lshl_add_u32 v12, v13, 23, v12
	v_or3_b32 v8, v8, v12, v5
.LBB164_1500:
	s_or_b64 exec, exec, s[8:9]
	v_bfe_u32 v5, v8, 16, 1
	s_movk_i32 s6, 0x7fff
	v_add3_u32 v5, v8, v5, s6
	v_cmp_o_f32_e32 vcc, v8, v8
	v_mov_b32_e32 v8, 0x7fc0
	v_cndmask_b32_sdwa v5, v8, v5, vcc dst_sel:DWORD dst_unused:UNUSED_PAD src0_sel:DWORD src1_sel:WORD_1
.LBB164_1501:
	s_mov_b64 s[6:7], -1
.LBB164_1502:
	s_branch .LBB164_1535
.LBB164_1503:
	s_cmp_gt_i32 s18, 22
	s_cbranch_scc0 .LBB164_1513
; %bb.1504:
	s_cmp_lt_i32 s18, 24
	s_cbranch_scc1 .LBB164_1516
; %bb.1505:
	s_cmp_gt_i32 s18, 24
	s_cbranch_scc0 .LBB164_1517
; %bb.1506:
	global_load_ubyte v5, v[10:11], off
	s_movk_i32 s4, 0x7f
	s_waitcnt vmcnt(0)
	v_cmp_lt_i16_e32 vcc, s4, v5
	s_mov_b64 s[4:5], 0
	s_and_saveexec_b64 s[6:7], vcc
	s_xor_b64 s[6:7], exec, s[6:7]
	s_cbranch_execz .LBB164_1529
; %bb.1507:
	s_movk_i32 s4, 0x80
	v_cmp_eq_u16_e32 vcc, s4, v5
	s_mov_b64 s[4:5], -1
	s_and_saveexec_b64 s[8:9], vcc
; %bb.1508:
	s_xor_b64 s[4:5], exec, -1
; %bb.1509:
	s_or_b64 exec, exec, s[8:9]
	s_and_b64 s[4:5], s[4:5], exec
	s_or_saveexec_b64 s[6:7], s[6:7]
	v_mov_b32_e32 v8, 0x7f800001
	s_xor_b64 exec, exec, s[6:7]
	s_cbranch_execnz .LBB164_1530
.LBB164_1510:
	s_or_b64 exec, exec, s[6:7]
	s_and_saveexec_b64 s[6:7], s[4:5]
	s_cbranch_execz .LBB164_1512
.LBB164_1511:
	v_lshlrev_b32_e32 v8, 24, v5
	v_and_b32_e32 v5, 0xffff, v5
	v_and_b32_e32 v12, 3, v5
	v_ffbh_u32_e32 v14, v12
	v_min_u32_e32 v14, 32, v14
	v_subrev_u32_e32 v15, 29, v14
	v_bfe_u32 v13, v5, 2, 5
	v_lshlrev_b32_e32 v5, v15, v5
	v_sub_u32_e32 v14, 30, v14
	v_and_b32_e32 v5, 3, v5
	v_cmp_eq_u32_e32 vcc, 0, v13
	v_cndmask_b32_e32 v13, v13, v14, vcc
	v_cndmask_b32_e32 v5, v12, v5, vcc
	v_mov_b32_e32 v12, 0x37800000
	v_lshlrev_b32_e32 v5, 21, v5
	v_and_b32_e32 v8, 0x80000000, v8
	v_lshl_add_u32 v12, v13, 23, v12
	v_or3_b32 v8, v8, v12, v5
.LBB164_1512:
	s_or_b64 exec, exec, s[6:7]
	v_bfe_u32 v5, v8, 16, 1
	s_movk_i32 s4, 0x7fff
	v_add3_u32 v5, v8, v5, s4
	v_cmp_o_f32_e32 vcc, v8, v8
	v_mov_b32_e32 v8, 0x7fc0
	v_cndmask_b32_sdwa v5, v8, v5, vcc dst_sel:DWORD dst_unused:UNUSED_PAD src0_sel:DWORD src1_sel:WORD_1
	s_mov_b64 s[4:5], 0
	s_branch .LBB164_1518
.LBB164_1513:
	s_mov_b64 s[4:5], -1
                                        ; implicit-def: $vgpr5
	s_branch .LBB164_1524
.LBB164_1514:
	s_or_saveexec_b64 s[8:9], s[8:9]
	v_mov_b32_e32 v8, 0x7f800001
	s_xor_b64 exec, exec, s[8:9]
	s_cbranch_execz .LBB164_1498
.LBB164_1515:
	v_cmp_ne_u16_e32 vcc, 0, v5
	s_andn2_b64 s[6:7], s[6:7], exec
	s_and_b64 s[16:17], vcc, exec
	v_mov_b32_e32 v8, 0
	s_or_b64 s[6:7], s[6:7], s[16:17]
	s_or_b64 exec, exec, s[8:9]
	s_and_saveexec_b64 s[8:9], s[6:7]
	s_cbranch_execnz .LBB164_1499
	s_branch .LBB164_1500
.LBB164_1516:
	s_mov_b64 s[4:5], -1
                                        ; implicit-def: $vgpr5
	s_branch .LBB164_1521
.LBB164_1517:
	s_mov_b64 s[4:5], -1
                                        ; implicit-def: $vgpr5
.LBB164_1518:
	s_and_b64 vcc, exec, s[4:5]
	s_cbranch_vccz .LBB164_1520
; %bb.1519:
	global_load_ubyte v5, v[10:11], off
	s_mov_b32 s4, 0x7f800000
	s_brev_b32 s5, 1
	s_movk_i32 s6, 0x7fff
	s_waitcnt vmcnt(0)
	v_lshlrev_b32_e32 v5, 24, v5
	v_and_b32_e32 v8, 0x7f000000, v5
	v_ffbh_u32_e32 v12, v8
	v_min_u32_e32 v12, 32, v12
	v_sub_u32_e64 v12, v12, 4 clamp
	v_lshlrev_b32_e32 v14, v12, v8
	v_lshlrev_b32_e32 v12, 23, v12
	v_lshrrev_b32_e32 v14, 4, v14
	v_add_u32_e32 v13, 0x1000000, v8
	v_sub_u32_e32 v12, v14, v12
	v_ashrrev_i32_e32 v13, 8, v13
	v_add_u32_e32 v12, 0x3c000000, v12
	v_and_or_b32 v12, v13, s4, v12
	v_cmp_ne_u32_e32 vcc, 0, v8
	v_cndmask_b32_e32 v8, 0, v12, vcc
	v_and_or_b32 v5, v5, s5, v8
	v_bfe_u32 v8, v8, 16, 1
	v_add3_u32 v8, v5, v8, s6
	v_cmp_o_f32_e32 vcc, v5, v5
	v_mov_b32_e32 v5, 0x7fc0
	v_cndmask_b32_sdwa v5, v5, v8, vcc dst_sel:DWORD dst_unused:UNUSED_PAD src0_sel:DWORD src1_sel:WORD_1
.LBB164_1520:
	s_mov_b64 s[4:5], 0
.LBB164_1521:
	s_andn2_b64 vcc, exec, s[4:5]
	s_cbranch_vccnz .LBB164_1523
; %bb.1522:
	global_load_ubyte v5, v[10:11], off
	s_movk_i32 s4, 0x7f00
	s_brev_b32 s5, 16
	s_brev_b32 s6, 1
	s_movk_i32 s7, 0x7fff
	s_waitcnt vmcnt(0)
	v_lshlrev_b16_e32 v8, 8, v5
	v_lshlrev_b32_e32 v5, 25, v5
	v_lshrrev_b32_e32 v12, 4, v5
	v_and_or_b32 v13, v8, s4, 0.5
	v_or_b32_e32 v12, 0x70000000, v12
	v_add_f32_e32 v13, -0.5, v13
	v_mul_f32_e32 v12, 0x7800000, v12
	v_cmp_gt_u32_e32 vcc, s5, v5
	v_bfe_i32 v8, v8, 0, 16
	v_cndmask_b32_e32 v5, v12, v13, vcc
	v_and_or_b32 v8, v8, s6, v5
	v_bfe_u32 v5, v5, 16, 1
	v_add3_u32 v5, v8, v5, s7
	v_cmp_o_f32_e32 vcc, v8, v8
	v_mov_b32_e32 v8, 0x7fc0
	v_cndmask_b32_sdwa v5, v8, v5, vcc dst_sel:DWORD dst_unused:UNUSED_PAD src0_sel:DWORD src1_sel:WORD_1
.LBB164_1523:
	s_mov_b64 s[4:5], 0
	s_mov_b64 s[6:7], -1
.LBB164_1524:
	s_andn2_b64 vcc, exec, s[4:5]
	s_mov_b64 s[4:5], 0
	s_cbranch_vccnz .LBB164_1535
; %bb.1525:
	s_cmp_gt_i32 s18, 14
	s_cbranch_scc0 .LBB164_1528
; %bb.1526:
	s_cmp_eq_u32 s18, 15
	s_cbranch_scc0 .LBB164_1531
; %bb.1527:
	global_load_ushort v5, v[10:11], off
	s_mov_b64 s[2:3], 0
	s_mov_b64 s[6:7], -1
	s_branch .LBB164_1532
.LBB164_1528:
	s_mov_b64 s[8:9], -1
                                        ; implicit-def: $vgpr5
	s_branch .LBB164_1533
.LBB164_1529:
	s_or_saveexec_b64 s[6:7], s[6:7]
	v_mov_b32_e32 v8, 0x7f800001
	s_xor_b64 exec, exec, s[6:7]
	s_cbranch_execz .LBB164_1510
.LBB164_1530:
	v_cmp_ne_u16_e32 vcc, 0, v5
	s_andn2_b64 s[4:5], s[4:5], exec
	s_and_b64 s[8:9], vcc, exec
	v_mov_b32_e32 v8, 0
	s_or_b64 s[4:5], s[4:5], s[8:9]
	s_or_b64 exec, exec, s[6:7]
	s_and_saveexec_b64 s[6:7], s[4:5]
	s_cbranch_execnz .LBB164_1511
	s_branch .LBB164_1512
.LBB164_1531:
	s_mov_b64 s[2:3], -1
                                        ; implicit-def: $vgpr5
.LBB164_1532:
	s_mov_b64 s[8:9], 0
.LBB164_1533:
	s_and_b64 vcc, exec, s[8:9]
	s_cbranch_vccz .LBB164_1535
; %bb.1534:
	s_cmp_lg_u32 s18, 11
	s_mov_b64 s[4:5], -1
	s_cselect_b64 s[2:3], -1, 0
.LBB164_1535:
	s_and_b64 vcc, exec, s[2:3]
	s_cbranch_vccnz .LBB164_1636
; %bb.1536:
	s_andn2_b64 vcc, exec, s[4:5]
	s_cbranch_vccnz .LBB164_1538
.LBB164_1537:
	global_load_ubyte v5, v[10:11], off
	s_mov_b64 s[6:7], -1
	s_waitcnt vmcnt(0)
	v_cmp_ne_u16_e32 vcc, 0, v5
	v_cndmask_b32_e64 v5, 0, 1.0, vcc
	v_lshrrev_b32_e32 v5, 16, v5
.LBB164_1538:
	s_branch .LBB164_1465
.LBB164_1539:
	s_and_b32 s4, 0xffff, s21
	s_cmp_lt_i32 s4, 5
	s_cbranch_scc1 .LBB164_1544
; %bb.1540:
	s_cmp_lt_i32 s4, 8
	s_cbranch_scc1 .LBB164_1545
; %bb.1541:
	;; [unrolled: 3-line block ×3, first 2 shown]
	s_cmp_gt_i32 s4, 9
	s_cbranch_scc0 .LBB164_1547
; %bb.1543:
	global_load_dwordx2 v[12:13], v[10:11], off
	s_movk_i32 s2, 0x7fff
	v_mov_b32_e32 v8, 0x7fc0
	s_waitcnt vmcnt(0)
	v_cvt_f32_f64_e32 v5, v[12:13]
	v_bfe_u32 v12, v5, 16, 1
	v_cmp_o_f32_e32 vcc, v5, v5
	v_add3_u32 v5, v5, v12, s2
	v_cndmask_b32_sdwa v5, v8, v5, vcc dst_sel:DWORD dst_unused:UNUSED_PAD src0_sel:DWORD src1_sel:WORD_1
	s_mov_b64 s[2:3], 0
	s_branch .LBB164_1548
.LBB164_1544:
                                        ; implicit-def: $vgpr5
	s_branch .LBB164_1566
.LBB164_1545:
	s_mov_b64 s[2:3], -1
                                        ; implicit-def: $vgpr5
	s_branch .LBB164_1554
.LBB164_1546:
	s_mov_b64 s[2:3], -1
                                        ; implicit-def: $vgpr5
	s_branch .LBB164_1551
.LBB164_1547:
	s_mov_b64 s[2:3], -1
                                        ; implicit-def: $vgpr5
.LBB164_1548:
	s_andn2_b64 vcc, exec, s[2:3]
	s_cbranch_vccnz .LBB164_1550
; %bb.1549:
	global_load_dword v5, v[10:11], off
	s_movk_i32 s2, 0x7fff
	v_mov_b32_e32 v8, 0x7fc0
	s_waitcnt vmcnt(0)
	v_bfe_u32 v12, v5, 16, 1
	v_cmp_o_f32_e32 vcc, v5, v5
	v_add3_u32 v5, v5, v12, s2
	v_cndmask_b32_sdwa v5, v8, v5, vcc dst_sel:DWORD dst_unused:UNUSED_PAD src0_sel:DWORD src1_sel:WORD_1
.LBB164_1550:
	s_mov_b64 s[2:3], 0
.LBB164_1551:
	s_andn2_b64 vcc, exec, s[2:3]
	s_cbranch_vccnz .LBB164_1553
; %bb.1552:
	global_load_dword v5, v[10:11], off
	s_movk_i32 s2, 0x7fff
	v_mov_b32_e32 v12, 0x7fc0
	s_waitcnt vmcnt(0)
	v_cvt_f32_f16_e32 v8, v5
	v_cmp_o_f16_e32 vcc, v5, v5
	v_bfe_u32 v5, v8, 16, 1
	v_add3_u32 v5, v8, v5, s2
	v_cndmask_b32_sdwa v5, v12, v5, vcc dst_sel:DWORD dst_unused:UNUSED_PAD src0_sel:DWORD src1_sel:WORD_1
.LBB164_1553:
	s_mov_b64 s[2:3], 0
.LBB164_1554:
	s_andn2_b64 vcc, exec, s[2:3]
	s_cbranch_vccnz .LBB164_1565
; %bb.1555:
	s_cmp_lt_i32 s4, 6
	s_cbranch_scc1 .LBB164_1558
; %bb.1556:
	s_cmp_gt_i32 s4, 6
	s_cbranch_scc0 .LBB164_1559
; %bb.1557:
	global_load_dwordx2 v[12:13], v[10:11], off
	s_movk_i32 s2, 0x7fff
	v_mov_b32_e32 v8, 0x7fc0
	s_waitcnt vmcnt(0)
	v_cvt_f32_f64_e32 v5, v[12:13]
	v_bfe_u32 v12, v5, 16, 1
	v_cmp_o_f32_e32 vcc, v5, v5
	v_add3_u32 v5, v5, v12, s2
	v_cndmask_b32_sdwa v5, v8, v5, vcc dst_sel:DWORD dst_unused:UNUSED_PAD src0_sel:DWORD src1_sel:WORD_1
	s_mov_b64 s[2:3], 0
	s_branch .LBB164_1560
.LBB164_1558:
	s_mov_b64 s[2:3], -1
                                        ; implicit-def: $vgpr5
	s_branch .LBB164_1563
.LBB164_1559:
	s_mov_b64 s[2:3], -1
                                        ; implicit-def: $vgpr5
.LBB164_1560:
	s_andn2_b64 vcc, exec, s[2:3]
	s_cbranch_vccnz .LBB164_1562
; %bb.1561:
	global_load_dword v5, v[10:11], off
	s_movk_i32 s2, 0x7fff
	v_mov_b32_e32 v8, 0x7fc0
	s_waitcnt vmcnt(0)
	v_bfe_u32 v12, v5, 16, 1
	v_cmp_o_f32_e32 vcc, v5, v5
	v_add3_u32 v5, v5, v12, s2
	v_cndmask_b32_sdwa v5, v8, v5, vcc dst_sel:DWORD dst_unused:UNUSED_PAD src0_sel:DWORD src1_sel:WORD_1
.LBB164_1562:
	s_mov_b64 s[2:3], 0
.LBB164_1563:
	s_andn2_b64 vcc, exec, s[2:3]
	s_cbranch_vccnz .LBB164_1565
; %bb.1564:
	global_load_ushort v5, v[10:11], off
	s_movk_i32 s2, 0x7fff
	v_mov_b32_e32 v12, 0x7fc0
	s_waitcnt vmcnt(0)
	v_cvt_f32_f16_e32 v8, v5
	v_cmp_o_f16_e32 vcc, v5, v5
	v_bfe_u32 v5, v8, 16, 1
	v_add3_u32 v5, v8, v5, s2
	v_cndmask_b32_sdwa v5, v12, v5, vcc dst_sel:DWORD dst_unused:UNUSED_PAD src0_sel:DWORD src1_sel:WORD_1
.LBB164_1565:
	s_cbranch_execnz .LBB164_1585
.LBB164_1566:
	s_cmp_lt_i32 s4, 2
	s_cbranch_scc1 .LBB164_1570
; %bb.1567:
	s_cmp_lt_i32 s4, 3
	s_cbranch_scc1 .LBB164_1571
; %bb.1568:
	s_cmp_gt_i32 s4, 3
	s_cbranch_scc0 .LBB164_1572
; %bb.1569:
	global_load_dwordx2 v[12:13], v[10:11], off
	s_movk_i32 s2, 0x7fff
	s_waitcnt vmcnt(0)
	v_xor_b32_e32 v8, v12, v13
	v_ffbh_i32_e32 v5, v13
	v_ashrrev_i32_e32 v8, 31, v8
	v_add_u32_e32 v5, -1, v5
	v_add_u32_e32 v8, 32, v8
	v_min_u32_e32 v5, v5, v8
	v_lshlrev_b64 v[12:13], v5, v[12:13]
	v_sub_u32_e32 v5, 32, v5
	v_min_u32_e32 v8, 1, v12
	v_or_b32_e32 v8, v13, v8
	v_cvt_f32_i32_e32 v8, v8
	v_ldexp_f32 v5, v8, v5
	v_bfe_u32 v8, v5, 16, 1
	v_add3_u32 v5, v5, v8, s2
	v_lshrrev_b32_e32 v5, 16, v5
	s_mov_b64 s[2:3], 0
	s_branch .LBB164_1573
.LBB164_1570:
	s_mov_b64 s[2:3], -1
                                        ; implicit-def: $vgpr5
	s_branch .LBB164_1579
.LBB164_1571:
	s_mov_b64 s[2:3], -1
                                        ; implicit-def: $vgpr5
	s_branch .LBB164_1576
.LBB164_1572:
	s_mov_b64 s[2:3], -1
                                        ; implicit-def: $vgpr5
.LBB164_1573:
	s_andn2_b64 vcc, exec, s[2:3]
	s_cbranch_vccnz .LBB164_1575
; %bb.1574:
	global_load_dword v5, v[10:11], off
	s_movk_i32 s2, 0x7fff
	s_waitcnt vmcnt(0)
	v_cvt_f32_i32_e32 v5, v5
	v_bfe_u32 v8, v5, 16, 1
	v_add3_u32 v5, v5, v8, s2
	v_lshrrev_b32_e32 v5, 16, v5
.LBB164_1575:
	s_mov_b64 s[2:3], 0
.LBB164_1576:
	s_andn2_b64 vcc, exec, s[2:3]
	s_cbranch_vccnz .LBB164_1578
; %bb.1577:
	global_load_sshort v5, v[10:11], off
	s_movk_i32 s2, 0x7fff
	s_waitcnt vmcnt(0)
	v_cvt_f32_i32_e32 v5, v5
	v_bfe_u32 v8, v5, 16, 1
	v_add3_u32 v5, v5, v8, s2
	v_lshrrev_b32_e32 v5, 16, v5
.LBB164_1578:
	s_mov_b64 s[2:3], 0
.LBB164_1579:
	s_andn2_b64 vcc, exec, s[2:3]
	s_cbranch_vccnz .LBB164_1585
; %bb.1580:
	s_cmp_gt_i32 s4, 0
	s_cbranch_scc0 .LBB164_1582
; %bb.1581:
	global_load_sbyte v5, v[10:11], off
	s_movk_i32 s2, 0x7fff
	s_waitcnt vmcnt(0)
	v_cvt_f32_i32_e32 v5, v5
	v_bfe_u32 v8, v5, 16, 1
	v_add3_u32 v5, v5, v8, s2
	v_lshrrev_b32_e32 v5, 16, v5
	s_mov_b64 s[2:3], 0
	s_branch .LBB164_1583
.LBB164_1582:
	s_mov_b64 s[2:3], -1
                                        ; implicit-def: $vgpr5
.LBB164_1583:
	s_andn2_b64 vcc, exec, s[2:3]
	s_cbranch_vccnz .LBB164_1585
; %bb.1584:
	global_load_ubyte v5, v[10:11], off
	s_movk_i32 s2, 0x7fff
	s_waitcnt vmcnt(0)
	v_cvt_f32_ubyte0_e32 v5, v5
	v_bfe_u32 v8, v5, 16, 1
	v_add3_u32 v5, v5, v8, s2
	v_lshrrev_b32_e32 v5, 16, v5
.LBB164_1585:
.LBB164_1586:
	s_waitcnt vmcnt(0)
	v_lshlrev_b32_e32 v10, 16, v5
	s_mov_b32 s2, 0x3c800000
	v_and_b32_e32 v5, 0x7fffffff, v10
	v_cmp_nlt_f32_e64 s[2:3], |v10|, s2
                                        ; implicit-def: $vgpr11
	s_and_saveexec_b64 s[4:5], s[2:3]
	s_xor_b64 s[4:5], exec, s[4:5]
	s_cbranch_execz .LBB164_1616
; %bb.1587:
	v_cmp_nlt_f32_e64 s[2:3], |v10|, 2.0
                                        ; implicit-def: $vgpr11
	s_and_saveexec_b64 s[6:7], s[2:3]
	s_xor_b64 s[6:7], exec, s[6:7]
	s_cbranch_execz .LBB164_1597
; %bb.1588:
	s_mov_b32 s2, 0x41000000
	v_cmp_nlt_f32_e64 s[2:3], |v10|, s2
                                        ; implicit-def: $vgpr11
	s_and_saveexec_b64 s[8:9], s[2:3]
	s_xor_b64 s[8:9], exec, s[8:9]
	s_cbranch_execz .LBB164_1594
; %bb.1589:
	s_mov_b32 s2, 0x5c800000
	v_cmp_nlt_f32_e64 s[2:3], |v10|, s2
                                        ; implicit-def: $vgpr11
	s_and_saveexec_b64 s[16:17], s[2:3]
	s_xor_b64 s[16:17], exec, s[16:17]
	s_cbranch_execz .LBB164_1591
; %bb.1590:
	s_mov_b32 s2, 0x800000
	v_cmp_lt_f32_e64 vcc, |v10|, s2
	v_cndmask_b32_e64 v8, 0, 32, vcc
	v_ldexp_f32 v8, |v10|, v8
	v_log_f32_e32 v8, v8
	s_mov_b32 s2, 0x3f317217
	s_mov_b32 s3, 0x7f800000
	v_mul_f32_e32 v11, 0x3f317217, v8
	v_fma_f32 v12, v8, s2, -v11
	v_fmac_f32_e32 v12, 0x3377d1cf, v8
	v_add_f32_e32 v11, v11, v12
	v_cmp_lt_f32_e64 s[2:3], |v8|, s3
	v_cndmask_b32_e64 v8, v8, v11, s[2:3]
	v_mov_b32_e32 v11, 0x41b17218
	v_cndmask_b32_e32 v11, 0, v11, vcc
	v_sub_f32_e32 v8, v8, v11
	v_fma_f32 v11, |v10|, v8, -|v10|
.LBB164_1591:
	s_andn2_saveexec_b64 s[16:17], s[16:17]
	s_cbranch_execz .LBB164_1593
; %bb.1592:
	v_rcp_f32_e64 v8, |v10|
	v_mov_b32_e32 v11, 0x3a5b3dd2
	v_mov_b32_e32 v12, 0xba1c065c
	;; [unrolled: 1-line block ×3, first 2 shown]
	v_mul_f32_e32 v14, v8, v8
	v_fmac_f32_e32 v11, 0xbad5c4e8, v14
	v_fmac_f32_e32 v12, v14, v11
	s_mov_b32 s2, 0x800000
	v_fmac_f32_e32 v13, v14, v12
	v_mov_b32_e32 v11, 0xbb360b61
	v_cmp_lt_f32_e64 vcc, |v10|, s2
	v_fmac_f32_e32 v11, v14, v13
	v_cndmask_b32_e64 v13, 0, 32, vcc
	v_ldexp_f32 v13, |v10|, v13
	v_log_f32_e32 v13, v13
	v_mov_b32_e32 v12, 0x3daaaaab
	v_fmac_f32_e32 v12, v14, v11
	v_mov_b32_e32 v11, 0x3ed67f1d
	v_fmac_f32_e32 v11, v8, v12
	s_mov_b32 s2, 0x3f317217
	v_mul_f32_e32 v12, 0x3f317217, v13
	v_fma_f32 v14, v13, s2, -v12
	v_fmac_f32_e32 v14, 0x3377d1cf, v13
	s_mov_b32 s2, 0x7f800000
	v_add_f32_e32 v12, v12, v14
	v_cmp_lt_f32_e64 s[2:3], |v13|, s2
	v_cndmask_b32_e64 v12, v13, v12, s[2:3]
	v_mov_b32_e32 v13, 0x41b17218
	v_cndmask_b32_e32 v13, 0, v13, vcc
	v_sub_f32_e32 v12, v12, v13
	v_add_f32_e64 v8, |v10|, -0.5
	v_add_f32_e32 v12, -1.0, v12
	v_fmac_f32_e32 v11, v8, v12
.LBB164_1593:
	s_or_b64 exec, exec, s[16:17]
.LBB164_1594:
	s_andn2_saveexec_b64 s[8:9], s[8:9]
	s_cbranch_execz .LBB164_1596
; %bb.1595:
	v_cvt_i32_f32_e32 v8, v5
	v_mov_b32_e32 v11, 0x3af135b4
	v_mov_b32_e32 v12, 0x3cda40e4
	v_mov_b32_e32 v13, 0x3e15dce6
	v_cvt_f32_i32_e32 v14, v8
	v_mov_b32_e32 v15, 0x3ea6cc7a
	v_mov_b32_e32 v16, 0x3e5c245a
	v_cmp_lt_i32_e32 vcc, 2, v8
	v_sub_f32_e64 v14, |v10|, v14
	v_fmac_f32_e32 v11, 0x3805ff67, v14
	v_fmac_f32_e32 v12, v14, v11
	;; [unrolled: 1-line block ×3, first 2 shown]
	v_mov_b32_e32 v12, 0x3a4beed6
	v_fmac_f32_e32 v15, v14, v13
	v_fmac_f32_e32 v12, 0x36f5d7bd, v14
	v_mov_b32_e32 v13, 0x3c98bf54
	v_fmac_f32_e32 v13, v14, v12
	v_mov_b32_e32 v12, 0x3e300f6e
	v_fmac_f32_e32 v12, v14, v13
	v_mov_b32_e32 v13, 0x3f38d0c5
	v_fmac_f32_e32 v13, v14, v12
	v_mov_b32_e32 v12, 0x3fb22d3b
	v_fmac_f32_e32 v12, v14, v13
	v_add_f32_e32 v13, 2.0, v14
	v_mov_b32_e32 v17, 0xbd9e233f
	v_fmac_f32_e32 v16, v14, v15
	v_add_f32_e32 v15, 0x40400000, v14
	v_cndmask_b32_e32 v13, 1.0, v13, vcc
	v_cmp_lt_i32_e32 vcc, 3, v8
	v_fmac_f32_e32 v17, v14, v16
	v_add_f32_e32 v16, 4.0, v14
	v_cndmask_b32_e32 v15, 1.0, v15, vcc
	v_cmp_lt_i32_e32 vcc, 4, v8
	v_mul_f32_e32 v11, v14, v17
	v_add_f32_e32 v17, 0x40a00000, v14
	v_mul_f32_e32 v13, v13, v15
	v_cndmask_b32_e32 v15, 1.0, v16, vcc
	v_cmp_lt_i32_e32 vcc, 5, v8
	v_add_f32_e32 v18, 0x40c00000, v14
	v_mul_f32_e32 v13, v15, v13
	v_cndmask_b32_e32 v15, 1.0, v17, vcc
	v_cmp_lt_i32_e32 vcc, 6, v8
	v_mul_f32_e32 v13, v15, v13
	v_cndmask_b32_e32 v8, 1.0, v18, vcc
	v_mul_f32_e32 v8, v8, v13
	s_mov_b32 s2, 0x800000
	v_cmp_gt_f32_e32 vcc, s2, v8
	v_cndmask_b32_e64 v13, 0, 32, vcc
	v_fma_f32 v12, v14, v12, 1.0
	v_ldexp_f32 v8, v8, v13
	v_rcp_f32_e32 v12, v12
	v_log_f32_e32 v8, v8
	s_mov_b32 s2, 0x3f317217
	v_mul_f32_e32 v11, v11, v12
	v_mul_f32_e32 v12, 0x3f317217, v8
	v_fma_f32 v13, v8, s2, -v12
	v_fmac_f32_e32 v13, 0x3377d1cf, v8
	s_mov_b32 s2, 0x7f800000
	v_add_f32_e32 v12, v12, v13
	v_cmp_lt_f32_e64 s[2:3], |v8|, s2
	v_cndmask_b32_e64 v8, v8, v12, s[2:3]
	v_mov_b32_e32 v12, 0x41b17218
	v_cndmask_b32_e32 v12, 0, v12, vcc
	v_fmac_f32_e32 v11, 0.5, v14
	v_sub_f32_e32 v8, v8, v12
	v_add_f32_e32 v11, v8, v11
.LBB164_1596:
	s_or_b64 exec, exec, s[8:9]
.LBB164_1597:
	s_andn2_saveexec_b64 s[6:7], s[6:7]
	s_cbranch_execz .LBB164_1615
; %bb.1598:
	s_mov_b32 s2, 0x3f666666
	v_cmp_le_f32_e64 s[2:3], |v10|, s2
                                        ; implicit-def: $vgpr11
                                        ; implicit-def: $vgpr12
                                        ; implicit-def: $vgpr8
	s_and_saveexec_b64 s[8:9], s[2:3]
	s_xor_b64 s[8:9], exec, s[8:9]
	s_cbranch_execz .LBB164_1600
; %bb.1599:
	s_mov_b32 s2, 0x800000
	v_cmp_lt_f32_e64 vcc, |v10|, s2
	v_cndmask_b32_e64 v8, 0, 32, vcc
	v_ldexp_f32 v8, |v10|, v8
	v_log_f32_e32 v8, v8
	s_mov_b32 s2, 0x3f317217
	s_mov_b32 s3, 0x7f800000
	v_mul_f32_e32 v11, 0x3f317217, v8
	v_fma_f32 v12, v8, s2, -v11
	v_fmac_f32_e32 v12, 0x3377d1cf, v8
	v_add_f32_e32 v11, v11, v12
	v_cmp_lt_f32_e64 s[2:3], |v8|, s3
	v_cndmask_b32_e64 v8, v8, v11, s[2:3]
	v_mov_b32_e32 v11, 0x41b17218
	v_cndmask_b32_e32 v11, 0, v11, vcc
	v_sub_f32_e32 v8, v8, v11
	s_mov_b32 s2, 0x3f3b4a23
	s_mov_b32 s3, 0xbeec5b0c
	v_xor_b32_e32 v11, 0x80000000, v8
	v_sub_f32_e64 v8, 1.0, |v10|
	v_add_f32_e64 v12, |v10|, s3
	v_cmp_lt_f32_e64 vcc, |v10|, s2
	s_mov_b32 s2, 0x3e6d3309
	v_cndmask_b32_e32 v8, v8, v12, vcc
	v_cndmask_b32_e64 v12, 0, 1, vcc
	v_cmp_lt_f32_e64 s[2:3], |v10|, s2
	v_cndmask_b32_e64 v8, v8, |v10|, s[2:3]
	v_cndmask_b32_e64 v12, v12, 2, s[2:3]
.LBB164_1600:
	s_andn2_saveexec_b64 s[2:3], s[8:9]
	s_cbranch_execz .LBB164_1602
; %bb.1601:
	s_mov_b32 s8, 0x3fdda512
	s_mov_b32 s9, 0xbfbb16c3
	v_sub_f32_e64 v8, 2.0, |v10|
	v_add_f32_e64 v11, |v10|, s9
	v_cmp_lt_f32_e64 vcc, |v10|, s8
	v_cndmask_b32_e32 v11, v8, v11, vcc
	v_cndmask_b32_e64 v8, v8, 1.0, vcc
	v_cvt_i32_f32_e32 v12, v8
	s_mov_b32 s8, 0x3f9d70a4
	v_add_f32_e64 v8, |v10|, -1.0
	v_cmp_lt_f32_e64 vcc, |v10|, s8
	v_cndmask_b32_e32 v8, v11, v8, vcc
	v_cndmask_b32_e64 v12, v12, 2, vcc
	v_mov_b32_e32 v11, 0
.LBB164_1602:
	s_or_b64 exec, exec, s[2:3]
	v_cmp_lt_i32_e32 vcc, 0, v12
	s_and_saveexec_b64 s[2:3], vcc
	s_xor_b64 s[2:3], exec, s[2:3]
	s_cbranch_execz .LBB164_1610
; %bb.1603:
	v_cmp_lt_i32_e32 vcc, 1, v12
	s_and_saveexec_b64 s[8:9], vcc
	s_xor_b64 s[8:9], exec, s[8:9]
	s_cbranch_execz .LBB164_1607
; %bb.1604:
	v_cmp_eq_u32_e32 vcc, 2, v12
	s_and_saveexec_b64 s[16:17], vcc
	s_cbranch_execz .LBB164_1606
; %bb.1605:
	v_mov_b32_e32 v12, 0x3e6a7578
	v_fmac_f32_e32 v12, 0x3c5b3c5e, v8
	v_mov_b32_e32 v13, 0x3f7a4bb2
	v_fmac_f32_e32 v13, v8, v12
	;; [unrolled: 2-line block ×8, first 2 shown]
	v_fma_f32 v12, v8, v14, 1.0
	v_rcp_f32_e32 v12, v12
	v_mov_b32_e32 v14, 0xbd9e233f
	v_fmac_f32_e32 v14, v8, v13
	v_mul_f32_e32 v13, v8, v14
	v_mul_f32_e32 v12, v13, v12
	v_fmac_f32_e32 v12, -0.5, v8
	v_add_f32_e32 v11, v11, v12
.LBB164_1606:
	s_or_b64 exec, exec, s[16:17]
                                        ; implicit-def: $vgpr8
.LBB164_1607:
	s_andn2_saveexec_b64 s[8:9], s[8:9]
	s_cbranch_execz .LBB164_1609
; %bb.1608:
	v_mul_f32_e32 v12, v8, v8
	v_mul_f32_e32 v13, v8, v12
	v_mov_b32_e32 v14, 0xbab7f476
	v_fmac_f32_e32 v14, 0x39a57b6b, v13
	v_mov_b32_e32 v15, 0x3bc7e707
	v_fmac_f32_e32 v15, v13, v14
	;; [unrolled: 2-line block ×12, first 2 shown]
	v_fmac_f32_e32 v16, v8, v17
	s_mov_b32 s16, 0xa2863e55
	v_fma_f32 v8, v13, -v16, s16
	v_fma_f32 v8, v12, v15, -v8
	v_add_f32_e32 v8, 0xbdf8cdce, v8
	v_add_f32_e32 v11, v11, v8
.LBB164_1609:
	s_or_b64 exec, exec, s[8:9]
                                        ; implicit-def: $vgpr12
                                        ; implicit-def: $vgpr8
.LBB164_1610:
	s_andn2_saveexec_b64 s[2:3], s[2:3]
	s_cbranch_execz .LBB164_1614
; %bb.1611:
	v_cmp_eq_u32_e32 vcc, 0, v12
	s_and_saveexec_b64 s[8:9], vcc
	s_cbranch_execz .LBB164_1613
; %bb.1612:
	v_mul_f32_e32 v12, v8, v8
	v_mov_b32_e32 v13, 0x39679767
	v_fmac_f32_e32 v13, 0x37d383a2, v12
	v_mov_b32_e32 v14, 0x3a9c54a1
	v_fmac_f32_e32 v14, v12, v13
	;; [unrolled: 2-line block ×10, first 2 shown]
	v_mul_f32_e32 v12, v12, v14
	v_fmac_f32_e32 v12, v8, v13
	v_fmac_f32_e32 v12, -0.5, v8
	v_add_f32_e32 v11, v11, v12
.LBB164_1613:
	s_or_b64 exec, exec, s[8:9]
.LBB164_1614:
	s_or_b64 exec, exec, s[2:3]
.LBB164_1615:
	s_or_b64 exec, exec, s[6:7]
.LBB164_1616:
	s_andn2_saveexec_b64 s[4:5], s[4:5]
	s_cbranch_execz .LBB164_1618
; %bb.1617:
	s_mov_b32 s2, 0x3e8a8991
	v_mov_b32_e32 v8, 0xbecd26ab
	v_fma_f32 v8, |v10|, s2, v8
	s_mov_b32 s2, 0x3f528d33
	v_fma_f32 v8, |v10|, v8, s2
	s_mov_b32 s2, 0x800000
	v_cmp_lt_f32_e64 vcc, |v10|, s2
	v_cndmask_b32_e64 v11, 0, 32, vcc
	v_ldexp_f32 v11, |v10|, v11
	v_log_f32_e32 v11, v11
	s_mov_b32 s2, 0xbf13c468
	v_fma_f32 v8, |v10|, v8, s2
	s_mov_b32 s2, 0x3f317217
	v_mul_f32_e32 v12, 0x3f317217, v11
	v_fma_f32 v13, v11, s2, -v12
	v_fmac_f32_e32 v13, 0x3377d1cf, v11
	s_mov_b32 s2, 0x7f800000
	v_add_f32_e32 v12, v12, v13
	v_cmp_lt_f32_e64 s[2:3], |v11|, s2
	v_cndmask_b32_e64 v11, v11, v12, s[2:3]
	v_mov_b32_e32 v12, 0x41b17218
	v_cndmask_b32_e32 v12, 0, v12, vcc
	v_sub_f32_e32 v11, v11, v12
	v_fma_f32 v11, |v10|, v8, -v11
.LBB164_1618:
	s_or_b64 exec, exec, s[4:5]
	v_cmp_le_f32_e64 s[2:3], 0, v10
	v_cmp_nle_f32_e32 vcc, 0, v10
	s_and_saveexec_b64 s[4:5], vcc
	s_xor_b64 s[6:7], exec, s[4:5]
	s_cbranch_execz .LBB164_1622
; %bb.1619:
	s_mov_b32 s4, 0x4b000000
	s_mov_b32 s8, 0x35000000
	v_cmp_lt_f32_e64 s[4:5], |v10|, s4
	v_cmp_gt_f32_e64 s[8:9], |v10|, s8
	s_and_b64 s[4:5], s[4:5], s[8:9]
	s_and_saveexec_b64 s[8:9], s[4:5]
	s_cbranch_execz .LBB164_1621
; %bb.1620:
	v_mul_f32_e64 v8, |v10|, 0.5
	v_floor_f32_e32 v12, v8
	v_sub_f32_e32 v12, v8, v12
	v_min_f32_e32 v12, 0x3f7fffff, v12
	s_mov_b32 s16, 0x7f800000
	v_add_f32_e32 v12, v12, v12
	v_cmp_neq_f32_e32 vcc, s16, v8
	v_cndmask_b32_e32 v8, 0, v12, vcc
	v_cmp_gt_f32_e64 s[4:5], |v10|, 1.0
	v_cndmask_b32_e64 v8, |v10|, v8, s[4:5]
	v_add_f32_e32 v12, v8, v8
	v_rndne_f32_e32 v12, v12
	v_fmac_f32_e32 v8, -0.5, v12
	v_mul_f32_e32 v13, v8, v8
	v_mov_b32_e32 v14, 0xbf1f24be
	v_fmac_f32_e32 v14, 0x3e75aa41, v13
	v_mov_b32_e32 v15, 0x40234736
	v_fmac_f32_e32 v15, v13, v14
	;; [unrolled: 2-line block ×3, first 2 shown]
	v_mul_f32_e32 v15, v8, v13
	v_mul_f32_e32 v14, v15, v14
	v_fmac_f32_e32 v14, 0x40490fdb, v8
	v_mov_b32_e32 v8, 0x3e642e9d
	v_cvt_i32_f32_e32 v12, v12
	v_fmac_f32_e32 v8, 0x3d4be544, v13
	v_mov_b32_e32 v15, 0xbfaad1da
	v_fmac_f32_e32 v15, v13, v8
	v_mov_b32_e32 v8, 0x4081e0d3
	;; [unrolled: 2-line block ×3, first 2 shown]
	v_fmac_f32_e32 v15, v13, v8
	v_fma_f32 v8, v13, v15, 1.0
	v_and_b32_e32 v13, 1, v12
	v_cmp_eq_u32_e32 vcc, 0, v13
	v_lshlrev_b32_e32 v12, 30, v12
	s_brev_b32 s4, 1
	v_cndmask_b32_e32 v8, v8, v14, vcc
	v_and_or_b32 v5, v12, s4, v5
	v_xor_b32_e32 v5, v5, v8
	v_xor_b32_e32 v5, v5, v10
	v_mul_f32_e32 v5, v10, v5
	v_frexp_mant_f32_e64 v8, |v5|
	v_rcp_f32_e32 v8, v8
	v_frexp_exp_i32_f32_e32 v5, v5
	v_sub_u32_e32 v5, 2, v5
	s_mov_b32 s4, 0x800000
	v_mul_f32_e32 v8, 0x3f490fdb, v8
	v_ldexp_f32 v5, v8, v5
	v_cmp_gt_f32_e32 vcc, s4, v5
	v_cndmask_b32_e64 v8, 0, 32, vcc
	v_ldexp_f32 v5, v5, v8
	v_log_f32_e32 v5, v5
	s_mov_b32 s4, 0x3f317217
	v_mul_f32_e32 v8, 0x3f317217, v5
	v_fma_f32 v12, v5, s4, -v8
	v_fmac_f32_e32 v12, 0x3377d1cf, v5
	v_add_f32_e32 v8, v8, v12
	v_cmp_lt_f32_e64 s[4:5], |v5|, s16
	v_cndmask_b32_e64 v5, v5, v8, s[4:5]
	v_mov_b32_e32 v8, 0x41b17218
	v_cndmask_b32_e32 v8, 0, v8, vcc
	v_sub_f32_e32 v5, v5, v8
	v_floor_f32_e32 v8, v10
	v_sub_f32_e32 v8, v10, v8
	v_min_f32_e32 v8, 0x3f7fffff, v8
	v_sub_f32_e32 v5, v5, v11
	v_mov_b32_e32 v11, 0x7f800000
	v_cmp_neq_f32_e32 vcc, 0, v8
	v_cndmask_b32_e32 v11, v11, v5, vcc
.LBB164_1621:
	s_or_b64 exec, exec, s[8:9]
.LBB164_1622:
	s_andn2_saveexec_b64 s[6:7], s[6:7]
; %bb.1623:
	v_cmp_eq_f32_e32 vcc, 1.0, v10
	v_cmp_eq_f32_e64 s[4:5], 2.0, v10
	s_or_b64 s[4:5], vcc, s[4:5]
	v_cndmask_b32_e64 v11, v11, 0, s[4:5]
; %bb.1624:
	s_or_b64 exec, exec, s[6:7]
	v_mov_b32_e32 v5, s15
	v_add_co_u32_e32 v8, vcc, s14, v9
	s_cmp_lt_i32 s21, 11
	v_addc_co_u32_e32 v9, vcc, 0, v5, vcc
	s_cbranch_scc1 .LBB164_1631
; %bb.1625:
	s_and_b32 s22, 0xffff, s21
	s_cmp_gt_i32 s22, 25
	s_mov_b64 s[6:7], 0
	s_cbranch_scc0 .LBB164_1633
; %bb.1626:
	s_cmp_gt_i32 s22, 28
	s_cbranch_scc0 .LBB164_1634
; %bb.1627:
	s_cmp_gt_i32 s22, 43
	s_cbranch_scc0 .LBB164_1635
; %bb.1628:
	s_cmp_gt_i32 s22, 45
	s_cbranch_scc0 .LBB164_1637
; %bb.1629:
	s_cmp_eq_u32 s22, 46
	s_mov_b64 s[16:17], 0
	s_cbranch_scc0 .LBB164_1638
; %bb.1630:
	global_load_dword v5, v[8:9], off
	s_mov_b64 s[4:5], 0
	s_mov_b64 s[8:9], -1
	s_branch .LBB164_1639
.LBB164_1631:
	s_mov_b64 s[8:9], 0
                                        ; implicit-def: $vgpr5
	s_cbranch_execnz .LBB164_1705
.LBB164_1632:
	s_andn2_b64 vcc, exec, s[8:9]
	s_cbranch_vccnz .LBB164_2392
	s_branch .LBB164_1753
.LBB164_1633:
	s_mov_b64 s[16:17], -1
	s_mov_b64 s[8:9], 0
	s_mov_b64 s[4:5], 0
                                        ; implicit-def: $vgpr5
	s_branch .LBB164_1668
.LBB164_1634:
	s_mov_b64 s[16:17], -1
	s_mov_b64 s[8:9], 0
	s_mov_b64 s[4:5], 0
                                        ; implicit-def: $vgpr5
	s_branch .LBB164_1649
.LBB164_1635:
	s_mov_b64 s[16:17], -1
	s_mov_b64 s[8:9], 0
	s_mov_b64 s[4:5], 0
                                        ; implicit-def: $vgpr5
	s_branch .LBB164_1644
.LBB164_1636:
	s_trap 2
	s_or_b64 s[10:11], s[10:11], exec
	s_cbranch_execz .LBB164_1537
	s_branch .LBB164_1538
.LBB164_1637:
	s_mov_b64 s[16:17], -1
	s_mov_b64 s[8:9], 0
	s_mov_b64 s[4:5], 0
                                        ; implicit-def: $vgpr5
	s_branch .LBB164_1639
.LBB164_1638:
	s_mov_b64 s[4:5], -1
                                        ; implicit-def: $vgpr5
	s_mov_b64 s[8:9], 0
.LBB164_1639:
	s_and_b64 vcc, exec, s[16:17]
	s_cbranch_vccz .LBB164_1643
; %bb.1640:
	s_cmp_eq_u32 s22, 44
	s_cbranch_scc0 .LBB164_1642
; %bb.1641:
	global_load_ubyte v5, v[8:9], off
	s_movk_i32 s8, 0xff
	v_mov_b32_e32 v12, 0x7f800001
	v_mov_b32_e32 v13, 0x400000
	;; [unrolled: 1-line block ×3, first 2 shown]
	s_mov_b64 s[4:5], 0
	s_waitcnt vmcnt(0)
	v_lshlrev_b32_e32 v15, 23, v5
	v_cmp_ne_u32_e32 vcc, s8, v5
	v_cndmask_b32_e32 v12, v12, v15, vcc
	v_cmp_ne_u32_e32 vcc, 0, v5
	v_cndmask_b32_e32 v5, v13, v12, vcc
	v_add_u32_e32 v12, 0x7fff, v5
	v_cmp_o_f32_e32 vcc, v5, v5
	v_cndmask_b32_sdwa v5, v14, v12, vcc dst_sel:DWORD dst_unused:UNUSED_PAD src0_sel:DWORD src1_sel:WORD_1
	s_mov_b64 s[8:9], -1
	s_branch .LBB164_1643
.LBB164_1642:
	s_mov_b64 s[4:5], -1
                                        ; implicit-def: $vgpr5
.LBB164_1643:
	s_mov_b64 s[16:17], 0
.LBB164_1644:
	s_and_b64 vcc, exec, s[16:17]
	s_cbranch_vccz .LBB164_1648
; %bb.1645:
	s_cmp_eq_u32 s22, 29
	s_cbranch_scc0 .LBB164_1647
; %bb.1646:
	global_load_dwordx2 v[12:13], v[8:9], off
	s_movk_i32 s8, 0x7fff
	s_mov_b64 s[4:5], 0
	s_mov_b64 s[16:17], 0
	s_waitcnt vmcnt(0)
	v_ffbh_u32_e32 v5, v13
	v_min_u32_e32 v5, 32, v5
	v_lshlrev_b64 v[12:13], v5, v[12:13]
	v_sub_u32_e32 v5, 32, v5
	v_min_u32_e32 v12, 1, v12
	v_or_b32_e32 v12, v13, v12
	v_cvt_f32_u32_e32 v12, v12
	v_ldexp_f32 v5, v12, v5
	v_bfe_u32 v12, v5, 16, 1
	v_add3_u32 v5, v5, v12, s8
	v_lshrrev_b32_e32 v5, 16, v5
	s_mov_b64 s[8:9], -1
	s_branch .LBB164_1649
.LBB164_1647:
	s_mov_b64 s[4:5], -1
                                        ; implicit-def: $vgpr5
.LBB164_1648:
	s_mov_b64 s[16:17], 0
.LBB164_1649:
	s_and_b64 vcc, exec, s[16:17]
	s_cbranch_vccz .LBB164_1667
; %bb.1650:
	s_cmp_lt_i32 s22, 27
	s_cbranch_scc1 .LBB164_1653
; %bb.1651:
	s_cmp_gt_i32 s22, 27
	s_cbranch_scc0 .LBB164_1654
; %bb.1652:
	global_load_dword v5, v[8:9], off
	s_movk_i32 s8, 0x7fff
	s_waitcnt vmcnt(0)
	v_cvt_f32_u32_e32 v5, v5
	v_bfe_u32 v12, v5, 16, 1
	v_add3_u32 v5, v5, v12, s8
	v_lshrrev_b32_e32 v5, 16, v5
	s_mov_b64 s[8:9], 0
	s_branch .LBB164_1655
.LBB164_1653:
	s_mov_b64 s[8:9], -1
                                        ; implicit-def: $vgpr5
	s_branch .LBB164_1658
.LBB164_1654:
	s_mov_b64 s[8:9], -1
                                        ; implicit-def: $vgpr5
.LBB164_1655:
	s_andn2_b64 vcc, exec, s[8:9]
	s_cbranch_vccnz .LBB164_1657
; %bb.1656:
	global_load_ushort v5, v[8:9], off
	s_movk_i32 s8, 0x7fff
	s_waitcnt vmcnt(0)
	v_cvt_f32_u32_e32 v5, v5
	v_bfe_u32 v12, v5, 16, 1
	v_add3_u32 v5, v5, v12, s8
	v_lshrrev_b32_e32 v5, 16, v5
.LBB164_1657:
	s_mov_b64 s[8:9], 0
.LBB164_1658:
	s_andn2_b64 vcc, exec, s[8:9]
	s_cbranch_vccnz .LBB164_1666
; %bb.1659:
	global_load_ubyte v5, v[8:9], off
	s_movk_i32 s8, 0x7f
	s_waitcnt vmcnt(0)
	v_cmp_lt_i16_e32 vcc, s8, v5
	s_mov_b64 s[8:9], 0
	s_and_saveexec_b64 s[16:17], vcc
	s_xor_b64 s[16:17], exec, s[16:17]
	s_cbranch_execz .LBB164_1680
; %bb.1660:
	s_movk_i32 s8, 0x80
	v_cmp_eq_u16_e32 vcc, s8, v5
	s_mov_b64 s[8:9], -1
	s_and_saveexec_b64 s[18:19], vcc
; %bb.1661:
	s_xor_b64 s[8:9], exec, -1
; %bb.1662:
	s_or_b64 exec, exec, s[18:19]
	s_and_b64 s[8:9], s[8:9], exec
	s_or_saveexec_b64 s[16:17], s[16:17]
	v_mov_b32_e32 v12, 0x7f800001
	s_xor_b64 exec, exec, s[16:17]
	s_cbranch_execnz .LBB164_1681
.LBB164_1663:
	s_or_b64 exec, exec, s[16:17]
	s_and_saveexec_b64 s[16:17], s[8:9]
	s_cbranch_execz .LBB164_1665
.LBB164_1664:
	v_lshlrev_b32_e32 v12, 24, v5
	v_and_b32_e32 v5, 0xffff, v5
	v_and_b32_e32 v13, 7, v5
	v_ffbh_u32_e32 v15, v13
	v_min_u32_e32 v15, 32, v15
	v_subrev_u32_e32 v16, 28, v15
	v_bfe_u32 v14, v5, 3, 4
	v_lshlrev_b32_e32 v5, v16, v5
	v_sub_u32_e32 v15, 29, v15
	v_and_b32_e32 v5, 7, v5
	v_cmp_eq_u32_e32 vcc, 0, v14
	v_cndmask_b32_e32 v14, v14, v15, vcc
	v_cndmask_b32_e32 v5, v13, v5, vcc
	v_mov_b32_e32 v13, 0x3b800000
	v_lshlrev_b32_e32 v5, 20, v5
	v_and_b32_e32 v12, 0x80000000, v12
	v_lshl_add_u32 v13, v14, 23, v13
	v_or3_b32 v12, v12, v13, v5
.LBB164_1665:
	s_or_b64 exec, exec, s[16:17]
	v_bfe_u32 v5, v12, 16, 1
	s_movk_i32 s8, 0x7fff
	v_add3_u32 v5, v12, v5, s8
	v_cmp_o_f32_e32 vcc, v12, v12
	v_mov_b32_e32 v12, 0x7fc0
	v_cndmask_b32_sdwa v5, v12, v5, vcc dst_sel:DWORD dst_unused:UNUSED_PAD src0_sel:DWORD src1_sel:WORD_1
.LBB164_1666:
	s_mov_b64 s[8:9], -1
.LBB164_1667:
	s_mov_b64 s[16:17], 0
.LBB164_1668:
	s_and_b64 vcc, exec, s[16:17]
	s_cbranch_vccz .LBB164_1701
; %bb.1669:
	s_cmp_gt_i32 s22, 22
	s_cbranch_scc0 .LBB164_1679
; %bb.1670:
	s_cmp_lt_i32 s22, 24
	s_cbranch_scc1 .LBB164_1682
; %bb.1671:
	s_cmp_gt_i32 s22, 24
	s_cbranch_scc0 .LBB164_1683
; %bb.1672:
	global_load_ubyte v5, v[8:9], off
	s_movk_i32 s6, 0x7f
	s_waitcnt vmcnt(0)
	v_cmp_lt_i16_e32 vcc, s6, v5
	s_mov_b64 s[6:7], 0
	s_and_saveexec_b64 s[8:9], vcc
	s_xor_b64 s[8:9], exec, s[8:9]
	s_cbranch_execz .LBB164_1695
; %bb.1673:
	s_movk_i32 s6, 0x80
	v_cmp_eq_u16_e32 vcc, s6, v5
	s_mov_b64 s[6:7], -1
	s_and_saveexec_b64 s[16:17], vcc
; %bb.1674:
	s_xor_b64 s[6:7], exec, -1
; %bb.1675:
	s_or_b64 exec, exec, s[16:17]
	s_and_b64 s[6:7], s[6:7], exec
	s_or_saveexec_b64 s[8:9], s[8:9]
	v_mov_b32_e32 v12, 0x7f800001
	s_xor_b64 exec, exec, s[8:9]
	s_cbranch_execnz .LBB164_1696
.LBB164_1676:
	s_or_b64 exec, exec, s[8:9]
	s_and_saveexec_b64 s[8:9], s[6:7]
	s_cbranch_execz .LBB164_1678
.LBB164_1677:
	v_lshlrev_b32_e32 v12, 24, v5
	v_and_b32_e32 v5, 0xffff, v5
	v_and_b32_e32 v13, 3, v5
	v_ffbh_u32_e32 v15, v13
	v_min_u32_e32 v15, 32, v15
	v_subrev_u32_e32 v16, 29, v15
	v_bfe_u32 v14, v5, 2, 5
	v_lshlrev_b32_e32 v5, v16, v5
	v_sub_u32_e32 v15, 30, v15
	v_and_b32_e32 v5, 3, v5
	v_cmp_eq_u32_e32 vcc, 0, v14
	v_cndmask_b32_e32 v14, v14, v15, vcc
	v_cndmask_b32_e32 v5, v13, v5, vcc
	v_mov_b32_e32 v13, 0x37800000
	v_lshlrev_b32_e32 v5, 21, v5
	v_and_b32_e32 v12, 0x80000000, v12
	v_lshl_add_u32 v13, v14, 23, v13
	v_or3_b32 v12, v12, v13, v5
.LBB164_1678:
	s_or_b64 exec, exec, s[8:9]
	v_bfe_u32 v5, v12, 16, 1
	s_movk_i32 s6, 0x7fff
	v_add3_u32 v5, v12, v5, s6
	v_cmp_o_f32_e32 vcc, v12, v12
	v_mov_b32_e32 v12, 0x7fc0
	v_cndmask_b32_sdwa v5, v12, v5, vcc dst_sel:DWORD dst_unused:UNUSED_PAD src0_sel:DWORD src1_sel:WORD_1
	s_mov_b64 s[6:7], 0
	s_branch .LBB164_1684
.LBB164_1679:
	s_mov_b64 s[6:7], -1
                                        ; implicit-def: $vgpr5
	s_branch .LBB164_1690
.LBB164_1680:
	s_or_saveexec_b64 s[16:17], s[16:17]
	v_mov_b32_e32 v12, 0x7f800001
	s_xor_b64 exec, exec, s[16:17]
	s_cbranch_execz .LBB164_1663
.LBB164_1681:
	v_cmp_ne_u16_e32 vcc, 0, v5
	s_andn2_b64 s[8:9], s[8:9], exec
	s_and_b64 s[18:19], vcc, exec
	v_mov_b32_e32 v12, 0
	s_or_b64 s[8:9], s[8:9], s[18:19]
	s_or_b64 exec, exec, s[16:17]
	s_and_saveexec_b64 s[16:17], s[8:9]
	s_cbranch_execnz .LBB164_1664
	s_branch .LBB164_1665
.LBB164_1682:
	s_mov_b64 s[6:7], -1
                                        ; implicit-def: $vgpr5
	s_branch .LBB164_1687
.LBB164_1683:
	s_mov_b64 s[6:7], -1
                                        ; implicit-def: $vgpr5
.LBB164_1684:
	s_and_b64 vcc, exec, s[6:7]
	s_cbranch_vccz .LBB164_1686
; %bb.1685:
	global_load_ubyte v5, v[8:9], off
	s_mov_b32 s6, 0x7f800000
	s_brev_b32 s7, 1
	s_movk_i32 s8, 0x7fff
	s_waitcnt vmcnt(0)
	v_lshlrev_b32_e32 v5, 24, v5
	v_and_b32_e32 v12, 0x7f000000, v5
	v_ffbh_u32_e32 v13, v12
	v_min_u32_e32 v13, 32, v13
	v_sub_u32_e64 v13, v13, 4 clamp
	v_lshlrev_b32_e32 v15, v13, v12
	v_lshlrev_b32_e32 v13, 23, v13
	v_lshrrev_b32_e32 v15, 4, v15
	v_add_u32_e32 v14, 0x1000000, v12
	v_sub_u32_e32 v13, v15, v13
	v_ashrrev_i32_e32 v14, 8, v14
	v_add_u32_e32 v13, 0x3c000000, v13
	v_and_or_b32 v13, v14, s6, v13
	v_cmp_ne_u32_e32 vcc, 0, v12
	v_cndmask_b32_e32 v12, 0, v13, vcc
	v_and_or_b32 v5, v5, s7, v12
	v_bfe_u32 v12, v12, 16, 1
	v_add3_u32 v12, v5, v12, s8
	v_cmp_o_f32_e32 vcc, v5, v5
	v_mov_b32_e32 v5, 0x7fc0
	v_cndmask_b32_sdwa v5, v5, v12, vcc dst_sel:DWORD dst_unused:UNUSED_PAD src0_sel:DWORD src1_sel:WORD_1
.LBB164_1686:
	s_mov_b64 s[6:7], 0
.LBB164_1687:
	s_andn2_b64 vcc, exec, s[6:7]
	s_cbranch_vccnz .LBB164_1689
; %bb.1688:
	global_load_ubyte v5, v[8:9], off
	s_movk_i32 s6, 0x7f00
	s_brev_b32 s7, 16
	s_brev_b32 s8, 1
	s_movk_i32 s9, 0x7fff
	s_waitcnt vmcnt(0)
	v_lshlrev_b16_e32 v12, 8, v5
	v_lshlrev_b32_e32 v5, 25, v5
	v_lshrrev_b32_e32 v13, 4, v5
	v_and_or_b32 v14, v12, s6, 0.5
	v_or_b32_e32 v13, 0x70000000, v13
	v_add_f32_e32 v14, -0.5, v14
	v_mul_f32_e32 v13, 0x7800000, v13
	v_cmp_gt_u32_e32 vcc, s7, v5
	v_bfe_i32 v12, v12, 0, 16
	v_cndmask_b32_e32 v5, v13, v14, vcc
	v_and_or_b32 v12, v12, s8, v5
	v_bfe_u32 v5, v5, 16, 1
	v_add3_u32 v5, v12, v5, s9
	v_cmp_o_f32_e32 vcc, v12, v12
	v_mov_b32_e32 v12, 0x7fc0
	v_cndmask_b32_sdwa v5, v12, v5, vcc dst_sel:DWORD dst_unused:UNUSED_PAD src0_sel:DWORD src1_sel:WORD_1
.LBB164_1689:
	s_mov_b64 s[6:7], 0
	s_mov_b64 s[8:9], -1
.LBB164_1690:
	s_andn2_b64 vcc, exec, s[6:7]
	s_mov_b64 s[6:7], 0
	s_cbranch_vccnz .LBB164_1701
; %bb.1691:
	s_cmp_gt_i32 s22, 14
	s_cbranch_scc0 .LBB164_1694
; %bb.1692:
	s_cmp_eq_u32 s22, 15
	s_cbranch_scc0 .LBB164_1697
; %bb.1693:
	global_load_ushort v5, v[8:9], off
	s_mov_b64 s[4:5], 0
	s_mov_b64 s[8:9], -1
	s_branch .LBB164_1698
.LBB164_1694:
	s_mov_b64 s[16:17], -1
                                        ; implicit-def: $vgpr5
	s_branch .LBB164_1699
.LBB164_1695:
	s_or_saveexec_b64 s[8:9], s[8:9]
	v_mov_b32_e32 v12, 0x7f800001
	s_xor_b64 exec, exec, s[8:9]
	s_cbranch_execz .LBB164_1676
.LBB164_1696:
	v_cmp_ne_u16_e32 vcc, 0, v5
	s_andn2_b64 s[6:7], s[6:7], exec
	s_and_b64 s[16:17], vcc, exec
	v_mov_b32_e32 v12, 0
	s_or_b64 s[6:7], s[6:7], s[16:17]
	s_or_b64 exec, exec, s[8:9]
	s_and_saveexec_b64 s[8:9], s[6:7]
	s_cbranch_execnz .LBB164_1677
	s_branch .LBB164_1678
.LBB164_1697:
	s_mov_b64 s[4:5], -1
                                        ; implicit-def: $vgpr5
.LBB164_1698:
	s_mov_b64 s[16:17], 0
.LBB164_1699:
	s_and_b64 vcc, exec, s[16:17]
	s_cbranch_vccz .LBB164_1701
; %bb.1700:
	s_cmp_lg_u32 s22, 11
	s_mov_b64 s[6:7], -1
	s_cselect_b64 s[4:5], -1, 0
.LBB164_1701:
	s_and_b64 vcc, exec, s[4:5]
	s_cbranch_vccnz .LBB164_1802
; %bb.1702:
	s_andn2_b64 vcc, exec, s[6:7]
	s_cbranch_vccnz .LBB164_1704
.LBB164_1703:
	global_load_ubyte v5, v[8:9], off
	s_mov_b64 s[8:9], -1
	s_waitcnt vmcnt(0)
	v_cmp_ne_u16_e32 vcc, 0, v5
	v_cndmask_b32_e64 v5, 0, 1.0, vcc
	v_lshrrev_b32_e32 v5, 16, v5
.LBB164_1704:
	s_branch .LBB164_1632
.LBB164_1705:
	s_and_b32 s6, 0xffff, s21
	s_cmp_lt_i32 s6, 5
	s_cbranch_scc1 .LBB164_1710
; %bb.1706:
	s_cmp_lt_i32 s6, 8
	s_cbranch_scc1 .LBB164_1711
; %bb.1707:
	;; [unrolled: 3-line block ×3, first 2 shown]
	s_cmp_gt_i32 s6, 9
	s_cbranch_scc0 .LBB164_1713
; %bb.1709:
	global_load_dwordx2 v[12:13], v[8:9], off
	s_movk_i32 s4, 0x7fff
	s_waitcnt vmcnt(0)
	v_cvt_f32_f64_e32 v5, v[12:13]
	v_mov_b32_e32 v12, 0x7fc0
	v_bfe_u32 v13, v5, 16, 1
	v_cmp_o_f32_e32 vcc, v5, v5
	v_add3_u32 v5, v5, v13, s4
	v_cndmask_b32_sdwa v5, v12, v5, vcc dst_sel:DWORD dst_unused:UNUSED_PAD src0_sel:DWORD src1_sel:WORD_1
	s_mov_b64 s[4:5], 0
	s_branch .LBB164_1714
.LBB164_1710:
	s_mov_b64 s[4:5], -1
                                        ; implicit-def: $vgpr5
	s_branch .LBB164_1732
.LBB164_1711:
	s_mov_b64 s[4:5], -1
                                        ; implicit-def: $vgpr5
	s_branch .LBB164_1720
.LBB164_1712:
	s_mov_b64 s[4:5], -1
                                        ; implicit-def: $vgpr5
	s_branch .LBB164_1717
.LBB164_1713:
	s_mov_b64 s[4:5], -1
                                        ; implicit-def: $vgpr5
.LBB164_1714:
	s_andn2_b64 vcc, exec, s[4:5]
	s_cbranch_vccnz .LBB164_1716
; %bb.1715:
	global_load_dword v5, v[8:9], off
	s_movk_i32 s4, 0x7fff
	v_mov_b32_e32 v12, 0x7fc0
	s_waitcnt vmcnt(0)
	v_bfe_u32 v13, v5, 16, 1
	v_cmp_o_f32_e32 vcc, v5, v5
	v_add3_u32 v5, v5, v13, s4
	v_cndmask_b32_sdwa v5, v12, v5, vcc dst_sel:DWORD dst_unused:UNUSED_PAD src0_sel:DWORD src1_sel:WORD_1
.LBB164_1716:
	s_mov_b64 s[4:5], 0
.LBB164_1717:
	s_andn2_b64 vcc, exec, s[4:5]
	s_cbranch_vccnz .LBB164_1719
; %bb.1718:
	global_load_dword v5, v[8:9], off
	s_movk_i32 s4, 0x7fff
	v_mov_b32_e32 v13, 0x7fc0
	s_waitcnt vmcnt(0)
	v_cvt_f32_f16_e32 v12, v5
	v_cmp_o_f16_e32 vcc, v5, v5
	v_bfe_u32 v5, v12, 16, 1
	v_add3_u32 v5, v12, v5, s4
	v_cndmask_b32_sdwa v5, v13, v5, vcc dst_sel:DWORD dst_unused:UNUSED_PAD src0_sel:DWORD src1_sel:WORD_1
.LBB164_1719:
	s_mov_b64 s[4:5], 0
.LBB164_1720:
	s_andn2_b64 vcc, exec, s[4:5]
	s_cbranch_vccnz .LBB164_1731
; %bb.1721:
	s_cmp_lt_i32 s6, 6
	s_cbranch_scc1 .LBB164_1724
; %bb.1722:
	s_cmp_gt_i32 s6, 6
	s_cbranch_scc0 .LBB164_1725
; %bb.1723:
	global_load_dwordx2 v[12:13], v[8:9], off
	s_movk_i32 s4, 0x7fff
	s_waitcnt vmcnt(0)
	v_cvt_f32_f64_e32 v5, v[12:13]
	v_mov_b32_e32 v12, 0x7fc0
	v_bfe_u32 v13, v5, 16, 1
	v_cmp_o_f32_e32 vcc, v5, v5
	v_add3_u32 v5, v5, v13, s4
	v_cndmask_b32_sdwa v5, v12, v5, vcc dst_sel:DWORD dst_unused:UNUSED_PAD src0_sel:DWORD src1_sel:WORD_1
	s_mov_b64 s[4:5], 0
	s_branch .LBB164_1726
.LBB164_1724:
	s_mov_b64 s[4:5], -1
                                        ; implicit-def: $vgpr5
	s_branch .LBB164_1729
.LBB164_1725:
	s_mov_b64 s[4:5], -1
                                        ; implicit-def: $vgpr5
.LBB164_1726:
	s_andn2_b64 vcc, exec, s[4:5]
	s_cbranch_vccnz .LBB164_1728
; %bb.1727:
	global_load_dword v5, v[8:9], off
	s_movk_i32 s4, 0x7fff
	v_mov_b32_e32 v12, 0x7fc0
	s_waitcnt vmcnt(0)
	v_bfe_u32 v13, v5, 16, 1
	v_cmp_o_f32_e32 vcc, v5, v5
	v_add3_u32 v5, v5, v13, s4
	v_cndmask_b32_sdwa v5, v12, v5, vcc dst_sel:DWORD dst_unused:UNUSED_PAD src0_sel:DWORD src1_sel:WORD_1
.LBB164_1728:
	s_mov_b64 s[4:5], 0
.LBB164_1729:
	s_andn2_b64 vcc, exec, s[4:5]
	s_cbranch_vccnz .LBB164_1731
; %bb.1730:
	global_load_ushort v5, v[8:9], off
	s_movk_i32 s4, 0x7fff
	v_mov_b32_e32 v13, 0x7fc0
	s_waitcnt vmcnt(0)
	v_cvt_f32_f16_e32 v12, v5
	v_cmp_o_f16_e32 vcc, v5, v5
	v_bfe_u32 v5, v12, 16, 1
	v_add3_u32 v5, v12, v5, s4
	v_cndmask_b32_sdwa v5, v13, v5, vcc dst_sel:DWORD dst_unused:UNUSED_PAD src0_sel:DWORD src1_sel:WORD_1
.LBB164_1731:
	s_mov_b64 s[4:5], 0
.LBB164_1732:
	s_andn2_b64 vcc, exec, s[4:5]
	s_cbranch_vccnz .LBB164_1752
; %bb.1733:
	s_cmp_lt_i32 s6, 2
	s_cbranch_scc1 .LBB164_1737
; %bb.1734:
	s_cmp_lt_i32 s6, 3
	s_cbranch_scc1 .LBB164_1738
; %bb.1735:
	s_cmp_gt_i32 s6, 3
	s_cbranch_scc0 .LBB164_1739
; %bb.1736:
	global_load_dwordx2 v[12:13], v[8:9], off
	s_movk_i32 s4, 0x7fff
	s_waitcnt vmcnt(0)
	v_xor_b32_e32 v14, v12, v13
	v_ffbh_i32_e32 v5, v13
	v_ashrrev_i32_e32 v14, 31, v14
	v_add_u32_e32 v5, -1, v5
	v_add_u32_e32 v14, 32, v14
	v_min_u32_e32 v5, v5, v14
	v_lshlrev_b64 v[12:13], v5, v[12:13]
	v_sub_u32_e32 v5, 32, v5
	v_min_u32_e32 v12, 1, v12
	v_or_b32_e32 v12, v13, v12
	v_cvt_f32_i32_e32 v12, v12
	v_ldexp_f32 v5, v12, v5
	v_bfe_u32 v12, v5, 16, 1
	v_add3_u32 v5, v5, v12, s4
	v_lshrrev_b32_e32 v5, 16, v5
	s_mov_b64 s[4:5], 0
	s_branch .LBB164_1740
.LBB164_1737:
	s_mov_b64 s[4:5], -1
                                        ; implicit-def: $vgpr5
	s_branch .LBB164_1746
.LBB164_1738:
	s_mov_b64 s[4:5], -1
                                        ; implicit-def: $vgpr5
	s_branch .LBB164_1743
.LBB164_1739:
	s_mov_b64 s[4:5], -1
                                        ; implicit-def: $vgpr5
.LBB164_1740:
	s_andn2_b64 vcc, exec, s[4:5]
	s_cbranch_vccnz .LBB164_1742
; %bb.1741:
	global_load_dword v5, v[8:9], off
	s_movk_i32 s4, 0x7fff
	s_waitcnt vmcnt(0)
	v_cvt_f32_i32_e32 v5, v5
	v_bfe_u32 v12, v5, 16, 1
	v_add3_u32 v5, v5, v12, s4
	v_lshrrev_b32_e32 v5, 16, v5
.LBB164_1742:
	s_mov_b64 s[4:5], 0
.LBB164_1743:
	s_andn2_b64 vcc, exec, s[4:5]
	s_cbranch_vccnz .LBB164_1745
; %bb.1744:
	global_load_sshort v5, v[8:9], off
	s_movk_i32 s4, 0x7fff
	s_waitcnt vmcnt(0)
	v_cvt_f32_i32_e32 v5, v5
	v_bfe_u32 v12, v5, 16, 1
	v_add3_u32 v5, v5, v12, s4
	v_lshrrev_b32_e32 v5, 16, v5
.LBB164_1745:
	s_mov_b64 s[4:5], 0
.LBB164_1746:
	s_andn2_b64 vcc, exec, s[4:5]
	s_cbranch_vccnz .LBB164_1752
; %bb.1747:
	s_cmp_gt_i32 s6, 0
	s_cbranch_scc0 .LBB164_1749
; %bb.1748:
	global_load_sbyte v5, v[8:9], off
	s_movk_i32 s4, 0x7fff
	s_waitcnt vmcnt(0)
	v_cvt_f32_i32_e32 v5, v5
	v_bfe_u32 v12, v5, 16, 1
	v_add3_u32 v5, v5, v12, s4
	v_lshrrev_b32_e32 v5, 16, v5
	s_mov_b64 s[4:5], 0
	s_branch .LBB164_1750
.LBB164_1749:
	s_mov_b64 s[4:5], -1
                                        ; implicit-def: $vgpr5
.LBB164_1750:
	s_andn2_b64 vcc, exec, s[4:5]
	s_cbranch_vccnz .LBB164_1752
; %bb.1751:
	global_load_ubyte v5, v[8:9], off
	s_movk_i32 s4, 0x7fff
	s_waitcnt vmcnt(0)
	v_cvt_f32_ubyte0_e32 v5, v5
	v_bfe_u32 v8, v5, 16, 1
	v_add3_u32 v5, v5, v8, s4
	v_lshrrev_b32_e32 v5, 16, v5
.LBB164_1752:
.LBB164_1753:
	s_waitcnt vmcnt(0)
	v_lshlrev_b32_e32 v9, 16, v5
	s_mov_b32 s4, 0x3c800000
	v_and_b32_e32 v5, 0x7fffffff, v9
	v_cmp_nlt_f32_e64 s[4:5], |v9|, s4
                                        ; implicit-def: $vgpr12
	s_and_saveexec_b64 s[6:7], s[4:5]
	s_xor_b64 s[6:7], exec, s[6:7]
	s_cbranch_execz .LBB164_1783
; %bb.1754:
	v_cmp_nlt_f32_e64 s[4:5], |v9|, 2.0
                                        ; implicit-def: $vgpr12
	s_and_saveexec_b64 s[8:9], s[4:5]
	s_xor_b64 s[8:9], exec, s[8:9]
	s_cbranch_execz .LBB164_1764
; %bb.1755:
	s_mov_b32 s4, 0x41000000
	v_cmp_nlt_f32_e64 s[4:5], |v9|, s4
                                        ; implicit-def: $vgpr12
	s_and_saveexec_b64 s[16:17], s[4:5]
	s_xor_b64 s[16:17], exec, s[16:17]
	s_cbranch_execz .LBB164_1761
; %bb.1756:
	s_mov_b32 s4, 0x5c800000
	v_cmp_nlt_f32_e64 s[4:5], |v9|, s4
                                        ; implicit-def: $vgpr12
	s_and_saveexec_b64 s[18:19], s[4:5]
	s_xor_b64 s[18:19], exec, s[18:19]
	s_cbranch_execz .LBB164_1758
; %bb.1757:
	s_mov_b32 s4, 0x800000
	v_cmp_lt_f32_e64 vcc, |v9|, s4
	v_cndmask_b32_e64 v8, 0, 32, vcc
	v_ldexp_f32 v8, |v9|, v8
	v_log_f32_e32 v8, v8
	s_mov_b32 s4, 0x3f317217
	s_mov_b32 s5, 0x7f800000
	v_mul_f32_e32 v12, 0x3f317217, v8
	v_fma_f32 v13, v8, s4, -v12
	v_fmac_f32_e32 v13, 0x3377d1cf, v8
	v_add_f32_e32 v12, v12, v13
	v_cmp_lt_f32_e64 s[4:5], |v8|, s5
	v_cndmask_b32_e64 v8, v8, v12, s[4:5]
	v_mov_b32_e32 v12, 0x41b17218
	v_cndmask_b32_e32 v12, 0, v12, vcc
	v_sub_f32_e32 v8, v8, v12
	v_fma_f32 v12, |v9|, v8, -|v9|
.LBB164_1758:
	s_andn2_saveexec_b64 s[18:19], s[18:19]
	s_cbranch_execz .LBB164_1760
; %bb.1759:
	v_rcp_f32_e64 v8, |v9|
	v_mov_b32_e32 v12, 0x3a5b3dd2
	v_mov_b32_e32 v13, 0xba1c065c
	;; [unrolled: 1-line block ×3, first 2 shown]
	v_mul_f32_e32 v15, v8, v8
	v_fmac_f32_e32 v12, 0xbad5c4e8, v15
	v_fmac_f32_e32 v13, v15, v12
	s_mov_b32 s4, 0x800000
	v_fmac_f32_e32 v14, v15, v13
	v_mov_b32_e32 v12, 0xbb360b61
	v_cmp_lt_f32_e64 vcc, |v9|, s4
	v_fmac_f32_e32 v12, v15, v14
	v_cndmask_b32_e64 v14, 0, 32, vcc
	v_ldexp_f32 v14, |v9|, v14
	v_log_f32_e32 v14, v14
	v_mov_b32_e32 v13, 0x3daaaaab
	v_fmac_f32_e32 v13, v15, v12
	v_mov_b32_e32 v12, 0x3ed67f1d
	v_fmac_f32_e32 v12, v8, v13
	s_mov_b32 s4, 0x3f317217
	v_mul_f32_e32 v13, 0x3f317217, v14
	v_fma_f32 v15, v14, s4, -v13
	v_fmac_f32_e32 v15, 0x3377d1cf, v14
	s_mov_b32 s4, 0x7f800000
	v_add_f32_e32 v13, v13, v15
	v_cmp_lt_f32_e64 s[4:5], |v14|, s4
	v_cndmask_b32_e64 v13, v14, v13, s[4:5]
	v_mov_b32_e32 v14, 0x41b17218
	v_cndmask_b32_e32 v14, 0, v14, vcc
	v_sub_f32_e32 v13, v13, v14
	v_add_f32_e64 v8, |v9|, -0.5
	v_add_f32_e32 v13, -1.0, v13
	v_fmac_f32_e32 v12, v8, v13
.LBB164_1760:
	s_or_b64 exec, exec, s[18:19]
.LBB164_1761:
	s_andn2_saveexec_b64 s[16:17], s[16:17]
	s_cbranch_execz .LBB164_1763
; %bb.1762:
	v_cvt_i32_f32_e32 v8, v5
	v_mov_b32_e32 v12, 0x3af135b4
	v_mov_b32_e32 v13, 0x3cda40e4
	;; [unrolled: 1-line block ×3, first 2 shown]
	v_cvt_f32_i32_e32 v15, v8
	v_mov_b32_e32 v16, 0x3ea6cc7a
	v_mov_b32_e32 v17, 0x3e5c245a
	v_cmp_lt_i32_e32 vcc, 2, v8
	v_sub_f32_e64 v15, |v9|, v15
	v_fmac_f32_e32 v12, 0x3805ff67, v15
	v_fmac_f32_e32 v13, v15, v12
	;; [unrolled: 1-line block ×3, first 2 shown]
	v_mov_b32_e32 v13, 0x3a4beed6
	v_fmac_f32_e32 v16, v15, v14
	v_fmac_f32_e32 v13, 0x36f5d7bd, v15
	v_mov_b32_e32 v14, 0x3c98bf54
	v_fmac_f32_e32 v14, v15, v13
	v_mov_b32_e32 v13, 0x3e300f6e
	;; [unrolled: 2-line block ×4, first 2 shown]
	v_fmac_f32_e32 v13, v15, v14
	v_add_f32_e32 v14, 2.0, v15
	v_mov_b32_e32 v18, 0xbd9e233f
	v_fmac_f32_e32 v17, v15, v16
	v_add_f32_e32 v16, 0x40400000, v15
	v_cndmask_b32_e32 v14, 1.0, v14, vcc
	v_cmp_lt_i32_e32 vcc, 3, v8
	v_fmac_f32_e32 v18, v15, v17
	v_add_f32_e32 v17, 4.0, v15
	v_cndmask_b32_e32 v16, 1.0, v16, vcc
	v_cmp_lt_i32_e32 vcc, 4, v8
	v_mul_f32_e32 v12, v15, v18
	v_add_f32_e32 v18, 0x40a00000, v15
	v_mul_f32_e32 v14, v14, v16
	v_cndmask_b32_e32 v16, 1.0, v17, vcc
	v_cmp_lt_i32_e32 vcc, 5, v8
	v_add_f32_e32 v19, 0x40c00000, v15
	v_mul_f32_e32 v14, v16, v14
	v_cndmask_b32_e32 v16, 1.0, v18, vcc
	v_cmp_lt_i32_e32 vcc, 6, v8
	v_mul_f32_e32 v14, v16, v14
	v_cndmask_b32_e32 v8, 1.0, v19, vcc
	v_mul_f32_e32 v8, v8, v14
	s_mov_b32 s4, 0x800000
	v_cmp_gt_f32_e32 vcc, s4, v8
	v_cndmask_b32_e64 v14, 0, 32, vcc
	v_fma_f32 v13, v15, v13, 1.0
	v_ldexp_f32 v8, v8, v14
	v_rcp_f32_e32 v13, v13
	v_log_f32_e32 v8, v8
	s_mov_b32 s4, 0x3f317217
	v_mul_f32_e32 v12, v12, v13
	v_mul_f32_e32 v13, 0x3f317217, v8
	v_fma_f32 v14, v8, s4, -v13
	v_fmac_f32_e32 v14, 0x3377d1cf, v8
	s_mov_b32 s4, 0x7f800000
	v_add_f32_e32 v13, v13, v14
	v_cmp_lt_f32_e64 s[4:5], |v8|, s4
	v_cndmask_b32_e64 v8, v8, v13, s[4:5]
	v_mov_b32_e32 v13, 0x41b17218
	v_cndmask_b32_e32 v13, 0, v13, vcc
	v_fmac_f32_e32 v12, 0.5, v15
	v_sub_f32_e32 v8, v8, v13
	v_add_f32_e32 v12, v8, v12
.LBB164_1763:
	s_or_b64 exec, exec, s[16:17]
.LBB164_1764:
	s_andn2_saveexec_b64 s[8:9], s[8:9]
	s_cbranch_execz .LBB164_1782
; %bb.1765:
	s_mov_b32 s4, 0x3f666666
	v_cmp_le_f32_e64 s[4:5], |v9|, s4
                                        ; implicit-def: $vgpr12
                                        ; implicit-def: $vgpr13
                                        ; implicit-def: $vgpr8
	s_and_saveexec_b64 s[16:17], s[4:5]
	s_xor_b64 s[16:17], exec, s[16:17]
	s_cbranch_execz .LBB164_1767
; %bb.1766:
	s_mov_b32 s4, 0x800000
	v_cmp_lt_f32_e64 vcc, |v9|, s4
	v_cndmask_b32_e64 v8, 0, 32, vcc
	v_ldexp_f32 v8, |v9|, v8
	v_log_f32_e32 v8, v8
	s_mov_b32 s4, 0x3f317217
	s_mov_b32 s5, 0x7f800000
	v_mul_f32_e32 v12, 0x3f317217, v8
	v_fma_f32 v13, v8, s4, -v12
	v_fmac_f32_e32 v13, 0x3377d1cf, v8
	v_add_f32_e32 v12, v12, v13
	v_cmp_lt_f32_e64 s[4:5], |v8|, s5
	v_cndmask_b32_e64 v8, v8, v12, s[4:5]
	v_mov_b32_e32 v12, 0x41b17218
	v_cndmask_b32_e32 v12, 0, v12, vcc
	v_sub_f32_e32 v8, v8, v12
	s_mov_b32 s4, 0x3f3b4a23
	s_mov_b32 s5, 0xbeec5b0c
	v_xor_b32_e32 v12, 0x80000000, v8
	v_sub_f32_e64 v8, 1.0, |v9|
	v_add_f32_e64 v13, |v9|, s5
	v_cmp_lt_f32_e64 vcc, |v9|, s4
	s_mov_b32 s4, 0x3e6d3309
	v_cndmask_b32_e32 v8, v8, v13, vcc
	v_cndmask_b32_e64 v13, 0, 1, vcc
	v_cmp_lt_f32_e64 s[4:5], |v9|, s4
	v_cndmask_b32_e64 v8, v8, |v9|, s[4:5]
	v_cndmask_b32_e64 v13, v13, 2, s[4:5]
.LBB164_1767:
	s_andn2_saveexec_b64 s[4:5], s[16:17]
	s_cbranch_execz .LBB164_1769
; %bb.1768:
	s_mov_b32 s16, 0x3fdda512
	s_mov_b32 s17, 0xbfbb16c3
	v_sub_f32_e64 v8, 2.0, |v9|
	v_add_f32_e64 v12, |v9|, s17
	v_cmp_lt_f32_e64 vcc, |v9|, s16
	v_cndmask_b32_e32 v12, v8, v12, vcc
	v_cndmask_b32_e64 v8, v8, 1.0, vcc
	v_cvt_i32_f32_e32 v13, v8
	s_mov_b32 s16, 0x3f9d70a4
	v_add_f32_e64 v8, |v9|, -1.0
	v_cmp_lt_f32_e64 vcc, |v9|, s16
	v_cndmask_b32_e32 v8, v12, v8, vcc
	v_cndmask_b32_e64 v13, v13, 2, vcc
	v_mov_b32_e32 v12, 0
.LBB164_1769:
	s_or_b64 exec, exec, s[4:5]
	v_cmp_lt_i32_e32 vcc, 0, v13
	s_and_saveexec_b64 s[4:5], vcc
	s_xor_b64 s[4:5], exec, s[4:5]
	s_cbranch_execz .LBB164_1777
; %bb.1770:
	v_cmp_lt_i32_e32 vcc, 1, v13
	s_and_saveexec_b64 s[16:17], vcc
	s_xor_b64 s[16:17], exec, s[16:17]
	s_cbranch_execz .LBB164_1774
; %bb.1771:
	v_cmp_eq_u32_e32 vcc, 2, v13
	s_and_saveexec_b64 s[18:19], vcc
	s_cbranch_execz .LBB164_1773
; %bb.1772:
	v_mov_b32_e32 v13, 0x3e6a7578
	v_fmac_f32_e32 v13, 0x3c5b3c5e, v8
	v_mov_b32_e32 v14, 0x3f7a4bb2
	v_fmac_f32_e32 v14, v8, v13
	;; [unrolled: 2-line block ×8, first 2 shown]
	v_fma_f32 v13, v8, v15, 1.0
	v_rcp_f32_e32 v13, v13
	v_mov_b32_e32 v15, 0xbd9e233f
	v_fmac_f32_e32 v15, v8, v14
	v_mul_f32_e32 v14, v8, v15
	v_mul_f32_e32 v13, v14, v13
	v_fmac_f32_e32 v13, -0.5, v8
	v_add_f32_e32 v12, v12, v13
.LBB164_1773:
	s_or_b64 exec, exec, s[18:19]
                                        ; implicit-def: $vgpr8
.LBB164_1774:
	s_andn2_saveexec_b64 s[16:17], s[16:17]
	s_cbranch_execz .LBB164_1776
; %bb.1775:
	v_mul_f32_e32 v13, v8, v8
	v_mul_f32_e32 v14, v8, v13
	v_mov_b32_e32 v15, 0xbab7f476
	v_fmac_f32_e32 v15, 0x39a57b6b, v14
	v_mov_b32_e32 v16, 0x3bc7e707
	v_fmac_f32_e32 v16, v14, v15
	;; [unrolled: 2-line block ×12, first 2 shown]
	v_fmac_f32_e32 v17, v8, v18
	s_mov_b32 s18, 0xa2863e55
	v_fma_f32 v8, v14, -v17, s18
	v_fma_f32 v8, v13, v16, -v8
	v_add_f32_e32 v8, 0xbdf8cdce, v8
	v_add_f32_e32 v12, v12, v8
.LBB164_1776:
	s_or_b64 exec, exec, s[16:17]
                                        ; implicit-def: $vgpr13
                                        ; implicit-def: $vgpr8
.LBB164_1777:
	s_andn2_saveexec_b64 s[4:5], s[4:5]
	s_cbranch_execz .LBB164_1781
; %bb.1778:
	v_cmp_eq_u32_e32 vcc, 0, v13
	s_and_saveexec_b64 s[16:17], vcc
	s_cbranch_execz .LBB164_1780
; %bb.1779:
	v_mul_f32_e32 v13, v8, v8
	v_mov_b32_e32 v14, 0x39679767
	v_fmac_f32_e32 v14, 0x37d383a2, v13
	v_mov_b32_e32 v15, 0x3a9c54a1
	v_fmac_f32_e32 v15, v13, v14
	;; [unrolled: 2-line block ×10, first 2 shown]
	v_mul_f32_e32 v13, v13, v15
	v_fmac_f32_e32 v13, v8, v14
	v_fmac_f32_e32 v13, -0.5, v8
	v_add_f32_e32 v12, v12, v13
.LBB164_1780:
	s_or_b64 exec, exec, s[16:17]
.LBB164_1781:
	s_or_b64 exec, exec, s[4:5]
.LBB164_1782:
	s_or_b64 exec, exec, s[8:9]
.LBB164_1783:
	s_andn2_saveexec_b64 s[6:7], s[6:7]
	s_cbranch_execz .LBB164_1785
; %bb.1784:
	s_mov_b32 s4, 0x3e8a8991
	v_mov_b32_e32 v8, 0xbecd26ab
	v_fma_f32 v8, |v9|, s4, v8
	s_mov_b32 s4, 0x3f528d33
	v_fma_f32 v8, |v9|, v8, s4
	s_mov_b32 s4, 0x800000
	v_cmp_lt_f32_e64 vcc, |v9|, s4
	v_cndmask_b32_e64 v12, 0, 32, vcc
	v_ldexp_f32 v12, |v9|, v12
	v_log_f32_e32 v12, v12
	s_mov_b32 s4, 0xbf13c468
	v_fma_f32 v8, |v9|, v8, s4
	s_mov_b32 s4, 0x3f317217
	v_mul_f32_e32 v13, 0x3f317217, v12
	v_fma_f32 v14, v12, s4, -v13
	v_fmac_f32_e32 v14, 0x3377d1cf, v12
	s_mov_b32 s4, 0x7f800000
	v_add_f32_e32 v13, v13, v14
	v_cmp_lt_f32_e64 s[4:5], |v12|, s4
	v_cndmask_b32_e64 v12, v12, v13, s[4:5]
	v_mov_b32_e32 v13, 0x41b17218
	v_cndmask_b32_e32 v13, 0, v13, vcc
	v_sub_f32_e32 v12, v12, v13
	v_fma_f32 v12, |v9|, v8, -v12
.LBB164_1785:
	s_or_b64 exec, exec, s[6:7]
	v_cmp_le_f32_e64 s[4:5], 0, v9
	v_cmp_nle_f32_e32 vcc, 0, v9
	s_and_saveexec_b64 s[6:7], vcc
	s_xor_b64 s[8:9], exec, s[6:7]
	s_cbranch_execz .LBB164_1789
; %bb.1786:
	s_mov_b32 s6, 0x4b000000
	s_mov_b32 s16, 0x35000000
	v_cmp_lt_f32_e64 s[6:7], |v9|, s6
	v_cmp_gt_f32_e64 s[16:17], |v9|, s16
	s_and_b64 s[6:7], s[6:7], s[16:17]
	s_and_saveexec_b64 s[16:17], s[6:7]
	s_cbranch_execz .LBB164_1788
; %bb.1787:
	v_mul_f32_e64 v8, |v9|, 0.5
	v_floor_f32_e32 v13, v8
	v_sub_f32_e32 v13, v8, v13
	v_min_f32_e32 v13, 0x3f7fffff, v13
	s_mov_b32 s18, 0x7f800000
	v_add_f32_e32 v13, v13, v13
	v_cmp_neq_f32_e32 vcc, s18, v8
	v_cndmask_b32_e32 v8, 0, v13, vcc
	v_cmp_gt_f32_e64 s[6:7], |v9|, 1.0
	v_cndmask_b32_e64 v8, |v9|, v8, s[6:7]
	v_add_f32_e32 v13, v8, v8
	v_rndne_f32_e32 v13, v13
	v_fmac_f32_e32 v8, -0.5, v13
	v_mul_f32_e32 v14, v8, v8
	v_mov_b32_e32 v15, 0xbf1f24be
	v_fmac_f32_e32 v15, 0x3e75aa41, v14
	v_mov_b32_e32 v16, 0x40234736
	v_fmac_f32_e32 v16, v14, v15
	;; [unrolled: 2-line block ×3, first 2 shown]
	v_mul_f32_e32 v16, v8, v14
	v_mul_f32_e32 v15, v16, v15
	v_fmac_f32_e32 v15, 0x40490fdb, v8
	v_mov_b32_e32 v8, 0x3e642e9d
	v_cvt_i32_f32_e32 v13, v13
	v_fmac_f32_e32 v8, 0x3d4be544, v14
	v_mov_b32_e32 v16, 0xbfaad1da
	v_fmac_f32_e32 v16, v14, v8
	v_mov_b32_e32 v8, 0x4081e0d3
	;; [unrolled: 2-line block ×3, first 2 shown]
	v_fmac_f32_e32 v16, v14, v8
	v_fma_f32 v8, v14, v16, 1.0
	v_and_b32_e32 v14, 1, v13
	v_cmp_eq_u32_e32 vcc, 0, v14
	v_lshlrev_b32_e32 v13, 30, v13
	s_brev_b32 s6, 1
	v_cndmask_b32_e32 v8, v8, v15, vcc
	v_and_or_b32 v5, v13, s6, v5
	v_xor_b32_e32 v5, v5, v8
	v_xor_b32_e32 v5, v5, v9
	v_mul_f32_e32 v5, v9, v5
	v_frexp_mant_f32_e64 v8, |v5|
	v_rcp_f32_e32 v8, v8
	v_frexp_exp_i32_f32_e32 v5, v5
	v_sub_u32_e32 v5, 2, v5
	s_mov_b32 s6, 0x800000
	v_mul_f32_e32 v8, 0x3f490fdb, v8
	v_ldexp_f32 v5, v8, v5
	v_cmp_gt_f32_e32 vcc, s6, v5
	v_cndmask_b32_e64 v8, 0, 32, vcc
	v_ldexp_f32 v5, v5, v8
	v_log_f32_e32 v5, v5
	s_mov_b32 s6, 0x3f317217
	v_mul_f32_e32 v8, 0x3f317217, v5
	v_fma_f32 v13, v5, s6, -v8
	v_fmac_f32_e32 v13, 0x3377d1cf, v5
	v_add_f32_e32 v8, v8, v13
	v_cmp_lt_f32_e64 s[6:7], |v5|, s18
	v_cndmask_b32_e64 v5, v5, v8, s[6:7]
	v_mov_b32_e32 v8, 0x41b17218
	v_cndmask_b32_e32 v8, 0, v8, vcc
	v_sub_f32_e32 v5, v5, v8
	v_floor_f32_e32 v8, v9
	v_sub_f32_e32 v8, v9, v8
	v_min_f32_e32 v8, 0x3f7fffff, v8
	v_sub_f32_e32 v5, v5, v12
	v_mov_b32_e32 v12, 0x7f800000
	v_cmp_neq_f32_e32 vcc, 0, v8
	v_cndmask_b32_e32 v12, v12, v5, vcc
.LBB164_1788:
	s_or_b64 exec, exec, s[16:17]
.LBB164_1789:
	s_andn2_saveexec_b64 s[8:9], s[8:9]
; %bb.1790:
	v_cmp_eq_f32_e32 vcc, 1.0, v9
	v_cmp_eq_f32_e64 s[6:7], 2.0, v9
	s_or_b64 s[6:7], vcc, s[6:7]
	v_cndmask_b32_e64 v12, v12, 0, s[6:7]
; %bb.1791:
	s_or_b64 exec, exec, s[8:9]
	v_mov_b32_e32 v5, s15
	v_add_co_u32_e32 v7, vcc, s14, v7
	s_cmp_lt_i32 s21, 11
	v_addc_co_u32_e32 v8, vcc, 0, v5, vcc
	s_cbranch_scc1 .LBB164_1798
; %bb.1792:
	s_and_b32 s22, 0xffff, s21
	s_cmp_gt_i32 s22, 25
	s_mov_b64 s[8:9], 0
	s_cbranch_scc0 .LBB164_1799
; %bb.1793:
	s_cmp_gt_i32 s22, 28
	s_cbranch_scc0 .LBB164_1800
; %bb.1794:
	s_cmp_gt_i32 s22, 43
	;; [unrolled: 3-line block ×3, first 2 shown]
	s_cbranch_scc0 .LBB164_1803
; %bb.1796:
	s_cmp_eq_u32 s22, 46
	s_mov_b64 s[16:17], 0
	s_cbranch_scc0 .LBB164_1804
; %bb.1797:
	global_load_dword v5, v[7:8], off
	s_mov_b64 s[6:7], 0
	s_mov_b64 s[14:15], -1
	s_branch .LBB164_1805
.LBB164_1798:
	s_mov_b64 s[6:7], -1
	s_mov_b64 s[14:15], 0
                                        ; implicit-def: $vgpr5
	s_branch .LBB164_1871
.LBB164_1799:
	s_mov_b64 s[16:17], -1
	s_mov_b64 s[14:15], 0
	s_mov_b64 s[6:7], 0
                                        ; implicit-def: $vgpr5
	s_branch .LBB164_1834
.LBB164_1800:
	s_mov_b64 s[16:17], -1
	s_mov_b64 s[14:15], 0
	s_mov_b64 s[6:7], 0
                                        ; implicit-def: $vgpr5
	s_branch .LBB164_1815
.LBB164_1801:
	s_mov_b64 s[16:17], -1
	s_mov_b64 s[14:15], 0
	s_mov_b64 s[6:7], 0
                                        ; implicit-def: $vgpr5
	s_branch .LBB164_1810
.LBB164_1802:
	s_trap 2
	s_or_b64 s[10:11], s[10:11], exec
	s_cbranch_execz .LBB164_1703
	s_branch .LBB164_1704
.LBB164_1803:
	s_mov_b64 s[16:17], -1
	s_mov_b64 s[14:15], 0
	s_mov_b64 s[6:7], 0
                                        ; implicit-def: $vgpr5
	s_branch .LBB164_1805
.LBB164_1804:
	s_mov_b64 s[6:7], -1
                                        ; implicit-def: $vgpr5
	s_mov_b64 s[14:15], 0
.LBB164_1805:
	s_and_b64 vcc, exec, s[16:17]
	s_cbranch_vccz .LBB164_1809
; %bb.1806:
	s_cmp_eq_u32 s22, 44
	s_cbranch_scc0 .LBB164_1808
; %bb.1807:
	global_load_ubyte v5, v[7:8], off
	s_movk_i32 s14, 0xff
	v_mov_b32_e32 v13, 0x7f800001
	v_mov_b32_e32 v14, 0x400000
	;; [unrolled: 1-line block ×3, first 2 shown]
	s_mov_b64 s[6:7], 0
	s_waitcnt vmcnt(0)
	v_lshlrev_b32_e32 v16, 23, v5
	v_cmp_ne_u32_e32 vcc, s14, v5
	v_cndmask_b32_e32 v13, v13, v16, vcc
	v_cmp_ne_u32_e32 vcc, 0, v5
	v_cndmask_b32_e32 v5, v14, v13, vcc
	v_add_u32_e32 v13, 0x7fff, v5
	v_cmp_o_f32_e32 vcc, v5, v5
	v_cndmask_b32_sdwa v5, v15, v13, vcc dst_sel:DWORD dst_unused:UNUSED_PAD src0_sel:DWORD src1_sel:WORD_1
	s_mov_b64 s[14:15], -1
	s_branch .LBB164_1809
.LBB164_1808:
	s_mov_b64 s[6:7], -1
                                        ; implicit-def: $vgpr5
.LBB164_1809:
	s_mov_b64 s[16:17], 0
.LBB164_1810:
	s_and_b64 vcc, exec, s[16:17]
	s_cbranch_vccz .LBB164_1814
; %bb.1811:
	s_cmp_eq_u32 s22, 29
	s_cbranch_scc0 .LBB164_1813
; %bb.1812:
	global_load_dwordx2 v[13:14], v[7:8], off
	s_movk_i32 s14, 0x7fff
	s_mov_b64 s[6:7], 0
	s_mov_b64 s[16:17], 0
	s_waitcnt vmcnt(0)
	v_ffbh_u32_e32 v5, v14
	v_min_u32_e32 v5, 32, v5
	v_lshlrev_b64 v[13:14], v5, v[13:14]
	v_sub_u32_e32 v5, 32, v5
	v_min_u32_e32 v13, 1, v13
	v_or_b32_e32 v13, v14, v13
	v_cvt_f32_u32_e32 v13, v13
	v_ldexp_f32 v5, v13, v5
	v_bfe_u32 v13, v5, 16, 1
	v_add3_u32 v5, v5, v13, s14
	v_lshrrev_b32_e32 v5, 16, v5
	s_mov_b64 s[14:15], -1
	s_branch .LBB164_1815
.LBB164_1813:
	s_mov_b64 s[6:7], -1
                                        ; implicit-def: $vgpr5
.LBB164_1814:
	s_mov_b64 s[16:17], 0
.LBB164_1815:
	s_and_b64 vcc, exec, s[16:17]
	s_cbranch_vccz .LBB164_1833
; %bb.1816:
	s_cmp_lt_i32 s22, 27
	s_cbranch_scc1 .LBB164_1819
; %bb.1817:
	s_cmp_gt_i32 s22, 27
	s_cbranch_scc0 .LBB164_1820
; %bb.1818:
	global_load_dword v5, v[7:8], off
	s_movk_i32 s14, 0x7fff
	s_waitcnt vmcnt(0)
	v_cvt_f32_u32_e32 v5, v5
	v_bfe_u32 v13, v5, 16, 1
	v_add3_u32 v5, v5, v13, s14
	v_lshrrev_b32_e32 v5, 16, v5
	s_mov_b64 s[14:15], 0
	s_branch .LBB164_1821
.LBB164_1819:
	s_mov_b64 s[14:15], -1
                                        ; implicit-def: $vgpr5
	s_branch .LBB164_1824
.LBB164_1820:
	s_mov_b64 s[14:15], -1
                                        ; implicit-def: $vgpr5
.LBB164_1821:
	s_andn2_b64 vcc, exec, s[14:15]
	s_cbranch_vccnz .LBB164_1823
; %bb.1822:
	global_load_ushort v5, v[7:8], off
	s_movk_i32 s14, 0x7fff
	s_waitcnt vmcnt(0)
	v_cvt_f32_u32_e32 v5, v5
	v_bfe_u32 v13, v5, 16, 1
	v_add3_u32 v5, v5, v13, s14
	v_lshrrev_b32_e32 v5, 16, v5
.LBB164_1823:
	s_mov_b64 s[14:15], 0
.LBB164_1824:
	s_andn2_b64 vcc, exec, s[14:15]
	s_cbranch_vccnz .LBB164_1832
; %bb.1825:
	global_load_ubyte v5, v[7:8], off
	s_movk_i32 s14, 0x7f
	s_waitcnt vmcnt(0)
	v_cmp_lt_i16_e32 vcc, s14, v5
	s_mov_b64 s[14:15], 0
	s_and_saveexec_b64 s[16:17], vcc
	s_xor_b64 s[16:17], exec, s[16:17]
	s_cbranch_execz .LBB164_1846
; %bb.1826:
	s_movk_i32 s14, 0x80
	v_cmp_eq_u16_e32 vcc, s14, v5
	s_mov_b64 s[14:15], -1
	s_and_saveexec_b64 s[18:19], vcc
; %bb.1827:
	s_xor_b64 s[14:15], exec, -1
; %bb.1828:
	s_or_b64 exec, exec, s[18:19]
	s_and_b64 s[14:15], s[14:15], exec
	s_or_saveexec_b64 s[16:17], s[16:17]
	v_mov_b32_e32 v13, 0x7f800001
	s_xor_b64 exec, exec, s[16:17]
	s_cbranch_execnz .LBB164_1847
.LBB164_1829:
	s_or_b64 exec, exec, s[16:17]
	s_and_saveexec_b64 s[16:17], s[14:15]
	s_cbranch_execz .LBB164_1831
.LBB164_1830:
	v_lshlrev_b32_e32 v13, 24, v5
	v_and_b32_e32 v5, 0xffff, v5
	v_and_b32_e32 v14, 7, v5
	v_ffbh_u32_e32 v16, v14
	v_min_u32_e32 v16, 32, v16
	v_subrev_u32_e32 v17, 28, v16
	v_bfe_u32 v15, v5, 3, 4
	v_lshlrev_b32_e32 v5, v17, v5
	v_sub_u32_e32 v16, 29, v16
	v_and_b32_e32 v5, 7, v5
	v_cmp_eq_u32_e32 vcc, 0, v15
	v_cndmask_b32_e32 v15, v15, v16, vcc
	v_cndmask_b32_e32 v5, v14, v5, vcc
	v_mov_b32_e32 v14, 0x3b800000
	v_lshlrev_b32_e32 v5, 20, v5
	v_and_b32_e32 v13, 0x80000000, v13
	v_lshl_add_u32 v14, v15, 23, v14
	v_or3_b32 v13, v13, v14, v5
.LBB164_1831:
	s_or_b64 exec, exec, s[16:17]
	v_bfe_u32 v5, v13, 16, 1
	s_movk_i32 s14, 0x7fff
	v_add3_u32 v5, v13, v5, s14
	v_cmp_o_f32_e32 vcc, v13, v13
	v_mov_b32_e32 v13, 0x7fc0
	v_cndmask_b32_sdwa v5, v13, v5, vcc dst_sel:DWORD dst_unused:UNUSED_PAD src0_sel:DWORD src1_sel:WORD_1
.LBB164_1832:
	s_mov_b64 s[14:15], -1
.LBB164_1833:
	s_mov_b64 s[16:17], 0
.LBB164_1834:
	s_and_b64 vcc, exec, s[16:17]
	s_cbranch_vccz .LBB164_1867
; %bb.1835:
	s_cmp_gt_i32 s22, 22
	s_cbranch_scc0 .LBB164_1845
; %bb.1836:
	s_cmp_lt_i32 s22, 24
	s_cbranch_scc1 .LBB164_1848
; %bb.1837:
	s_cmp_gt_i32 s22, 24
	s_cbranch_scc0 .LBB164_1849
; %bb.1838:
	global_load_ubyte v5, v[7:8], off
	s_movk_i32 s8, 0x7f
	s_waitcnt vmcnt(0)
	v_cmp_lt_i16_e32 vcc, s8, v5
	s_mov_b64 s[8:9], 0
	s_and_saveexec_b64 s[14:15], vcc
	s_xor_b64 s[14:15], exec, s[14:15]
	s_cbranch_execz .LBB164_1861
; %bb.1839:
	s_movk_i32 s8, 0x80
	v_cmp_eq_u16_e32 vcc, s8, v5
	s_mov_b64 s[8:9], -1
	s_and_saveexec_b64 s[16:17], vcc
; %bb.1840:
	s_xor_b64 s[8:9], exec, -1
; %bb.1841:
	s_or_b64 exec, exec, s[16:17]
	s_and_b64 s[8:9], s[8:9], exec
	s_or_saveexec_b64 s[14:15], s[14:15]
	v_mov_b32_e32 v13, 0x7f800001
	s_xor_b64 exec, exec, s[14:15]
	s_cbranch_execnz .LBB164_1862
.LBB164_1842:
	s_or_b64 exec, exec, s[14:15]
	s_and_saveexec_b64 s[14:15], s[8:9]
	s_cbranch_execz .LBB164_1844
.LBB164_1843:
	v_lshlrev_b32_e32 v13, 24, v5
	v_and_b32_e32 v5, 0xffff, v5
	v_and_b32_e32 v14, 3, v5
	v_ffbh_u32_e32 v16, v14
	v_min_u32_e32 v16, 32, v16
	v_subrev_u32_e32 v17, 29, v16
	v_bfe_u32 v15, v5, 2, 5
	v_lshlrev_b32_e32 v5, v17, v5
	v_sub_u32_e32 v16, 30, v16
	v_and_b32_e32 v5, 3, v5
	v_cmp_eq_u32_e32 vcc, 0, v15
	v_cndmask_b32_e32 v15, v15, v16, vcc
	v_cndmask_b32_e32 v5, v14, v5, vcc
	v_mov_b32_e32 v14, 0x37800000
	v_lshlrev_b32_e32 v5, 21, v5
	v_and_b32_e32 v13, 0x80000000, v13
	v_lshl_add_u32 v14, v15, 23, v14
	v_or3_b32 v13, v13, v14, v5
.LBB164_1844:
	s_or_b64 exec, exec, s[14:15]
	v_bfe_u32 v5, v13, 16, 1
	s_movk_i32 s8, 0x7fff
	v_add3_u32 v5, v13, v5, s8
	v_cmp_o_f32_e32 vcc, v13, v13
	v_mov_b32_e32 v13, 0x7fc0
	v_cndmask_b32_sdwa v5, v13, v5, vcc dst_sel:DWORD dst_unused:UNUSED_PAD src0_sel:DWORD src1_sel:WORD_1
	s_mov_b64 s[8:9], 0
	s_branch .LBB164_1850
.LBB164_1845:
	s_mov_b64 s[8:9], -1
                                        ; implicit-def: $vgpr5
	s_branch .LBB164_1856
.LBB164_1846:
	s_or_saveexec_b64 s[16:17], s[16:17]
	v_mov_b32_e32 v13, 0x7f800001
	s_xor_b64 exec, exec, s[16:17]
	s_cbranch_execz .LBB164_1829
.LBB164_1847:
	v_cmp_ne_u16_e32 vcc, 0, v5
	s_andn2_b64 s[14:15], s[14:15], exec
	s_and_b64 s[18:19], vcc, exec
	v_mov_b32_e32 v13, 0
	s_or_b64 s[14:15], s[14:15], s[18:19]
	s_or_b64 exec, exec, s[16:17]
	s_and_saveexec_b64 s[16:17], s[14:15]
	s_cbranch_execnz .LBB164_1830
	s_branch .LBB164_1831
.LBB164_1848:
	s_mov_b64 s[8:9], -1
                                        ; implicit-def: $vgpr5
	s_branch .LBB164_1853
.LBB164_1849:
	s_mov_b64 s[8:9], -1
                                        ; implicit-def: $vgpr5
.LBB164_1850:
	s_and_b64 vcc, exec, s[8:9]
	s_cbranch_vccz .LBB164_1852
; %bb.1851:
	global_load_ubyte v5, v[7:8], off
	s_mov_b32 s8, 0x7f800000
	s_brev_b32 s9, 1
	s_movk_i32 s14, 0x7fff
	s_waitcnt vmcnt(0)
	v_lshlrev_b32_e32 v5, 24, v5
	v_and_b32_e32 v13, 0x7f000000, v5
	v_ffbh_u32_e32 v14, v13
	v_min_u32_e32 v14, 32, v14
	v_sub_u32_e64 v14, v14, 4 clamp
	v_lshlrev_b32_e32 v16, v14, v13
	v_lshlrev_b32_e32 v14, 23, v14
	v_lshrrev_b32_e32 v16, 4, v16
	v_add_u32_e32 v15, 0x1000000, v13
	v_sub_u32_e32 v14, v16, v14
	v_ashrrev_i32_e32 v15, 8, v15
	v_add_u32_e32 v14, 0x3c000000, v14
	v_and_or_b32 v14, v15, s8, v14
	v_cmp_ne_u32_e32 vcc, 0, v13
	v_cndmask_b32_e32 v13, 0, v14, vcc
	v_and_or_b32 v5, v5, s9, v13
	v_bfe_u32 v13, v13, 16, 1
	v_add3_u32 v13, v5, v13, s14
	v_cmp_o_f32_e32 vcc, v5, v5
	v_mov_b32_e32 v5, 0x7fc0
	v_cndmask_b32_sdwa v5, v5, v13, vcc dst_sel:DWORD dst_unused:UNUSED_PAD src0_sel:DWORD src1_sel:WORD_1
.LBB164_1852:
	s_mov_b64 s[8:9], 0
.LBB164_1853:
	s_andn2_b64 vcc, exec, s[8:9]
	s_cbranch_vccnz .LBB164_1855
; %bb.1854:
	global_load_ubyte v5, v[7:8], off
	s_movk_i32 s8, 0x7f00
	s_brev_b32 s9, 16
	s_brev_b32 s14, 1
	s_movk_i32 s15, 0x7fff
	s_waitcnt vmcnt(0)
	v_lshlrev_b16_e32 v13, 8, v5
	v_lshlrev_b32_e32 v5, 25, v5
	v_lshrrev_b32_e32 v14, 4, v5
	v_and_or_b32 v15, v13, s8, 0.5
	v_or_b32_e32 v14, 0x70000000, v14
	v_add_f32_e32 v15, -0.5, v15
	v_mul_f32_e32 v14, 0x7800000, v14
	v_cmp_gt_u32_e32 vcc, s9, v5
	v_bfe_i32 v13, v13, 0, 16
	v_cndmask_b32_e32 v5, v14, v15, vcc
	v_and_or_b32 v13, v13, s14, v5
	v_bfe_u32 v5, v5, 16, 1
	v_add3_u32 v5, v13, v5, s15
	v_cmp_o_f32_e32 vcc, v13, v13
	v_mov_b32_e32 v13, 0x7fc0
	v_cndmask_b32_sdwa v5, v13, v5, vcc dst_sel:DWORD dst_unused:UNUSED_PAD src0_sel:DWORD src1_sel:WORD_1
.LBB164_1855:
	s_mov_b64 s[8:9], 0
	s_mov_b64 s[14:15], -1
.LBB164_1856:
	s_andn2_b64 vcc, exec, s[8:9]
	s_mov_b64 s[8:9], 0
	s_cbranch_vccnz .LBB164_1867
; %bb.1857:
	s_cmp_gt_i32 s22, 14
	s_cbranch_scc0 .LBB164_1860
; %bb.1858:
	s_cmp_eq_u32 s22, 15
	s_cbranch_scc0 .LBB164_1863
; %bb.1859:
	global_load_ushort v5, v[7:8], off
	s_mov_b64 s[6:7], 0
	s_mov_b64 s[14:15], -1
	s_branch .LBB164_1864
.LBB164_1860:
	s_mov_b64 s[16:17], -1
                                        ; implicit-def: $vgpr5
	s_branch .LBB164_1865
.LBB164_1861:
	s_or_saveexec_b64 s[14:15], s[14:15]
	v_mov_b32_e32 v13, 0x7f800001
	s_xor_b64 exec, exec, s[14:15]
	s_cbranch_execz .LBB164_1842
.LBB164_1862:
	v_cmp_ne_u16_e32 vcc, 0, v5
	s_andn2_b64 s[8:9], s[8:9], exec
	s_and_b64 s[16:17], vcc, exec
	v_mov_b32_e32 v13, 0
	s_or_b64 s[8:9], s[8:9], s[16:17]
	s_or_b64 exec, exec, s[14:15]
	s_and_saveexec_b64 s[14:15], s[8:9]
	s_cbranch_execnz .LBB164_1843
	s_branch .LBB164_1844
.LBB164_1863:
	s_mov_b64 s[6:7], -1
                                        ; implicit-def: $vgpr5
.LBB164_1864:
	s_mov_b64 s[16:17], 0
.LBB164_1865:
	s_and_b64 vcc, exec, s[16:17]
	s_cbranch_vccz .LBB164_1867
; %bb.1866:
	s_cmp_lg_u32 s22, 11
	s_mov_b64 s[8:9], -1
	s_cselect_b64 s[6:7], -1, 0
.LBB164_1867:
	s_and_b64 vcc, exec, s[6:7]
	s_cbranch_vccnz .LBB164_2438
; %bb.1868:
	s_andn2_b64 vcc, exec, s[8:9]
	s_cbranch_vccnz .LBB164_1870
.LBB164_1869:
	global_load_ubyte v5, v[7:8], off
	s_mov_b64 s[14:15], -1
	s_waitcnt vmcnt(0)
	v_cmp_ne_u16_e32 vcc, 0, v5
	v_cndmask_b32_e64 v5, 0, 1.0, vcc
	v_lshrrev_b32_e32 v5, 16, v5
.LBB164_1870:
	s_mov_b64 s[6:7], 0
.LBB164_1871:
	s_and_b64 vcc, exec, s[6:7]
	s_cbranch_vccz .LBB164_1920
; %bb.1872:
	s_and_b32 s8, 0xffff, s21
	s_cmp_lt_i32 s8, 5
	s_cbranch_scc1 .LBB164_1877
; %bb.1873:
	s_cmp_lt_i32 s8, 8
	s_cbranch_scc1 .LBB164_1878
; %bb.1874:
	;; [unrolled: 3-line block ×3, first 2 shown]
	s_cmp_gt_i32 s8, 9
	s_cbranch_scc0 .LBB164_1880
; %bb.1876:
	global_load_dwordx2 v[13:14], v[7:8], off
	s_movk_i32 s6, 0x7fff
	s_waitcnt vmcnt(0)
	v_cvt_f32_f64_e32 v5, v[13:14]
	v_mov_b32_e32 v13, 0x7fc0
	v_bfe_u32 v14, v5, 16, 1
	v_cmp_o_f32_e32 vcc, v5, v5
	v_add3_u32 v5, v5, v14, s6
	v_cndmask_b32_sdwa v5, v13, v5, vcc dst_sel:DWORD dst_unused:UNUSED_PAD src0_sel:DWORD src1_sel:WORD_1
	s_mov_b64 s[6:7], 0
	s_branch .LBB164_1881
.LBB164_1877:
	s_mov_b64 s[6:7], -1
                                        ; implicit-def: $vgpr5
	s_branch .LBB164_1899
.LBB164_1878:
	s_mov_b64 s[6:7], -1
                                        ; implicit-def: $vgpr5
	s_branch .LBB164_1887
.LBB164_1879:
	s_mov_b64 s[6:7], -1
                                        ; implicit-def: $vgpr5
	s_branch .LBB164_1884
.LBB164_1880:
	s_mov_b64 s[6:7], -1
                                        ; implicit-def: $vgpr5
.LBB164_1881:
	s_andn2_b64 vcc, exec, s[6:7]
	s_cbranch_vccnz .LBB164_1883
; %bb.1882:
	global_load_dword v5, v[7:8], off
	s_movk_i32 s6, 0x7fff
	v_mov_b32_e32 v13, 0x7fc0
	s_waitcnt vmcnt(0)
	v_bfe_u32 v14, v5, 16, 1
	v_cmp_o_f32_e32 vcc, v5, v5
	v_add3_u32 v5, v5, v14, s6
	v_cndmask_b32_sdwa v5, v13, v5, vcc dst_sel:DWORD dst_unused:UNUSED_PAD src0_sel:DWORD src1_sel:WORD_1
.LBB164_1883:
	s_mov_b64 s[6:7], 0
.LBB164_1884:
	s_andn2_b64 vcc, exec, s[6:7]
	s_cbranch_vccnz .LBB164_1886
; %bb.1885:
	global_load_dword v5, v[7:8], off
	s_movk_i32 s6, 0x7fff
	v_mov_b32_e32 v14, 0x7fc0
	s_waitcnt vmcnt(0)
	v_cvt_f32_f16_e32 v13, v5
	v_cmp_o_f16_e32 vcc, v5, v5
	v_bfe_u32 v5, v13, 16, 1
	v_add3_u32 v5, v13, v5, s6
	v_cndmask_b32_sdwa v5, v14, v5, vcc dst_sel:DWORD dst_unused:UNUSED_PAD src0_sel:DWORD src1_sel:WORD_1
.LBB164_1886:
	s_mov_b64 s[6:7], 0
.LBB164_1887:
	s_andn2_b64 vcc, exec, s[6:7]
	s_cbranch_vccnz .LBB164_1898
; %bb.1888:
	s_cmp_lt_i32 s8, 6
	s_cbranch_scc1 .LBB164_1891
; %bb.1889:
	s_cmp_gt_i32 s8, 6
	s_cbranch_scc0 .LBB164_1892
; %bb.1890:
	global_load_dwordx2 v[13:14], v[7:8], off
	s_movk_i32 s6, 0x7fff
	s_waitcnt vmcnt(0)
	v_cvt_f32_f64_e32 v5, v[13:14]
	v_mov_b32_e32 v13, 0x7fc0
	v_bfe_u32 v14, v5, 16, 1
	v_cmp_o_f32_e32 vcc, v5, v5
	v_add3_u32 v5, v5, v14, s6
	v_cndmask_b32_sdwa v5, v13, v5, vcc dst_sel:DWORD dst_unused:UNUSED_PAD src0_sel:DWORD src1_sel:WORD_1
	s_mov_b64 s[6:7], 0
	s_branch .LBB164_1893
.LBB164_1891:
	s_mov_b64 s[6:7], -1
                                        ; implicit-def: $vgpr5
	s_branch .LBB164_1896
.LBB164_1892:
	s_mov_b64 s[6:7], -1
                                        ; implicit-def: $vgpr5
.LBB164_1893:
	s_andn2_b64 vcc, exec, s[6:7]
	s_cbranch_vccnz .LBB164_1895
; %bb.1894:
	global_load_dword v5, v[7:8], off
	s_movk_i32 s6, 0x7fff
	v_mov_b32_e32 v13, 0x7fc0
	s_waitcnt vmcnt(0)
	v_bfe_u32 v14, v5, 16, 1
	v_cmp_o_f32_e32 vcc, v5, v5
	v_add3_u32 v5, v5, v14, s6
	v_cndmask_b32_sdwa v5, v13, v5, vcc dst_sel:DWORD dst_unused:UNUSED_PAD src0_sel:DWORD src1_sel:WORD_1
.LBB164_1895:
	s_mov_b64 s[6:7], 0
.LBB164_1896:
	s_andn2_b64 vcc, exec, s[6:7]
	s_cbranch_vccnz .LBB164_1898
; %bb.1897:
	global_load_ushort v5, v[7:8], off
	s_movk_i32 s6, 0x7fff
	v_mov_b32_e32 v14, 0x7fc0
	s_waitcnt vmcnt(0)
	v_cvt_f32_f16_e32 v13, v5
	v_cmp_o_f16_e32 vcc, v5, v5
	v_bfe_u32 v5, v13, 16, 1
	v_add3_u32 v5, v13, v5, s6
	v_cndmask_b32_sdwa v5, v14, v5, vcc dst_sel:DWORD dst_unused:UNUSED_PAD src0_sel:DWORD src1_sel:WORD_1
.LBB164_1898:
	s_mov_b64 s[6:7], 0
.LBB164_1899:
	s_andn2_b64 vcc, exec, s[6:7]
	s_cbranch_vccnz .LBB164_1919
; %bb.1900:
	s_cmp_lt_i32 s8, 2
	s_cbranch_scc1 .LBB164_1904
; %bb.1901:
	s_cmp_lt_i32 s8, 3
	s_cbranch_scc1 .LBB164_1905
; %bb.1902:
	s_cmp_gt_i32 s8, 3
	s_cbranch_scc0 .LBB164_1906
; %bb.1903:
	global_load_dwordx2 v[13:14], v[7:8], off
	s_movk_i32 s6, 0x7fff
	s_waitcnt vmcnt(0)
	v_xor_b32_e32 v15, v13, v14
	v_ffbh_i32_e32 v5, v14
	v_ashrrev_i32_e32 v15, 31, v15
	v_add_u32_e32 v5, -1, v5
	v_add_u32_e32 v15, 32, v15
	v_min_u32_e32 v5, v5, v15
	v_lshlrev_b64 v[13:14], v5, v[13:14]
	v_sub_u32_e32 v5, 32, v5
	v_min_u32_e32 v13, 1, v13
	v_or_b32_e32 v13, v14, v13
	v_cvt_f32_i32_e32 v13, v13
	v_ldexp_f32 v5, v13, v5
	v_bfe_u32 v13, v5, 16, 1
	v_add3_u32 v5, v5, v13, s6
	v_lshrrev_b32_e32 v5, 16, v5
	s_mov_b64 s[6:7], 0
	s_branch .LBB164_1907
.LBB164_1904:
	s_mov_b64 s[6:7], -1
                                        ; implicit-def: $vgpr5
	s_branch .LBB164_1913
.LBB164_1905:
	s_mov_b64 s[6:7], -1
                                        ; implicit-def: $vgpr5
	s_branch .LBB164_1910
.LBB164_1906:
	s_mov_b64 s[6:7], -1
                                        ; implicit-def: $vgpr5
.LBB164_1907:
	s_andn2_b64 vcc, exec, s[6:7]
	s_cbranch_vccnz .LBB164_1909
; %bb.1908:
	global_load_dword v5, v[7:8], off
	s_movk_i32 s6, 0x7fff
	s_waitcnt vmcnt(0)
	v_cvt_f32_i32_e32 v5, v5
	v_bfe_u32 v13, v5, 16, 1
	v_add3_u32 v5, v5, v13, s6
	v_lshrrev_b32_e32 v5, 16, v5
.LBB164_1909:
	s_mov_b64 s[6:7], 0
.LBB164_1910:
	s_andn2_b64 vcc, exec, s[6:7]
	s_cbranch_vccnz .LBB164_1912
; %bb.1911:
	global_load_sshort v5, v[7:8], off
	s_movk_i32 s6, 0x7fff
	s_waitcnt vmcnt(0)
	v_cvt_f32_i32_e32 v5, v5
	v_bfe_u32 v13, v5, 16, 1
	v_add3_u32 v5, v5, v13, s6
	v_lshrrev_b32_e32 v5, 16, v5
.LBB164_1912:
	s_mov_b64 s[6:7], 0
.LBB164_1913:
	s_andn2_b64 vcc, exec, s[6:7]
	s_cbranch_vccnz .LBB164_1919
; %bb.1914:
	s_cmp_gt_i32 s8, 0
	s_cbranch_scc0 .LBB164_1916
; %bb.1915:
	global_load_sbyte v5, v[7:8], off
	s_movk_i32 s6, 0x7fff
	s_waitcnt vmcnt(0)
	v_cvt_f32_i32_e32 v5, v5
	v_bfe_u32 v13, v5, 16, 1
	v_add3_u32 v5, v5, v13, s6
	v_lshrrev_b32_e32 v5, 16, v5
	s_mov_b64 s[6:7], 0
	s_branch .LBB164_1917
.LBB164_1916:
	s_mov_b64 s[6:7], -1
                                        ; implicit-def: $vgpr5
.LBB164_1917:
	s_andn2_b64 vcc, exec, s[6:7]
	s_cbranch_vccnz .LBB164_1919
; %bb.1918:
	global_load_ubyte v5, v[7:8], off
	s_movk_i32 s6, 0x7fff
	s_waitcnt vmcnt(0)
	v_cvt_f32_ubyte0_e32 v5, v5
	v_bfe_u32 v7, v5, 16, 1
	v_add3_u32 v5, v5, v7, s6
	v_lshrrev_b32_e32 v5, 16, v5
.LBB164_1919:
	s_mov_b64 s[14:15], -1
.LBB164_1920:
	s_andn2_b64 vcc, exec, s[14:15]
	s_cbranch_vccnz .LBB164_2392
; %bb.1921:
	s_waitcnt vmcnt(0)
	v_lshlrev_b32_e32 v7, 16, v5
	s_mov_b32 s6, 0x3c800000
	v_and_b32_e32 v5, 0x7fffffff, v7
	v_cmp_nlt_f32_e64 s[6:7], |v7|, s6
                                        ; implicit-def: $vgpr8
	s_and_saveexec_b64 s[8:9], s[6:7]
	s_xor_b64 s[8:9], exec, s[8:9]
	s_cbranch_execz .LBB164_1951
; %bb.1922:
	v_cmp_nlt_f32_e64 s[6:7], |v7|, 2.0
                                        ; implicit-def: $vgpr8
	s_and_saveexec_b64 s[14:15], s[6:7]
	s_xor_b64 s[14:15], exec, s[14:15]
	s_cbranch_execz .LBB164_1932
; %bb.1923:
	s_mov_b32 s6, 0x41000000
	v_cmp_nlt_f32_e64 s[6:7], |v7|, s6
                                        ; implicit-def: $vgpr8
	s_and_saveexec_b64 s[16:17], s[6:7]
	s_xor_b64 s[16:17], exec, s[16:17]
	s_cbranch_execz .LBB164_1929
; %bb.1924:
	s_mov_b32 s6, 0x5c800000
	v_cmp_nlt_f32_e64 s[6:7], |v7|, s6
                                        ; implicit-def: $vgpr8
	s_and_saveexec_b64 s[18:19], s[6:7]
	s_xor_b64 s[18:19], exec, s[18:19]
	s_cbranch_execz .LBB164_1926
; %bb.1925:
	s_mov_b32 s6, 0x800000
	v_cmp_lt_f32_e64 vcc, |v7|, s6
	v_cndmask_b32_e64 v8, 0, 32, vcc
	v_ldexp_f32 v8, |v7|, v8
	v_log_f32_e32 v8, v8
	s_mov_b32 s6, 0x3f317217
	s_mov_b32 s7, 0x7f800000
	v_mul_f32_e32 v13, 0x3f317217, v8
	v_fma_f32 v14, v8, s6, -v13
	v_fmac_f32_e32 v14, 0x3377d1cf, v8
	v_add_f32_e32 v13, v13, v14
	v_cmp_lt_f32_e64 s[6:7], |v8|, s7
	v_cndmask_b32_e64 v8, v8, v13, s[6:7]
	v_mov_b32_e32 v13, 0x41b17218
	v_cndmask_b32_e32 v13, 0, v13, vcc
	v_sub_f32_e32 v8, v8, v13
	v_fma_f32 v8, |v7|, v8, -|v7|
.LBB164_1926:
	s_andn2_saveexec_b64 s[18:19], s[18:19]
	s_cbranch_execz .LBB164_1928
; %bb.1927:
	v_rcp_f32_e64 v13, |v7|
	v_mov_b32_e32 v8, 0x3a5b3dd2
	v_mov_b32_e32 v14, 0xba1c065c
	;; [unrolled: 1-line block ×3, first 2 shown]
	v_mul_f32_e32 v16, v13, v13
	v_fmac_f32_e32 v8, 0xbad5c4e8, v16
	v_fmac_f32_e32 v14, v16, v8
	s_mov_b32 s6, 0x800000
	v_fmac_f32_e32 v15, v16, v14
	v_mov_b32_e32 v8, 0xbb360b61
	v_cmp_lt_f32_e64 vcc, |v7|, s6
	v_fmac_f32_e32 v8, v16, v15
	v_cndmask_b32_e64 v15, 0, 32, vcc
	v_ldexp_f32 v15, |v7|, v15
	v_log_f32_e32 v15, v15
	v_mov_b32_e32 v14, 0x3daaaaab
	v_fmac_f32_e32 v14, v16, v8
	v_mov_b32_e32 v8, 0x3ed67f1d
	v_fmac_f32_e32 v8, v13, v14
	s_mov_b32 s6, 0x3f317217
	v_mul_f32_e32 v14, 0x3f317217, v15
	v_fma_f32 v16, v15, s6, -v14
	v_fmac_f32_e32 v16, 0x3377d1cf, v15
	s_mov_b32 s6, 0x7f800000
	v_add_f32_e32 v14, v14, v16
	v_cmp_lt_f32_e64 s[6:7], |v15|, s6
	v_cndmask_b32_e64 v14, v15, v14, s[6:7]
	v_mov_b32_e32 v15, 0x41b17218
	v_cndmask_b32_e32 v15, 0, v15, vcc
	v_sub_f32_e32 v14, v14, v15
	v_add_f32_e64 v13, |v7|, -0.5
	v_add_f32_e32 v14, -1.0, v14
	v_fmac_f32_e32 v8, v13, v14
.LBB164_1928:
	s_or_b64 exec, exec, s[18:19]
.LBB164_1929:
	s_andn2_saveexec_b64 s[16:17], s[16:17]
	s_cbranch_execz .LBB164_1931
; %bb.1930:
	v_cvt_i32_f32_e32 v8, v5
	v_mov_b32_e32 v13, 0x3af135b4
	v_mov_b32_e32 v14, 0x3cda40e4
	;; [unrolled: 1-line block ×3, first 2 shown]
	v_cvt_f32_i32_e32 v16, v8
	v_mov_b32_e32 v17, 0x3ea6cc7a
	v_mov_b32_e32 v18, 0x3e5c245a
	v_cmp_lt_i32_e32 vcc, 2, v8
	v_sub_f32_e64 v16, |v7|, v16
	v_fmac_f32_e32 v13, 0x3805ff67, v16
	v_fmac_f32_e32 v14, v16, v13
	;; [unrolled: 1-line block ×3, first 2 shown]
	v_mov_b32_e32 v14, 0x3a4beed6
	v_fmac_f32_e32 v17, v16, v15
	v_fmac_f32_e32 v14, 0x36f5d7bd, v16
	v_mov_b32_e32 v15, 0x3c98bf54
	v_fmac_f32_e32 v15, v16, v14
	v_mov_b32_e32 v14, 0x3e300f6e
	;; [unrolled: 2-line block ×4, first 2 shown]
	v_fmac_f32_e32 v14, v16, v15
	v_add_f32_e32 v15, 2.0, v16
	v_mov_b32_e32 v19, 0xbd9e233f
	v_fmac_f32_e32 v18, v16, v17
	v_add_f32_e32 v17, 0x40400000, v16
	v_cndmask_b32_e32 v15, 1.0, v15, vcc
	v_cmp_lt_i32_e32 vcc, 3, v8
	v_fmac_f32_e32 v19, v16, v18
	v_add_f32_e32 v18, 4.0, v16
	v_cndmask_b32_e32 v17, 1.0, v17, vcc
	v_cmp_lt_i32_e32 vcc, 4, v8
	v_mul_f32_e32 v13, v16, v19
	v_add_f32_e32 v19, 0x40a00000, v16
	v_mul_f32_e32 v15, v15, v17
	v_cndmask_b32_e32 v17, 1.0, v18, vcc
	v_cmp_lt_i32_e32 vcc, 5, v8
	v_add_f32_e32 v20, 0x40c00000, v16
	v_mul_f32_e32 v15, v17, v15
	v_cndmask_b32_e32 v17, 1.0, v19, vcc
	v_cmp_lt_i32_e32 vcc, 6, v8
	v_mul_f32_e32 v15, v17, v15
	v_cndmask_b32_e32 v8, 1.0, v20, vcc
	v_mul_f32_e32 v8, v8, v15
	s_mov_b32 s6, 0x800000
	v_cmp_gt_f32_e32 vcc, s6, v8
	v_cndmask_b32_e64 v15, 0, 32, vcc
	v_fma_f32 v14, v16, v14, 1.0
	v_ldexp_f32 v8, v8, v15
	v_rcp_f32_e32 v14, v14
	v_log_f32_e32 v8, v8
	s_mov_b32 s6, 0x3f317217
	v_mul_f32_e32 v13, v13, v14
	v_mul_f32_e32 v14, 0x3f317217, v8
	v_fma_f32 v15, v8, s6, -v14
	v_fmac_f32_e32 v15, 0x3377d1cf, v8
	s_mov_b32 s6, 0x7f800000
	v_add_f32_e32 v14, v14, v15
	v_cmp_lt_f32_e64 s[6:7], |v8|, s6
	v_cndmask_b32_e64 v8, v8, v14, s[6:7]
	v_mov_b32_e32 v14, 0x41b17218
	v_cndmask_b32_e32 v14, 0, v14, vcc
	v_fmac_f32_e32 v13, 0.5, v16
	v_sub_f32_e32 v8, v8, v14
	v_add_f32_e32 v8, v8, v13
.LBB164_1931:
	s_or_b64 exec, exec, s[16:17]
.LBB164_1932:
	s_andn2_saveexec_b64 s[14:15], s[14:15]
	s_cbranch_execz .LBB164_1950
; %bb.1933:
	s_mov_b32 s6, 0x3f666666
	v_cmp_le_f32_e64 s[6:7], |v7|, s6
                                        ; implicit-def: $vgpr8
                                        ; implicit-def: $vgpr14
                                        ; implicit-def: $vgpr13
	s_and_saveexec_b64 s[16:17], s[6:7]
	s_xor_b64 s[16:17], exec, s[16:17]
	s_cbranch_execz .LBB164_1935
; %bb.1934:
	s_mov_b32 s6, 0x800000
	v_cmp_lt_f32_e64 vcc, |v7|, s6
	v_cndmask_b32_e64 v8, 0, 32, vcc
	v_ldexp_f32 v8, |v7|, v8
	v_log_f32_e32 v8, v8
	s_mov_b32 s6, 0x3f317217
	s_mov_b32 s7, 0x7f800000
	v_mul_f32_e32 v13, 0x3f317217, v8
	v_fma_f32 v14, v8, s6, -v13
	v_fmac_f32_e32 v14, 0x3377d1cf, v8
	v_add_f32_e32 v13, v13, v14
	v_cmp_lt_f32_e64 s[6:7], |v8|, s7
	v_cndmask_b32_e64 v8, v8, v13, s[6:7]
	v_mov_b32_e32 v13, 0x41b17218
	v_cndmask_b32_e32 v13, 0, v13, vcc
	s_mov_b32 s6, 0x3f3b4a23
	s_mov_b32 s7, 0xbeec5b0c
	v_sub_f32_e32 v8, v8, v13
	v_sub_f32_e64 v13, 1.0, |v7|
	v_add_f32_e64 v14, |v7|, s7
	v_cmp_lt_f32_e64 vcc, |v7|, s6
	s_mov_b32 s6, 0x3e6d3309
	v_cndmask_b32_e32 v13, v13, v14, vcc
	v_cndmask_b32_e64 v14, 0, 1, vcc
	v_cmp_lt_f32_e64 s[6:7], |v7|, s6
	v_xor_b32_e32 v8, 0x80000000, v8
	v_cndmask_b32_e64 v13, v13, |v7|, s[6:7]
	v_cndmask_b32_e64 v14, v14, 2, s[6:7]
.LBB164_1935:
	s_andn2_saveexec_b64 s[6:7], s[16:17]
	s_cbranch_execz .LBB164_1937
; %bb.1936:
	s_mov_b32 s16, 0x3fdda512
	s_mov_b32 s17, 0xbfbb16c3
	v_sub_f32_e64 v8, 2.0, |v7|
	v_add_f32_e64 v13, |v7|, s17
	v_cmp_lt_f32_e64 vcc, |v7|, s16
	v_cndmask_b32_e32 v13, v8, v13, vcc
	v_cndmask_b32_e64 v8, v8, 1.0, vcc
	v_cvt_i32_f32_e32 v8, v8
	s_mov_b32 s16, 0x3f9d70a4
	v_add_f32_e64 v14, |v7|, -1.0
	v_cmp_lt_f32_e64 vcc, |v7|, s16
	v_cndmask_b32_e32 v13, v13, v14, vcc
	v_cndmask_b32_e64 v14, v8, 2, vcc
	v_mov_b32_e32 v8, 0
.LBB164_1937:
	s_or_b64 exec, exec, s[6:7]
	v_cmp_lt_i32_e32 vcc, 0, v14
	s_and_saveexec_b64 s[6:7], vcc
	s_xor_b64 s[6:7], exec, s[6:7]
	s_cbranch_execz .LBB164_1945
; %bb.1938:
	v_cmp_lt_i32_e32 vcc, 1, v14
	s_and_saveexec_b64 s[16:17], vcc
	s_xor_b64 s[16:17], exec, s[16:17]
	s_cbranch_execz .LBB164_1942
; %bb.1939:
	v_cmp_eq_u32_e32 vcc, 2, v14
	s_and_saveexec_b64 s[18:19], vcc
	s_cbranch_execz .LBB164_1941
; %bb.1940:
	v_mov_b32_e32 v14, 0x3e6a7578
	v_fmac_f32_e32 v14, 0x3c5b3c5e, v13
	v_mov_b32_e32 v15, 0x3f7a4bb2
	v_fmac_f32_e32 v15, v13, v14
	;; [unrolled: 2-line block ×8, first 2 shown]
	v_fma_f32 v14, v13, v16, 1.0
	v_rcp_f32_e32 v14, v14
	v_mov_b32_e32 v16, 0xbd9e233f
	v_fmac_f32_e32 v16, v13, v15
	v_mul_f32_e32 v15, v13, v16
	v_mul_f32_e32 v14, v15, v14
	v_fmac_f32_e32 v14, -0.5, v13
	v_add_f32_e32 v8, v8, v14
.LBB164_1941:
	s_or_b64 exec, exec, s[18:19]
                                        ; implicit-def: $vgpr13
.LBB164_1942:
	s_andn2_saveexec_b64 s[16:17], s[16:17]
	s_cbranch_execz .LBB164_1944
; %bb.1943:
	v_mul_f32_e32 v14, v13, v13
	v_mul_f32_e32 v15, v13, v14
	v_mov_b32_e32 v16, 0xbab7f476
	v_fmac_f32_e32 v16, 0x39a57b6b, v15
	v_mov_b32_e32 v17, 0x3bc7e707
	v_fmac_f32_e32 v17, v15, v16
	;; [unrolled: 2-line block ×12, first 2 shown]
	v_fmac_f32_e32 v18, v13, v19
	s_mov_b32 s18, 0xa2863e55
	v_fma_f32 v13, v15, -v18, s18
	v_fma_f32 v13, v14, v17, -v13
	v_add_f32_e32 v13, 0xbdf8cdce, v13
	v_add_f32_e32 v8, v8, v13
.LBB164_1944:
	s_or_b64 exec, exec, s[16:17]
                                        ; implicit-def: $vgpr14
                                        ; implicit-def: $vgpr13
.LBB164_1945:
	s_andn2_saveexec_b64 s[6:7], s[6:7]
	s_cbranch_execz .LBB164_1949
; %bb.1946:
	v_cmp_eq_u32_e32 vcc, 0, v14
	s_and_saveexec_b64 s[16:17], vcc
	s_cbranch_execz .LBB164_1948
; %bb.1947:
	v_mul_f32_e32 v14, v13, v13
	v_mov_b32_e32 v15, 0x39679767
	v_fmac_f32_e32 v15, 0x37d383a2, v14
	v_mov_b32_e32 v16, 0x3a9c54a1
	v_fmac_f32_e32 v16, v14, v15
	;; [unrolled: 2-line block ×10, first 2 shown]
	v_mul_f32_e32 v14, v14, v16
	v_fmac_f32_e32 v14, v13, v15
	v_fmac_f32_e32 v14, -0.5, v13
	v_add_f32_e32 v8, v8, v14
.LBB164_1948:
	s_or_b64 exec, exec, s[16:17]
.LBB164_1949:
	s_or_b64 exec, exec, s[6:7]
.LBB164_1950:
	s_or_b64 exec, exec, s[14:15]
.LBB164_1951:
	s_andn2_saveexec_b64 s[8:9], s[8:9]
	s_cbranch_execz .LBB164_1953
; %bb.1952:
	s_mov_b32 s6, 0x3e8a8991
	v_mov_b32_e32 v8, 0xbecd26ab
	v_fma_f32 v8, |v7|, s6, v8
	s_mov_b32 s6, 0x3f528d33
	v_fma_f32 v8, |v7|, v8, s6
	s_mov_b32 s6, 0x800000
	v_cmp_lt_f32_e64 vcc, |v7|, s6
	v_cndmask_b32_e64 v13, 0, 32, vcc
	v_ldexp_f32 v13, |v7|, v13
	v_log_f32_e32 v13, v13
	s_mov_b32 s6, 0xbf13c468
	v_fma_f32 v8, |v7|, v8, s6
	s_mov_b32 s6, 0x3f317217
	v_mul_f32_e32 v14, 0x3f317217, v13
	v_fma_f32 v15, v13, s6, -v14
	v_fmac_f32_e32 v15, 0x3377d1cf, v13
	s_mov_b32 s6, 0x7f800000
	v_add_f32_e32 v14, v14, v15
	v_cmp_lt_f32_e64 s[6:7], |v13|, s6
	v_cndmask_b32_e64 v13, v13, v14, s[6:7]
	v_mov_b32_e32 v14, 0x41b17218
	v_cndmask_b32_e32 v14, 0, v14, vcc
	v_sub_f32_e32 v13, v13, v14
	v_fma_f32 v8, |v7|, v8, -v13
.LBB164_1953:
	s_or_b64 exec, exec, s[8:9]
	v_cmp_le_f32_e64 s[6:7], 0, v7
	v_cmp_nle_f32_e32 vcc, 0, v7
	s_and_saveexec_b64 s[8:9], vcc
	s_xor_b64 s[14:15], exec, s[8:9]
	s_cbranch_execz .LBB164_1957
; %bb.1954:
	s_mov_b32 s8, 0x4b000000
	s_mov_b32 s16, 0x35000000
	v_cmp_lt_f32_e64 s[8:9], |v7|, s8
	v_cmp_gt_f32_e64 s[16:17], |v7|, s16
	s_and_b64 s[8:9], s[8:9], s[16:17]
	s_and_saveexec_b64 s[16:17], s[8:9]
	s_cbranch_execz .LBB164_1956
; %bb.1955:
	v_mul_f32_e64 v13, |v7|, 0.5
	v_floor_f32_e32 v14, v13
	v_sub_f32_e32 v14, v13, v14
	v_min_f32_e32 v14, 0x3f7fffff, v14
	s_mov_b32 s18, 0x7f800000
	v_add_f32_e32 v14, v14, v14
	v_cmp_neq_f32_e32 vcc, s18, v13
	v_cndmask_b32_e32 v13, 0, v14, vcc
	v_cmp_gt_f32_e64 s[8:9], |v7|, 1.0
	v_cndmask_b32_e64 v13, |v7|, v13, s[8:9]
	v_add_f32_e32 v14, v13, v13
	v_rndne_f32_e32 v14, v14
	v_fmac_f32_e32 v13, -0.5, v14
	v_mul_f32_e32 v15, v13, v13
	v_mov_b32_e32 v16, 0xbf1f24be
	v_fmac_f32_e32 v16, 0x3e75aa41, v15
	v_mov_b32_e32 v17, 0x40234736
	v_fmac_f32_e32 v17, v15, v16
	;; [unrolled: 2-line block ×3, first 2 shown]
	v_mul_f32_e32 v17, v13, v15
	v_mul_f32_e32 v16, v17, v16
	v_fmac_f32_e32 v16, 0x40490fdb, v13
	v_mov_b32_e32 v13, 0x3e642e9d
	v_cvt_i32_f32_e32 v14, v14
	v_fmac_f32_e32 v13, 0x3d4be544, v15
	v_mov_b32_e32 v17, 0xbfaad1da
	v_fmac_f32_e32 v17, v15, v13
	v_mov_b32_e32 v13, 0x4081e0d3
	v_fmac_f32_e32 v13, v15, v17
	v_mov_b32_e32 v17, 0xc09de9e6
	v_fmac_f32_e32 v17, v15, v13
	v_fma_f32 v13, v15, v17, 1.0
	v_and_b32_e32 v15, 1, v14
	v_cmp_eq_u32_e32 vcc, 0, v15
	v_lshlrev_b32_e32 v14, 30, v14
	s_brev_b32 s8, 1
	v_cndmask_b32_e32 v13, v13, v16, vcc
	v_and_or_b32 v5, v14, s8, v5
	v_xor_b32_e32 v5, v5, v13
	v_xor_b32_e32 v5, v5, v7
	v_mul_f32_e32 v5, v7, v5
	v_frexp_mant_f32_e64 v13, |v5|
	v_rcp_f32_e32 v13, v13
	v_frexp_exp_i32_f32_e32 v5, v5
	v_sub_u32_e32 v5, 2, v5
	s_mov_b32 s8, 0x800000
	v_mul_f32_e32 v13, 0x3f490fdb, v13
	v_ldexp_f32 v5, v13, v5
	v_cmp_gt_f32_e32 vcc, s8, v5
	v_cndmask_b32_e64 v13, 0, 32, vcc
	v_ldexp_f32 v5, v5, v13
	v_log_f32_e32 v5, v5
	s_mov_b32 s8, 0x3f317217
	v_mul_f32_e32 v13, 0x3f317217, v5
	v_fma_f32 v14, v5, s8, -v13
	v_fmac_f32_e32 v14, 0x3377d1cf, v5
	v_add_f32_e32 v13, v13, v14
	v_cmp_lt_f32_e64 s[8:9], |v5|, s18
	v_cndmask_b32_e64 v5, v5, v13, s[8:9]
	v_mov_b32_e32 v13, 0x41b17218
	v_cndmask_b32_e32 v13, 0, v13, vcc
	v_sub_f32_e32 v5, v5, v13
	v_sub_f32_e32 v5, v5, v8
	v_floor_f32_e32 v8, v7
	v_sub_f32_e32 v8, v7, v8
	v_min_f32_e32 v8, 0x3f7fffff, v8
	v_mov_b32_e32 v13, 0x7f800000
	v_cmp_neq_f32_e32 vcc, 0, v8
	v_cndmask_b32_e32 v8, v13, v5, vcc
.LBB164_1956:
	s_or_b64 exec, exec, s[16:17]
.LBB164_1957:
	s_andn2_saveexec_b64 s[14:15], s[14:15]
; %bb.1958:
	v_cmp_eq_f32_e32 vcc, 1.0, v7
	v_cmp_eq_f32_e64 s[8:9], 2.0, v7
	s_or_b64 s[8:9], vcc, s[8:9]
	v_cndmask_b32_e64 v8, v8, 0, s[8:9]
; %bb.1959:
	s_or_b64 exec, exec, s[14:15]
	s_mov_b32 s8, 0x4b000000
	v_cmp_lt_f32_e64 s[8:9], |v1|, s8
	v_mov_b32_e32 v5, 0x264
	v_mov_b32_e32 v13, 0x7f800000
	s_or_b64 vcc, s[0:1], s[8:9]
	v_cndmask_b32_e32 v3, v13, v3, vcc
	v_cmp_class_f32_e32 vcc, v1, v5
	v_cndmask_b32_e32 v3, v3, v13, vcc
	v_cmp_u_f32_e32 vcc, v1, v1
	v_cndmask_b32_e32 v1, v3, v1, vcc
	v_bfe_u32 v3, v1, 16, 1
	s_movk_i32 s0, 0x7fff
	v_add3_u32 v3, v1, v3, s0
	v_cmp_o_f32_e32 vcc, v1, v1
	v_mov_b32_e32 v1, 0x7fc0
	s_bfe_u32 s21, s20, 0x80008
	v_cndmask_b32_sdwa v1, v1, v3, vcc dst_sel:DWORD dst_unused:UNUSED_PAD src0_sel:DWORD src1_sel:WORD_1
	v_mov_b32_e32 v3, s13
	v_add_co_u32_e32 v5, vcc, s12, v6
	s_cmp_lt_i32 s21, 11
	v_addc_co_u32_e32 v6, vcc, 0, v3, vcc
	s_cbranch_scc1 .LBB164_2037
; %bb.1960:
	s_and_b32 s22, 0xffff, s21
	s_mov_b64 s[16:17], -1
	s_mov_b64 s[8:9], 0
	s_cmp_gt_i32 s22, 25
	s_mov_b64 s[14:15], 0
	s_mov_b64 s[0:1], 0
	s_cbranch_scc0 .LBB164_1993
; %bb.1961:
	s_cmp_gt_i32 s22, 28
	s_cbranch_scc0 .LBB164_1976
; %bb.1962:
	s_cmp_gt_i32 s22, 43
	s_cbranch_scc0 .LBB164_1972
; %bb.1963:
	s_cmp_gt_i32 s22, 45
	s_cbranch_scc0 .LBB164_1966
; %bb.1964:
	s_mov_b64 s[0:1], -1
	s_mov_b64 s[16:17], 0
	s_cmp_eq_u32 s22, 46
	s_cbranch_scc0 .LBB164_1966
; %bb.1965:
	v_and_b32_e32 v3, 0xffff, v1
	global_store_dword v[5:6], v3, off
	s_mov_b64 s[0:1], 0
	s_mov_b64 s[14:15], -1
.LBB164_1966:
	s_and_b64 vcc, exec, s[16:17]
	s_cbranch_vccz .LBB164_1971
; %bb.1967:
	s_cmp_eq_u32 s22, 44
	s_mov_b64 s[0:1], -1
	s_cbranch_scc0 .LBB164_1971
; %bb.1968:
	v_and_b32_e32 v13, 0xffff, v1
	v_bfe_u32 v3, v13, 7, 8
	s_movk_i32 s0, 0xff
	v_cmp_ne_u32_e32 vcc, s0, v3
	v_mov_b32_e32 v14, 0xff
	s_and_saveexec_b64 s[14:15], vcc
	s_cbranch_execz .LBB164_1970
; %bb.1969:
	v_lshlrev_b32_e32 v15, 16, v13
	s_mov_b32 s0, 0x3f0000
	v_lshrrev_b32_e32 v14, 7, v13
	v_and_b32_e32 v13, 64, v13
	v_and_or_b32 v3, v15, s0, v3
	v_cmp_ne_u32_e32 vcc, 0, v13
	v_cmp_ne_u32_e64 s[0:1], 0, v3
	s_and_b64 s[0:1], vcc, s[0:1]
	v_cndmask_b32_e64 v3, 0, 1, s[0:1]
	v_add_u32_e32 v14, v14, v3
.LBB164_1970:
	s_or_b64 exec, exec, s[14:15]
	s_mov_b64 s[0:1], 0
	s_mov_b64 s[14:15], -1
	global_store_byte v[5:6], v14, off
.LBB164_1971:
	s_mov_b64 s[16:17], 0
.LBB164_1972:
	s_and_b64 vcc, exec, s[16:17]
	s_cbranch_vccz .LBB164_1975
; %bb.1973:
	s_cmp_eq_u32 s22, 29
	s_mov_b64 s[0:1], -1
	s_cbranch_scc0 .LBB164_1975
; %bb.1974:
	v_lshlrev_b32_e32 v3, 16, v1
	v_trunc_f32_e32 v3, v3
	v_mul_f32_e32 v13, 0x2f800000, v3
	v_floor_f32_e32 v13, v13
	v_fmac_f32_e32 v3, 0xcf800000, v13
	v_cvt_u32_f32_e32 v14, v13
	v_cvt_u32_f32_e32 v13, v3
	s_mov_b64 s[0:1], 0
	s_mov_b64 s[14:15], -1
	global_store_dwordx2 v[5:6], v[13:14], off
.LBB164_1975:
	s_mov_b64 s[16:17], 0
.LBB164_1976:
	s_and_b64 vcc, exec, s[16:17]
	s_cbranch_vccz .LBB164_1992
; %bb.1977:
	s_cmp_lt_i32 s22, 27
	s_mov_b64 s[14:15], -1
	s_cbranch_scc1 .LBB164_1983
; %bb.1978:
	s_cmp_gt_i32 s22, 27
	s_cbranch_scc0 .LBB164_1980
; %bb.1979:
	v_lshlrev_b32_e32 v3, 16, v1
	v_cvt_u32_f32_e32 v3, v3
	s_mov_b64 s[14:15], 0
	global_store_dword v[5:6], v3, off
.LBB164_1980:
	s_andn2_b64 vcc, exec, s[14:15]
	s_cbranch_vccnz .LBB164_1982
; %bb.1981:
	v_lshlrev_b32_e32 v3, 16, v1
	v_cvt_u32_f32_e32 v3, v3
	global_store_short v[5:6], v3, off
.LBB164_1982:
	s_mov_b64 s[14:15], 0
.LBB164_1983:
	s_andn2_b64 vcc, exec, s[14:15]
	s_cbranch_vccnz .LBB164_1991
; %bb.1984:
	v_lshlrev_b32_e32 v14, 16, v1
	v_and_b32_e32 v13, 0x7fffffff, v14
	s_mov_b32 s14, 0x43800000
	v_cmp_gt_u32_e32 vcc, s14, v13
	v_mov_b32_e32 v15, 0x80
	s_and_saveexec_b64 s[14:15], vcc
	s_cbranch_execz .LBB164_1990
; %bb.1985:
	s_mov_b32 s16, 0x3bffffff
	v_and_b32_e32 v3, 0xffff, v1
	v_cmp_lt_u32_e32 vcc, s16, v13
	s_mov_b64 s[16:17], 0
                                        ; implicit-def: $vgpr13
	s_and_saveexec_b64 s[18:19], vcc
	s_xor_b64 s[18:19], exec, s[18:19]
	s_cbranch_execz .LBB164_2439
; %bb.1986:
	v_bfe_u32 v13, v3, 4, 1
	s_mov_b32 s23, 0x487ffff
	v_add3_u32 v13, v14, v13, s23
	s_mov_b64 s[16:17], exec
	v_lshrrev_b32_e32 v13, 20, v13
                                        ; implicit-def: $vgpr14
	s_andn2_saveexec_b64 s[18:19], s[18:19]
	s_cbranch_execnz .LBB164_2440
.LBB164_1987:
	s_or_b64 exec, exec, s[18:19]
	v_mov_b32_e32 v15, 0
	s_and_saveexec_b64 s[18:19], s[16:17]
.LBB164_1988:
	v_lshrrev_b32_e32 v3, 8, v3
	s_movk_i32 s16, 0x80
	v_and_or_b32 v15, v3, s16, v13
.LBB164_1989:
	s_or_b64 exec, exec, s[18:19]
.LBB164_1990:
	s_or_b64 exec, exec, s[14:15]
	global_store_byte v[5:6], v15, off
.LBB164_1991:
	s_mov_b64 s[14:15], -1
.LBB164_1992:
	s_mov_b64 s[16:17], 0
.LBB164_1993:
	s_and_b64 vcc, exec, s[16:17]
	s_cbranch_vccz .LBB164_2033
; %bb.1994:
	s_cmp_gt_i32 s22, 22
	s_mov_b64 s[8:9], -1
	s_cbranch_scc0 .LBB164_2026
; %bb.1995:
	s_cmp_lt_i32 s22, 24
	s_cbranch_scc1 .LBB164_2015
; %bb.1996:
	s_cmp_gt_i32 s22, 24
	s_cbranch_scc0 .LBB164_2004
; %bb.1997:
	v_lshlrev_b32_e32 v14, 16, v1
	v_and_b32_e32 v13, 0x7fffffff, v14
	s_mov_b32 s8, 0x47800000
	v_cmp_gt_u32_e32 vcc, s8, v13
	v_mov_b32_e32 v15, 0x80
	s_and_saveexec_b64 s[8:9], vcc
	s_cbranch_execz .LBB164_2003
; %bb.1998:
	s_mov_b32 s14, 0x37ffffff
	v_and_b32_e32 v3, 0xffff, v1
	v_cmp_lt_u32_e32 vcc, s14, v13
	s_mov_b64 s[14:15], 0
                                        ; implicit-def: $vgpr13
	s_and_saveexec_b64 s[16:17], vcc
	s_xor_b64 s[16:17], exec, s[16:17]
	s_cbranch_execz .LBB164_2442
; %bb.1999:
	v_bfe_u32 v13, v3, 5, 1
	s_mov_b32 s18, 0x88fffff
	v_add3_u32 v13, v14, v13, s18
	s_mov_b64 s[14:15], exec
	v_lshrrev_b32_e32 v13, 21, v13
                                        ; implicit-def: $vgpr14
	s_andn2_saveexec_b64 s[16:17], s[16:17]
	s_cbranch_execnz .LBB164_2443
.LBB164_2000:
	s_or_b64 exec, exec, s[16:17]
	v_mov_b32_e32 v15, 0
	s_and_saveexec_b64 s[16:17], s[14:15]
.LBB164_2001:
	v_lshrrev_b32_e32 v3, 8, v3
	s_movk_i32 s14, 0x80
	v_and_or_b32 v15, v3, s14, v13
.LBB164_2002:
	s_or_b64 exec, exec, s[16:17]
.LBB164_2003:
	s_or_b64 exec, exec, s[8:9]
	s_mov_b64 s[8:9], 0
	global_store_byte v[5:6], v15, off
.LBB164_2004:
	s_and_b64 vcc, exec, s[8:9]
	s_cbranch_vccz .LBB164_2014
; %bb.2005:
	v_lshlrev_b32_e32 v14, 16, v1
	v_and_b32_e32 v15, 0x7fffffff, v14
	s_mov_b32 s8, 0x43f00000
	v_and_b32_e32 v3, 0xffff, v1
	v_cmp_gt_u32_e32 vcc, s8, v15
                                        ; implicit-def: $vgpr13
	s_and_saveexec_b64 s[8:9], vcc
	s_xor_b64 s[8:9], exec, s[8:9]
	s_cbranch_execz .LBB164_2011
; %bb.2006:
	s_mov_b32 s14, 0x3c7fffff
	v_cmp_lt_u32_e32 vcc, s14, v15
                                        ; implicit-def: $vgpr13
	s_and_saveexec_b64 s[14:15], vcc
	s_xor_b64 s[14:15], exec, s[14:15]
; %bb.2007:
	v_bfe_u32 v13, v3, 4, 1
	s_mov_b32 s16, 0x407ffff
	v_add3_u32 v13, v14, v13, s16
	v_lshrrev_b32_e32 v14, 20, v13
	v_and_b32_e32 v13, 0xff00000, v13
	s_mov_b32 s16, 0x7f00000
	v_mov_b32_e32 v15, 0x7e
	v_cmp_ne_u32_e32 vcc, s16, v13
	v_cndmask_b32_e32 v13, v15, v14, vcc
                                        ; implicit-def: $vgpr14
; %bb.2008:
	s_andn2_saveexec_b64 s[14:15], s[14:15]
; %bb.2009:
	s_mov_b32 s16, 0x46800000
	v_add_f32_e64 v13, |v14|, s16
; %bb.2010:
	s_or_b64 exec, exec, s[14:15]
                                        ; implicit-def: $vgpr15
.LBB164_2011:
	s_andn2_saveexec_b64 s[8:9], s[8:9]
; %bb.2012:
	s_mov_b32 s14, 0x7f800000
	v_mov_b32_e32 v13, 0x7e
	v_mov_b32_e32 v14, 0x7f
	v_cmp_lt_u32_e32 vcc, s14, v15
	v_cndmask_b32_e32 v13, v13, v14, vcc
; %bb.2013:
	s_or_b64 exec, exec, s[8:9]
	v_lshrrev_b32_e32 v3, 8, v3
	s_movk_i32 s8, 0x80
	v_and_or_b32 v3, v3, s8, v13
	global_store_byte v[5:6], v3, off
.LBB164_2014:
	s_mov_b64 s[8:9], 0
.LBB164_2015:
	s_andn2_b64 vcc, exec, s[8:9]
	s_cbranch_vccnz .LBB164_2025
; %bb.2016:
	v_lshlrev_b32_e32 v14, 16, v1
	v_and_b32_e32 v15, 0x7fffffff, v14
	s_mov_b32 s8, 0x47800000
	v_and_b32_e32 v3, 0xffff, v1
	v_cmp_gt_u32_e32 vcc, s8, v15
                                        ; implicit-def: $vgpr13
	s_and_saveexec_b64 s[8:9], vcc
	s_xor_b64 s[8:9], exec, s[8:9]
	s_cbranch_execz .LBB164_2022
; %bb.2017:
	s_mov_b32 s14, 0x387fffff
	v_cmp_lt_u32_e32 vcc, s14, v15
                                        ; implicit-def: $vgpr13
	s_and_saveexec_b64 s[14:15], vcc
	s_xor_b64 s[14:15], exec, s[14:15]
; %bb.2018:
	v_bfe_u32 v13, v3, 5, 1
	s_mov_b32 s16, 0x80fffff
	v_add3_u32 v13, v14, v13, s16
	v_lshrrev_b32_e32 v13, 21, v13
                                        ; implicit-def: $vgpr14
; %bb.2019:
	s_andn2_saveexec_b64 s[14:15], s[14:15]
; %bb.2020:
	s_mov_b32 s16, 0x43000000
	v_add_f32_e64 v13, |v14|, s16
; %bb.2021:
	s_or_b64 exec, exec, s[14:15]
                                        ; implicit-def: $vgpr15
.LBB164_2022:
	s_andn2_saveexec_b64 s[8:9], s[8:9]
; %bb.2023:
	s_mov_b32 s14, 0x7f800000
	v_mov_b32_e32 v13, 0x7c
	v_mov_b32_e32 v14, 0x7f
	v_cmp_lt_u32_e32 vcc, s14, v15
	v_cndmask_b32_e32 v13, v13, v14, vcc
; %bb.2024:
	s_or_b64 exec, exec, s[8:9]
	v_lshrrev_b32_e32 v3, 8, v3
	s_movk_i32 s8, 0x80
	v_and_or_b32 v3, v3, s8, v13
	global_store_byte v[5:6], v3, off
.LBB164_2025:
	s_mov_b64 s[8:9], 0
	s_mov_b64 s[14:15], -1
.LBB164_2026:
	s_andn2_b64 vcc, exec, s[8:9]
	s_mov_b64 s[8:9], 0
	s_cbranch_vccnz .LBB164_2033
; %bb.2027:
	s_cmp_gt_i32 s22, 14
	s_mov_b64 s[16:17], -1
	s_cbranch_scc0 .LBB164_2031
; %bb.2028:
	s_cmp_eq_u32 s22, 15
	s_mov_b64 s[0:1], -1
	s_cbranch_scc0 .LBB164_2030
; %bb.2029:
	global_store_short v[5:6], v1, off
	s_mov_b64 s[0:1], 0
	s_mov_b64 s[14:15], -1
.LBB164_2030:
	s_mov_b64 s[16:17], 0
.LBB164_2031:
	s_and_b64 vcc, exec, s[16:17]
	s_cbranch_vccz .LBB164_2033
; %bb.2032:
	s_cmp_lg_u32 s22, 11
	s_mov_b64 s[8:9], -1
	s_cselect_b64 s[0:1], -1, 0
.LBB164_2033:
	s_and_b64 vcc, exec, s[0:1]
	s_cbranch_vccnz .LBB164_2441
; %bb.2034:
	s_andn2_b64 vcc, exec, s[8:9]
	s_cbranch_vccnz .LBB164_2036
.LBB164_2035:
	v_and_b32_e32 v3, 0x7fff, v1
	v_cmp_ne_u16_e32 vcc, 0, v3
	v_cndmask_b32_e64 v3, 0, 1, vcc
	s_mov_b64 s[14:15], -1
	global_store_byte v[5:6], v3, off
.LBB164_2036:
	s_mov_b64 s[0:1], 0
	s_branch .LBB164_2038
.LBB164_2037:
	s_mov_b64 s[0:1], -1
	s_mov_b64 s[14:15], 0
.LBB164_2038:
	s_and_b64 vcc, exec, s[0:1]
	s_cbranch_vccz .LBB164_2077
; %bb.2039:
	s_and_b32 s8, 0xffff, s21
	s_cmp_lt_i32 s8, 5
	s_mov_b64 s[0:1], -1
	s_cbranch_scc1 .LBB164_2060
; %bb.2040:
	s_cmp_lt_i32 s8, 8
	s_cbranch_scc1 .LBB164_2050
; %bb.2041:
	s_cmp_lt_i32 s8, 9
	s_cbranch_scc1 .LBB164_2047
; %bb.2042:
	s_cmp_gt_i32 s8, 9
	s_cbranch_scc0 .LBB164_2044
; %bb.2043:
	v_lshlrev_b32_e32 v3, 16, v1
	v_cvt_f64_f32_e32 v[13:14], v3
	v_mov_b32_e32 v15, 0
	v_mov_b32_e32 v16, v15
	s_mov_b64 s[0:1], 0
	global_store_dwordx4 v[5:6], v[13:16], off
.LBB164_2044:
	s_andn2_b64 vcc, exec, s[0:1]
	s_cbranch_vccnz .LBB164_2046
; %bb.2045:
	v_lshlrev_b32_e32 v13, 16, v1
	v_mov_b32_e32 v14, 0
	global_store_dwordx2 v[5:6], v[13:14], off
.LBB164_2046:
	s_mov_b64 s[0:1], 0
.LBB164_2047:
	s_andn2_b64 vcc, exec, s[0:1]
	s_cbranch_vccnz .LBB164_2049
; %bb.2048:
	v_lshlrev_b32_e32 v3, 16, v1
	v_cvt_f16_f32_e32 v3, v3
	global_store_dword v[5:6], v3, off
.LBB164_2049:
	s_mov_b64 s[0:1], 0
.LBB164_2050:
	s_andn2_b64 vcc, exec, s[0:1]
	s_cbranch_vccnz .LBB164_2059
; %bb.2051:
	s_cmp_lt_i32 s8, 6
	s_mov_b64 s[0:1], -1
	s_cbranch_scc1 .LBB164_2057
; %bb.2052:
	s_cmp_gt_i32 s8, 6
	s_cbranch_scc0 .LBB164_2054
; %bb.2053:
	v_lshlrev_b32_e32 v3, 16, v1
	v_cvt_f64_f32_e32 v[13:14], v3
	s_mov_b64 s[0:1], 0
	global_store_dwordx2 v[5:6], v[13:14], off
.LBB164_2054:
	s_andn2_b64 vcc, exec, s[0:1]
	s_cbranch_vccnz .LBB164_2056
; %bb.2055:
	v_lshlrev_b32_e32 v3, 16, v1
	global_store_dword v[5:6], v3, off
.LBB164_2056:
	s_mov_b64 s[0:1], 0
.LBB164_2057:
	s_andn2_b64 vcc, exec, s[0:1]
	s_cbranch_vccnz .LBB164_2059
; %bb.2058:
	v_lshlrev_b32_e32 v3, 16, v1
	v_cvt_f16_f32_e32 v3, v3
	global_store_short v[5:6], v3, off
.LBB164_2059:
	s_mov_b64 s[0:1], 0
.LBB164_2060:
	s_andn2_b64 vcc, exec, s[0:1]
	s_cbranch_vccnz .LBB164_2076
; %bb.2061:
	s_cmp_lt_i32 s8, 2
	s_mov_b64 s[0:1], -1
	s_cbranch_scc1 .LBB164_2071
; %bb.2062:
	s_cmp_lt_i32 s8, 3
	s_cbranch_scc1 .LBB164_2068
; %bb.2063:
	s_cmp_gt_i32 s8, 3
	s_cbranch_scc0 .LBB164_2065
; %bb.2064:
	v_lshlrev_b32_e32 v3, 16, v1
	v_trunc_f32_e32 v3, v3
	s_mov_b32 s0, 0x2f800000
	v_mul_f32_e64 v13, |v3|, s0
	v_floor_f32_e32 v13, v13
	s_mov_b32 s0, 0xcf800000
	v_cvt_u32_f32_e32 v14, v13
	v_fma_f32 v13, v13, s0, |v3|
	v_cvt_u32_f32_e32 v13, v13
	v_ashrrev_i32_e32 v3, 31, v3
	v_xor_b32_e32 v14, v14, v3
	s_mov_b64 s[0:1], 0
	v_xor_b32_e32 v13, v13, v3
	v_sub_co_u32_e32 v13, vcc, v13, v3
	v_subb_co_u32_e32 v14, vcc, v14, v3, vcc
	global_store_dwordx2 v[5:6], v[13:14], off
.LBB164_2065:
	s_andn2_b64 vcc, exec, s[0:1]
	s_cbranch_vccnz .LBB164_2067
; %bb.2066:
	v_lshlrev_b32_e32 v3, 16, v1
	v_cvt_i32_f32_e32 v3, v3
	global_store_dword v[5:6], v3, off
.LBB164_2067:
	s_mov_b64 s[0:1], 0
.LBB164_2068:
	s_andn2_b64 vcc, exec, s[0:1]
	s_cbranch_vccnz .LBB164_2070
; %bb.2069:
	v_lshlrev_b32_e32 v3, 16, v1
	v_cvt_i32_f32_e32 v3, v3
	global_store_short v[5:6], v3, off
.LBB164_2070:
	s_mov_b64 s[0:1], 0
.LBB164_2071:
	s_andn2_b64 vcc, exec, s[0:1]
	s_cbranch_vccnz .LBB164_2076
; %bb.2072:
	s_mov_b64 s[0:1], -1
	s_cmp_gt_i32 s8, 0
	v_lshlrev_b32_e32 v1, 16, v1
	s_cbranch_scc0 .LBB164_2074
; %bb.2073:
	v_cvt_i32_f32_e32 v3, v1
	s_mov_b64 s[0:1], 0
	global_store_byte v[5:6], v3, off
.LBB164_2074:
	s_andn2_b64 vcc, exec, s[0:1]
	s_cbranch_vccnz .LBB164_2076
; %bb.2075:
	v_trunc_f32_e32 v1, v1
	s_mov_b32 s0, 0x2f800000
	v_mul_f32_e64 v3, |v1|, s0
	v_floor_f32_e32 v3, v3
	s_mov_b32 s0, 0xcf800000
	v_fma_f32 v3, v3, s0, |v1|
	v_cvt_u32_f32_e32 v3, v3
	v_ashrrev_i32_e32 v1, 31, v1
	v_xor_b32_e32 v3, v3, v1
	v_sub_u32_e32 v1, v3, v1
	global_store_byte v[5:6], v1, off
.LBB164_2076:
	s_mov_b64 s[14:15], -1
.LBB164_2077:
	s_andn2_b64 vcc, exec, s[14:15]
	s_cbranch_vccnz .LBB164_2392
; %bb.2078:
	s_lshr_b32 s0, s20, 8
	s_and_b32 s18, s0, 0xff
	s_mov_b32 s0, 0x4b000000
	v_cmp_lt_f32_e64 s[0:1], |v10|, s0
	v_mov_b32_e32 v1, 0x264
	v_mov_b32_e32 v3, 0x7f800000
	s_or_b64 vcc, s[2:3], s[0:1]
	v_cndmask_b32_e32 v5, v3, v11, vcc
	v_cmp_class_f32_e32 vcc, v10, v1
	v_cndmask_b32_e32 v1, v5, v3, vcc
	v_cmp_u_f32_e32 vcc, v10, v10
	v_cndmask_b32_e32 v1, v1, v10, vcc
	v_bfe_u32 v3, v1, 16, 1
	s_movk_i32 s0, 0x7fff
	v_add3_u32 v3, v1, v3, s0
	v_cmp_o_f32_e32 vcc, v1, v1
	v_mov_b32_e32 v1, 0x7fc0
	v_cndmask_b32_sdwa v1, v1, v3, vcc dst_sel:DWORD dst_unused:UNUSED_PAD src0_sel:DWORD src1_sel:WORD_1
	v_mov_b32_e32 v5, s13
	v_add_co_u32_e32 v3, vcc, s12, v4
	s_cmp_lt_i32 s18, 11
	v_addc_co_u32_e32 v4, vcc, 0, v5, vcc
	s_cbranch_scc1 .LBB164_2156
; %bb.2079:
	s_and_b32 s19, 0xffff, s18
	s_mov_b64 s[14:15], -1
	s_mov_b64 s[2:3], 0
	s_cmp_gt_i32 s19, 25
	s_mov_b64 s[8:9], 0
	s_mov_b64 s[0:1], 0
	s_cbranch_scc0 .LBB164_2112
; %bb.2080:
	s_cmp_gt_i32 s19, 28
	s_cbranch_scc0 .LBB164_2095
; %bb.2081:
	s_cmp_gt_i32 s19, 43
	;; [unrolled: 3-line block ×3, first 2 shown]
	s_cbranch_scc0 .LBB164_2085
; %bb.2083:
	s_mov_b64 s[0:1], -1
	s_mov_b64 s[14:15], 0
	s_cmp_eq_u32 s19, 46
	s_cbranch_scc0 .LBB164_2085
; %bb.2084:
	v_and_b32_e32 v5, 0xffff, v1
	global_store_dword v[3:4], v5, off
	s_mov_b64 s[0:1], 0
	s_mov_b64 s[8:9], -1
.LBB164_2085:
	s_and_b64 vcc, exec, s[14:15]
	s_cbranch_vccz .LBB164_2090
; %bb.2086:
	s_cmp_eq_u32 s19, 44
	s_mov_b64 s[0:1], -1
	s_cbranch_scc0 .LBB164_2090
; %bb.2087:
	v_and_b32_e32 v6, 0xffff, v1
	v_bfe_u32 v5, v6, 7, 8
	s_movk_i32 s0, 0xff
	v_cmp_ne_u32_e32 vcc, s0, v5
	v_mov_b32_e32 v10, 0xff
	s_and_saveexec_b64 s[8:9], vcc
	s_cbranch_execz .LBB164_2089
; %bb.2088:
	v_lshlrev_b32_e32 v11, 16, v6
	s_mov_b32 s0, 0x3f0000
	v_lshrrev_b32_e32 v10, 7, v6
	v_and_b32_e32 v6, 64, v6
	v_and_or_b32 v5, v11, s0, v5
	v_cmp_ne_u32_e32 vcc, 0, v6
	v_cmp_ne_u32_e64 s[0:1], 0, v5
	s_and_b64 s[0:1], vcc, s[0:1]
	v_cndmask_b32_e64 v5, 0, 1, s[0:1]
	v_add_u32_e32 v10, v10, v5
.LBB164_2089:
	s_or_b64 exec, exec, s[8:9]
	s_mov_b64 s[0:1], 0
	s_mov_b64 s[8:9], -1
	global_store_byte v[3:4], v10, off
.LBB164_2090:
	s_mov_b64 s[14:15], 0
.LBB164_2091:
	s_and_b64 vcc, exec, s[14:15]
	s_cbranch_vccz .LBB164_2094
; %bb.2092:
	s_cmp_eq_u32 s19, 29
	s_mov_b64 s[0:1], -1
	s_cbranch_scc0 .LBB164_2094
; %bb.2093:
	v_lshlrev_b32_e32 v5, 16, v1
	v_trunc_f32_e32 v5, v5
	v_mul_f32_e32 v6, 0x2f800000, v5
	v_floor_f32_e32 v10, v6
	v_fmac_f32_e32 v5, 0xcf800000, v10
	v_cvt_u32_f32_e32 v6, v10
	v_cvt_u32_f32_e32 v5, v5
	s_mov_b64 s[0:1], 0
	s_mov_b64 s[8:9], -1
	global_store_dwordx2 v[3:4], v[5:6], off
.LBB164_2094:
	s_mov_b64 s[14:15], 0
.LBB164_2095:
	s_and_b64 vcc, exec, s[14:15]
	s_cbranch_vccz .LBB164_2111
; %bb.2096:
	s_cmp_lt_i32 s19, 27
	s_mov_b64 s[8:9], -1
	s_cbranch_scc1 .LBB164_2102
; %bb.2097:
	s_cmp_gt_i32 s19, 27
	s_cbranch_scc0 .LBB164_2099
; %bb.2098:
	v_lshlrev_b32_e32 v5, 16, v1
	v_cvt_u32_f32_e32 v5, v5
	s_mov_b64 s[8:9], 0
	global_store_dword v[3:4], v5, off
.LBB164_2099:
	s_andn2_b64 vcc, exec, s[8:9]
	s_cbranch_vccnz .LBB164_2101
; %bb.2100:
	v_lshlrev_b32_e32 v5, 16, v1
	v_cvt_u32_f32_e32 v5, v5
	global_store_short v[3:4], v5, off
.LBB164_2101:
	s_mov_b64 s[8:9], 0
.LBB164_2102:
	s_andn2_b64 vcc, exec, s[8:9]
	s_cbranch_vccnz .LBB164_2110
; %bb.2103:
	v_lshlrev_b32_e32 v10, 16, v1
	v_and_b32_e32 v6, 0x7fffffff, v10
	s_mov_b32 s8, 0x43800000
	v_cmp_gt_u32_e32 vcc, s8, v6
	v_mov_b32_e32 v11, 0x80
	s_and_saveexec_b64 s[8:9], vcc
	s_cbranch_execz .LBB164_2109
; %bb.2104:
	s_mov_b32 s14, 0x3bffffff
	v_and_b32_e32 v5, 0xffff, v1
	v_cmp_lt_u32_e32 vcc, s14, v6
	s_mov_b64 s[14:15], 0
                                        ; implicit-def: $vgpr6
	s_and_saveexec_b64 s[16:17], vcc
	s_xor_b64 s[16:17], exec, s[16:17]
	s_cbranch_execz .LBB164_2444
; %bb.2105:
	v_bfe_u32 v6, v5, 4, 1
	s_mov_b32 s20, 0x487ffff
	v_add3_u32 v6, v10, v6, s20
	s_mov_b64 s[14:15], exec
	v_lshrrev_b32_e32 v6, 20, v6
                                        ; implicit-def: $vgpr10
	s_andn2_saveexec_b64 s[16:17], s[16:17]
	s_cbranch_execnz .LBB164_2445
.LBB164_2106:
	s_or_b64 exec, exec, s[16:17]
	v_mov_b32_e32 v11, 0
	s_and_saveexec_b64 s[16:17], s[14:15]
.LBB164_2107:
	v_lshrrev_b32_e32 v5, 8, v5
	s_movk_i32 s14, 0x80
	v_and_or_b32 v11, v5, s14, v6
.LBB164_2108:
	s_or_b64 exec, exec, s[16:17]
.LBB164_2109:
	s_or_b64 exec, exec, s[8:9]
	global_store_byte v[3:4], v11, off
.LBB164_2110:
	s_mov_b64 s[8:9], -1
.LBB164_2111:
	s_mov_b64 s[14:15], 0
.LBB164_2112:
	s_and_b64 vcc, exec, s[14:15]
	s_cbranch_vccz .LBB164_2152
; %bb.2113:
	s_cmp_gt_i32 s19, 22
	s_mov_b64 s[2:3], -1
	s_cbranch_scc0 .LBB164_2145
; %bb.2114:
	s_cmp_lt_i32 s19, 24
	s_cbranch_scc1 .LBB164_2134
; %bb.2115:
	s_cmp_gt_i32 s19, 24
	s_cbranch_scc0 .LBB164_2123
; %bb.2116:
	v_lshlrev_b32_e32 v10, 16, v1
	v_and_b32_e32 v6, 0x7fffffff, v10
	s_mov_b32 s2, 0x47800000
	v_cmp_gt_u32_e32 vcc, s2, v6
	v_mov_b32_e32 v11, 0x80
	s_and_saveexec_b64 s[2:3], vcc
	s_cbranch_execz .LBB164_2122
; %bb.2117:
	s_mov_b32 s8, 0x37ffffff
	v_and_b32_e32 v5, 0xffff, v1
	v_cmp_lt_u32_e32 vcc, s8, v6
	s_mov_b64 s[8:9], 0
                                        ; implicit-def: $vgpr6
	s_and_saveexec_b64 s[14:15], vcc
	s_xor_b64 s[14:15], exec, s[14:15]
	s_cbranch_execz .LBB164_2447
; %bb.2118:
	v_bfe_u32 v6, v5, 5, 1
	s_mov_b32 s16, 0x88fffff
	v_add3_u32 v6, v10, v6, s16
	s_mov_b64 s[8:9], exec
	v_lshrrev_b32_e32 v6, 21, v6
                                        ; implicit-def: $vgpr10
	s_andn2_saveexec_b64 s[14:15], s[14:15]
	s_cbranch_execnz .LBB164_2448
.LBB164_2119:
	s_or_b64 exec, exec, s[14:15]
	v_mov_b32_e32 v11, 0
	s_and_saveexec_b64 s[14:15], s[8:9]
.LBB164_2120:
	v_lshrrev_b32_e32 v5, 8, v5
	s_movk_i32 s8, 0x80
	v_and_or_b32 v11, v5, s8, v6
.LBB164_2121:
	s_or_b64 exec, exec, s[14:15]
.LBB164_2122:
	s_or_b64 exec, exec, s[2:3]
	s_mov_b64 s[2:3], 0
	global_store_byte v[3:4], v11, off
.LBB164_2123:
	s_and_b64 vcc, exec, s[2:3]
	s_cbranch_vccz .LBB164_2133
; %bb.2124:
	v_lshlrev_b32_e32 v10, 16, v1
	v_and_b32_e32 v11, 0x7fffffff, v10
	s_mov_b32 s2, 0x43f00000
	v_and_b32_e32 v5, 0xffff, v1
	v_cmp_gt_u32_e32 vcc, s2, v11
                                        ; implicit-def: $vgpr6
	s_and_saveexec_b64 s[2:3], vcc
	s_xor_b64 s[2:3], exec, s[2:3]
	s_cbranch_execz .LBB164_2130
; %bb.2125:
	s_mov_b32 s8, 0x3c7fffff
	v_cmp_lt_u32_e32 vcc, s8, v11
                                        ; implicit-def: $vgpr6
	s_and_saveexec_b64 s[8:9], vcc
	s_xor_b64 s[8:9], exec, s[8:9]
; %bb.2126:
	v_bfe_u32 v6, v5, 4, 1
	s_mov_b32 s14, 0x407ffff
	v_add3_u32 v6, v10, v6, s14
	v_lshrrev_b32_e32 v10, 20, v6
	v_and_b32_e32 v6, 0xff00000, v6
	s_mov_b32 s14, 0x7f00000
	v_mov_b32_e32 v11, 0x7e
	v_cmp_ne_u32_e32 vcc, s14, v6
	v_cndmask_b32_e32 v6, v11, v10, vcc
                                        ; implicit-def: $vgpr10
; %bb.2127:
	s_andn2_saveexec_b64 s[8:9], s[8:9]
; %bb.2128:
	s_mov_b32 s14, 0x46800000
	v_add_f32_e64 v6, |v10|, s14
; %bb.2129:
	s_or_b64 exec, exec, s[8:9]
                                        ; implicit-def: $vgpr11
.LBB164_2130:
	s_andn2_saveexec_b64 s[2:3], s[2:3]
; %bb.2131:
	s_mov_b32 s8, 0x7f800000
	v_mov_b32_e32 v6, 0x7e
	v_mov_b32_e32 v10, 0x7f
	v_cmp_lt_u32_e32 vcc, s8, v11
	v_cndmask_b32_e32 v6, v6, v10, vcc
; %bb.2132:
	s_or_b64 exec, exec, s[2:3]
	v_lshrrev_b32_e32 v5, 8, v5
	s_movk_i32 s2, 0x80
	v_and_or_b32 v5, v5, s2, v6
	global_store_byte v[3:4], v5, off
.LBB164_2133:
	s_mov_b64 s[2:3], 0
.LBB164_2134:
	s_andn2_b64 vcc, exec, s[2:3]
	s_cbranch_vccnz .LBB164_2144
; %bb.2135:
	v_lshlrev_b32_e32 v10, 16, v1
	v_and_b32_e32 v11, 0x7fffffff, v10
	s_mov_b32 s2, 0x47800000
	v_and_b32_e32 v5, 0xffff, v1
	v_cmp_gt_u32_e32 vcc, s2, v11
                                        ; implicit-def: $vgpr6
	s_and_saveexec_b64 s[2:3], vcc
	s_xor_b64 s[2:3], exec, s[2:3]
	s_cbranch_execz .LBB164_2141
; %bb.2136:
	s_mov_b32 s8, 0x387fffff
	v_cmp_lt_u32_e32 vcc, s8, v11
                                        ; implicit-def: $vgpr6
	s_and_saveexec_b64 s[8:9], vcc
	s_xor_b64 s[8:9], exec, s[8:9]
; %bb.2137:
	v_bfe_u32 v6, v5, 5, 1
	s_mov_b32 s14, 0x80fffff
	v_add3_u32 v6, v10, v6, s14
	v_lshrrev_b32_e32 v6, 21, v6
                                        ; implicit-def: $vgpr10
; %bb.2138:
	s_andn2_saveexec_b64 s[8:9], s[8:9]
; %bb.2139:
	s_mov_b32 s14, 0x43000000
	v_add_f32_e64 v6, |v10|, s14
; %bb.2140:
	s_or_b64 exec, exec, s[8:9]
                                        ; implicit-def: $vgpr11
.LBB164_2141:
	s_andn2_saveexec_b64 s[2:3], s[2:3]
; %bb.2142:
	s_mov_b32 s8, 0x7f800000
	v_mov_b32_e32 v6, 0x7c
	v_mov_b32_e32 v10, 0x7f
	v_cmp_lt_u32_e32 vcc, s8, v11
	v_cndmask_b32_e32 v6, v6, v10, vcc
; %bb.2143:
	s_or_b64 exec, exec, s[2:3]
	v_lshrrev_b32_e32 v5, 8, v5
	s_movk_i32 s2, 0x80
	v_and_or_b32 v5, v5, s2, v6
	global_store_byte v[3:4], v5, off
.LBB164_2144:
	s_mov_b64 s[2:3], 0
	s_mov_b64 s[8:9], -1
.LBB164_2145:
	s_andn2_b64 vcc, exec, s[2:3]
	s_mov_b64 s[2:3], 0
	s_cbranch_vccnz .LBB164_2152
; %bb.2146:
	s_cmp_gt_i32 s19, 14
	s_mov_b64 s[14:15], -1
	s_cbranch_scc0 .LBB164_2150
; %bb.2147:
	s_cmp_eq_u32 s19, 15
	s_mov_b64 s[0:1], -1
	s_cbranch_scc0 .LBB164_2149
; %bb.2148:
	global_store_short v[3:4], v1, off
	s_mov_b64 s[0:1], 0
	s_mov_b64 s[8:9], -1
.LBB164_2149:
	s_mov_b64 s[14:15], 0
.LBB164_2150:
	s_and_b64 vcc, exec, s[14:15]
	s_cbranch_vccz .LBB164_2152
; %bb.2151:
	s_cmp_lg_u32 s19, 11
	s_mov_b64 s[2:3], -1
	s_cselect_b64 s[0:1], -1, 0
.LBB164_2152:
	s_and_b64 vcc, exec, s[0:1]
	s_cbranch_vccnz .LBB164_2446
; %bb.2153:
	s_andn2_b64 vcc, exec, s[2:3]
	s_cbranch_vccnz .LBB164_2155
.LBB164_2154:
	v_and_b32_e32 v5, 0x7fff, v1
	v_cmp_ne_u16_e32 vcc, 0, v5
	v_cndmask_b32_e64 v5, 0, 1, vcc
	s_mov_b64 s[8:9], -1
	global_store_byte v[3:4], v5, off
.LBB164_2155:
	s_mov_b64 s[0:1], 0
	s_branch .LBB164_2157
.LBB164_2156:
	s_mov_b64 s[0:1], -1
	s_mov_b64 s[8:9], 0
.LBB164_2157:
	s_and_b64 vcc, exec, s[0:1]
	s_cbranch_vccz .LBB164_2196
; %bb.2158:
	s_and_b32 s2, 0xffff, s18
	s_cmp_lt_i32 s2, 5
	s_mov_b64 s[0:1], -1
	s_cbranch_scc1 .LBB164_2179
; %bb.2159:
	s_cmp_lt_i32 s2, 8
	s_cbranch_scc1 .LBB164_2169
; %bb.2160:
	s_cmp_lt_i32 s2, 9
	s_cbranch_scc1 .LBB164_2166
; %bb.2161:
	s_cmp_gt_i32 s2, 9
	s_cbranch_scc0 .LBB164_2163
; %bb.2162:
	v_lshlrev_b32_e32 v5, 16, v1
	v_cvt_f64_f32_e32 v[13:14], v5
	v_mov_b32_e32 v15, 0
	v_mov_b32_e32 v16, v15
	s_mov_b64 s[0:1], 0
	global_store_dwordx4 v[3:4], v[13:16], off
.LBB164_2163:
	s_andn2_b64 vcc, exec, s[0:1]
	s_cbranch_vccnz .LBB164_2165
; %bb.2164:
	v_lshlrev_b32_e32 v5, 16, v1
	v_mov_b32_e32 v6, 0
	global_store_dwordx2 v[3:4], v[5:6], off
.LBB164_2165:
	s_mov_b64 s[0:1], 0
.LBB164_2166:
	s_andn2_b64 vcc, exec, s[0:1]
	s_cbranch_vccnz .LBB164_2168
; %bb.2167:
	v_lshlrev_b32_e32 v5, 16, v1
	v_cvt_f16_f32_e32 v5, v5
	global_store_dword v[3:4], v5, off
.LBB164_2168:
	s_mov_b64 s[0:1], 0
.LBB164_2169:
	s_andn2_b64 vcc, exec, s[0:1]
	s_cbranch_vccnz .LBB164_2178
; %bb.2170:
	s_cmp_lt_i32 s2, 6
	s_mov_b64 s[0:1], -1
	s_cbranch_scc1 .LBB164_2176
; %bb.2171:
	s_cmp_gt_i32 s2, 6
	s_cbranch_scc0 .LBB164_2173
; %bb.2172:
	v_lshlrev_b32_e32 v5, 16, v1
	v_cvt_f64_f32_e32 v[5:6], v5
	s_mov_b64 s[0:1], 0
	global_store_dwordx2 v[3:4], v[5:6], off
.LBB164_2173:
	s_andn2_b64 vcc, exec, s[0:1]
	s_cbranch_vccnz .LBB164_2175
; %bb.2174:
	v_lshlrev_b32_e32 v5, 16, v1
	global_store_dword v[3:4], v5, off
.LBB164_2175:
	s_mov_b64 s[0:1], 0
.LBB164_2176:
	s_andn2_b64 vcc, exec, s[0:1]
	s_cbranch_vccnz .LBB164_2178
; %bb.2177:
	v_lshlrev_b32_e32 v5, 16, v1
	v_cvt_f16_f32_e32 v5, v5
	global_store_short v[3:4], v5, off
.LBB164_2178:
	s_mov_b64 s[0:1], 0
.LBB164_2179:
	s_andn2_b64 vcc, exec, s[0:1]
	s_cbranch_vccnz .LBB164_2195
; %bb.2180:
	s_cmp_lt_i32 s2, 2
	s_mov_b64 s[0:1], -1
	s_cbranch_scc1 .LBB164_2190
; %bb.2181:
	s_cmp_lt_i32 s2, 3
	s_cbranch_scc1 .LBB164_2187
; %bb.2182:
	s_cmp_gt_i32 s2, 3
	s_cbranch_scc0 .LBB164_2184
; %bb.2183:
	v_lshlrev_b32_e32 v5, 16, v1
	v_trunc_f32_e32 v5, v5
	s_mov_b32 s0, 0x2f800000
	v_mul_f32_e64 v6, |v5|, s0
	v_floor_f32_e32 v6, v6
	s_mov_b32 s0, 0xcf800000
	v_cvt_u32_f32_e32 v10, v6
	v_fma_f32 v6, v6, s0, |v5|
	v_cvt_u32_f32_e32 v6, v6
	v_ashrrev_i32_e32 v11, 31, v5
	v_xor_b32_e32 v10, v10, v11
	s_mov_b64 s[0:1], 0
	v_xor_b32_e32 v5, v6, v11
	v_sub_co_u32_e32 v5, vcc, v5, v11
	v_subb_co_u32_e32 v6, vcc, v10, v11, vcc
	global_store_dwordx2 v[3:4], v[5:6], off
.LBB164_2184:
	s_andn2_b64 vcc, exec, s[0:1]
	s_cbranch_vccnz .LBB164_2186
; %bb.2185:
	v_lshlrev_b32_e32 v5, 16, v1
	v_cvt_i32_f32_e32 v5, v5
	global_store_dword v[3:4], v5, off
.LBB164_2186:
	s_mov_b64 s[0:1], 0
.LBB164_2187:
	s_andn2_b64 vcc, exec, s[0:1]
	s_cbranch_vccnz .LBB164_2189
; %bb.2188:
	v_lshlrev_b32_e32 v5, 16, v1
	v_cvt_i32_f32_e32 v5, v5
	global_store_short v[3:4], v5, off
.LBB164_2189:
	s_mov_b64 s[0:1], 0
.LBB164_2190:
	s_andn2_b64 vcc, exec, s[0:1]
	s_cbranch_vccnz .LBB164_2195
; %bb.2191:
	s_mov_b64 s[0:1], -1
	s_cmp_gt_i32 s2, 0
	v_lshlrev_b32_e32 v1, 16, v1
	s_cbranch_scc0 .LBB164_2193
; %bb.2192:
	v_cvt_i32_f32_e32 v5, v1
	s_mov_b64 s[0:1], 0
	global_store_byte v[3:4], v5, off
.LBB164_2193:
	s_andn2_b64 vcc, exec, s[0:1]
	s_cbranch_vccnz .LBB164_2195
; %bb.2194:
	v_trunc_f32_e32 v1, v1
	s_mov_b32 s0, 0x2f800000
	v_mul_f32_e64 v5, |v1|, s0
	v_floor_f32_e32 v5, v5
	s_mov_b32 s0, 0xcf800000
	v_fma_f32 v5, v5, s0, |v1|
	v_cvt_u32_f32_e32 v5, v5
	v_ashrrev_i32_e32 v1, 31, v1
	v_xor_b32_e32 v5, v5, v1
	v_sub_u32_e32 v1, v5, v1
	global_store_byte v[3:4], v1, off
.LBB164_2195:
	s_mov_b64 s[8:9], -1
.LBB164_2196:
	s_andn2_b64 vcc, exec, s[8:9]
	s_cbranch_vccnz .LBB164_2392
; %bb.2197:
	s_mov_b32 s0, 0x4b000000
	v_cmp_lt_f32_e64 s[0:1], |v9|, s0
	v_mov_b32_e32 v1, 0x264
	v_mov_b32_e32 v3, 0x7f800000
	s_or_b64 vcc, s[4:5], s[0:1]
	v_cndmask_b32_e32 v4, v3, v12, vcc
	v_cmp_class_f32_e32 vcc, v9, v1
	v_cndmask_b32_e32 v1, v4, v3, vcc
	v_cmp_u_f32_e32 vcc, v9, v9
	v_cndmask_b32_e32 v1, v1, v9, vcc
	v_bfe_u32 v3, v1, 16, 1
	s_movk_i32 s0, 0x7fff
	v_add3_u32 v3, v1, v3, s0
	v_cmp_o_f32_e32 vcc, v1, v1
	v_mov_b32_e32 v1, 0x7fc0
	v_cndmask_b32_sdwa v3, v1, v3, vcc dst_sel:DWORD dst_unused:UNUSED_PAD src0_sel:DWORD src1_sel:WORD_1
	v_mov_b32_e32 v4, s13
	v_add_co_u32_e32 v1, vcc, s12, v2
	s_cmp_lt_i32 s18, 11
	v_addc_co_u32_e32 v2, vcc, 0, v4, vcc
	s_cbranch_scc1 .LBB164_2275
; %bb.2198:
	s_and_b32 s16, 0xffff, s18
	s_mov_b64 s[8:9], -1
	s_mov_b64 s[2:3], 0
	s_cmp_gt_i32 s16, 25
	s_mov_b64 s[4:5], 0
	s_mov_b64 s[0:1], 0
	s_cbranch_scc0 .LBB164_2231
; %bb.2199:
	s_cmp_gt_i32 s16, 28
	s_cbranch_scc0 .LBB164_2214
; %bb.2200:
	s_cmp_gt_i32 s16, 43
	;; [unrolled: 3-line block ×3, first 2 shown]
	s_cbranch_scc0 .LBB164_2204
; %bb.2202:
	s_mov_b64 s[0:1], -1
	s_mov_b64 s[8:9], 0
	s_cmp_eq_u32 s16, 46
	s_cbranch_scc0 .LBB164_2204
; %bb.2203:
	v_and_b32_e32 v4, 0xffff, v3
	global_store_dword v[1:2], v4, off
	s_mov_b64 s[0:1], 0
	s_mov_b64 s[4:5], -1
.LBB164_2204:
	s_and_b64 vcc, exec, s[8:9]
	s_cbranch_vccz .LBB164_2209
; %bb.2205:
	s_cmp_eq_u32 s16, 44
	s_mov_b64 s[0:1], -1
	s_cbranch_scc0 .LBB164_2209
; %bb.2206:
	v_and_b32_e32 v5, 0xffff, v3
	v_bfe_u32 v4, v5, 7, 8
	s_movk_i32 s0, 0xff
	v_cmp_ne_u32_e32 vcc, s0, v4
	v_mov_b32_e32 v6, 0xff
	s_and_saveexec_b64 s[4:5], vcc
	s_cbranch_execz .LBB164_2208
; %bb.2207:
	v_lshlrev_b32_e32 v9, 16, v5
	s_mov_b32 s0, 0x3f0000
	v_lshrrev_b32_e32 v6, 7, v5
	v_and_b32_e32 v5, 64, v5
	v_and_or_b32 v4, v9, s0, v4
	v_cmp_ne_u32_e32 vcc, 0, v5
	v_cmp_ne_u32_e64 s[0:1], 0, v4
	s_and_b64 s[0:1], vcc, s[0:1]
	v_cndmask_b32_e64 v4, 0, 1, s[0:1]
	v_add_u32_e32 v6, v6, v4
.LBB164_2208:
	s_or_b64 exec, exec, s[4:5]
	s_mov_b64 s[0:1], 0
	s_mov_b64 s[4:5], -1
	global_store_byte v[1:2], v6, off
.LBB164_2209:
	s_mov_b64 s[8:9], 0
.LBB164_2210:
	s_and_b64 vcc, exec, s[8:9]
	s_cbranch_vccz .LBB164_2213
; %bb.2211:
	s_cmp_eq_u32 s16, 29
	s_mov_b64 s[0:1], -1
	s_cbranch_scc0 .LBB164_2213
; %bb.2212:
	v_lshlrev_b32_e32 v4, 16, v3
	v_trunc_f32_e32 v4, v4
	v_mul_f32_e32 v5, 0x2f800000, v4
	v_floor_f32_e32 v6, v5
	v_fmac_f32_e32 v4, 0xcf800000, v6
	v_cvt_u32_f32_e32 v5, v6
	v_cvt_u32_f32_e32 v4, v4
	s_mov_b64 s[0:1], 0
	s_mov_b64 s[4:5], -1
	global_store_dwordx2 v[1:2], v[4:5], off
.LBB164_2213:
	s_mov_b64 s[8:9], 0
.LBB164_2214:
	s_and_b64 vcc, exec, s[8:9]
	s_cbranch_vccz .LBB164_2230
; %bb.2215:
	s_cmp_lt_i32 s16, 27
	s_mov_b64 s[4:5], -1
	s_cbranch_scc1 .LBB164_2221
; %bb.2216:
	s_cmp_gt_i32 s16, 27
	s_cbranch_scc0 .LBB164_2218
; %bb.2217:
	v_lshlrev_b32_e32 v4, 16, v3
	v_cvt_u32_f32_e32 v4, v4
	s_mov_b64 s[4:5], 0
	global_store_dword v[1:2], v4, off
.LBB164_2218:
	s_andn2_b64 vcc, exec, s[4:5]
	s_cbranch_vccnz .LBB164_2220
; %bb.2219:
	v_lshlrev_b32_e32 v4, 16, v3
	v_cvt_u32_f32_e32 v4, v4
	global_store_short v[1:2], v4, off
.LBB164_2220:
	s_mov_b64 s[4:5], 0
.LBB164_2221:
	s_andn2_b64 vcc, exec, s[4:5]
	s_cbranch_vccnz .LBB164_2229
; %bb.2222:
	v_lshlrev_b32_e32 v6, 16, v3
	v_and_b32_e32 v5, 0x7fffffff, v6
	s_mov_b32 s4, 0x43800000
	v_cmp_gt_u32_e32 vcc, s4, v5
	v_mov_b32_e32 v9, 0x80
	s_and_saveexec_b64 s[4:5], vcc
	s_cbranch_execz .LBB164_2228
; %bb.2223:
	s_mov_b32 s8, 0x3bffffff
	v_and_b32_e32 v4, 0xffff, v3
	v_cmp_lt_u32_e32 vcc, s8, v5
	s_mov_b64 s[8:9], 0
                                        ; implicit-def: $vgpr5
	s_and_saveexec_b64 s[14:15], vcc
	s_xor_b64 s[14:15], exec, s[14:15]
	s_cbranch_execz .LBB164_2449
; %bb.2224:
	v_bfe_u32 v5, v4, 4, 1
	s_mov_b32 s17, 0x487ffff
	v_add3_u32 v5, v6, v5, s17
	s_mov_b64 s[8:9], exec
	v_lshrrev_b32_e32 v5, 20, v5
                                        ; implicit-def: $vgpr6
	s_andn2_saveexec_b64 s[14:15], s[14:15]
	s_cbranch_execnz .LBB164_2450
.LBB164_2225:
	s_or_b64 exec, exec, s[14:15]
	v_mov_b32_e32 v9, 0
	s_and_saveexec_b64 s[14:15], s[8:9]
.LBB164_2226:
	v_lshrrev_b32_e32 v4, 8, v4
	s_movk_i32 s8, 0x80
	v_and_or_b32 v9, v4, s8, v5
.LBB164_2227:
	s_or_b64 exec, exec, s[14:15]
.LBB164_2228:
	s_or_b64 exec, exec, s[4:5]
	global_store_byte v[1:2], v9, off
.LBB164_2229:
	s_mov_b64 s[4:5], -1
.LBB164_2230:
	s_mov_b64 s[8:9], 0
.LBB164_2231:
	s_and_b64 vcc, exec, s[8:9]
	s_cbranch_vccz .LBB164_2271
; %bb.2232:
	s_cmp_gt_i32 s16, 22
	s_mov_b64 s[2:3], -1
	s_cbranch_scc0 .LBB164_2264
; %bb.2233:
	s_cmp_lt_i32 s16, 24
	s_cbranch_scc1 .LBB164_2253
; %bb.2234:
	s_cmp_gt_i32 s16, 24
	s_cbranch_scc0 .LBB164_2242
; %bb.2235:
	v_lshlrev_b32_e32 v6, 16, v3
	v_and_b32_e32 v5, 0x7fffffff, v6
	s_mov_b32 s2, 0x47800000
	v_cmp_gt_u32_e32 vcc, s2, v5
	v_mov_b32_e32 v9, 0x80
	s_and_saveexec_b64 s[2:3], vcc
	s_cbranch_execz .LBB164_2241
; %bb.2236:
	s_mov_b32 s4, 0x37ffffff
	v_and_b32_e32 v4, 0xffff, v3
	v_cmp_lt_u32_e32 vcc, s4, v5
	s_mov_b64 s[4:5], 0
                                        ; implicit-def: $vgpr5
	s_and_saveexec_b64 s[8:9], vcc
	s_xor_b64 s[8:9], exec, s[8:9]
	s_cbranch_execz .LBB164_2452
; %bb.2237:
	v_bfe_u32 v5, v4, 5, 1
	s_mov_b32 s14, 0x88fffff
	v_add3_u32 v5, v6, v5, s14
	s_mov_b64 s[4:5], exec
	v_lshrrev_b32_e32 v5, 21, v5
                                        ; implicit-def: $vgpr6
	s_andn2_saveexec_b64 s[8:9], s[8:9]
	s_cbranch_execnz .LBB164_2453
.LBB164_2238:
	s_or_b64 exec, exec, s[8:9]
	v_mov_b32_e32 v9, 0
	s_and_saveexec_b64 s[8:9], s[4:5]
.LBB164_2239:
	v_lshrrev_b32_e32 v4, 8, v4
	s_movk_i32 s4, 0x80
	v_and_or_b32 v9, v4, s4, v5
.LBB164_2240:
	s_or_b64 exec, exec, s[8:9]
.LBB164_2241:
	s_or_b64 exec, exec, s[2:3]
	s_mov_b64 s[2:3], 0
	global_store_byte v[1:2], v9, off
.LBB164_2242:
	s_and_b64 vcc, exec, s[2:3]
	s_cbranch_vccz .LBB164_2252
; %bb.2243:
	v_lshlrev_b32_e32 v6, 16, v3
	v_and_b32_e32 v9, 0x7fffffff, v6
	s_mov_b32 s2, 0x43f00000
	v_and_b32_e32 v4, 0xffff, v3
	v_cmp_gt_u32_e32 vcc, s2, v9
                                        ; implicit-def: $vgpr5
	s_and_saveexec_b64 s[2:3], vcc
	s_xor_b64 s[2:3], exec, s[2:3]
	s_cbranch_execz .LBB164_2249
; %bb.2244:
	s_mov_b32 s4, 0x3c7fffff
	v_cmp_lt_u32_e32 vcc, s4, v9
                                        ; implicit-def: $vgpr5
	s_and_saveexec_b64 s[4:5], vcc
	s_xor_b64 s[4:5], exec, s[4:5]
; %bb.2245:
	v_bfe_u32 v5, v4, 4, 1
	s_mov_b32 s8, 0x407ffff
	v_add3_u32 v5, v6, v5, s8
	v_lshrrev_b32_e32 v6, 20, v5
	v_and_b32_e32 v5, 0xff00000, v5
	s_mov_b32 s8, 0x7f00000
	v_mov_b32_e32 v9, 0x7e
	v_cmp_ne_u32_e32 vcc, s8, v5
	v_cndmask_b32_e32 v5, v9, v6, vcc
                                        ; implicit-def: $vgpr6
; %bb.2246:
	s_andn2_saveexec_b64 s[4:5], s[4:5]
; %bb.2247:
	s_mov_b32 s8, 0x46800000
	v_add_f32_e64 v5, |v6|, s8
; %bb.2248:
	s_or_b64 exec, exec, s[4:5]
                                        ; implicit-def: $vgpr9
.LBB164_2249:
	s_andn2_saveexec_b64 s[2:3], s[2:3]
; %bb.2250:
	s_mov_b32 s4, 0x7f800000
	v_mov_b32_e32 v5, 0x7e
	v_mov_b32_e32 v6, 0x7f
	v_cmp_lt_u32_e32 vcc, s4, v9
	v_cndmask_b32_e32 v5, v5, v6, vcc
; %bb.2251:
	s_or_b64 exec, exec, s[2:3]
	v_lshrrev_b32_e32 v4, 8, v4
	s_movk_i32 s2, 0x80
	v_and_or_b32 v4, v4, s2, v5
	global_store_byte v[1:2], v4, off
.LBB164_2252:
	s_mov_b64 s[2:3], 0
.LBB164_2253:
	s_andn2_b64 vcc, exec, s[2:3]
	s_cbranch_vccnz .LBB164_2263
; %bb.2254:
	v_lshlrev_b32_e32 v6, 16, v3
	v_and_b32_e32 v9, 0x7fffffff, v6
	s_mov_b32 s2, 0x47800000
	v_and_b32_e32 v4, 0xffff, v3
	v_cmp_gt_u32_e32 vcc, s2, v9
                                        ; implicit-def: $vgpr5
	s_and_saveexec_b64 s[2:3], vcc
	s_xor_b64 s[2:3], exec, s[2:3]
	s_cbranch_execz .LBB164_2260
; %bb.2255:
	s_mov_b32 s4, 0x387fffff
	v_cmp_lt_u32_e32 vcc, s4, v9
                                        ; implicit-def: $vgpr5
	s_and_saveexec_b64 s[4:5], vcc
	s_xor_b64 s[4:5], exec, s[4:5]
; %bb.2256:
	v_bfe_u32 v5, v4, 5, 1
	s_mov_b32 s8, 0x80fffff
	v_add3_u32 v5, v6, v5, s8
	v_lshrrev_b32_e32 v5, 21, v5
                                        ; implicit-def: $vgpr6
; %bb.2257:
	s_andn2_saveexec_b64 s[4:5], s[4:5]
; %bb.2258:
	s_mov_b32 s8, 0x43000000
	v_add_f32_e64 v5, |v6|, s8
; %bb.2259:
	s_or_b64 exec, exec, s[4:5]
                                        ; implicit-def: $vgpr9
.LBB164_2260:
	s_andn2_saveexec_b64 s[2:3], s[2:3]
; %bb.2261:
	s_mov_b32 s4, 0x7f800000
	v_mov_b32_e32 v5, 0x7c
	v_mov_b32_e32 v6, 0x7f
	v_cmp_lt_u32_e32 vcc, s4, v9
	v_cndmask_b32_e32 v5, v5, v6, vcc
; %bb.2262:
	s_or_b64 exec, exec, s[2:3]
	v_lshrrev_b32_e32 v4, 8, v4
	s_movk_i32 s2, 0x80
	v_and_or_b32 v4, v4, s2, v5
	global_store_byte v[1:2], v4, off
.LBB164_2263:
	s_mov_b64 s[2:3], 0
	s_mov_b64 s[4:5], -1
.LBB164_2264:
	s_andn2_b64 vcc, exec, s[2:3]
	s_mov_b64 s[2:3], 0
	s_cbranch_vccnz .LBB164_2271
; %bb.2265:
	s_cmp_gt_i32 s16, 14
	s_mov_b64 s[8:9], -1
	s_cbranch_scc0 .LBB164_2269
; %bb.2266:
	s_cmp_eq_u32 s16, 15
	s_mov_b64 s[0:1], -1
	s_cbranch_scc0 .LBB164_2268
; %bb.2267:
	global_store_short v[1:2], v3, off
	s_mov_b64 s[0:1], 0
	s_mov_b64 s[4:5], -1
.LBB164_2268:
	s_mov_b64 s[8:9], 0
.LBB164_2269:
	s_and_b64 vcc, exec, s[8:9]
	s_cbranch_vccz .LBB164_2271
; %bb.2270:
	s_cmp_lg_u32 s16, 11
	s_mov_b64 s[2:3], -1
	s_cselect_b64 s[0:1], -1, 0
.LBB164_2271:
	s_and_b64 vcc, exec, s[0:1]
	s_cbranch_vccnz .LBB164_2451
; %bb.2272:
	s_andn2_b64 vcc, exec, s[2:3]
	s_cbranch_vccnz .LBB164_2274
.LBB164_2273:
	v_and_b32_e32 v4, 0x7fff, v3
	v_cmp_ne_u16_e32 vcc, 0, v4
	v_cndmask_b32_e64 v4, 0, 1, vcc
	s_mov_b64 s[4:5], -1
	global_store_byte v[1:2], v4, off
.LBB164_2274:
	s_mov_b64 s[0:1], 0
	s_branch .LBB164_2276
.LBB164_2275:
	s_mov_b64 s[0:1], -1
	s_mov_b64 s[4:5], 0
.LBB164_2276:
	s_and_b64 vcc, exec, s[0:1]
	s_cbranch_vccz .LBB164_2315
; %bb.2277:
	s_and_b32 s2, 0xffff, s18
	s_cmp_lt_i32 s2, 5
	s_mov_b64 s[0:1], -1
	s_cbranch_scc1 .LBB164_2298
; %bb.2278:
	s_cmp_lt_i32 s2, 8
	s_cbranch_scc1 .LBB164_2288
; %bb.2279:
	s_cmp_lt_i32 s2, 9
	s_cbranch_scc1 .LBB164_2285
; %bb.2280:
	s_cmp_gt_i32 s2, 9
	s_cbranch_scc0 .LBB164_2282
; %bb.2281:
	v_lshlrev_b32_e32 v4, 16, v3
	v_cvt_f64_f32_e32 v[9:10], v4
	v_mov_b32_e32 v11, 0
	v_mov_b32_e32 v12, v11
	s_mov_b64 s[0:1], 0
	global_store_dwordx4 v[1:2], v[9:12], off
.LBB164_2282:
	s_andn2_b64 vcc, exec, s[0:1]
	s_cbranch_vccnz .LBB164_2284
; %bb.2283:
	v_lshlrev_b32_e32 v4, 16, v3
	v_mov_b32_e32 v5, 0
	global_store_dwordx2 v[1:2], v[4:5], off
.LBB164_2284:
	s_mov_b64 s[0:1], 0
.LBB164_2285:
	s_andn2_b64 vcc, exec, s[0:1]
	s_cbranch_vccnz .LBB164_2287
; %bb.2286:
	v_lshlrev_b32_e32 v4, 16, v3
	v_cvt_f16_f32_e32 v4, v4
	global_store_dword v[1:2], v4, off
.LBB164_2287:
	s_mov_b64 s[0:1], 0
.LBB164_2288:
	s_andn2_b64 vcc, exec, s[0:1]
	s_cbranch_vccnz .LBB164_2297
; %bb.2289:
	s_cmp_lt_i32 s2, 6
	s_mov_b64 s[0:1], -1
	s_cbranch_scc1 .LBB164_2295
; %bb.2290:
	s_cmp_gt_i32 s2, 6
	s_cbranch_scc0 .LBB164_2292
; %bb.2291:
	v_lshlrev_b32_e32 v4, 16, v3
	v_cvt_f64_f32_e32 v[4:5], v4
	s_mov_b64 s[0:1], 0
	global_store_dwordx2 v[1:2], v[4:5], off
.LBB164_2292:
	s_andn2_b64 vcc, exec, s[0:1]
	s_cbranch_vccnz .LBB164_2294
; %bb.2293:
	v_lshlrev_b32_e32 v4, 16, v3
	global_store_dword v[1:2], v4, off
.LBB164_2294:
	s_mov_b64 s[0:1], 0
.LBB164_2295:
	s_andn2_b64 vcc, exec, s[0:1]
	s_cbranch_vccnz .LBB164_2297
; %bb.2296:
	v_lshlrev_b32_e32 v4, 16, v3
	v_cvt_f16_f32_e32 v4, v4
	global_store_short v[1:2], v4, off
.LBB164_2297:
	s_mov_b64 s[0:1], 0
.LBB164_2298:
	s_andn2_b64 vcc, exec, s[0:1]
	s_cbranch_vccnz .LBB164_2314
; %bb.2299:
	s_cmp_lt_i32 s2, 2
	s_mov_b64 s[0:1], -1
	s_cbranch_scc1 .LBB164_2309
; %bb.2300:
	s_cmp_lt_i32 s2, 3
	s_cbranch_scc1 .LBB164_2306
; %bb.2301:
	s_cmp_gt_i32 s2, 3
	s_cbranch_scc0 .LBB164_2303
; %bb.2302:
	v_lshlrev_b32_e32 v4, 16, v3
	v_trunc_f32_e32 v4, v4
	s_mov_b32 s0, 0x2f800000
	v_mul_f32_e64 v5, |v4|, s0
	v_floor_f32_e32 v5, v5
	s_mov_b32 s0, 0xcf800000
	v_cvt_u32_f32_e32 v6, v5
	v_fma_f32 v5, v5, s0, |v4|
	v_cvt_u32_f32_e32 v5, v5
	v_ashrrev_i32_e32 v9, 31, v4
	v_xor_b32_e32 v6, v6, v9
	s_mov_b64 s[0:1], 0
	v_xor_b32_e32 v4, v5, v9
	v_sub_co_u32_e32 v4, vcc, v4, v9
	v_subb_co_u32_e32 v5, vcc, v6, v9, vcc
	global_store_dwordx2 v[1:2], v[4:5], off
.LBB164_2303:
	s_andn2_b64 vcc, exec, s[0:1]
	s_cbranch_vccnz .LBB164_2305
; %bb.2304:
	v_lshlrev_b32_e32 v4, 16, v3
	v_cvt_i32_f32_e32 v4, v4
	global_store_dword v[1:2], v4, off
.LBB164_2305:
	s_mov_b64 s[0:1], 0
.LBB164_2306:
	s_andn2_b64 vcc, exec, s[0:1]
	s_cbranch_vccnz .LBB164_2308
; %bb.2307:
	v_lshlrev_b32_e32 v4, 16, v3
	v_cvt_i32_f32_e32 v4, v4
	global_store_short v[1:2], v4, off
.LBB164_2308:
	s_mov_b64 s[0:1], 0
.LBB164_2309:
	s_andn2_b64 vcc, exec, s[0:1]
	s_cbranch_vccnz .LBB164_2314
; %bb.2310:
	s_cmp_gt_i32 s2, 0
	s_mov_b64 s[0:1], -1
	s_cbranch_scc0 .LBB164_2312
; %bb.2311:
	v_lshlrev_b32_e32 v4, 16, v3
	v_cvt_i32_f32_e32 v4, v4
	s_mov_b64 s[0:1], 0
	global_store_byte v[1:2], v4, off
.LBB164_2312:
	s_andn2_b64 vcc, exec, s[0:1]
	s_cbranch_vccnz .LBB164_2314
; %bb.2313:
	v_lshlrev_b32_e32 v3, 16, v3
	v_trunc_f32_e32 v3, v3
	s_mov_b32 s0, 0x2f800000
	v_mul_f32_e64 v4, |v3|, s0
	v_floor_f32_e32 v4, v4
	s_mov_b32 s0, 0xcf800000
	v_fma_f32 v4, v4, s0, |v3|
	v_cvt_u32_f32_e32 v4, v4
	v_ashrrev_i32_e32 v3, 31, v3
	v_xor_b32_e32 v4, v4, v3
	v_sub_u32_e32 v3, v4, v3
	global_store_byte v[1:2], v3, off
.LBB164_2314:
	s_mov_b64 s[4:5], -1
.LBB164_2315:
	s_andn2_b64 vcc, exec, s[4:5]
	s_cbranch_vccnz .LBB164_2392
; %bb.2316:
	s_mov_b32 s0, 0x4b000000
	v_cmp_lt_f32_e64 s[0:1], |v7|, s0
	v_mov_b32_e32 v1, 0x264
	v_mov_b32_e32 v2, 0x7f800000
	s_or_b64 vcc, s[6:7], s[0:1]
	v_cndmask_b32_e32 v3, v2, v8, vcc
	v_cmp_class_f32_e32 vcc, v7, v1
	v_cndmask_b32_e32 v1, v3, v2, vcc
	v_cmp_u_f32_e32 vcc, v7, v7
	v_cndmask_b32_e32 v1, v1, v7, vcc
	v_bfe_u32 v2, v1, 16, 1
	s_movk_i32 s0, 0x7fff
	v_add3_u32 v2, v1, v2, s0
	v_cmp_o_f32_e32 vcc, v1, v1
	v_mov_b32_e32 v1, 0x7fc0
	v_cndmask_b32_sdwa v2, v1, v2, vcc dst_sel:DWORD dst_unused:UNUSED_PAD src0_sel:DWORD src1_sel:WORD_1
	v_mov_b32_e32 v1, s13
	v_add_co_u32_e32 v0, vcc, s12, v0
	s_cmp_lt_i32 s18, 11
	v_addc_co_u32_e32 v1, vcc, 0, v1, vcc
	s_cbranch_scc1 .LBB164_2437
; %bb.2317:
	s_and_b32 s12, 0xffff, s18
	s_mov_b64 s[4:5], -1
	s_mov_b64 s[2:3], 0
	s_cmp_gt_i32 s12, 25
	s_mov_b64 s[0:1], 0
	s_cbranch_scc0 .LBB164_2350
; %bb.2318:
	s_cmp_gt_i32 s12, 28
	s_cbranch_scc0 .LBB164_2334
; %bb.2319:
	s_cmp_gt_i32 s12, 43
	;; [unrolled: 3-line block ×3, first 2 shown]
	s_cbranch_scc0 .LBB164_2324
; %bb.2321:
	s_cmp_eq_u32 s12, 46
	s_mov_b64 s[0:1], -1
	s_cbranch_scc0 .LBB164_2323
; %bb.2322:
	v_and_b32_e32 v3, 0xffff, v2
	global_store_dword v[0:1], v3, off
	s_mov_b64 s[0:1], 0
.LBB164_2323:
	s_mov_b64 s[4:5], 0
.LBB164_2324:
	s_and_b64 vcc, exec, s[4:5]
	s_cbranch_vccz .LBB164_2329
; %bb.2325:
	s_cmp_eq_u32 s12, 44
	s_mov_b64 s[0:1], -1
	s_cbranch_scc0 .LBB164_2329
; %bb.2326:
	v_and_b32_e32 v4, 0xffff, v2
	v_bfe_u32 v3, v4, 7, 8
	s_movk_i32 s0, 0xff
	v_cmp_ne_u32_e32 vcc, s0, v3
	v_mov_b32_e32 v5, 0xff
	s_and_saveexec_b64 s[4:5], vcc
	s_cbranch_execz .LBB164_2328
; %bb.2327:
	v_lshlrev_b32_e32 v6, 16, v4
	s_mov_b32 s0, 0x3f0000
	v_lshrrev_b32_e32 v5, 7, v4
	v_and_b32_e32 v4, 64, v4
	v_and_or_b32 v3, v6, s0, v3
	v_cmp_ne_u32_e32 vcc, 0, v4
	v_cmp_ne_u32_e64 s[0:1], 0, v3
	s_and_b64 s[0:1], vcc, s[0:1]
	v_cndmask_b32_e64 v3, 0, 1, s[0:1]
	v_add_u32_e32 v5, v5, v3
.LBB164_2328:
	s_or_b64 exec, exec, s[4:5]
	s_mov_b64 s[0:1], 0
	global_store_byte v[0:1], v5, off
.LBB164_2329:
	s_mov_b64 s[4:5], 0
.LBB164_2330:
	s_and_b64 vcc, exec, s[4:5]
	s_cbranch_vccz .LBB164_2333
; %bb.2331:
	s_cmp_eq_u32 s12, 29
	s_mov_b64 s[0:1], -1
	s_cbranch_scc0 .LBB164_2333
; %bb.2332:
	v_lshlrev_b32_e32 v3, 16, v2
	v_trunc_f32_e32 v3, v3
	v_mul_f32_e32 v4, 0x2f800000, v3
	v_floor_f32_e32 v5, v4
	v_fmac_f32_e32 v3, 0xcf800000, v5
	v_cvt_u32_f32_e32 v4, v5
	v_cvt_u32_f32_e32 v3, v3
	s_mov_b64 s[0:1], 0
	global_store_dwordx2 v[0:1], v[3:4], off
.LBB164_2333:
	s_mov_b64 s[4:5], 0
.LBB164_2334:
	s_and_b64 vcc, exec, s[4:5]
	s_cbranch_vccz .LBB164_2349
; %bb.2335:
	s_cmp_lt_i32 s12, 27
	s_mov_b64 s[4:5], -1
	s_cbranch_scc1 .LBB164_2341
; %bb.2336:
	s_cmp_gt_i32 s12, 27
	s_cbranch_scc0 .LBB164_2338
; %bb.2337:
	v_lshlrev_b32_e32 v3, 16, v2
	v_cvt_u32_f32_e32 v3, v3
	s_mov_b64 s[4:5], 0
	global_store_dword v[0:1], v3, off
.LBB164_2338:
	s_andn2_b64 vcc, exec, s[4:5]
	s_cbranch_vccnz .LBB164_2340
; %bb.2339:
	v_lshlrev_b32_e32 v3, 16, v2
	v_cvt_u32_f32_e32 v3, v3
	global_store_short v[0:1], v3, off
.LBB164_2340:
	s_mov_b64 s[4:5], 0
.LBB164_2341:
	s_andn2_b64 vcc, exec, s[4:5]
	s_cbranch_vccnz .LBB164_2349
; %bb.2342:
	v_lshlrev_b32_e32 v5, 16, v2
	v_and_b32_e32 v4, 0x7fffffff, v5
	s_mov_b32 s4, 0x43800000
	v_cmp_gt_u32_e32 vcc, s4, v4
	v_mov_b32_e32 v6, 0x80
	s_and_saveexec_b64 s[4:5], vcc
	s_cbranch_execz .LBB164_2348
; %bb.2343:
	s_mov_b32 s6, 0x3bffffff
	v_and_b32_e32 v3, 0xffff, v2
	v_cmp_lt_u32_e32 vcc, s6, v4
	s_mov_b64 s[6:7], 0
                                        ; implicit-def: $vgpr4
	s_and_saveexec_b64 s[8:9], vcc
	s_xor_b64 s[8:9], exec, s[8:9]
	s_cbranch_execz .LBB164_2454
; %bb.2344:
	v_bfe_u32 v4, v3, 4, 1
	s_mov_b32 s13, 0x487ffff
	v_add3_u32 v4, v5, v4, s13
	s_mov_b64 s[6:7], exec
	v_lshrrev_b32_e32 v4, 20, v4
                                        ; implicit-def: $vgpr5
	s_andn2_saveexec_b64 s[8:9], s[8:9]
	s_cbranch_execnz .LBB164_2455
.LBB164_2345:
	s_or_b64 exec, exec, s[8:9]
	v_mov_b32_e32 v6, 0
	s_and_saveexec_b64 s[8:9], s[6:7]
.LBB164_2346:
	v_lshrrev_b32_e32 v3, 8, v3
	s_movk_i32 s6, 0x80
	v_and_or_b32 v6, v3, s6, v4
.LBB164_2347:
	s_or_b64 exec, exec, s[8:9]
.LBB164_2348:
	s_or_b64 exec, exec, s[4:5]
	global_store_byte v[0:1], v6, off
.LBB164_2349:
	s_mov_b64 s[4:5], 0
.LBB164_2350:
	s_and_b64 vcc, exec, s[4:5]
	s_cbranch_vccz .LBB164_2390
; %bb.2351:
	s_cmp_gt_i32 s12, 22
	s_mov_b64 s[2:3], -1
	s_cbranch_scc0 .LBB164_2383
; %bb.2352:
	s_cmp_lt_i32 s12, 24
	s_cbranch_scc1 .LBB164_2372
; %bb.2353:
	s_cmp_gt_i32 s12, 24
	s_cbranch_scc0 .LBB164_2361
; %bb.2354:
	v_lshlrev_b32_e32 v5, 16, v2
	v_and_b32_e32 v4, 0x7fffffff, v5
	s_mov_b32 s2, 0x47800000
	v_cmp_gt_u32_e32 vcc, s2, v4
	v_mov_b32_e32 v6, 0x80
	s_and_saveexec_b64 s[2:3], vcc
	s_cbranch_execz .LBB164_2360
; %bb.2355:
	s_mov_b32 s4, 0x37ffffff
	v_and_b32_e32 v3, 0xffff, v2
	v_cmp_lt_u32_e32 vcc, s4, v4
	s_mov_b64 s[4:5], 0
                                        ; implicit-def: $vgpr4
	s_and_saveexec_b64 s[6:7], vcc
	s_xor_b64 s[6:7], exec, s[6:7]
	s_cbranch_execz .LBB164_2457
; %bb.2356:
	v_bfe_u32 v4, v3, 5, 1
	s_mov_b32 s8, 0x88fffff
	v_add3_u32 v4, v5, v4, s8
	s_mov_b64 s[4:5], exec
	v_lshrrev_b32_e32 v4, 21, v4
                                        ; implicit-def: $vgpr5
	s_andn2_saveexec_b64 s[6:7], s[6:7]
	s_cbranch_execnz .LBB164_2458
.LBB164_2357:
	s_or_b64 exec, exec, s[6:7]
	v_mov_b32_e32 v6, 0
	s_and_saveexec_b64 s[6:7], s[4:5]
.LBB164_2358:
	v_lshrrev_b32_e32 v3, 8, v3
	s_movk_i32 s4, 0x80
	v_and_or_b32 v6, v3, s4, v4
.LBB164_2359:
	s_or_b64 exec, exec, s[6:7]
.LBB164_2360:
	s_or_b64 exec, exec, s[2:3]
	s_mov_b64 s[2:3], 0
	global_store_byte v[0:1], v6, off
.LBB164_2361:
	s_and_b64 vcc, exec, s[2:3]
	s_cbranch_vccz .LBB164_2371
; %bb.2362:
	v_lshlrev_b32_e32 v5, 16, v2
	v_and_b32_e32 v6, 0x7fffffff, v5
	s_mov_b32 s2, 0x43f00000
	v_and_b32_e32 v3, 0xffff, v2
	v_cmp_gt_u32_e32 vcc, s2, v6
                                        ; implicit-def: $vgpr4
	s_and_saveexec_b64 s[2:3], vcc
	s_xor_b64 s[2:3], exec, s[2:3]
	s_cbranch_execz .LBB164_2368
; %bb.2363:
	s_mov_b32 s4, 0x3c7fffff
	v_cmp_lt_u32_e32 vcc, s4, v6
                                        ; implicit-def: $vgpr4
	s_and_saveexec_b64 s[4:5], vcc
	s_xor_b64 s[4:5], exec, s[4:5]
; %bb.2364:
	v_bfe_u32 v4, v3, 4, 1
	s_mov_b32 s6, 0x407ffff
	v_add3_u32 v4, v5, v4, s6
	v_lshrrev_b32_e32 v5, 20, v4
	v_and_b32_e32 v4, 0xff00000, v4
	s_mov_b32 s6, 0x7f00000
	v_mov_b32_e32 v6, 0x7e
	v_cmp_ne_u32_e32 vcc, s6, v4
	v_cndmask_b32_e32 v4, v6, v5, vcc
                                        ; implicit-def: $vgpr5
; %bb.2365:
	s_andn2_saveexec_b64 s[4:5], s[4:5]
; %bb.2366:
	s_mov_b32 s6, 0x46800000
	v_add_f32_e64 v4, |v5|, s6
; %bb.2367:
	s_or_b64 exec, exec, s[4:5]
                                        ; implicit-def: $vgpr6
.LBB164_2368:
	s_andn2_saveexec_b64 s[2:3], s[2:3]
; %bb.2369:
	s_mov_b32 s4, 0x7f800000
	v_mov_b32_e32 v4, 0x7e
	v_mov_b32_e32 v5, 0x7f
	v_cmp_lt_u32_e32 vcc, s4, v6
	v_cndmask_b32_e32 v4, v4, v5, vcc
; %bb.2370:
	s_or_b64 exec, exec, s[2:3]
	v_lshrrev_b32_e32 v3, 8, v3
	s_movk_i32 s2, 0x80
	v_and_or_b32 v3, v3, s2, v4
	global_store_byte v[0:1], v3, off
.LBB164_2371:
	s_mov_b64 s[2:3], 0
.LBB164_2372:
	s_andn2_b64 vcc, exec, s[2:3]
	s_cbranch_vccnz .LBB164_2382
; %bb.2373:
	v_lshlrev_b32_e32 v5, 16, v2
	v_and_b32_e32 v6, 0x7fffffff, v5
	s_mov_b32 s2, 0x47800000
	v_and_b32_e32 v3, 0xffff, v2
	v_cmp_gt_u32_e32 vcc, s2, v6
                                        ; implicit-def: $vgpr4
	s_and_saveexec_b64 s[2:3], vcc
	s_xor_b64 s[2:3], exec, s[2:3]
	s_cbranch_execz .LBB164_2379
; %bb.2374:
	s_mov_b32 s4, 0x387fffff
	v_cmp_lt_u32_e32 vcc, s4, v6
                                        ; implicit-def: $vgpr4
	s_and_saveexec_b64 s[4:5], vcc
	s_xor_b64 s[4:5], exec, s[4:5]
; %bb.2375:
	v_bfe_u32 v4, v3, 5, 1
	s_mov_b32 s6, 0x80fffff
	v_add3_u32 v4, v5, v4, s6
	v_lshrrev_b32_e32 v4, 21, v4
                                        ; implicit-def: $vgpr5
; %bb.2376:
	s_andn2_saveexec_b64 s[4:5], s[4:5]
; %bb.2377:
	s_mov_b32 s6, 0x43000000
	v_add_f32_e64 v4, |v5|, s6
; %bb.2378:
	s_or_b64 exec, exec, s[4:5]
                                        ; implicit-def: $vgpr6
.LBB164_2379:
	s_andn2_saveexec_b64 s[2:3], s[2:3]
; %bb.2380:
	s_mov_b32 s4, 0x7f800000
	v_mov_b32_e32 v4, 0x7c
	v_mov_b32_e32 v5, 0x7f
	v_cmp_lt_u32_e32 vcc, s4, v6
	v_cndmask_b32_e32 v4, v4, v5, vcc
; %bb.2381:
	s_or_b64 exec, exec, s[2:3]
	v_lshrrev_b32_e32 v3, 8, v3
	s_movk_i32 s2, 0x80
	v_and_or_b32 v3, v3, s2, v4
	global_store_byte v[0:1], v3, off
.LBB164_2382:
	s_mov_b64 s[2:3], 0
.LBB164_2383:
	s_andn2_b64 vcc, exec, s[2:3]
	s_mov_b64 s[2:3], 0
	s_cbranch_vccnz .LBB164_2390
; %bb.2384:
	s_cmp_gt_i32 s12, 14
	s_mov_b64 s[4:5], -1
	s_cbranch_scc0 .LBB164_2388
; %bb.2385:
	s_cmp_eq_u32 s12, 15
	s_mov_b64 s[0:1], -1
	s_cbranch_scc0 .LBB164_2387
; %bb.2386:
	global_store_short v[0:1], v2, off
	s_mov_b64 s[0:1], 0
.LBB164_2387:
	s_mov_b64 s[4:5], 0
.LBB164_2388:
	s_and_b64 vcc, exec, s[4:5]
	s_cbranch_vccz .LBB164_2390
; %bb.2389:
	s_cmp_lg_u32 s12, 11
	s_mov_b64 s[2:3], -1
	s_cselect_b64 s[0:1], -1, 0
.LBB164_2390:
	s_and_b64 vcc, exec, s[0:1]
	s_cbranch_vccnz .LBB164_2456
.LBB164_2391:
	s_mov_b64 s[0:1], 0
	s_branch .LBB164_2393
.LBB164_2392:
	s_mov_b64 s[0:1], 0
	s_mov_b64 s[2:3], 0
                                        ; implicit-def: $vgpr0_vgpr1
                                        ; implicit-def: $sgpr18
                                        ; implicit-def: $vgpr2
.LBB164_2393:
	s_and_b64 s[6:7], s[2:3], exec
	s_andn2_b64 s[2:3], s[28:29], exec
	s_and_b64 s[4:5], s[10:11], exec
	s_and_b64 s[0:1], s[0:1], exec
	s_or_b64 s[28:29], s[2:3], s[4:5]
.LBB164_2394:
	s_or_b64 exec, exec, s[30:31]
	s_and_saveexec_b64 s[2:3], s[28:29]
	s_cbranch_execz .LBB164_2397
; %bb.2395:
	; divergent unreachable
	s_or_b64 exec, exec, s[2:3]
	s_and_saveexec_b64 s[2:3], s[6:7]
	s_xor_b64 s[2:3], exec, s[2:3]
	s_cbranch_execnz .LBB164_2398
.LBB164_2396:
	s_or_b64 exec, exec, s[2:3]
	s_and_saveexec_b64 s[2:3], s[0:1]
	s_cbranch_execnz .LBB164_2399
	s_branch .LBB164_2436
.LBB164_2397:
	s_or_b64 exec, exec, s[2:3]
	s_and_saveexec_b64 s[2:3], s[6:7]
	s_xor_b64 s[2:3], exec, s[2:3]
	s_cbranch_execz .LBB164_2396
.LBB164_2398:
	s_waitcnt vmcnt(0)
	v_and_b32_e32 v3, 0x7fff, v2
	v_cmp_ne_u16_e32 vcc, 0, v3
	v_cndmask_b32_e64 v3, 0, 1, vcc
	global_store_byte v[0:1], v3, off
	s_or_b64 exec, exec, s[2:3]
	s_and_saveexec_b64 s[2:3], s[0:1]
	s_cbranch_execz .LBB164_2436
.LBB164_2399:
	s_sext_i32_i16 s2, s18
	s_cmp_lt_i32 s2, 5
	s_mov_b64 s[0:1], -1
	s_cbranch_scc1 .LBB164_2420
; %bb.2400:
	s_cmp_lt_i32 s2, 8
	s_cbranch_scc1 .LBB164_2410
; %bb.2401:
	s_cmp_lt_i32 s2, 9
	s_cbranch_scc1 .LBB164_2407
; %bb.2402:
	s_cmp_gt_i32 s2, 9
	s_cbranch_scc0 .LBB164_2404
; %bb.2403:
	s_waitcnt vmcnt(0)
	v_lshlrev_b32_e32 v3, 16, v2
	v_cvt_f64_f32_e32 v[3:4], v3
	v_mov_b32_e32 v5, 0
	v_mov_b32_e32 v6, v5
	s_mov_b64 s[0:1], 0
	global_store_dwordx4 v[0:1], v[3:6], off
.LBB164_2404:
	s_andn2_b64 vcc, exec, s[0:1]
	s_cbranch_vccnz .LBB164_2406
; %bb.2405:
	s_waitcnt vmcnt(0)
	v_lshlrev_b32_e32 v3, 16, v2
	v_mov_b32_e32 v4, 0
	global_store_dwordx2 v[0:1], v[3:4], off
.LBB164_2406:
	s_mov_b64 s[0:1], 0
.LBB164_2407:
	s_andn2_b64 vcc, exec, s[0:1]
	s_cbranch_vccnz .LBB164_2409
; %bb.2408:
	s_waitcnt vmcnt(0)
	v_lshlrev_b32_e32 v3, 16, v2
	v_cvt_f16_f32_e32 v3, v3
	global_store_dword v[0:1], v3, off
.LBB164_2409:
	s_mov_b64 s[0:1], 0
.LBB164_2410:
	s_andn2_b64 vcc, exec, s[0:1]
	s_cbranch_vccnz .LBB164_2419
; %bb.2411:
	s_sext_i32_i16 s2, s18
	s_cmp_lt_i32 s2, 6
	s_mov_b64 s[0:1], -1
	s_cbranch_scc1 .LBB164_2417
; %bb.2412:
	s_cmp_gt_i32 s2, 6
	s_cbranch_scc0 .LBB164_2414
; %bb.2413:
	s_waitcnt vmcnt(0)
	v_lshlrev_b32_e32 v3, 16, v2
	v_cvt_f64_f32_e32 v[3:4], v3
	s_mov_b64 s[0:1], 0
	global_store_dwordx2 v[0:1], v[3:4], off
.LBB164_2414:
	s_andn2_b64 vcc, exec, s[0:1]
	s_cbranch_vccnz .LBB164_2416
; %bb.2415:
	s_waitcnt vmcnt(0)
	v_lshlrev_b32_e32 v3, 16, v2
	global_store_dword v[0:1], v3, off
.LBB164_2416:
	s_mov_b64 s[0:1], 0
.LBB164_2417:
	s_andn2_b64 vcc, exec, s[0:1]
	s_cbranch_vccnz .LBB164_2419
; %bb.2418:
	s_waitcnt vmcnt(0)
	v_lshlrev_b32_e32 v3, 16, v2
	v_cvt_f16_f32_e32 v3, v3
	global_store_short v[0:1], v3, off
.LBB164_2419:
	s_mov_b64 s[0:1], 0
.LBB164_2420:
	s_andn2_b64 vcc, exec, s[0:1]
	s_cbranch_vccnz .LBB164_2436
; %bb.2421:
	s_sext_i32_i16 s2, s18
	s_cmp_lt_i32 s2, 2
	s_mov_b64 s[0:1], -1
	s_cbranch_scc1 .LBB164_2431
; %bb.2422:
	s_cmp_lt_i32 s2, 3
	s_cbranch_scc1 .LBB164_2428
; %bb.2423:
	s_cmp_gt_i32 s2, 3
	s_cbranch_scc0 .LBB164_2425
; %bb.2424:
	s_waitcnt vmcnt(0)
	v_lshlrev_b32_e32 v3, 16, v2
	v_trunc_f32_e32 v3, v3
	s_mov_b32 s0, 0x2f800000
	v_mul_f32_e64 v4, |v3|, s0
	v_floor_f32_e32 v4, v4
	s_mov_b32 s0, 0xcf800000
	v_cvt_u32_f32_e32 v5, v4
	v_fma_f32 v4, v4, s0, |v3|
	v_cvt_u32_f32_e32 v4, v4
	v_ashrrev_i32_e32 v6, 31, v3
	v_xor_b32_e32 v5, v5, v6
	s_mov_b64 s[0:1], 0
	v_xor_b32_e32 v3, v4, v6
	v_sub_co_u32_e32 v3, vcc, v3, v6
	v_subb_co_u32_e32 v4, vcc, v5, v6, vcc
	global_store_dwordx2 v[0:1], v[3:4], off
.LBB164_2425:
	s_andn2_b64 vcc, exec, s[0:1]
	s_cbranch_vccnz .LBB164_2427
; %bb.2426:
	s_waitcnt vmcnt(0)
	v_lshlrev_b32_e32 v3, 16, v2
	v_cvt_i32_f32_e32 v3, v3
	global_store_dword v[0:1], v3, off
.LBB164_2427:
	s_mov_b64 s[0:1], 0
.LBB164_2428:
	s_andn2_b64 vcc, exec, s[0:1]
	s_cbranch_vccnz .LBB164_2430
; %bb.2429:
	s_waitcnt vmcnt(0)
	v_lshlrev_b32_e32 v3, 16, v2
	v_cvt_i32_f32_e32 v3, v3
	global_store_short v[0:1], v3, off
.LBB164_2430:
	s_mov_b64 s[0:1], 0
.LBB164_2431:
	s_andn2_b64 vcc, exec, s[0:1]
	s_cbranch_vccnz .LBB164_2436
; %bb.2432:
	s_sext_i32_i16 s0, s18
	s_cmp_gt_i32 s0, 0
	s_mov_b64 s[0:1], -1
	s_cbranch_scc0 .LBB164_2434
; %bb.2433:
	s_waitcnt vmcnt(0)
	v_lshlrev_b32_e32 v3, 16, v2
	v_cvt_i32_f32_e32 v3, v3
	s_mov_b64 s[0:1], 0
	global_store_byte v[0:1], v3, off
.LBB164_2434:
	s_andn2_b64 vcc, exec, s[0:1]
	s_cbranch_vccnz .LBB164_2436
; %bb.2435:
	v_lshlrev_b32_e32 v2, 16, v2
	v_trunc_f32_e32 v2, v2
	s_mov_b32 s0, 0x2f800000
	s_waitcnt vmcnt(0)
	v_mul_f32_e64 v3, |v2|, s0
	v_floor_f32_e32 v3, v3
	s_mov_b32 s0, 0xcf800000
	v_fma_f32 v3, v3, s0, |v2|
	v_cvt_u32_f32_e32 v3, v3
	v_ashrrev_i32_e32 v2, 31, v2
	v_xor_b32_e32 v3, v3, v2
	v_sub_u32_e32 v2, v3, v2
	global_store_byte v[0:1], v2, off
	s_endpgm
.LBB164_2436:
	s_endpgm
.LBB164_2437:
	s_mov_b64 s[2:3], 0
	s_mov_b64 s[0:1], -1
	s_branch .LBB164_2393
.LBB164_2438:
	s_trap 2
	s_or_b64 s[10:11], s[10:11], exec
	s_cbranch_execz .LBB164_1869
	s_branch .LBB164_1870
.LBB164_2439:
	s_andn2_saveexec_b64 s[18:19], s[18:19]
	s_cbranch_execz .LBB164_1987
.LBB164_2440:
	s_mov_b32 s23, 0x46000000
	v_add_f32_e64 v13, |v14|, s23
	v_and_b32_e32 v13, 0xff, v13
	v_cmp_ne_u32_e32 vcc, 0, v13
	s_andn2_b64 s[16:17], s[16:17], exec
	s_and_b64 s[24:25], vcc, exec
	s_or_b64 s[16:17], s[16:17], s[24:25]
	s_or_b64 exec, exec, s[18:19]
	v_mov_b32_e32 v15, 0
	s_and_saveexec_b64 s[18:19], s[16:17]
	s_cbranch_execnz .LBB164_1988
	s_branch .LBB164_1989
.LBB164_2441:
	s_trap 2
	s_or_b64 s[10:11], s[10:11], exec
	s_cbranch_execz .LBB164_2035
	s_branch .LBB164_2036
.LBB164_2442:
	s_andn2_saveexec_b64 s[16:17], s[16:17]
	s_cbranch_execz .LBB164_2000
.LBB164_2443:
	s_mov_b32 s18, 0x42800000
	v_add_f32_e64 v13, |v14|, s18
	v_and_b32_e32 v13, 0xff, v13
	v_cmp_ne_u32_e32 vcc, 0, v13
	s_andn2_b64 s[14:15], s[14:15], exec
	s_and_b64 s[18:19], vcc, exec
	s_or_b64 s[14:15], s[14:15], s[18:19]
	s_or_b64 exec, exec, s[16:17]
	v_mov_b32_e32 v15, 0
	s_and_saveexec_b64 s[16:17], s[14:15]
	s_cbranch_execnz .LBB164_2001
	s_branch .LBB164_2002
.LBB164_2444:
	s_andn2_saveexec_b64 s[16:17], s[16:17]
	s_cbranch_execz .LBB164_2106
.LBB164_2445:
	s_mov_b32 s20, 0x46000000
	v_add_f32_e64 v6, |v10|, s20
	v_and_b32_e32 v6, 0xff, v6
	v_cmp_ne_u32_e32 vcc, 0, v6
	s_andn2_b64 s[14:15], s[14:15], exec
	s_and_b64 s[20:21], vcc, exec
	s_or_b64 s[14:15], s[14:15], s[20:21]
	s_or_b64 exec, exec, s[16:17]
	v_mov_b32_e32 v11, 0
	s_and_saveexec_b64 s[16:17], s[14:15]
	s_cbranch_execnz .LBB164_2107
	s_branch .LBB164_2108
.LBB164_2446:
	s_trap 2
	s_or_b64 s[10:11], s[10:11], exec
	s_cbranch_execz .LBB164_2154
	s_branch .LBB164_2155
.LBB164_2447:
	s_andn2_saveexec_b64 s[14:15], s[14:15]
	s_cbranch_execz .LBB164_2119
.LBB164_2448:
	s_mov_b32 s16, 0x42800000
	v_add_f32_e64 v6, |v10|, s16
	v_and_b32_e32 v6, 0xff, v6
	v_cmp_ne_u32_e32 vcc, 0, v6
	s_andn2_b64 s[8:9], s[8:9], exec
	s_and_b64 s[16:17], vcc, exec
	s_or_b64 s[8:9], s[8:9], s[16:17]
	s_or_b64 exec, exec, s[14:15]
	v_mov_b32_e32 v11, 0
	s_and_saveexec_b64 s[14:15], s[8:9]
	s_cbranch_execnz .LBB164_2120
	s_branch .LBB164_2121
.LBB164_2449:
	s_andn2_saveexec_b64 s[14:15], s[14:15]
	s_cbranch_execz .LBB164_2225
.LBB164_2450:
	s_mov_b32 s17, 0x46000000
	v_add_f32_e64 v5, |v6|, s17
	v_and_b32_e32 v5, 0xff, v5
	v_cmp_ne_u32_e32 vcc, 0, v5
	s_andn2_b64 s[8:9], s[8:9], exec
	s_and_b64 s[20:21], vcc, exec
	s_or_b64 s[8:9], s[8:9], s[20:21]
	s_or_b64 exec, exec, s[14:15]
	v_mov_b32_e32 v9, 0
	s_and_saveexec_b64 s[14:15], s[8:9]
	s_cbranch_execnz .LBB164_2226
	s_branch .LBB164_2227
.LBB164_2451:
	s_trap 2
	s_or_b64 s[10:11], s[10:11], exec
	s_cbranch_execz .LBB164_2273
	s_branch .LBB164_2274
.LBB164_2452:
	s_andn2_saveexec_b64 s[8:9], s[8:9]
	s_cbranch_execz .LBB164_2238
.LBB164_2453:
	s_mov_b32 s14, 0x42800000
	v_add_f32_e64 v5, |v6|, s14
	v_and_b32_e32 v5, 0xff, v5
	v_cmp_ne_u32_e32 vcc, 0, v5
	s_andn2_b64 s[4:5], s[4:5], exec
	s_and_b64 s[14:15], vcc, exec
	s_or_b64 s[4:5], s[4:5], s[14:15]
	s_or_b64 exec, exec, s[8:9]
	v_mov_b32_e32 v9, 0
	s_and_saveexec_b64 s[8:9], s[4:5]
	s_cbranch_execnz .LBB164_2239
	s_branch .LBB164_2240
.LBB164_2454:
	s_andn2_saveexec_b64 s[8:9], s[8:9]
	s_cbranch_execz .LBB164_2345
.LBB164_2455:
	s_mov_b32 s13, 0x46000000
	v_add_f32_e64 v4, |v5|, s13
	v_and_b32_e32 v4, 0xff, v4
	v_cmp_ne_u32_e32 vcc, 0, v4
	s_andn2_b64 s[6:7], s[6:7], exec
	s_and_b64 s[14:15], vcc, exec
	s_or_b64 s[6:7], s[6:7], s[14:15]
	s_or_b64 exec, exec, s[8:9]
	v_mov_b32_e32 v6, 0
	s_and_saveexec_b64 s[8:9], s[6:7]
	s_cbranch_execnz .LBB164_2346
	s_branch .LBB164_2347
.LBB164_2456:
	s_mov_b64 s[2:3], 0
	s_or_b64 s[10:11], s[10:11], exec
	s_trap 2
	s_branch .LBB164_2391
.LBB164_2457:
	s_andn2_saveexec_b64 s[6:7], s[6:7]
	s_cbranch_execz .LBB164_2357
.LBB164_2458:
	s_mov_b32 s8, 0x42800000
	v_add_f32_e64 v4, |v5|, s8
	v_and_b32_e32 v4, 0xff, v4
	v_cmp_ne_u32_e32 vcc, 0, v4
	s_andn2_b64 s[4:5], s[4:5], exec
	s_and_b64 s[8:9], vcc, exec
	s_or_b64 s[4:5], s[4:5], s[8:9]
	s_or_b64 exec, exec, s[6:7]
	v_mov_b32_e32 v6, 0
	s_and_saveexec_b64 s[6:7], s[4:5]
	s_cbranch_execnz .LBB164_2358
	s_branch .LBB164_2359
	.section	.rodata,"a",@progbits
	.p2align	6, 0x0
	.amdhsa_kernel _ZN2at6native32elementwise_kernel_manual_unrollILi128ELi4EZNS0_15gpu_kernel_implIZZZNS0_18lgamma_kernel_cudaERNS_18TensorIteratorBaseEENKUlvE_clEvENKUlvE2_clEvEUlN3c108BFloat16EE_EEvS4_RKT_EUlibE0_EEviT1_
		.amdhsa_group_segment_fixed_size 0
		.amdhsa_private_segment_fixed_size 0
		.amdhsa_kernarg_size 360
		.amdhsa_user_sgpr_count 6
		.amdhsa_user_sgpr_private_segment_buffer 1
		.amdhsa_user_sgpr_dispatch_ptr 0
		.amdhsa_user_sgpr_queue_ptr 0
		.amdhsa_user_sgpr_kernarg_segment_ptr 1
		.amdhsa_user_sgpr_dispatch_id 0
		.amdhsa_user_sgpr_flat_scratch_init 0
		.amdhsa_user_sgpr_private_segment_size 0
		.amdhsa_uses_dynamic_stack 0
		.amdhsa_system_sgpr_private_segment_wavefront_offset 0
		.amdhsa_system_sgpr_workgroup_id_x 1
		.amdhsa_system_sgpr_workgroup_id_y 0
		.amdhsa_system_sgpr_workgroup_id_z 0
		.amdhsa_system_sgpr_workgroup_info 0
		.amdhsa_system_vgpr_workitem_id 0
		.amdhsa_next_free_vgpr 21
		.amdhsa_next_free_sgpr 78
		.amdhsa_reserve_vcc 1
		.amdhsa_reserve_flat_scratch 0
		.amdhsa_float_round_mode_32 0
		.amdhsa_float_round_mode_16_64 0
		.amdhsa_float_denorm_mode_32 3
		.amdhsa_float_denorm_mode_16_64 3
		.amdhsa_dx10_clamp 1
		.amdhsa_ieee_mode 1
		.amdhsa_fp16_overflow 0
		.amdhsa_exception_fp_ieee_invalid_op 0
		.amdhsa_exception_fp_denorm_src 0
		.amdhsa_exception_fp_ieee_div_zero 0
		.amdhsa_exception_fp_ieee_overflow 0
		.amdhsa_exception_fp_ieee_underflow 0
		.amdhsa_exception_fp_ieee_inexact 0
		.amdhsa_exception_int_div_zero 0
	.end_amdhsa_kernel
	.section	.text._ZN2at6native32elementwise_kernel_manual_unrollILi128ELi4EZNS0_15gpu_kernel_implIZZZNS0_18lgamma_kernel_cudaERNS_18TensorIteratorBaseEENKUlvE_clEvENKUlvE2_clEvEUlN3c108BFloat16EE_EEvS4_RKT_EUlibE0_EEviT1_,"axG",@progbits,_ZN2at6native32elementwise_kernel_manual_unrollILi128ELi4EZNS0_15gpu_kernel_implIZZZNS0_18lgamma_kernel_cudaERNS_18TensorIteratorBaseEENKUlvE_clEvENKUlvE2_clEvEUlN3c108BFloat16EE_EEvS4_RKT_EUlibE0_EEviT1_,comdat
.Lfunc_end164:
	.size	_ZN2at6native32elementwise_kernel_manual_unrollILi128ELi4EZNS0_15gpu_kernel_implIZZZNS0_18lgamma_kernel_cudaERNS_18TensorIteratorBaseEENKUlvE_clEvENKUlvE2_clEvEUlN3c108BFloat16EE_EEvS4_RKT_EUlibE0_EEviT1_, .Lfunc_end164-_ZN2at6native32elementwise_kernel_manual_unrollILi128ELi4EZNS0_15gpu_kernel_implIZZZNS0_18lgamma_kernel_cudaERNS_18TensorIteratorBaseEENKUlvE_clEvENKUlvE2_clEvEUlN3c108BFloat16EE_EEvS4_RKT_EUlibE0_EEviT1_
                                        ; -- End function
	.set _ZN2at6native32elementwise_kernel_manual_unrollILi128ELi4EZNS0_15gpu_kernel_implIZZZNS0_18lgamma_kernel_cudaERNS_18TensorIteratorBaseEENKUlvE_clEvENKUlvE2_clEvEUlN3c108BFloat16EE_EEvS4_RKT_EUlibE0_EEviT1_.num_vgpr, 21
	.set _ZN2at6native32elementwise_kernel_manual_unrollILi128ELi4EZNS0_15gpu_kernel_implIZZZNS0_18lgamma_kernel_cudaERNS_18TensorIteratorBaseEENKUlvE_clEvENKUlvE2_clEvEUlN3c108BFloat16EE_EEvS4_RKT_EUlibE0_EEviT1_.num_agpr, 0
	.set _ZN2at6native32elementwise_kernel_manual_unrollILi128ELi4EZNS0_15gpu_kernel_implIZZZNS0_18lgamma_kernel_cudaERNS_18TensorIteratorBaseEENKUlvE_clEvENKUlvE2_clEvEUlN3c108BFloat16EE_EEvS4_RKT_EUlibE0_EEviT1_.numbered_sgpr, 78
	.set _ZN2at6native32elementwise_kernel_manual_unrollILi128ELi4EZNS0_15gpu_kernel_implIZZZNS0_18lgamma_kernel_cudaERNS_18TensorIteratorBaseEENKUlvE_clEvENKUlvE2_clEvEUlN3c108BFloat16EE_EEvS4_RKT_EUlibE0_EEviT1_.num_named_barrier, 0
	.set _ZN2at6native32elementwise_kernel_manual_unrollILi128ELi4EZNS0_15gpu_kernel_implIZZZNS0_18lgamma_kernel_cudaERNS_18TensorIteratorBaseEENKUlvE_clEvENKUlvE2_clEvEUlN3c108BFloat16EE_EEvS4_RKT_EUlibE0_EEviT1_.private_seg_size, 0
	.set _ZN2at6native32elementwise_kernel_manual_unrollILi128ELi4EZNS0_15gpu_kernel_implIZZZNS0_18lgamma_kernel_cudaERNS_18TensorIteratorBaseEENKUlvE_clEvENKUlvE2_clEvEUlN3c108BFloat16EE_EEvS4_RKT_EUlibE0_EEviT1_.uses_vcc, 1
	.set _ZN2at6native32elementwise_kernel_manual_unrollILi128ELi4EZNS0_15gpu_kernel_implIZZZNS0_18lgamma_kernel_cudaERNS_18TensorIteratorBaseEENKUlvE_clEvENKUlvE2_clEvEUlN3c108BFloat16EE_EEvS4_RKT_EUlibE0_EEviT1_.uses_flat_scratch, 0
	.set _ZN2at6native32elementwise_kernel_manual_unrollILi128ELi4EZNS0_15gpu_kernel_implIZZZNS0_18lgamma_kernel_cudaERNS_18TensorIteratorBaseEENKUlvE_clEvENKUlvE2_clEvEUlN3c108BFloat16EE_EEvS4_RKT_EUlibE0_EEviT1_.has_dyn_sized_stack, 0
	.set _ZN2at6native32elementwise_kernel_manual_unrollILi128ELi4EZNS0_15gpu_kernel_implIZZZNS0_18lgamma_kernel_cudaERNS_18TensorIteratorBaseEENKUlvE_clEvENKUlvE2_clEvEUlN3c108BFloat16EE_EEvS4_RKT_EUlibE0_EEviT1_.has_recursion, 0
	.set _ZN2at6native32elementwise_kernel_manual_unrollILi128ELi4EZNS0_15gpu_kernel_implIZZZNS0_18lgamma_kernel_cudaERNS_18TensorIteratorBaseEENKUlvE_clEvENKUlvE2_clEvEUlN3c108BFloat16EE_EEvS4_RKT_EUlibE0_EEviT1_.has_indirect_call, 0
	.section	.AMDGPU.csdata,"",@progbits
; Kernel info:
; codeLenInByte = 63772
; TotalNumSgprs: 82
; NumVgprs: 21
; ScratchSize: 0
; MemoryBound: 0
; FloatMode: 240
; IeeeMode: 1
; LDSByteSize: 0 bytes/workgroup (compile time only)
; SGPRBlocks: 10
; VGPRBlocks: 5
; NumSGPRsForWavesPerEU: 82
; NumVGPRsForWavesPerEU: 21
; Occupancy: 9
; WaveLimiterHint : 1
; COMPUTE_PGM_RSRC2:SCRATCH_EN: 0
; COMPUTE_PGM_RSRC2:USER_SGPR: 6
; COMPUTE_PGM_RSRC2:TRAP_HANDLER: 0
; COMPUTE_PGM_RSRC2:TGID_X_EN: 1
; COMPUTE_PGM_RSRC2:TGID_Y_EN: 0
; COMPUTE_PGM_RSRC2:TGID_Z_EN: 0
; COMPUTE_PGM_RSRC2:TIDIG_COMP_CNT: 0
	.section	.AMDGPU.gpr_maximums,"",@progbits
	.set amdgpu.max_num_vgpr, 87
	.set amdgpu.max_num_agpr, 0
	.set amdgpu.max_num_sgpr, 96
	.section	.AMDGPU.csdata,"",@progbits
	.hidden	_ZZ4zetaIdLb1EET_S0_S0_E1A      ; @_ZZ4zetaIdLb1EET_S0_S0_E1A
	.type	_ZZ4zetaIdLb1EET_S0_S0_E1A,@object
	.section	.rodata._ZZ4zetaIdLb1EET_S0_S0_E1A,"aG",@progbits,_ZZ4zetaIdLb1EET_S0_S0_E1A,comdat
	.weak	_ZZ4zetaIdLb1EET_S0_S0_E1A
	.p2align	4, 0x0
_ZZ4zetaIdLb1EET_S0_S0_E1A:
	.quad	0x4028000000000000              ; double 12
	.quad	0xc086800000000000              ; double -720
	.quad	0x40dd880000000000              ; double 30240
	.quad	0xc132750000000000              ; double -1209600
	.quad	0x4186d73000000000              ; double 47900160
	.quad	0xc1dc331393146053              ; double -1892437580.3183792
	.quad	0x423165e990000000              ; double 74724249600
	.quad	0xc285770bf3df7150              ; double -2950130727918.1641
	.quad	0x42da7b51e18d632b              ; double 116467828143500.67
	.quad	0xc33055d6586f1431              ; double -4597978722407473
	.quad	0x438427237ec0a9de              ; double 1.8152105401943546E+17
	.quad	0xc3d8dcd555480632              ; double -7.1661652561756672E+18
	.size	_ZZ4zetaIdLb1EET_S0_S0_E1A, 96

	.hidden	_ZZ4zetaIfLb1EET_S0_S0_E1A      ; @_ZZ4zetaIfLb1EET_S0_S0_E1A
	.type	_ZZ4zetaIfLb1EET_S0_S0_E1A,@object
	.section	.rodata._ZZ4zetaIfLb1EET_S0_S0_E1A,"aG",@progbits,_ZZ4zetaIfLb1EET_S0_S0_E1A,comdat
	.weak	_ZZ4zetaIfLb1EET_S0_S0_E1A
	.p2align	4, 0x0
_ZZ4zetaIfLb1EET_S0_S0_E1A:
	.long	0x41400000                      ; float 12
	.long	0xc4340000                      ; float -720
	.long	0x46ec4000                      ; float 30240
	.long	0xc993a800                      ; float -1209600
	.long	0x4c36b980                      ; float 47900160
	.long	0xcee1989d                      ; float -1.89243763E+9
	.long	0x518b2f4c                      ; float 7.47242455E+10
	.long	0xd42bb860                      ; float -2.95013083E+12
	.long	0x56d3da8f                      ; float 1.16467828E+14
	.long	0xd982aeb3                      ; float -4.59797885E+15
	.long	0x5c21391c                      ; float 1.81521055E+17
	.long	0xdec6e6ab                      ; float -7.16616544E+18
	.size	_ZZ4zetaIfLb1EET_S0_S0_E1A, 48

	.hidden	_ZZ4zetaIN3c104HalfELb1EET_S2_S2_E1A ; @_ZZ4zetaIN3c104HalfELb1EET_S2_S2_E1A
	.type	_ZZ4zetaIN3c104HalfELb1EET_S2_S2_E1A,@object
	.section	.rodata._ZZ4zetaIN3c104HalfELb1EET_S2_S2_E1A,"aG",@progbits,_ZZ4zetaIN3c104HalfELb1EET_S2_S2_E1A,comdat
	.weak	_ZZ4zetaIN3c104HalfELb1EET_S2_S2_E1A
	.p2align	4, 0x0
_ZZ4zetaIN3c104HalfELb1EET_S2_S2_E1A:
	.long	0x41400000                      ; float 12
	.long	0xc4340000                      ; float -720
	.long	0x46ec4000                      ; float 30240
	.long	0xc993a800                      ; float -1209600
	.long	0x4c36b980                      ; float 47900160
	.long	0xcee1989d                      ; float -1.89243763E+9
	.long	0x518b2f4c                      ; float 7.47242455E+10
	.long	0xd42bb860                      ; float -2.95013083E+12
	.long	0x56d3da8f                      ; float 1.16467828E+14
	.long	0xd982aeb3                      ; float -4.59797885E+15
	.long	0x5c21391c                      ; float 1.81521055E+17
	.long	0xdec6e6ab                      ; float -7.16616544E+18
	.size	_ZZ4zetaIN3c104HalfELb1EET_S2_S2_E1A, 48

	.hidden	_ZZ4zetaIN3c108BFloat16ELb1EET_S2_S2_E1A ; @_ZZ4zetaIN3c108BFloat16ELb1EET_S2_S2_E1A
	.type	_ZZ4zetaIN3c108BFloat16ELb1EET_S2_S2_E1A,@object
	.section	.rodata._ZZ4zetaIN3c108BFloat16ELb1EET_S2_S2_E1A,"aG",@progbits,_ZZ4zetaIN3c108BFloat16ELb1EET_S2_S2_E1A,comdat
	.weak	_ZZ4zetaIN3c108BFloat16ELb1EET_S2_S2_E1A
	.p2align	4, 0x0
_ZZ4zetaIN3c108BFloat16ELb1EET_S2_S2_E1A:
	.long	0x41400000                      ; float 12
	.long	0xc4340000                      ; float -720
	.long	0x46ec4000                      ; float 30240
	.long	0xc993a800                      ; float -1209600
	.long	0x4c36b980                      ; float 47900160
	.long	0xcee1989d                      ; float -1.89243763E+9
	.long	0x518b2f4c                      ; float 7.47242455E+10
	.long	0xd42bb860                      ; float -2.95013083E+12
	.long	0x56d3da8f                      ; float 1.16467828E+14
	.long	0xd982aeb3                      ; float -4.59797885E+15
	.long	0x5c21391c                      ; float 1.81521055E+17
	.long	0xdec6e6ab                      ; float -7.16616544E+18
	.size	_ZZ4zetaIN3c108BFloat16ELb1EET_S2_S2_E1A, 48

	.type	__hip_cuid_356f5f36c00cbf95,@object ; @__hip_cuid_356f5f36c00cbf95
	.section	.bss,"aw",@nobits
	.globl	__hip_cuid_356f5f36c00cbf95
__hip_cuid_356f5f36c00cbf95:
	.byte	0                               ; 0x0
	.size	__hip_cuid_356f5f36c00cbf95, 1

	.ident	"AMD clang version 22.0.0git (https://github.com/RadeonOpenCompute/llvm-project roc-7.2.4 26084 f58b06dce1f9c15707c5f808fd002e18c2accf7e)"
	.section	".note.GNU-stack","",@progbits
	.addrsig
	.addrsig_sym __hip_cuid_356f5f36c00cbf95
	.amdgpu_metadata
---
amdhsa.kernels:
  - .args:
      - .offset:         0
        .size:           4
        .value_kind:     by_value
      - .offset:         4
        .size:           1
        .value_kind:     by_value
      - .offset:         8
        .size:           16
        .value_kind:     by_value
    .group_segment_fixed_size: 0
    .kernarg_segment_align: 8
    .kernarg_segment_size: 24
    .language:       OpenCL C
    .language_version:
      - 2
      - 0
    .max_flat_workgroup_size: 256
    .name:           _ZN2at6native29vectorized_elementwise_kernelILi16EZZZNS0_19digamma_kernel_cudaERNS_18TensorIteratorBaseEENKUlvE_clEvENKUlvE_clEvEUldE_St5arrayIPcLm2EEEEviT0_T1_
    .private_segment_fixed_size: 0
    .sgpr_count:     37
    .sgpr_spill_count: 0
    .symbol:         _ZN2at6native29vectorized_elementwise_kernelILi16EZZZNS0_19digamma_kernel_cudaERNS_18TensorIteratorBaseEENKUlvE_clEvENKUlvE_clEvEUldE_St5arrayIPcLm2EEEEviT0_T1_.kd
    .uniform_work_group_size: 1
    .uses_dynamic_stack: false
    .vgpr_count:     54
    .vgpr_spill_count: 0
    .wavefront_size: 64
  - .args:
      - .offset:         0
        .size:           4
        .value_kind:     by_value
      - .offset:         4
        .size:           1
        .value_kind:     by_value
      - .offset:         8
        .size:           16
        .value_kind:     by_value
    .group_segment_fixed_size: 0
    .kernarg_segment_align: 8
    .kernarg_segment_size: 24
    .language:       OpenCL C
    .language_version:
      - 2
      - 0
    .max_flat_workgroup_size: 256
    .name:           _ZN2at6native29vectorized_elementwise_kernelILi8EZZZNS0_19digamma_kernel_cudaERNS_18TensorIteratorBaseEENKUlvE_clEvENKUlvE_clEvEUldE_St5arrayIPcLm2EEEEviT0_T1_
    .private_segment_fixed_size: 0
    .sgpr_count:     37
    .sgpr_spill_count: 0
    .symbol:         _ZN2at6native29vectorized_elementwise_kernelILi8EZZZNS0_19digamma_kernel_cudaERNS_18TensorIteratorBaseEENKUlvE_clEvENKUlvE_clEvEUldE_St5arrayIPcLm2EEEEviT0_T1_.kd
    .uniform_work_group_size: 1
    .uses_dynamic_stack: false
    .vgpr_count:     54
    .vgpr_spill_count: 0
    .wavefront_size: 64
  - .args:
      - .offset:         0
        .size:           4
        .value_kind:     by_value
      - .offset:         4
        .size:           1
        .value_kind:     by_value
      - .offset:         8
        .size:           16
        .value_kind:     by_value
    .group_segment_fixed_size: 0
    .kernarg_segment_align: 8
    .kernarg_segment_size: 24
    .language:       OpenCL C
    .language_version:
      - 2
      - 0
    .max_flat_workgroup_size: 256
    .name:           _ZN2at6native29vectorized_elementwise_kernelILi4EZZZNS0_19digamma_kernel_cudaERNS_18TensorIteratorBaseEENKUlvE_clEvENKUlvE_clEvEUldE_St5arrayIPcLm2EEEEviT0_T1_
    .private_segment_fixed_size: 0
    .sgpr_count:     37
    .sgpr_spill_count: 0
    .symbol:         _ZN2at6native29vectorized_elementwise_kernelILi4EZZZNS0_19digamma_kernel_cudaERNS_18TensorIteratorBaseEENKUlvE_clEvENKUlvE_clEvEUldE_St5arrayIPcLm2EEEEviT0_T1_.kd
    .uniform_work_group_size: 1
    .uses_dynamic_stack: false
    .vgpr_count:     54
    .vgpr_spill_count: 0
    .wavefront_size: 64
  - .args:
      - .offset:         0
        .size:           4
        .value_kind:     by_value
      - .offset:         4
        .size:           1
        .value_kind:     by_value
      - .offset:         8
        .size:           16
        .value_kind:     by_value
    .group_segment_fixed_size: 0
    .kernarg_segment_align: 8
    .kernarg_segment_size: 24
    .language:       OpenCL C
    .language_version:
      - 2
      - 0
    .max_flat_workgroup_size: 256
    .name:           _ZN2at6native29vectorized_elementwise_kernelILi2EZZZNS0_19digamma_kernel_cudaERNS_18TensorIteratorBaseEENKUlvE_clEvENKUlvE_clEvEUldE_St5arrayIPcLm2EEEEviT0_T1_
    .private_segment_fixed_size: 0
    .sgpr_count:     37
    .sgpr_spill_count: 0
    .symbol:         _ZN2at6native29vectorized_elementwise_kernelILi2EZZZNS0_19digamma_kernel_cudaERNS_18TensorIteratorBaseEENKUlvE_clEvENKUlvE_clEvEUldE_St5arrayIPcLm2EEEEviT0_T1_.kd
    .uniform_work_group_size: 1
    .uses_dynamic_stack: false
    .vgpr_count:     54
    .vgpr_spill_count: 0
    .wavefront_size: 64
  - .args:
      - .offset:         0
        .size:           4
        .value_kind:     by_value
      - .offset:         4
        .size:           1
        .value_kind:     by_value
      - .offset:         8
        .size:           16
        .value_kind:     by_value
      - .offset:         24
        .size:           1
        .value_kind:     by_value
      - .offset:         25
        .size:           1
        .value_kind:     by_value
      - .offset:         26
        .size:           1
        .value_kind:     by_value
      - .offset:         27
        .size:           1
        .value_kind:     by_value
    .group_segment_fixed_size: 0
    .kernarg_segment_align: 8
    .kernarg_segment_size: 28
    .language:       OpenCL C
    .language_version:
      - 2
      - 0
    .max_flat_workgroup_size: 256
    .name:           _ZN2at6native27unrolled_elementwise_kernelIZZZNS0_19digamma_kernel_cudaERNS_18TensorIteratorBaseEENKUlvE_clEvENKUlvE_clEvEUldE_St5arrayIPcLm2EELi4E23TrivialOffsetCalculatorILi1EjESB_NS0_6memory15LoadWithoutCastENSC_16StoreWithoutCastEEEviT_T0_T2_T3_T4_T5_
    .private_segment_fixed_size: 0
    .sgpr_count:     37
    .sgpr_spill_count: 0
    .symbol:         _ZN2at6native27unrolled_elementwise_kernelIZZZNS0_19digamma_kernel_cudaERNS_18TensorIteratorBaseEENKUlvE_clEvENKUlvE_clEvEUldE_St5arrayIPcLm2EELi4E23TrivialOffsetCalculatorILi1EjESB_NS0_6memory15LoadWithoutCastENSC_16StoreWithoutCastEEEviT_T0_T2_T3_T4_T5_.kd
    .uniform_work_group_size: 1
    .uses_dynamic_stack: false
    .vgpr_count:     54
    .vgpr_spill_count: 0
    .wavefront_size: 64
  - .args:
      - .offset:         0
        .size:           4
        .value_kind:     by_value
      - .offset:         8
        .size:           352
        .value_kind:     by_value
    .group_segment_fixed_size: 0
    .kernarg_segment_align: 8
    .kernarg_segment_size: 360
    .language:       OpenCL C
    .language_version:
      - 2
      - 0
    .max_flat_workgroup_size: 128
    .name:           _ZN2at6native32elementwise_kernel_manual_unrollILi128ELi4EZNS0_22gpu_kernel_impl_nocastIZZZNS0_19digamma_kernel_cudaERNS_18TensorIteratorBaseEENKUlvE_clEvENKUlvE_clEvEUldE_EEvS4_RKT_EUlibE_EEviT1_
    .private_segment_fixed_size: 0
    .sgpr_count:     64
    .sgpr_spill_count: 0
    .symbol:         _ZN2at6native32elementwise_kernel_manual_unrollILi128ELi4EZNS0_22gpu_kernel_impl_nocastIZZZNS0_19digamma_kernel_cudaERNS_18TensorIteratorBaseEENKUlvE_clEvENKUlvE_clEvEUldE_EEvS4_RKT_EUlibE_EEviT1_.kd
    .uniform_work_group_size: 1
    .uses_dynamic_stack: false
    .vgpr_count:     47
    .vgpr_spill_count: 0
    .wavefront_size: 64
  - .args:
      - .offset:         0
        .size:           4
        .value_kind:     by_value
      - .offset:         8
        .size:           32
        .value_kind:     by_value
    .group_segment_fixed_size: 0
    .kernarg_segment_align: 8
    .kernarg_segment_size: 40
    .language:       OpenCL C
    .language_version:
      - 2
      - 0
    .max_flat_workgroup_size: 128
    .name:           _ZN2at6native32elementwise_kernel_manual_unrollILi128ELi4EZNS0_15gpu_kernel_implIZZZNS0_19digamma_kernel_cudaERNS_18TensorIteratorBaseEENKUlvE_clEvENKUlvE_clEvEUldE_EEvS4_RKT_EUlibE_EEviT1_
    .private_segment_fixed_size: 0
    .sgpr_count:     50
    .sgpr_spill_count: 0
    .symbol:         _ZN2at6native32elementwise_kernel_manual_unrollILi128ELi4EZNS0_15gpu_kernel_implIZZZNS0_19digamma_kernel_cudaERNS_18TensorIteratorBaseEENKUlvE_clEvENKUlvE_clEvEUldE_EEvS4_RKT_EUlibE_EEviT1_.kd
    .uniform_work_group_size: 1
    .uses_dynamic_stack: false
    .vgpr_count:     43
    .vgpr_spill_count: 0
    .wavefront_size: 64
  - .args:
      - .offset:         0
        .size:           4
        .value_kind:     by_value
      - .offset:         8
        .size:           352
        .value_kind:     by_value
    .group_segment_fixed_size: 0
    .kernarg_segment_align: 8
    .kernarg_segment_size: 360
    .language:       OpenCL C
    .language_version:
      - 2
      - 0
    .max_flat_workgroup_size: 128
    .name:           _ZN2at6native32elementwise_kernel_manual_unrollILi128ELi4EZNS0_15gpu_kernel_implIZZZNS0_19digamma_kernel_cudaERNS_18TensorIteratorBaseEENKUlvE_clEvENKUlvE_clEvEUldE_EEvS4_RKT_EUlibE0_EEviT1_
    .private_segment_fixed_size: 0
    .sgpr_count:     82
    .sgpr_spill_count: 0
    .symbol:         _ZN2at6native32elementwise_kernel_manual_unrollILi128ELi4EZNS0_15gpu_kernel_implIZZZNS0_19digamma_kernel_cudaERNS_18TensorIteratorBaseEENKUlvE_clEvENKUlvE_clEvEUldE_EEvS4_RKT_EUlibE0_EEviT1_.kd
    .uniform_work_group_size: 1
    .uses_dynamic_stack: false
    .vgpr_count:     49
    .vgpr_spill_count: 0
    .wavefront_size: 64
  - .args:
      - .offset:         0
        .size:           4
        .value_kind:     by_value
      - .offset:         4
        .size:           1
        .value_kind:     by_value
      - .offset:         8
        .size:           16
        .value_kind:     by_value
    .group_segment_fixed_size: 0
    .kernarg_segment_align: 8
    .kernarg_segment_size: 24
    .language:       OpenCL C
    .language_version:
      - 2
      - 0
    .max_flat_workgroup_size: 256
    .name:           _ZN2at6native29vectorized_elementwise_kernelILi16EZZZNS0_19digamma_kernel_cudaERNS_18TensorIteratorBaseEENKUlvE_clEvENKUlvE0_clEvEUlfE_St5arrayIPcLm2EEEEviT0_T1_
    .private_segment_fixed_size: 0
    .sgpr_count:     37
    .sgpr_spill_count: 0
    .symbol:         _ZN2at6native29vectorized_elementwise_kernelILi16EZZZNS0_19digamma_kernel_cudaERNS_18TensorIteratorBaseEENKUlvE_clEvENKUlvE0_clEvEUlfE_St5arrayIPcLm2EEEEviT0_T1_.kd
    .uniform_work_group_size: 1
    .uses_dynamic_stack: false
    .vgpr_count:     37
    .vgpr_spill_count: 0
    .wavefront_size: 64
  - .args:
      - .offset:         0
        .size:           4
        .value_kind:     by_value
      - .offset:         4
        .size:           1
        .value_kind:     by_value
      - .offset:         8
        .size:           16
        .value_kind:     by_value
    .group_segment_fixed_size: 0
    .kernarg_segment_align: 8
    .kernarg_segment_size: 24
    .language:       OpenCL C
    .language_version:
      - 2
      - 0
    .max_flat_workgroup_size: 256
    .name:           _ZN2at6native29vectorized_elementwise_kernelILi8EZZZNS0_19digamma_kernel_cudaERNS_18TensorIteratorBaseEENKUlvE_clEvENKUlvE0_clEvEUlfE_St5arrayIPcLm2EEEEviT0_T1_
    .private_segment_fixed_size: 0
    .sgpr_count:     37
    .sgpr_spill_count: 0
    .symbol:         _ZN2at6native29vectorized_elementwise_kernelILi8EZZZNS0_19digamma_kernel_cudaERNS_18TensorIteratorBaseEENKUlvE_clEvENKUlvE0_clEvEUlfE_St5arrayIPcLm2EEEEviT0_T1_.kd
    .uniform_work_group_size: 1
    .uses_dynamic_stack: false
    .vgpr_count:     37
    .vgpr_spill_count: 0
    .wavefront_size: 64
  - .args:
      - .offset:         0
        .size:           4
        .value_kind:     by_value
      - .offset:         4
        .size:           1
        .value_kind:     by_value
      - .offset:         8
        .size:           16
        .value_kind:     by_value
    .group_segment_fixed_size: 0
    .kernarg_segment_align: 8
    .kernarg_segment_size: 24
    .language:       OpenCL C
    .language_version:
      - 2
      - 0
    .max_flat_workgroup_size: 256
    .name:           _ZN2at6native29vectorized_elementwise_kernelILi4EZZZNS0_19digamma_kernel_cudaERNS_18TensorIteratorBaseEENKUlvE_clEvENKUlvE0_clEvEUlfE_St5arrayIPcLm2EEEEviT0_T1_
    .private_segment_fixed_size: 0
    .sgpr_count:     37
    .sgpr_spill_count: 0
    .symbol:         _ZN2at6native29vectorized_elementwise_kernelILi4EZZZNS0_19digamma_kernel_cudaERNS_18TensorIteratorBaseEENKUlvE_clEvENKUlvE0_clEvEUlfE_St5arrayIPcLm2EEEEviT0_T1_.kd
    .uniform_work_group_size: 1
    .uses_dynamic_stack: false
    .vgpr_count:     37
    .vgpr_spill_count: 0
    .wavefront_size: 64
  - .args:
      - .offset:         0
        .size:           4
        .value_kind:     by_value
      - .offset:         4
        .size:           1
        .value_kind:     by_value
      - .offset:         8
        .size:           16
        .value_kind:     by_value
    .group_segment_fixed_size: 0
    .kernarg_segment_align: 8
    .kernarg_segment_size: 24
    .language:       OpenCL C
    .language_version:
      - 2
      - 0
    .max_flat_workgroup_size: 256
    .name:           _ZN2at6native29vectorized_elementwise_kernelILi2EZZZNS0_19digamma_kernel_cudaERNS_18TensorIteratorBaseEENKUlvE_clEvENKUlvE0_clEvEUlfE_St5arrayIPcLm2EEEEviT0_T1_
    .private_segment_fixed_size: 0
    .sgpr_count:     37
    .sgpr_spill_count: 0
    .symbol:         _ZN2at6native29vectorized_elementwise_kernelILi2EZZZNS0_19digamma_kernel_cudaERNS_18TensorIteratorBaseEENKUlvE_clEvENKUlvE0_clEvEUlfE_St5arrayIPcLm2EEEEviT0_T1_.kd
    .uniform_work_group_size: 1
    .uses_dynamic_stack: false
    .vgpr_count:     41
    .vgpr_spill_count: 0
    .wavefront_size: 64
  - .args:
      - .offset:         0
        .size:           4
        .value_kind:     by_value
      - .offset:         4
        .size:           1
        .value_kind:     by_value
      - .offset:         8
        .size:           16
        .value_kind:     by_value
      - .offset:         24
        .size:           1
        .value_kind:     by_value
      - .offset:         25
        .size:           1
        .value_kind:     by_value
      - .offset:         26
        .size:           1
        .value_kind:     by_value
      - .offset:         27
        .size:           1
        .value_kind:     by_value
    .group_segment_fixed_size: 0
    .kernarg_segment_align: 8
    .kernarg_segment_size: 28
    .language:       OpenCL C
    .language_version:
      - 2
      - 0
    .max_flat_workgroup_size: 256
    .name:           _ZN2at6native27unrolled_elementwise_kernelIZZZNS0_19digamma_kernel_cudaERNS_18TensorIteratorBaseEENKUlvE_clEvENKUlvE0_clEvEUlfE_St5arrayIPcLm2EELi4E23TrivialOffsetCalculatorILi1EjESB_NS0_6memory15LoadWithoutCastENSC_16StoreWithoutCastEEEviT_T0_T2_T3_T4_T5_
    .private_segment_fixed_size: 0
    .sgpr_count:     37
    .sgpr_spill_count: 0
    .symbol:         _ZN2at6native27unrolled_elementwise_kernelIZZZNS0_19digamma_kernel_cudaERNS_18TensorIteratorBaseEENKUlvE_clEvENKUlvE0_clEvEUlfE_St5arrayIPcLm2EELi4E23TrivialOffsetCalculatorILi1EjESB_NS0_6memory15LoadWithoutCastENSC_16StoreWithoutCastEEEviT_T0_T2_T3_T4_T5_.kd
    .uniform_work_group_size: 1
    .uses_dynamic_stack: false
    .vgpr_count:     37
    .vgpr_spill_count: 0
    .wavefront_size: 64
  - .args:
      - .offset:         0
        .size:           4
        .value_kind:     by_value
      - .offset:         8
        .size:           352
        .value_kind:     by_value
    .group_segment_fixed_size: 0
    .kernarg_segment_align: 8
    .kernarg_segment_size: 360
    .language:       OpenCL C
    .language_version:
      - 2
      - 0
    .max_flat_workgroup_size: 128
    .name:           _ZN2at6native32elementwise_kernel_manual_unrollILi128ELi4EZNS0_22gpu_kernel_impl_nocastIZZZNS0_19digamma_kernel_cudaERNS_18TensorIteratorBaseEENKUlvE_clEvENKUlvE0_clEvEUlfE_EEvS4_RKT_EUlibE_EEviT1_
    .private_segment_fixed_size: 0
    .sgpr_count:     64
    .sgpr_spill_count: 0
    .symbol:         _ZN2at6native32elementwise_kernel_manual_unrollILi128ELi4EZNS0_22gpu_kernel_impl_nocastIZZZNS0_19digamma_kernel_cudaERNS_18TensorIteratorBaseEENKUlvE_clEvENKUlvE0_clEvEUlfE_EEvS4_RKT_EUlibE_EEviT1_.kd
    .uniform_work_group_size: 1
    .uses_dynamic_stack: false
    .vgpr_count:     44
    .vgpr_spill_count: 0
    .wavefront_size: 64
  - .args:
      - .offset:         0
        .size:           4
        .value_kind:     by_value
      - .offset:         8
        .size:           32
        .value_kind:     by_value
    .group_segment_fixed_size: 0
    .kernarg_segment_align: 8
    .kernarg_segment_size: 40
    .language:       OpenCL C
    .language_version:
      - 2
      - 0
    .max_flat_workgroup_size: 128
    .name:           _ZN2at6native32elementwise_kernel_manual_unrollILi128ELi4EZNS0_15gpu_kernel_implIZZZNS0_19digamma_kernel_cudaERNS_18TensorIteratorBaseEENKUlvE_clEvENKUlvE0_clEvEUlfE_EEvS4_RKT_EUlibE_EEviT1_
    .private_segment_fixed_size: 0
    .sgpr_count:     50
    .sgpr_spill_count: 0
    .symbol:         _ZN2at6native32elementwise_kernel_manual_unrollILi128ELi4EZNS0_15gpu_kernel_implIZZZNS0_19digamma_kernel_cudaERNS_18TensorIteratorBaseEENKUlvE_clEvENKUlvE0_clEvEUlfE_EEvS4_RKT_EUlibE_EEviT1_.kd
    .uniform_work_group_size: 1
    .uses_dynamic_stack: false
    .vgpr_count:     40
    .vgpr_spill_count: 0
    .wavefront_size: 64
  - .args:
      - .offset:         0
        .size:           4
        .value_kind:     by_value
      - .offset:         8
        .size:           352
        .value_kind:     by_value
    .group_segment_fixed_size: 0
    .kernarg_segment_align: 8
    .kernarg_segment_size: 360
    .language:       OpenCL C
    .language_version:
      - 2
      - 0
    .max_flat_workgroup_size: 128
    .name:           _ZN2at6native32elementwise_kernel_manual_unrollILi128ELi4EZNS0_15gpu_kernel_implIZZZNS0_19digamma_kernel_cudaERNS_18TensorIteratorBaseEENKUlvE_clEvENKUlvE0_clEvEUlfE_EEvS4_RKT_EUlibE0_EEviT1_
    .private_segment_fixed_size: 0
    .sgpr_count:     82
    .sgpr_spill_count: 0
    .symbol:         _ZN2at6native32elementwise_kernel_manual_unrollILi128ELi4EZNS0_15gpu_kernel_implIZZZNS0_19digamma_kernel_cudaERNS_18TensorIteratorBaseEENKUlvE_clEvENKUlvE0_clEvEUlfE_EEvS4_RKT_EUlibE0_EEviT1_.kd
    .uniform_work_group_size: 1
    .uses_dynamic_stack: false
    .vgpr_count:     46
    .vgpr_spill_count: 0
    .wavefront_size: 64
  - .args:
      - .offset:         0
        .size:           4
        .value_kind:     by_value
      - .offset:         4
        .size:           1
        .value_kind:     by_value
      - .offset:         8
        .size:           16
        .value_kind:     by_value
    .group_segment_fixed_size: 0
    .kernarg_segment_align: 8
    .kernarg_segment_size: 24
    .language:       OpenCL C
    .language_version:
      - 2
      - 0
    .max_flat_workgroup_size: 256
    .name:           _ZN2at6native29vectorized_elementwise_kernelILi16EZZZNS0_19digamma_kernel_cudaERNS_18TensorIteratorBaseEENKUlvE_clEvENKUlvE1_clEvEUlN3c104HalfEE_St5arrayIPcLm2EEEEviT0_T1_
    .private_segment_fixed_size: 0
    .sgpr_count:     37
    .sgpr_spill_count: 0
    .symbol:         _ZN2at6native29vectorized_elementwise_kernelILi16EZZZNS0_19digamma_kernel_cudaERNS_18TensorIteratorBaseEENKUlvE_clEvENKUlvE1_clEvEUlN3c104HalfEE_St5arrayIPcLm2EEEEviT0_T1_.kd
    .uniform_work_group_size: 1
    .uses_dynamic_stack: false
    .vgpr_count:     66
    .vgpr_spill_count: 0
    .wavefront_size: 64
  - .args:
      - .offset:         0
        .size:           4
        .value_kind:     by_value
      - .offset:         4
        .size:           1
        .value_kind:     by_value
      - .offset:         8
        .size:           16
        .value_kind:     by_value
    .group_segment_fixed_size: 0
    .kernarg_segment_align: 8
    .kernarg_segment_size: 24
    .language:       OpenCL C
    .language_version:
      - 2
      - 0
    .max_flat_workgroup_size: 256
    .name:           _ZN2at6native29vectorized_elementwise_kernelILi8EZZZNS0_19digamma_kernel_cudaERNS_18TensorIteratorBaseEENKUlvE_clEvENKUlvE1_clEvEUlN3c104HalfEE_St5arrayIPcLm2EEEEviT0_T1_
    .private_segment_fixed_size: 0
    .sgpr_count:     37
    .sgpr_spill_count: 0
    .symbol:         _ZN2at6native29vectorized_elementwise_kernelILi8EZZZNS0_19digamma_kernel_cudaERNS_18TensorIteratorBaseEENKUlvE_clEvENKUlvE1_clEvEUlN3c104HalfEE_St5arrayIPcLm2EEEEviT0_T1_.kd
    .uniform_work_group_size: 1
    .uses_dynamic_stack: false
    .vgpr_count:     66
    .vgpr_spill_count: 0
    .wavefront_size: 64
  - .args:
      - .offset:         0
        .size:           4
        .value_kind:     by_value
      - .offset:         4
        .size:           1
        .value_kind:     by_value
      - .offset:         8
        .size:           16
        .value_kind:     by_value
    .group_segment_fixed_size: 0
    .kernarg_segment_align: 8
    .kernarg_segment_size: 24
    .language:       OpenCL C
    .language_version:
      - 2
      - 0
    .max_flat_workgroup_size: 256
    .name:           _ZN2at6native29vectorized_elementwise_kernelILi4EZZZNS0_19digamma_kernel_cudaERNS_18TensorIteratorBaseEENKUlvE_clEvENKUlvE1_clEvEUlN3c104HalfEE_St5arrayIPcLm2EEEEviT0_T1_
    .private_segment_fixed_size: 0
    .sgpr_count:     37
    .sgpr_spill_count: 0
    .symbol:         _ZN2at6native29vectorized_elementwise_kernelILi4EZZZNS0_19digamma_kernel_cudaERNS_18TensorIteratorBaseEENKUlvE_clEvENKUlvE1_clEvEUlN3c104HalfEE_St5arrayIPcLm2EEEEviT0_T1_.kd
    .uniform_work_group_size: 1
    .uses_dynamic_stack: false
    .vgpr_count:     66
    .vgpr_spill_count: 0
    .wavefront_size: 64
  - .args:
      - .offset:         0
        .size:           4
        .value_kind:     by_value
      - .offset:         4
        .size:           1
        .value_kind:     by_value
      - .offset:         8
        .size:           16
        .value_kind:     by_value
    .group_segment_fixed_size: 0
    .kernarg_segment_align: 8
    .kernarg_segment_size: 24
    .language:       OpenCL C
    .language_version:
      - 2
      - 0
    .max_flat_workgroup_size: 256
    .name:           _ZN2at6native29vectorized_elementwise_kernelILi2EZZZNS0_19digamma_kernel_cudaERNS_18TensorIteratorBaseEENKUlvE_clEvENKUlvE1_clEvEUlN3c104HalfEE_St5arrayIPcLm2EEEEviT0_T1_
    .private_segment_fixed_size: 0
    .sgpr_count:     37
    .sgpr_spill_count: 0
    .symbol:         _ZN2at6native29vectorized_elementwise_kernelILi2EZZZNS0_19digamma_kernel_cudaERNS_18TensorIteratorBaseEENKUlvE_clEvENKUlvE1_clEvEUlN3c104HalfEE_St5arrayIPcLm2EEEEviT0_T1_.kd
    .uniform_work_group_size: 1
    .uses_dynamic_stack: false
    .vgpr_count:     66
    .vgpr_spill_count: 0
    .wavefront_size: 64
  - .args:
      - .offset:         0
        .size:           4
        .value_kind:     by_value
      - .offset:         4
        .size:           1
        .value_kind:     by_value
      - .offset:         8
        .size:           16
        .value_kind:     by_value
      - .offset:         24
        .size:           1
        .value_kind:     by_value
      - .offset:         25
        .size:           1
        .value_kind:     by_value
      - .offset:         26
        .size:           1
        .value_kind:     by_value
      - .offset:         27
        .size:           1
        .value_kind:     by_value
    .group_segment_fixed_size: 0
    .kernarg_segment_align: 8
    .kernarg_segment_size: 28
    .language:       OpenCL C
    .language_version:
      - 2
      - 0
    .max_flat_workgroup_size: 256
    .name:           _ZN2at6native27unrolled_elementwise_kernelIZZZNS0_19digamma_kernel_cudaERNS_18TensorIteratorBaseEENKUlvE_clEvENKUlvE1_clEvEUlN3c104HalfEE_St5arrayIPcLm2EELi4E23TrivialOffsetCalculatorILi1EjESD_NS0_6memory15LoadWithoutCastENSE_16StoreWithoutCastEEEviT_T0_T2_T3_T4_T5_
    .private_segment_fixed_size: 0
    .sgpr_count:     26
    .sgpr_spill_count: 0
    .symbol:         _ZN2at6native27unrolled_elementwise_kernelIZZZNS0_19digamma_kernel_cudaERNS_18TensorIteratorBaseEENKUlvE_clEvENKUlvE1_clEvEUlN3c104HalfEE_St5arrayIPcLm2EELi4E23TrivialOffsetCalculatorILi1EjESD_NS0_6memory15LoadWithoutCastENSE_16StoreWithoutCastEEEviT_T0_T2_T3_T4_T5_.kd
    .uniform_work_group_size: 1
    .uses_dynamic_stack: false
    .vgpr_count:     31
    .vgpr_spill_count: 0
    .wavefront_size: 64
  - .args:
      - .offset:         0
        .size:           4
        .value_kind:     by_value
      - .offset:         8
        .size:           352
        .value_kind:     by_value
    .group_segment_fixed_size: 0
    .kernarg_segment_align: 8
    .kernarg_segment_size: 360
    .language:       OpenCL C
    .language_version:
      - 2
      - 0
    .max_flat_workgroup_size: 128
    .name:           _ZN2at6native32elementwise_kernel_manual_unrollILi128ELi8EZNS0_22gpu_kernel_impl_nocastIZZZNS0_19digamma_kernel_cudaERNS_18TensorIteratorBaseEENKUlvE_clEvENKUlvE1_clEvEUlN3c104HalfEE_EEvS4_RKT_EUlibE_EEviT1_
    .private_segment_fixed_size: 0
    .sgpr_count:     64
    .sgpr_spill_count: 0
    .symbol:         _ZN2at6native32elementwise_kernel_manual_unrollILi128ELi8EZNS0_22gpu_kernel_impl_nocastIZZZNS0_19digamma_kernel_cudaERNS_18TensorIteratorBaseEENKUlvE_clEvENKUlvE1_clEvEUlN3c104HalfEE_EEvS4_RKT_EUlibE_EEviT1_.kd
    .uniform_work_group_size: 1
    .uses_dynamic_stack: false
    .vgpr_count:     56
    .vgpr_spill_count: 0
    .wavefront_size: 64
  - .args:
      - .offset:         0
        .size:           4
        .value_kind:     by_value
      - .offset:         8
        .size:           32
        .value_kind:     by_value
    .group_segment_fixed_size: 0
    .kernarg_segment_align: 8
    .kernarg_segment_size: 40
    .language:       OpenCL C
    .language_version:
      - 2
      - 0
    .max_flat_workgroup_size: 128
    .name:           _ZN2at6native32elementwise_kernel_manual_unrollILi128ELi4EZNS0_15gpu_kernel_implIZZZNS0_19digamma_kernel_cudaERNS_18TensorIteratorBaseEENKUlvE_clEvENKUlvE1_clEvEUlN3c104HalfEE_EEvS4_RKT_EUlibE_EEviT1_
    .private_segment_fixed_size: 0
    .sgpr_count:     50
    .sgpr_spill_count: 0
    .symbol:         _ZN2at6native32elementwise_kernel_manual_unrollILi128ELi4EZNS0_15gpu_kernel_implIZZZNS0_19digamma_kernel_cudaERNS_18TensorIteratorBaseEENKUlvE_clEvENKUlvE1_clEvEUlN3c104HalfEE_EEvS4_RKT_EUlibE_EEviT1_.kd
    .uniform_work_group_size: 1
    .uses_dynamic_stack: false
    .vgpr_count:     30
    .vgpr_spill_count: 0
    .wavefront_size: 64
  - .args:
      - .offset:         0
        .size:           4
        .value_kind:     by_value
      - .offset:         8
        .size:           352
        .value_kind:     by_value
    .group_segment_fixed_size: 0
    .kernarg_segment_align: 8
    .kernarg_segment_size: 360
    .language:       OpenCL C
    .language_version:
      - 2
      - 0
    .max_flat_workgroup_size: 128
    .name:           _ZN2at6native32elementwise_kernel_manual_unrollILi128ELi4EZNS0_15gpu_kernel_implIZZZNS0_19digamma_kernel_cudaERNS_18TensorIteratorBaseEENKUlvE_clEvENKUlvE1_clEvEUlN3c104HalfEE_EEvS4_RKT_EUlibE0_EEviT1_
    .private_segment_fixed_size: 0
    .sgpr_count:     82
    .sgpr_spill_count: 0
    .symbol:         _ZN2at6native32elementwise_kernel_manual_unrollILi128ELi4EZNS0_15gpu_kernel_implIZZZNS0_19digamma_kernel_cudaERNS_18TensorIteratorBaseEENKUlvE_clEvENKUlvE1_clEvEUlN3c104HalfEE_EEvS4_RKT_EUlibE0_EEviT1_.kd
    .uniform_work_group_size: 1
    .uses_dynamic_stack: false
    .vgpr_count:     46
    .vgpr_spill_count: 0
    .wavefront_size: 64
  - .args:
      - .offset:         0
        .size:           4
        .value_kind:     by_value
      - .offset:         4
        .size:           1
        .value_kind:     by_value
      - .offset:         8
        .size:           16
        .value_kind:     by_value
    .group_segment_fixed_size: 0
    .kernarg_segment_align: 8
    .kernarg_segment_size: 24
    .language:       OpenCL C
    .language_version:
      - 2
      - 0
    .max_flat_workgroup_size: 256
    .name:           _ZN2at6native29vectorized_elementwise_kernelILi16EZZZNS0_19digamma_kernel_cudaERNS_18TensorIteratorBaseEENKUlvE_clEvENKUlvE2_clEvEUlN3c108BFloat16EE_St5arrayIPcLm2EEEEviT0_T1_
    .private_segment_fixed_size: 0
    .sgpr_count:     37
    .sgpr_spill_count: 0
    .symbol:         _ZN2at6native29vectorized_elementwise_kernelILi16EZZZNS0_19digamma_kernel_cudaERNS_18TensorIteratorBaseEENKUlvE_clEvENKUlvE2_clEvEUlN3c108BFloat16EE_St5arrayIPcLm2EEEEviT0_T1_.kd
    .uniform_work_group_size: 1
    .uses_dynamic_stack: false
    .vgpr_count:     66
    .vgpr_spill_count: 0
    .wavefront_size: 64
  - .args:
      - .offset:         0
        .size:           4
        .value_kind:     by_value
      - .offset:         4
        .size:           1
        .value_kind:     by_value
      - .offset:         8
        .size:           16
        .value_kind:     by_value
    .group_segment_fixed_size: 0
    .kernarg_segment_align: 8
    .kernarg_segment_size: 24
    .language:       OpenCL C
    .language_version:
      - 2
      - 0
    .max_flat_workgroup_size: 256
    .name:           _ZN2at6native29vectorized_elementwise_kernelILi8EZZZNS0_19digamma_kernel_cudaERNS_18TensorIteratorBaseEENKUlvE_clEvENKUlvE2_clEvEUlN3c108BFloat16EE_St5arrayIPcLm2EEEEviT0_T1_
    .private_segment_fixed_size: 0
    .sgpr_count:     37
    .sgpr_spill_count: 0
    .symbol:         _ZN2at6native29vectorized_elementwise_kernelILi8EZZZNS0_19digamma_kernel_cudaERNS_18TensorIteratorBaseEENKUlvE_clEvENKUlvE2_clEvEUlN3c108BFloat16EE_St5arrayIPcLm2EEEEviT0_T1_.kd
    .uniform_work_group_size: 1
    .uses_dynamic_stack: false
    .vgpr_count:     66
    .vgpr_spill_count: 0
    .wavefront_size: 64
  - .args:
      - .offset:         0
        .size:           4
        .value_kind:     by_value
      - .offset:         4
        .size:           1
        .value_kind:     by_value
      - .offset:         8
        .size:           16
        .value_kind:     by_value
    .group_segment_fixed_size: 0
    .kernarg_segment_align: 8
    .kernarg_segment_size: 24
    .language:       OpenCL C
    .language_version:
      - 2
      - 0
    .max_flat_workgroup_size: 256
    .name:           _ZN2at6native29vectorized_elementwise_kernelILi4EZZZNS0_19digamma_kernel_cudaERNS_18TensorIteratorBaseEENKUlvE_clEvENKUlvE2_clEvEUlN3c108BFloat16EE_St5arrayIPcLm2EEEEviT0_T1_
    .private_segment_fixed_size: 0
    .sgpr_count:     37
    .sgpr_spill_count: 0
    .symbol:         _ZN2at6native29vectorized_elementwise_kernelILi4EZZZNS0_19digamma_kernel_cudaERNS_18TensorIteratorBaseEENKUlvE_clEvENKUlvE2_clEvEUlN3c108BFloat16EE_St5arrayIPcLm2EEEEviT0_T1_.kd
    .uniform_work_group_size: 1
    .uses_dynamic_stack: false
    .vgpr_count:     66
    .vgpr_spill_count: 0
    .wavefront_size: 64
  - .args:
      - .offset:         0
        .size:           4
        .value_kind:     by_value
      - .offset:         4
        .size:           1
        .value_kind:     by_value
      - .offset:         8
        .size:           16
        .value_kind:     by_value
    .group_segment_fixed_size: 0
    .kernarg_segment_align: 8
    .kernarg_segment_size: 24
    .language:       OpenCL C
    .language_version:
      - 2
      - 0
    .max_flat_workgroup_size: 256
    .name:           _ZN2at6native29vectorized_elementwise_kernelILi2EZZZNS0_19digamma_kernel_cudaERNS_18TensorIteratorBaseEENKUlvE_clEvENKUlvE2_clEvEUlN3c108BFloat16EE_St5arrayIPcLm2EEEEviT0_T1_
    .private_segment_fixed_size: 0
    .sgpr_count:     37
    .sgpr_spill_count: 0
    .symbol:         _ZN2at6native29vectorized_elementwise_kernelILi2EZZZNS0_19digamma_kernel_cudaERNS_18TensorIteratorBaseEENKUlvE_clEvENKUlvE2_clEvEUlN3c108BFloat16EE_St5arrayIPcLm2EEEEviT0_T1_.kd
    .uniform_work_group_size: 1
    .uses_dynamic_stack: false
    .vgpr_count:     66
    .vgpr_spill_count: 0
    .wavefront_size: 64
  - .args:
      - .offset:         0
        .size:           4
        .value_kind:     by_value
      - .offset:         4
        .size:           1
        .value_kind:     by_value
      - .offset:         8
        .size:           16
        .value_kind:     by_value
      - .offset:         24
        .size:           1
        .value_kind:     by_value
      - .offset:         25
        .size:           1
        .value_kind:     by_value
      - .offset:         26
        .size:           1
        .value_kind:     by_value
      - .offset:         27
        .size:           1
        .value_kind:     by_value
    .group_segment_fixed_size: 0
    .kernarg_segment_align: 8
    .kernarg_segment_size: 28
    .language:       OpenCL C
    .language_version:
      - 2
      - 0
    .max_flat_workgroup_size: 256
    .name:           _ZN2at6native27unrolled_elementwise_kernelIZZZNS0_19digamma_kernel_cudaERNS_18TensorIteratorBaseEENKUlvE_clEvENKUlvE2_clEvEUlN3c108BFloat16EE_St5arrayIPcLm2EELi4E23TrivialOffsetCalculatorILi1EjESD_NS0_6memory15LoadWithoutCastENSE_16StoreWithoutCastEEEviT_T0_T2_T3_T4_T5_
    .private_segment_fixed_size: 0
    .sgpr_count:     26
    .sgpr_spill_count: 0
    .symbol:         _ZN2at6native27unrolled_elementwise_kernelIZZZNS0_19digamma_kernel_cudaERNS_18TensorIteratorBaseEENKUlvE_clEvENKUlvE2_clEvEUlN3c108BFloat16EE_St5arrayIPcLm2EELi4E23TrivialOffsetCalculatorILi1EjESD_NS0_6memory15LoadWithoutCastENSE_16StoreWithoutCastEEEviT_T0_T2_T3_T4_T5_.kd
    .uniform_work_group_size: 1
    .uses_dynamic_stack: false
    .vgpr_count:     30
    .vgpr_spill_count: 0
    .wavefront_size: 64
  - .args:
      - .offset:         0
        .size:           4
        .value_kind:     by_value
      - .offset:         8
        .size:           352
        .value_kind:     by_value
    .group_segment_fixed_size: 0
    .kernarg_segment_align: 8
    .kernarg_segment_size: 360
    .language:       OpenCL C
    .language_version:
      - 2
      - 0
    .max_flat_workgroup_size: 128
    .name:           _ZN2at6native32elementwise_kernel_manual_unrollILi128ELi8EZNS0_22gpu_kernel_impl_nocastIZZZNS0_19digamma_kernel_cudaERNS_18TensorIteratorBaseEENKUlvE_clEvENKUlvE2_clEvEUlN3c108BFloat16EE_EEvS4_RKT_EUlibE_EEviT1_
    .private_segment_fixed_size: 0
    .sgpr_count:     64
    .sgpr_spill_count: 0
    .symbol:         _ZN2at6native32elementwise_kernel_manual_unrollILi128ELi8EZNS0_22gpu_kernel_impl_nocastIZZZNS0_19digamma_kernel_cudaERNS_18TensorIteratorBaseEENKUlvE_clEvENKUlvE2_clEvEUlN3c108BFloat16EE_EEvS4_RKT_EUlibE_EEviT1_.kd
    .uniform_work_group_size: 1
    .uses_dynamic_stack: false
    .vgpr_count:     56
    .vgpr_spill_count: 0
    .wavefront_size: 64
  - .args:
      - .offset:         0
        .size:           4
        .value_kind:     by_value
      - .offset:         8
        .size:           32
        .value_kind:     by_value
    .group_segment_fixed_size: 0
    .kernarg_segment_align: 8
    .kernarg_segment_size: 40
    .language:       OpenCL C
    .language_version:
      - 2
      - 0
    .max_flat_workgroup_size: 128
    .name:           _ZN2at6native32elementwise_kernel_manual_unrollILi128ELi4EZNS0_15gpu_kernel_implIZZZNS0_19digamma_kernel_cudaERNS_18TensorIteratorBaseEENKUlvE_clEvENKUlvE2_clEvEUlN3c108BFloat16EE_EEvS4_RKT_EUlibE_EEviT1_
    .private_segment_fixed_size: 0
    .sgpr_count:     50
    .sgpr_spill_count: 0
    .symbol:         _ZN2at6native32elementwise_kernel_manual_unrollILi128ELi4EZNS0_15gpu_kernel_implIZZZNS0_19digamma_kernel_cudaERNS_18TensorIteratorBaseEENKUlvE_clEvENKUlvE2_clEvEUlN3c108BFloat16EE_EEvS4_RKT_EUlibE_EEviT1_.kd
    .uniform_work_group_size: 1
    .uses_dynamic_stack: false
    .vgpr_count:     30
    .vgpr_spill_count: 0
    .wavefront_size: 64
  - .args:
      - .offset:         0
        .size:           4
        .value_kind:     by_value
      - .offset:         8
        .size:           352
        .value_kind:     by_value
    .group_segment_fixed_size: 0
    .kernarg_segment_align: 8
    .kernarg_segment_size: 360
    .language:       OpenCL C
    .language_version:
      - 2
      - 0
    .max_flat_workgroup_size: 128
    .name:           _ZN2at6native32elementwise_kernel_manual_unrollILi128ELi4EZNS0_15gpu_kernel_implIZZZNS0_19digamma_kernel_cudaERNS_18TensorIteratorBaseEENKUlvE_clEvENKUlvE2_clEvEUlN3c108BFloat16EE_EEvS4_RKT_EUlibE0_EEviT1_
    .private_segment_fixed_size: 0
    .sgpr_count:     82
    .sgpr_spill_count: 0
    .symbol:         _ZN2at6native32elementwise_kernel_manual_unrollILi128ELi4EZNS0_15gpu_kernel_implIZZZNS0_19digamma_kernel_cudaERNS_18TensorIteratorBaseEENKUlvE_clEvENKUlvE2_clEvEUlN3c108BFloat16EE_EEvS4_RKT_EUlibE0_EEviT1_.kd
    .uniform_work_group_size: 1
    .uses_dynamic_stack: false
    .vgpr_count:     46
    .vgpr_spill_count: 0
    .wavefront_size: 64
  - .args:
      - .offset:         0
        .size:           4
        .value_kind:     by_value
      - .offset:         4
        .size:           1
        .value_kind:     by_value
      - .offset:         8
        .size:           16
        .value_kind:     by_value
    .group_segment_fixed_size: 0
    .kernarg_segment_align: 8
    .kernarg_segment_size: 24
    .language:       OpenCL C
    .language_version:
      - 2
      - 0
    .max_flat_workgroup_size: 256
    .name:           _ZN2at6native29vectorized_elementwise_kernelILi16EZZZNS0_20trigamma_kernel_cudaERNS_18TensorIteratorBaseEENKUlvE_clEvENKUlvE_clEvEUldE_St5arrayIPcLm2EEEEviT0_T1_
    .private_segment_fixed_size: 0
    .sgpr_count:     37
    .sgpr_spill_count: 0
    .symbol:         _ZN2at6native29vectorized_elementwise_kernelILi16EZZZNS0_20trigamma_kernel_cudaERNS_18TensorIteratorBaseEENKUlvE_clEvENKUlvE_clEvEUldE_St5arrayIPcLm2EEEEviT0_T1_.kd
    .uniform_work_group_size: 1
    .uses_dynamic_stack: false
    .vgpr_count:     82
    .vgpr_spill_count: 0
    .wavefront_size: 64
  - .args:
      - .offset:         0
        .size:           4
        .value_kind:     by_value
      - .offset:         4
        .size:           1
        .value_kind:     by_value
      - .offset:         8
        .size:           16
        .value_kind:     by_value
    .group_segment_fixed_size: 0
    .kernarg_segment_align: 8
    .kernarg_segment_size: 24
    .language:       OpenCL C
    .language_version:
      - 2
      - 0
    .max_flat_workgroup_size: 256
    .name:           _ZN2at6native29vectorized_elementwise_kernelILi8EZZZNS0_20trigamma_kernel_cudaERNS_18TensorIteratorBaseEENKUlvE_clEvENKUlvE_clEvEUldE_St5arrayIPcLm2EEEEviT0_T1_
    .private_segment_fixed_size: 0
    .sgpr_count:     37
    .sgpr_spill_count: 0
    .symbol:         _ZN2at6native29vectorized_elementwise_kernelILi8EZZZNS0_20trigamma_kernel_cudaERNS_18TensorIteratorBaseEENKUlvE_clEvENKUlvE_clEvEUldE_St5arrayIPcLm2EEEEviT0_T1_.kd
    .uniform_work_group_size: 1
    .uses_dynamic_stack: false
    .vgpr_count:     82
    .vgpr_spill_count: 0
    .wavefront_size: 64
  - .args:
      - .offset:         0
        .size:           4
        .value_kind:     by_value
      - .offset:         4
        .size:           1
        .value_kind:     by_value
      - .offset:         8
        .size:           16
        .value_kind:     by_value
    .group_segment_fixed_size: 0
    .kernarg_segment_align: 8
    .kernarg_segment_size: 24
    .language:       OpenCL C
    .language_version:
      - 2
      - 0
    .max_flat_workgroup_size: 256
    .name:           _ZN2at6native29vectorized_elementwise_kernelILi4EZZZNS0_20trigamma_kernel_cudaERNS_18TensorIteratorBaseEENKUlvE_clEvENKUlvE_clEvEUldE_St5arrayIPcLm2EEEEviT0_T1_
    .private_segment_fixed_size: 0
    .sgpr_count:     37
    .sgpr_spill_count: 0
    .symbol:         _ZN2at6native29vectorized_elementwise_kernelILi4EZZZNS0_20trigamma_kernel_cudaERNS_18TensorIteratorBaseEENKUlvE_clEvENKUlvE_clEvEUldE_St5arrayIPcLm2EEEEviT0_T1_.kd
    .uniform_work_group_size: 1
    .uses_dynamic_stack: false
    .vgpr_count:     82
    .vgpr_spill_count: 0
    .wavefront_size: 64
  - .args:
      - .offset:         0
        .size:           4
        .value_kind:     by_value
      - .offset:         4
        .size:           1
        .value_kind:     by_value
      - .offset:         8
        .size:           16
        .value_kind:     by_value
    .group_segment_fixed_size: 0
    .kernarg_segment_align: 8
    .kernarg_segment_size: 24
    .language:       OpenCL C
    .language_version:
      - 2
      - 0
    .max_flat_workgroup_size: 256
    .name:           _ZN2at6native29vectorized_elementwise_kernelILi2EZZZNS0_20trigamma_kernel_cudaERNS_18TensorIteratorBaseEENKUlvE_clEvENKUlvE_clEvEUldE_St5arrayIPcLm2EEEEviT0_T1_
    .private_segment_fixed_size: 0
    .sgpr_count:     37
    .sgpr_spill_count: 0
    .symbol:         _ZN2at6native29vectorized_elementwise_kernelILi2EZZZNS0_20trigamma_kernel_cudaERNS_18TensorIteratorBaseEENKUlvE_clEvENKUlvE_clEvEUldE_St5arrayIPcLm2EEEEviT0_T1_.kd
    .uniform_work_group_size: 1
    .uses_dynamic_stack: false
    .vgpr_count:     56
    .vgpr_spill_count: 0
    .wavefront_size: 64
  - .args:
      - .offset:         0
        .size:           4
        .value_kind:     by_value
      - .offset:         4
        .size:           1
        .value_kind:     by_value
      - .offset:         8
        .size:           16
        .value_kind:     by_value
      - .offset:         24
        .size:           1
        .value_kind:     by_value
      - .offset:         25
        .size:           1
        .value_kind:     by_value
      - .offset:         26
        .size:           1
        .value_kind:     by_value
      - .offset:         27
        .size:           1
        .value_kind:     by_value
    .group_segment_fixed_size: 0
    .kernarg_segment_align: 8
    .kernarg_segment_size: 28
    .language:       OpenCL C
    .language_version:
      - 2
      - 0
    .max_flat_workgroup_size: 256
    .name:           _ZN2at6native27unrolled_elementwise_kernelIZZZNS0_20trigamma_kernel_cudaERNS_18TensorIteratorBaseEENKUlvE_clEvENKUlvE_clEvEUldE_St5arrayIPcLm2EELi4E23TrivialOffsetCalculatorILi1EjESB_NS0_6memory15LoadWithoutCastENSC_16StoreWithoutCastEEEviT_T0_T2_T3_T4_T5_
    .private_segment_fixed_size: 0
    .sgpr_count:     37
    .sgpr_spill_count: 0
    .symbol:         _ZN2at6native27unrolled_elementwise_kernelIZZZNS0_20trigamma_kernel_cudaERNS_18TensorIteratorBaseEENKUlvE_clEvENKUlvE_clEvEUldE_St5arrayIPcLm2EELi4E23TrivialOffsetCalculatorILi1EjESB_NS0_6memory15LoadWithoutCastENSC_16StoreWithoutCastEEEviT_T0_T2_T3_T4_T5_.kd
    .uniform_work_group_size: 1
    .uses_dynamic_stack: false
    .vgpr_count:     54
    .vgpr_spill_count: 0
    .wavefront_size: 64
  - .args:
      - .offset:         0
        .size:           4
        .value_kind:     by_value
      - .offset:         8
        .size:           352
        .value_kind:     by_value
    .group_segment_fixed_size: 0
    .kernarg_segment_align: 8
    .kernarg_segment_size: 360
    .language:       OpenCL C
    .language_version:
      - 2
      - 0
    .max_flat_workgroup_size: 128
    .name:           _ZN2at6native32elementwise_kernel_manual_unrollILi128ELi4EZNS0_22gpu_kernel_impl_nocastIZZZNS0_20trigamma_kernel_cudaERNS_18TensorIteratorBaseEENKUlvE_clEvENKUlvE_clEvEUldE_EEvS4_RKT_EUlibE_EEviT1_
    .private_segment_fixed_size: 0
    .sgpr_count:     64
    .sgpr_spill_count: 0
    .symbol:         _ZN2at6native32elementwise_kernel_manual_unrollILi128ELi4EZNS0_22gpu_kernel_impl_nocastIZZZNS0_20trigamma_kernel_cudaERNS_18TensorIteratorBaseEENKUlvE_clEvENKUlvE_clEvEUldE_EEvS4_RKT_EUlibE_EEviT1_.kd
    .uniform_work_group_size: 1
    .uses_dynamic_stack: false
    .vgpr_count:     60
    .vgpr_spill_count: 0
    .wavefront_size: 64
  - .args:
      - .offset:         0
        .size:           4
        .value_kind:     by_value
      - .offset:         8
        .size:           32
        .value_kind:     by_value
    .group_segment_fixed_size: 0
    .kernarg_segment_align: 8
    .kernarg_segment_size: 40
    .language:       OpenCL C
    .language_version:
      - 2
      - 0
    .max_flat_workgroup_size: 128
    .name:           _ZN2at6native32elementwise_kernel_manual_unrollILi128ELi4EZNS0_15gpu_kernel_implIZZZNS0_20trigamma_kernel_cudaERNS_18TensorIteratorBaseEENKUlvE_clEvENKUlvE_clEvEUldE_EEvS4_RKT_EUlibE_EEviT1_
    .private_segment_fixed_size: 0
    .sgpr_count:     48
    .sgpr_spill_count: 0
    .symbol:         _ZN2at6native32elementwise_kernel_manual_unrollILi128ELi4EZNS0_15gpu_kernel_implIZZZNS0_20trigamma_kernel_cudaERNS_18TensorIteratorBaseEENKUlvE_clEvENKUlvE_clEvEUldE_EEvS4_RKT_EUlibE_EEviT1_.kd
    .uniform_work_group_size: 1
    .uses_dynamic_stack: false
    .vgpr_count:     59
    .vgpr_spill_count: 0
    .wavefront_size: 64
  - .args:
      - .offset:         0
        .size:           4
        .value_kind:     by_value
      - .offset:         8
        .size:           352
        .value_kind:     by_value
    .group_segment_fixed_size: 0
    .kernarg_segment_align: 8
    .kernarg_segment_size: 360
    .language:       OpenCL C
    .language_version:
      - 2
      - 0
    .max_flat_workgroup_size: 128
    .name:           _ZN2at6native32elementwise_kernel_manual_unrollILi128ELi4EZNS0_15gpu_kernel_implIZZZNS0_20trigamma_kernel_cudaERNS_18TensorIteratorBaseEENKUlvE_clEvENKUlvE_clEvEUldE_EEvS4_RKT_EUlibE0_EEviT1_
    .private_segment_fixed_size: 0
    .sgpr_count:     82
    .sgpr_spill_count: 0
    .symbol:         _ZN2at6native32elementwise_kernel_manual_unrollILi128ELi4EZNS0_15gpu_kernel_implIZZZNS0_20trigamma_kernel_cudaERNS_18TensorIteratorBaseEENKUlvE_clEvENKUlvE_clEvEUldE_EEvS4_RKT_EUlibE0_EEviT1_.kd
    .uniform_work_group_size: 1
    .uses_dynamic_stack: false
    .vgpr_count:     61
    .vgpr_spill_count: 0
    .wavefront_size: 64
  - .args:
      - .offset:         0
        .size:           4
        .value_kind:     by_value
      - .offset:         4
        .size:           1
        .value_kind:     by_value
      - .offset:         8
        .size:           16
        .value_kind:     by_value
    .group_segment_fixed_size: 0
    .kernarg_segment_align: 8
    .kernarg_segment_size: 24
    .language:       OpenCL C
    .language_version:
      - 2
      - 0
    .max_flat_workgroup_size: 256
    .name:           _ZN2at6native29vectorized_elementwise_kernelILi16EZZZNS0_20trigamma_kernel_cudaERNS_18TensorIteratorBaseEENKUlvE_clEvENKUlvE0_clEvEUlfE_St5arrayIPcLm2EEEEviT0_T1_
    .private_segment_fixed_size: 0
    .sgpr_count:     23
    .sgpr_spill_count: 0
    .symbol:         _ZN2at6native29vectorized_elementwise_kernelILi16EZZZNS0_20trigamma_kernel_cudaERNS_18TensorIteratorBaseEENKUlvE_clEvENKUlvE0_clEvEUlfE_St5arrayIPcLm2EEEEviT0_T1_.kd
    .uniform_work_group_size: 1
    .uses_dynamic_stack: false
    .vgpr_count:     26
    .vgpr_spill_count: 0
    .wavefront_size: 64
  - .args:
      - .offset:         0
        .size:           4
        .value_kind:     by_value
      - .offset:         4
        .size:           1
        .value_kind:     by_value
      - .offset:         8
        .size:           16
        .value_kind:     by_value
    .group_segment_fixed_size: 0
    .kernarg_segment_align: 8
    .kernarg_segment_size: 24
    .language:       OpenCL C
    .language_version:
      - 2
      - 0
    .max_flat_workgroup_size: 256
    .name:           _ZN2at6native29vectorized_elementwise_kernelILi8EZZZNS0_20trigamma_kernel_cudaERNS_18TensorIteratorBaseEENKUlvE_clEvENKUlvE0_clEvEUlfE_St5arrayIPcLm2EEEEviT0_T1_
    .private_segment_fixed_size: 0
    .sgpr_count:     23
    .sgpr_spill_count: 0
    .symbol:         _ZN2at6native29vectorized_elementwise_kernelILi8EZZZNS0_20trigamma_kernel_cudaERNS_18TensorIteratorBaseEENKUlvE_clEvENKUlvE0_clEvEUlfE_St5arrayIPcLm2EEEEviT0_T1_.kd
    .uniform_work_group_size: 1
    .uses_dynamic_stack: false
    .vgpr_count:     26
    .vgpr_spill_count: 0
    .wavefront_size: 64
  - .args:
      - .offset:         0
        .size:           4
        .value_kind:     by_value
      - .offset:         4
        .size:           1
        .value_kind:     by_value
      - .offset:         8
        .size:           16
        .value_kind:     by_value
    .group_segment_fixed_size: 0
    .kernarg_segment_align: 8
    .kernarg_segment_size: 24
    .language:       OpenCL C
    .language_version:
      - 2
      - 0
    .max_flat_workgroup_size: 256
    .name:           _ZN2at6native29vectorized_elementwise_kernelILi4EZZZNS0_20trigamma_kernel_cudaERNS_18TensorIteratorBaseEENKUlvE_clEvENKUlvE0_clEvEUlfE_St5arrayIPcLm2EEEEviT0_T1_
    .private_segment_fixed_size: 0
    .sgpr_count:     23
    .sgpr_spill_count: 0
    .symbol:         _ZN2at6native29vectorized_elementwise_kernelILi4EZZZNS0_20trigamma_kernel_cudaERNS_18TensorIteratorBaseEENKUlvE_clEvENKUlvE0_clEvEUlfE_St5arrayIPcLm2EEEEviT0_T1_.kd
    .uniform_work_group_size: 1
    .uses_dynamic_stack: false
    .vgpr_count:     26
    .vgpr_spill_count: 0
    .wavefront_size: 64
  - .args:
      - .offset:         0
        .size:           4
        .value_kind:     by_value
      - .offset:         4
        .size:           1
        .value_kind:     by_value
      - .offset:         8
        .size:           16
        .value_kind:     by_value
    .group_segment_fixed_size: 0
    .kernarg_segment_align: 8
    .kernarg_segment_size: 24
    .language:       OpenCL C
    .language_version:
      - 2
      - 0
    .max_flat_workgroup_size: 256
    .name:           _ZN2at6native29vectorized_elementwise_kernelILi2EZZZNS0_20trigamma_kernel_cudaERNS_18TensorIteratorBaseEENKUlvE_clEvENKUlvE0_clEvEUlfE_St5arrayIPcLm2EEEEviT0_T1_
    .private_segment_fixed_size: 0
    .sgpr_count:     23
    .sgpr_spill_count: 0
    .symbol:         _ZN2at6native29vectorized_elementwise_kernelILi2EZZZNS0_20trigamma_kernel_cudaERNS_18TensorIteratorBaseEENKUlvE_clEvENKUlvE0_clEvEUlfE_St5arrayIPcLm2EEEEviT0_T1_.kd
    .uniform_work_group_size: 1
    .uses_dynamic_stack: false
    .vgpr_count:     33
    .vgpr_spill_count: 0
    .wavefront_size: 64
  - .args:
      - .offset:         0
        .size:           4
        .value_kind:     by_value
      - .offset:         4
        .size:           1
        .value_kind:     by_value
      - .offset:         8
        .size:           16
        .value_kind:     by_value
      - .offset:         24
        .size:           1
        .value_kind:     by_value
      - .offset:         25
        .size:           1
        .value_kind:     by_value
      - .offset:         26
        .size:           1
        .value_kind:     by_value
      - .offset:         27
        .size:           1
        .value_kind:     by_value
    .group_segment_fixed_size: 0
    .kernarg_segment_align: 8
    .kernarg_segment_size: 28
    .language:       OpenCL C
    .language_version:
      - 2
      - 0
    .max_flat_workgroup_size: 256
    .name:           _ZN2at6native27unrolled_elementwise_kernelIZZZNS0_20trigamma_kernel_cudaERNS_18TensorIteratorBaseEENKUlvE_clEvENKUlvE0_clEvEUlfE_St5arrayIPcLm2EELi4E23TrivialOffsetCalculatorILi1EjESB_NS0_6memory15LoadWithoutCastENSC_16StoreWithoutCastEEEviT_T0_T2_T3_T4_T5_
    .private_segment_fixed_size: 0
    .sgpr_count:     22
    .sgpr_spill_count: 0
    .symbol:         _ZN2at6native27unrolled_elementwise_kernelIZZZNS0_20trigamma_kernel_cudaERNS_18TensorIteratorBaseEENKUlvE_clEvENKUlvE0_clEvEUlfE_St5arrayIPcLm2EELi4E23TrivialOffsetCalculatorILi1EjESB_NS0_6memory15LoadWithoutCastENSC_16StoreWithoutCastEEEviT_T0_T2_T3_T4_T5_.kd
    .uniform_work_group_size: 1
    .uses_dynamic_stack: false
    .vgpr_count:     23
    .vgpr_spill_count: 0
    .wavefront_size: 64
  - .args:
      - .offset:         0
        .size:           4
        .value_kind:     by_value
      - .offset:         8
        .size:           352
        .value_kind:     by_value
    .group_segment_fixed_size: 0
    .kernarg_segment_align: 8
    .kernarg_segment_size: 360
    .language:       OpenCL C
    .language_version:
      - 2
      - 0
    .max_flat_workgroup_size: 128
    .name:           _ZN2at6native32elementwise_kernel_manual_unrollILi128ELi4EZNS0_22gpu_kernel_impl_nocastIZZZNS0_20trigamma_kernel_cudaERNS_18TensorIteratorBaseEENKUlvE_clEvENKUlvE0_clEvEUlfE_EEvS4_RKT_EUlibE_EEviT1_
    .private_segment_fixed_size: 0
    .sgpr_count:     64
    .sgpr_spill_count: 0
    .symbol:         _ZN2at6native32elementwise_kernel_manual_unrollILi128ELi4EZNS0_22gpu_kernel_impl_nocastIZZZNS0_20trigamma_kernel_cudaERNS_18TensorIteratorBaseEENKUlvE_clEvENKUlvE0_clEvEUlfE_EEvS4_RKT_EUlibE_EEviT1_.kd
    .uniform_work_group_size: 1
    .uses_dynamic_stack: false
    .vgpr_count:     28
    .vgpr_spill_count: 0
    .wavefront_size: 64
  - .args:
      - .offset:         0
        .size:           4
        .value_kind:     by_value
      - .offset:         8
        .size:           32
        .value_kind:     by_value
    .group_segment_fixed_size: 0
    .kernarg_segment_align: 8
    .kernarg_segment_size: 40
    .language:       OpenCL C
    .language_version:
      - 2
      - 0
    .max_flat_workgroup_size: 128
    .name:           _ZN2at6native32elementwise_kernel_manual_unrollILi128ELi4EZNS0_15gpu_kernel_implIZZZNS0_20trigamma_kernel_cudaERNS_18TensorIteratorBaseEENKUlvE_clEvENKUlvE0_clEvEUlfE_EEvS4_RKT_EUlibE_EEviT1_
    .private_segment_fixed_size: 0
    .sgpr_count:     48
    .sgpr_spill_count: 0
    .symbol:         _ZN2at6native32elementwise_kernel_manual_unrollILi128ELi4EZNS0_15gpu_kernel_implIZZZNS0_20trigamma_kernel_cudaERNS_18TensorIteratorBaseEENKUlvE_clEvENKUlvE0_clEvEUlfE_EEvS4_RKT_EUlibE_EEviT1_.kd
    .uniform_work_group_size: 1
    .uses_dynamic_stack: false
    .vgpr_count:     35
    .vgpr_spill_count: 0
    .wavefront_size: 64
  - .args:
      - .offset:         0
        .size:           4
        .value_kind:     by_value
      - .offset:         8
        .size:           352
        .value_kind:     by_value
    .group_segment_fixed_size: 0
    .kernarg_segment_align: 8
    .kernarg_segment_size: 360
    .language:       OpenCL C
    .language_version:
      - 2
      - 0
    .max_flat_workgroup_size: 128
    .name:           _ZN2at6native32elementwise_kernel_manual_unrollILi128ELi4EZNS0_15gpu_kernel_implIZZZNS0_20trigamma_kernel_cudaERNS_18TensorIteratorBaseEENKUlvE_clEvENKUlvE0_clEvEUlfE_EEvS4_RKT_EUlibE0_EEviT1_
    .private_segment_fixed_size: 0
    .sgpr_count:     82
    .sgpr_spill_count: 0
    .symbol:         _ZN2at6native32elementwise_kernel_manual_unrollILi128ELi4EZNS0_15gpu_kernel_implIZZZNS0_20trigamma_kernel_cudaERNS_18TensorIteratorBaseEENKUlvE_clEvENKUlvE0_clEvEUlfE_EEvS4_RKT_EUlibE0_EEviT1_.kd
    .uniform_work_group_size: 1
    .uses_dynamic_stack: false
    .vgpr_count:     38
    .vgpr_spill_count: 0
    .wavefront_size: 64
  - .args:
      - .offset:         0
        .size:           4
        .value_kind:     by_value
      - .offset:         4
        .size:           1
        .value_kind:     by_value
      - .offset:         8
        .size:           16
        .value_kind:     by_value
    .group_segment_fixed_size: 0
    .kernarg_segment_align: 8
    .kernarg_segment_size: 24
    .language:       OpenCL C
    .language_version:
      - 2
      - 0
    .max_flat_workgroup_size: 256
    .name:           _ZN2at6native29vectorized_elementwise_kernelILi16EZZZNS0_20trigamma_kernel_cudaERNS_18TensorIteratorBaseEENKUlvE_clEvENKUlvE1_clEvEUlN3c104HalfEE_St5arrayIPcLm2EEEEviT0_T1_
    .private_segment_fixed_size: 0
    .sgpr_count:     37
    .sgpr_spill_count: 0
    .symbol:         _ZN2at6native29vectorized_elementwise_kernelILi16EZZZNS0_20trigamma_kernel_cudaERNS_18TensorIteratorBaseEENKUlvE_clEvENKUlvE1_clEvEUlN3c104HalfEE_St5arrayIPcLm2EEEEviT0_T1_.kd
    .uniform_work_group_size: 1
    .uses_dynamic_stack: false
    .vgpr_count:     40
    .vgpr_spill_count: 0
    .wavefront_size: 64
  - .args:
      - .offset:         0
        .size:           4
        .value_kind:     by_value
      - .offset:         4
        .size:           1
        .value_kind:     by_value
      - .offset:         8
        .size:           16
        .value_kind:     by_value
    .group_segment_fixed_size: 0
    .kernarg_segment_align: 8
    .kernarg_segment_size: 24
    .language:       OpenCL C
    .language_version:
      - 2
      - 0
    .max_flat_workgroup_size: 256
    .name:           _ZN2at6native29vectorized_elementwise_kernelILi8EZZZNS0_20trigamma_kernel_cudaERNS_18TensorIteratorBaseEENKUlvE_clEvENKUlvE1_clEvEUlN3c104HalfEE_St5arrayIPcLm2EEEEviT0_T1_
    .private_segment_fixed_size: 0
    .sgpr_count:     37
    .sgpr_spill_count: 0
    .symbol:         _ZN2at6native29vectorized_elementwise_kernelILi8EZZZNS0_20trigamma_kernel_cudaERNS_18TensorIteratorBaseEENKUlvE_clEvENKUlvE1_clEvEUlN3c104HalfEE_St5arrayIPcLm2EEEEviT0_T1_.kd
    .uniform_work_group_size: 1
    .uses_dynamic_stack: false
    .vgpr_count:     40
    .vgpr_spill_count: 0
    .wavefront_size: 64
  - .args:
      - .offset:         0
        .size:           4
        .value_kind:     by_value
      - .offset:         4
        .size:           1
        .value_kind:     by_value
      - .offset:         8
        .size:           16
        .value_kind:     by_value
    .group_segment_fixed_size: 0
    .kernarg_segment_align: 8
    .kernarg_segment_size: 24
    .language:       OpenCL C
    .language_version:
      - 2
      - 0
    .max_flat_workgroup_size: 256
    .name:           _ZN2at6native29vectorized_elementwise_kernelILi4EZZZNS0_20trigamma_kernel_cudaERNS_18TensorIteratorBaseEENKUlvE_clEvENKUlvE1_clEvEUlN3c104HalfEE_St5arrayIPcLm2EEEEviT0_T1_
    .private_segment_fixed_size: 0
    .sgpr_count:     37
    .sgpr_spill_count: 0
    .symbol:         _ZN2at6native29vectorized_elementwise_kernelILi4EZZZNS0_20trigamma_kernel_cudaERNS_18TensorIteratorBaseEENKUlvE_clEvENKUlvE1_clEvEUlN3c104HalfEE_St5arrayIPcLm2EEEEviT0_T1_.kd
    .uniform_work_group_size: 1
    .uses_dynamic_stack: false
    .vgpr_count:     38
    .vgpr_spill_count: 0
    .wavefront_size: 64
  - .args:
      - .offset:         0
        .size:           4
        .value_kind:     by_value
      - .offset:         4
        .size:           1
        .value_kind:     by_value
      - .offset:         8
        .size:           16
        .value_kind:     by_value
    .group_segment_fixed_size: 0
    .kernarg_segment_align: 8
    .kernarg_segment_size: 24
    .language:       OpenCL C
    .language_version:
      - 2
      - 0
    .max_flat_workgroup_size: 256
    .name:           _ZN2at6native29vectorized_elementwise_kernelILi2EZZZNS0_20trigamma_kernel_cudaERNS_18TensorIteratorBaseEENKUlvE_clEvENKUlvE1_clEvEUlN3c104HalfEE_St5arrayIPcLm2EEEEviT0_T1_
    .private_segment_fixed_size: 0
    .sgpr_count:     37
    .sgpr_spill_count: 0
    .symbol:         _ZN2at6native29vectorized_elementwise_kernelILi2EZZZNS0_20trigamma_kernel_cudaERNS_18TensorIteratorBaseEENKUlvE_clEvENKUlvE1_clEvEUlN3c104HalfEE_St5arrayIPcLm2EEEEviT0_T1_.kd
    .uniform_work_group_size: 1
    .uses_dynamic_stack: false
    .vgpr_count:     38
    .vgpr_spill_count: 0
    .wavefront_size: 64
  - .args:
      - .offset:         0
        .size:           4
        .value_kind:     by_value
      - .offset:         4
        .size:           1
        .value_kind:     by_value
      - .offset:         8
        .size:           16
        .value_kind:     by_value
      - .offset:         24
        .size:           1
        .value_kind:     by_value
      - .offset:         25
        .size:           1
        .value_kind:     by_value
      - .offset:         26
        .size:           1
        .value_kind:     by_value
      - .offset:         27
        .size:           1
        .value_kind:     by_value
    .group_segment_fixed_size: 0
    .kernarg_segment_align: 8
    .kernarg_segment_size: 28
    .language:       OpenCL C
    .language_version:
      - 2
      - 0
    .max_flat_workgroup_size: 256
    .name:           _ZN2at6native27unrolled_elementwise_kernelIZZZNS0_20trigamma_kernel_cudaERNS_18TensorIteratorBaseEENKUlvE_clEvENKUlvE1_clEvEUlN3c104HalfEE_St5arrayIPcLm2EELi4E23TrivialOffsetCalculatorILi1EjESD_NS0_6memory15LoadWithoutCastENSE_16StoreWithoutCastEEEviT_T0_T2_T3_T4_T5_
    .private_segment_fixed_size: 0
    .sgpr_count:     22
    .sgpr_spill_count: 0
    .symbol:         _ZN2at6native27unrolled_elementwise_kernelIZZZNS0_20trigamma_kernel_cudaERNS_18TensorIteratorBaseEENKUlvE_clEvENKUlvE1_clEvEUlN3c104HalfEE_St5arrayIPcLm2EELi4E23TrivialOffsetCalculatorILi1EjESD_NS0_6memory15LoadWithoutCastENSE_16StoreWithoutCastEEEviT_T0_T2_T3_T4_T5_.kd
    .uniform_work_group_size: 1
    .uses_dynamic_stack: false
    .vgpr_count:     21
    .vgpr_spill_count: 0
    .wavefront_size: 64
  - .args:
      - .offset:         0
        .size:           4
        .value_kind:     by_value
      - .offset:         8
        .size:           352
        .value_kind:     by_value
    .group_segment_fixed_size: 0
    .kernarg_segment_align: 8
    .kernarg_segment_size: 360
    .language:       OpenCL C
    .language_version:
      - 2
      - 0
    .max_flat_workgroup_size: 128
    .name:           _ZN2at6native32elementwise_kernel_manual_unrollILi128ELi8EZNS0_22gpu_kernel_impl_nocastIZZZNS0_20trigamma_kernel_cudaERNS_18TensorIteratorBaseEENKUlvE_clEvENKUlvE1_clEvEUlN3c104HalfEE_EEvS4_RKT_EUlibE_EEviT1_
    .private_segment_fixed_size: 0
    .sgpr_count:     64
    .sgpr_spill_count: 0
    .symbol:         _ZN2at6native32elementwise_kernel_manual_unrollILi128ELi8EZNS0_22gpu_kernel_impl_nocastIZZZNS0_20trigamma_kernel_cudaERNS_18TensorIteratorBaseEENKUlvE_clEvENKUlvE1_clEvEUlN3c104HalfEE_EEvS4_RKT_EUlibE_EEviT1_.kd
    .uniform_work_group_size: 1
    .uses_dynamic_stack: false
    .vgpr_count:     44
    .vgpr_spill_count: 0
    .wavefront_size: 64
  - .args:
      - .offset:         0
        .size:           4
        .value_kind:     by_value
      - .offset:         8
        .size:           32
        .value_kind:     by_value
    .group_segment_fixed_size: 0
    .kernarg_segment_align: 8
    .kernarg_segment_size: 40
    .language:       OpenCL C
    .language_version:
      - 2
      - 0
    .max_flat_workgroup_size: 128
    .name:           _ZN2at6native32elementwise_kernel_manual_unrollILi128ELi4EZNS0_15gpu_kernel_implIZZZNS0_20trigamma_kernel_cudaERNS_18TensorIteratorBaseEENKUlvE_clEvENKUlvE1_clEvEUlN3c104HalfEE_EEvS4_RKT_EUlibE_EEviT1_
    .private_segment_fixed_size: 0
    .sgpr_count:     48
    .sgpr_spill_count: 0
    .symbol:         _ZN2at6native32elementwise_kernel_manual_unrollILi128ELi4EZNS0_15gpu_kernel_implIZZZNS0_20trigamma_kernel_cudaERNS_18TensorIteratorBaseEENKUlvE_clEvENKUlvE1_clEvEUlN3c104HalfEE_EEvS4_RKT_EUlibE_EEviT1_.kd
    .uniform_work_group_size: 1
    .uses_dynamic_stack: false
    .vgpr_count:     27
    .vgpr_spill_count: 0
    .wavefront_size: 64
  - .args:
      - .offset:         0
        .size:           4
        .value_kind:     by_value
      - .offset:         8
        .size:           352
        .value_kind:     by_value
    .group_segment_fixed_size: 0
    .kernarg_segment_align: 8
    .kernarg_segment_size: 360
    .language:       OpenCL C
    .language_version:
      - 2
      - 0
    .max_flat_workgroup_size: 128
    .name:           _ZN2at6native32elementwise_kernel_manual_unrollILi128ELi4EZNS0_15gpu_kernel_implIZZZNS0_20trigamma_kernel_cudaERNS_18TensorIteratorBaseEENKUlvE_clEvENKUlvE1_clEvEUlN3c104HalfEE_EEvS4_RKT_EUlibE0_EEviT1_
    .private_segment_fixed_size: 0
    .sgpr_count:     82
    .sgpr_spill_count: 0
    .symbol:         _ZN2at6native32elementwise_kernel_manual_unrollILi128ELi4EZNS0_15gpu_kernel_implIZZZNS0_20trigamma_kernel_cudaERNS_18TensorIteratorBaseEENKUlvE_clEvENKUlvE1_clEvEUlN3c104HalfEE_EEvS4_RKT_EUlibE0_EEviT1_.kd
    .uniform_work_group_size: 1
    .uses_dynamic_stack: false
    .vgpr_count:     38
    .vgpr_spill_count: 0
    .wavefront_size: 64
  - .args:
      - .offset:         0
        .size:           4
        .value_kind:     by_value
      - .offset:         4
        .size:           1
        .value_kind:     by_value
      - .offset:         8
        .size:           16
        .value_kind:     by_value
    .group_segment_fixed_size: 0
    .kernarg_segment_align: 8
    .kernarg_segment_size: 24
    .language:       OpenCL C
    .language_version:
      - 2
      - 0
    .max_flat_workgroup_size: 256
    .name:           _ZN2at6native29vectorized_elementwise_kernelILi16EZZZNS0_20trigamma_kernel_cudaERNS_18TensorIteratorBaseEENKUlvE_clEvENKUlvE2_clEvEUlN3c108BFloat16EE_St5arrayIPcLm2EEEEviT0_T1_
    .private_segment_fixed_size: 0
    .sgpr_count:     37
    .sgpr_spill_count: 0
    .symbol:         _ZN2at6native29vectorized_elementwise_kernelILi16EZZZNS0_20trigamma_kernel_cudaERNS_18TensorIteratorBaseEENKUlvE_clEvENKUlvE2_clEvEUlN3c108BFloat16EE_St5arrayIPcLm2EEEEviT0_T1_.kd
    .uniform_work_group_size: 1
    .uses_dynamic_stack: false
    .vgpr_count:     87
    .vgpr_spill_count: 0
    .wavefront_size: 64
  - .args:
      - .offset:         0
        .size:           4
        .value_kind:     by_value
      - .offset:         4
        .size:           1
        .value_kind:     by_value
      - .offset:         8
        .size:           16
        .value_kind:     by_value
    .group_segment_fixed_size: 0
    .kernarg_segment_align: 8
    .kernarg_segment_size: 24
    .language:       OpenCL C
    .language_version:
      - 2
      - 0
    .max_flat_workgroup_size: 256
    .name:           _ZN2at6native29vectorized_elementwise_kernelILi8EZZZNS0_20trigamma_kernel_cudaERNS_18TensorIteratorBaseEENKUlvE_clEvENKUlvE2_clEvEUlN3c108BFloat16EE_St5arrayIPcLm2EEEEviT0_T1_
    .private_segment_fixed_size: 0
    .sgpr_count:     37
    .sgpr_spill_count: 0
    .symbol:         _ZN2at6native29vectorized_elementwise_kernelILi8EZZZNS0_20trigamma_kernel_cudaERNS_18TensorIteratorBaseEENKUlvE_clEvENKUlvE2_clEvEUlN3c108BFloat16EE_St5arrayIPcLm2EEEEviT0_T1_.kd
    .uniform_work_group_size: 1
    .uses_dynamic_stack: false
    .vgpr_count:     87
    .vgpr_spill_count: 0
    .wavefront_size: 64
  - .args:
      - .offset:         0
        .size:           4
        .value_kind:     by_value
      - .offset:         4
        .size:           1
        .value_kind:     by_value
      - .offset:         8
        .size:           16
        .value_kind:     by_value
    .group_segment_fixed_size: 0
    .kernarg_segment_align: 8
    .kernarg_segment_size: 24
    .language:       OpenCL C
    .language_version:
      - 2
      - 0
    .max_flat_workgroup_size: 256
    .name:           _ZN2at6native29vectorized_elementwise_kernelILi4EZZZNS0_20trigamma_kernel_cudaERNS_18TensorIteratorBaseEENKUlvE_clEvENKUlvE2_clEvEUlN3c108BFloat16EE_St5arrayIPcLm2EEEEviT0_T1_
    .private_segment_fixed_size: 0
    .sgpr_count:     37
    .sgpr_spill_count: 0
    .symbol:         _ZN2at6native29vectorized_elementwise_kernelILi4EZZZNS0_20trigamma_kernel_cudaERNS_18TensorIteratorBaseEENKUlvE_clEvENKUlvE2_clEvEUlN3c108BFloat16EE_St5arrayIPcLm2EEEEviT0_T1_.kd
    .uniform_work_group_size: 1
    .uses_dynamic_stack: false
    .vgpr_count:     38
    .vgpr_spill_count: 0
    .wavefront_size: 64
  - .args:
      - .offset:         0
        .size:           4
        .value_kind:     by_value
      - .offset:         4
        .size:           1
        .value_kind:     by_value
      - .offset:         8
        .size:           16
        .value_kind:     by_value
    .group_segment_fixed_size: 0
    .kernarg_segment_align: 8
    .kernarg_segment_size: 24
    .language:       OpenCL C
    .language_version:
      - 2
      - 0
    .max_flat_workgroup_size: 256
    .name:           _ZN2at6native29vectorized_elementwise_kernelILi2EZZZNS0_20trigamma_kernel_cudaERNS_18TensorIteratorBaseEENKUlvE_clEvENKUlvE2_clEvEUlN3c108BFloat16EE_St5arrayIPcLm2EEEEviT0_T1_
    .private_segment_fixed_size: 0
    .sgpr_count:     37
    .sgpr_spill_count: 0
    .symbol:         _ZN2at6native29vectorized_elementwise_kernelILi2EZZZNS0_20trigamma_kernel_cudaERNS_18TensorIteratorBaseEENKUlvE_clEvENKUlvE2_clEvEUlN3c108BFloat16EE_St5arrayIPcLm2EEEEviT0_T1_.kd
    .uniform_work_group_size: 1
    .uses_dynamic_stack: false
    .vgpr_count:     38
    .vgpr_spill_count: 0
    .wavefront_size: 64
  - .args:
      - .offset:         0
        .size:           4
        .value_kind:     by_value
      - .offset:         4
        .size:           1
        .value_kind:     by_value
      - .offset:         8
        .size:           16
        .value_kind:     by_value
      - .offset:         24
        .size:           1
        .value_kind:     by_value
      - .offset:         25
        .size:           1
        .value_kind:     by_value
      - .offset:         26
        .size:           1
        .value_kind:     by_value
      - .offset:         27
        .size:           1
        .value_kind:     by_value
    .group_segment_fixed_size: 0
    .kernarg_segment_align: 8
    .kernarg_segment_size: 28
    .language:       OpenCL C
    .language_version:
      - 2
      - 0
    .max_flat_workgroup_size: 256
    .name:           _ZN2at6native27unrolled_elementwise_kernelIZZZNS0_20trigamma_kernel_cudaERNS_18TensorIteratorBaseEENKUlvE_clEvENKUlvE2_clEvEUlN3c108BFloat16EE_St5arrayIPcLm2EELi4E23TrivialOffsetCalculatorILi1EjESD_NS0_6memory15LoadWithoutCastENSE_16StoreWithoutCastEEEviT_T0_T2_T3_T4_T5_
    .private_segment_fixed_size: 0
    .sgpr_count:     22
    .sgpr_spill_count: 0
    .symbol:         _ZN2at6native27unrolled_elementwise_kernelIZZZNS0_20trigamma_kernel_cudaERNS_18TensorIteratorBaseEENKUlvE_clEvENKUlvE2_clEvEUlN3c108BFloat16EE_St5arrayIPcLm2EELi4E23TrivialOffsetCalculatorILi1EjESD_NS0_6memory15LoadWithoutCastENSE_16StoreWithoutCastEEEviT_T0_T2_T3_T4_T5_.kd
    .uniform_work_group_size: 1
    .uses_dynamic_stack: false
    .vgpr_count:     21
    .vgpr_spill_count: 0
    .wavefront_size: 64
  - .args:
      - .offset:         0
        .size:           4
        .value_kind:     by_value
      - .offset:         8
        .size:           352
        .value_kind:     by_value
    .group_segment_fixed_size: 0
    .kernarg_segment_align: 8
    .kernarg_segment_size: 360
    .language:       OpenCL C
    .language_version:
      - 2
      - 0
    .max_flat_workgroup_size: 128
    .name:           _ZN2at6native32elementwise_kernel_manual_unrollILi128ELi8EZNS0_22gpu_kernel_impl_nocastIZZZNS0_20trigamma_kernel_cudaERNS_18TensorIteratorBaseEENKUlvE_clEvENKUlvE2_clEvEUlN3c108BFloat16EE_EEvS4_RKT_EUlibE_EEviT1_
    .private_segment_fixed_size: 0
    .sgpr_count:     64
    .sgpr_spill_count: 0
    .symbol:         _ZN2at6native32elementwise_kernel_manual_unrollILi128ELi8EZNS0_22gpu_kernel_impl_nocastIZZZNS0_20trigamma_kernel_cudaERNS_18TensorIteratorBaseEENKUlvE_clEvENKUlvE2_clEvEUlN3c108BFloat16EE_EEvS4_RKT_EUlibE_EEviT1_.kd
    .uniform_work_group_size: 1
    .uses_dynamic_stack: false
    .vgpr_count:     44
    .vgpr_spill_count: 0
    .wavefront_size: 64
  - .args:
      - .offset:         0
        .size:           4
        .value_kind:     by_value
      - .offset:         8
        .size:           32
        .value_kind:     by_value
    .group_segment_fixed_size: 0
    .kernarg_segment_align: 8
    .kernarg_segment_size: 40
    .language:       OpenCL C
    .language_version:
      - 2
      - 0
    .max_flat_workgroup_size: 128
    .name:           _ZN2at6native32elementwise_kernel_manual_unrollILi128ELi4EZNS0_15gpu_kernel_implIZZZNS0_20trigamma_kernel_cudaERNS_18TensorIteratorBaseEENKUlvE_clEvENKUlvE2_clEvEUlN3c108BFloat16EE_EEvS4_RKT_EUlibE_EEviT1_
    .private_segment_fixed_size: 0
    .sgpr_count:     48
    .sgpr_spill_count: 0
    .symbol:         _ZN2at6native32elementwise_kernel_manual_unrollILi128ELi4EZNS0_15gpu_kernel_implIZZZNS0_20trigamma_kernel_cudaERNS_18TensorIteratorBaseEENKUlvE_clEvENKUlvE2_clEvEUlN3c108BFloat16EE_EEvS4_RKT_EUlibE_EEviT1_.kd
    .uniform_work_group_size: 1
    .uses_dynamic_stack: false
    .vgpr_count:     27
    .vgpr_spill_count: 0
    .wavefront_size: 64
  - .args:
      - .offset:         0
        .size:           4
        .value_kind:     by_value
      - .offset:         8
        .size:           352
        .value_kind:     by_value
    .group_segment_fixed_size: 0
    .kernarg_segment_align: 8
    .kernarg_segment_size: 360
    .language:       OpenCL C
    .language_version:
      - 2
      - 0
    .max_flat_workgroup_size: 128
    .name:           _ZN2at6native32elementwise_kernel_manual_unrollILi128ELi4EZNS0_15gpu_kernel_implIZZZNS0_20trigamma_kernel_cudaERNS_18TensorIteratorBaseEENKUlvE_clEvENKUlvE2_clEvEUlN3c108BFloat16EE_EEvS4_RKT_EUlibE0_EEviT1_
    .private_segment_fixed_size: 0
    .sgpr_count:     82
    .sgpr_spill_count: 0
    .symbol:         _ZN2at6native32elementwise_kernel_manual_unrollILi128ELi4EZNS0_15gpu_kernel_implIZZZNS0_20trigamma_kernel_cudaERNS_18TensorIteratorBaseEENKUlvE_clEvENKUlvE2_clEvEUlN3c108BFloat16EE_EEvS4_RKT_EUlibE0_EEviT1_.kd
    .uniform_work_group_size: 1
    .uses_dynamic_stack: false
    .vgpr_count:     38
    .vgpr_spill_count: 0
    .wavefront_size: 64
  - .args:
      - .offset:         0
        .size:           4
        .value_kind:     by_value
      - .offset:         8
        .size:           8
        .value_kind:     by_value
      - .offset:         16
        .size:           16
        .value_kind:     by_value
    .group_segment_fixed_size: 0
    .kernarg_segment_align: 8
    .kernarg_segment_size: 32
    .language:       OpenCL C
    .language_version:
      - 2
      - 0
    .max_flat_workgroup_size: 256
    .name:           _ZN2at6native29vectorized_elementwise_kernelILi16EZZZNS0_21polygamma_kernel_cudaERNS_18TensorIteratorBaseElENKUlvE_clEvENKUlvE_clEvEUldE_St5arrayIPcLm2EEEEviT0_T1_
    .private_segment_fixed_size: 8
    .sgpr_count:     104
    .sgpr_spill_count: 10
    .symbol:         _ZN2at6native29vectorized_elementwise_kernelILi16EZZZNS0_21polygamma_kernel_cudaERNS_18TensorIteratorBaseElENKUlvE_clEvENKUlvE_clEvEUldE_St5arrayIPcLm2EEEEviT0_T1_.kd
    .uniform_work_group_size: 1
    .uses_dynamic_stack: false
    .vgpr_count:     62
    .vgpr_spill_count: 0
    .wavefront_size: 64
  - .args:
      - .offset:         0
        .size:           4
        .value_kind:     by_value
      - .offset:         8
        .size:           8
        .value_kind:     by_value
      - .offset:         16
        .size:           16
        .value_kind:     by_value
    .group_segment_fixed_size: 0
    .kernarg_segment_align: 8
    .kernarg_segment_size: 32
    .language:       OpenCL C
    .language_version:
      - 2
      - 0
    .max_flat_workgroup_size: 256
    .name:           _ZN2at6native29vectorized_elementwise_kernelILi8EZZZNS0_21polygamma_kernel_cudaERNS_18TensorIteratorBaseElENKUlvE_clEvENKUlvE_clEvEUldE_St5arrayIPcLm2EEEEviT0_T1_
    .private_segment_fixed_size: 8
    .sgpr_count:     104
    .sgpr_spill_count: 10
    .symbol:         _ZN2at6native29vectorized_elementwise_kernelILi8EZZZNS0_21polygamma_kernel_cudaERNS_18TensorIteratorBaseElENKUlvE_clEvENKUlvE_clEvEUldE_St5arrayIPcLm2EEEEviT0_T1_.kd
    .uniform_work_group_size: 1
    .uses_dynamic_stack: false
    .vgpr_count:     62
    .vgpr_spill_count: 0
    .wavefront_size: 64
  - .args:
      - .offset:         0
        .size:           4
        .value_kind:     by_value
      - .offset:         8
        .size:           8
        .value_kind:     by_value
      - .offset:         16
        .size:           16
        .value_kind:     by_value
    .group_segment_fixed_size: 0
    .kernarg_segment_align: 8
    .kernarg_segment_size: 32
    .language:       OpenCL C
    .language_version:
      - 2
      - 0
    .max_flat_workgroup_size: 256
    .name:           _ZN2at6native29vectorized_elementwise_kernelILi4EZZZNS0_21polygamma_kernel_cudaERNS_18TensorIteratorBaseElENKUlvE_clEvENKUlvE_clEvEUldE_St5arrayIPcLm2EEEEviT0_T1_
    .private_segment_fixed_size: 8
    .sgpr_count:     104
    .sgpr_spill_count: 10
    .symbol:         _ZN2at6native29vectorized_elementwise_kernelILi4EZZZNS0_21polygamma_kernel_cudaERNS_18TensorIteratorBaseElENKUlvE_clEvENKUlvE_clEvEUldE_St5arrayIPcLm2EEEEviT0_T1_.kd
    .uniform_work_group_size: 1
    .uses_dynamic_stack: false
    .vgpr_count:     62
    .vgpr_spill_count: 0
    .wavefront_size: 64
  - .args:
      - .offset:         0
        .size:           4
        .value_kind:     by_value
      - .offset:         8
        .size:           8
        .value_kind:     by_value
      - .offset:         16
        .size:           16
        .value_kind:     by_value
    .group_segment_fixed_size: 0
    .kernarg_segment_align: 8
    .kernarg_segment_size: 32
    .language:       OpenCL C
    .language_version:
      - 2
      - 0
    .max_flat_workgroup_size: 256
    .name:           _ZN2at6native29vectorized_elementwise_kernelILi2EZZZNS0_21polygamma_kernel_cudaERNS_18TensorIteratorBaseElENKUlvE_clEvENKUlvE_clEvEUldE_St5arrayIPcLm2EEEEviT0_T1_
    .private_segment_fixed_size: 8
    .sgpr_count:     104
    .sgpr_spill_count: 10
    .symbol:         _ZN2at6native29vectorized_elementwise_kernelILi2EZZZNS0_21polygamma_kernel_cudaERNS_18TensorIteratorBaseElENKUlvE_clEvENKUlvE_clEvEUldE_St5arrayIPcLm2EEEEviT0_T1_.kd
    .uniform_work_group_size: 1
    .uses_dynamic_stack: false
    .vgpr_count:     62
    .vgpr_spill_count: 0
    .wavefront_size: 64
  - .args:
      - .offset:         0
        .size:           4
        .value_kind:     by_value
      - .offset:         8
        .size:           8
        .value_kind:     by_value
      - .offset:         16
        .size:           16
        .value_kind:     by_value
      - .offset:         32
        .size:           1
        .value_kind:     by_value
      - .offset:         33
        .size:           1
        .value_kind:     by_value
      - .offset:         34
        .size:           1
        .value_kind:     by_value
      - .offset:         35
        .size:           1
        .value_kind:     by_value
    .group_segment_fixed_size: 0
    .kernarg_segment_align: 8
    .kernarg_segment_size: 36
    .language:       OpenCL C
    .language_version:
      - 2
      - 0
    .max_flat_workgroup_size: 256
    .name:           _ZN2at6native27unrolled_elementwise_kernelIZZZNS0_21polygamma_kernel_cudaERNS_18TensorIteratorBaseElENKUlvE_clEvENKUlvE_clEvEUldE_St5arrayIPcLm2EELi4E23TrivialOffsetCalculatorILi1EjESB_NS0_6memory15LoadWithoutCastENSC_16StoreWithoutCastEEEviT_T0_T2_T3_T4_T5_
    .private_segment_fixed_size: 8
    .sgpr_count:     104
    .sgpr_spill_count: 3
    .symbol:         _ZN2at6native27unrolled_elementwise_kernelIZZZNS0_21polygamma_kernel_cudaERNS_18TensorIteratorBaseElENKUlvE_clEvENKUlvE_clEvEUldE_St5arrayIPcLm2EELi4E23TrivialOffsetCalculatorILi1EjESB_NS0_6memory15LoadWithoutCastENSC_16StoreWithoutCastEEEviT_T0_T2_T3_T4_T5_.kd
    .uniform_work_group_size: 1
    .uses_dynamic_stack: false
    .vgpr_count:     62
    .vgpr_spill_count: 0
    .wavefront_size: 64
  - .args:
      - .offset:         0
        .size:           4
        .value_kind:     by_value
      - .offset:         8
        .size:           352
        .value_kind:     by_value
    .group_segment_fixed_size: 0
    .kernarg_segment_align: 8
    .kernarg_segment_size: 360
    .language:       OpenCL C
    .language_version:
      - 2
      - 0
    .max_flat_workgroup_size: 128
    .name:           _ZN2at6native32elementwise_kernel_manual_unrollILi128ELi4EZNS0_22gpu_kernel_impl_nocastIZZZNS0_21polygamma_kernel_cudaERNS_18TensorIteratorBaseElENKUlvE_clEvENKUlvE_clEvEUldE_EEvS4_RKT_EUlibE_EEviT1_
    .private_segment_fixed_size: 8
    .sgpr_count:     104
    .sgpr_spill_count: 35
    .symbol:         _ZN2at6native32elementwise_kernel_manual_unrollILi128ELi4EZNS0_22gpu_kernel_impl_nocastIZZZNS0_21polygamma_kernel_cudaERNS_18TensorIteratorBaseElENKUlvE_clEvENKUlvE_clEvEUldE_EEvS4_RKT_EUlibE_EEviT1_.kd
    .uniform_work_group_size: 1
    .uses_dynamic_stack: false
    .vgpr_count:     57
    .vgpr_spill_count: 0
    .wavefront_size: 64
  - .args:
      - .offset:         0
        .size:           4
        .value_kind:     by_value
      - .offset:         8
        .size:           40
        .value_kind:     by_value
    .group_segment_fixed_size: 0
    .kernarg_segment_align: 8
    .kernarg_segment_size: 48
    .language:       OpenCL C
    .language_version:
      - 2
      - 0
    .max_flat_workgroup_size: 128
    .name:           _ZN2at6native32elementwise_kernel_manual_unrollILi128ELi4EZNS0_15gpu_kernel_implIZZZNS0_21polygamma_kernel_cudaERNS_18TensorIteratorBaseElENKUlvE_clEvENKUlvE_clEvEUldE_EEvS4_RKT_EUlibE_EEviT1_
    .private_segment_fixed_size: 8
    .sgpr_count:     104
    .sgpr_spill_count: 112
    .symbol:         _ZN2at6native32elementwise_kernel_manual_unrollILi128ELi4EZNS0_15gpu_kernel_implIZZZNS0_21polygamma_kernel_cudaERNS_18TensorIteratorBaseElENKUlvE_clEvENKUlvE_clEvEUldE_EEvS4_RKT_EUlibE_EEviT1_.kd
    .uniform_work_group_size: 1
    .uses_dynamic_stack: false
    .vgpr_count:     51
    .vgpr_spill_count: 0
    .wavefront_size: 64
  - .args:
      - .offset:         0
        .size:           4
        .value_kind:     by_value
      - .offset:         8
        .size:           360
        .value_kind:     by_value
    .group_segment_fixed_size: 0
    .kernarg_segment_align: 8
    .kernarg_segment_size: 368
    .language:       OpenCL C
    .language_version:
      - 2
      - 0
    .max_flat_workgroup_size: 128
    .name:           _ZN2at6native32elementwise_kernel_manual_unrollILi128ELi4EZNS0_15gpu_kernel_implIZZZNS0_21polygamma_kernel_cudaERNS_18TensorIteratorBaseElENKUlvE_clEvENKUlvE_clEvEUldE_EEvS4_RKT_EUlibE0_EEviT1_
    .private_segment_fixed_size: 8
    .sgpr_count:     104
    .sgpr_spill_count: 177
    .symbol:         _ZN2at6native32elementwise_kernel_manual_unrollILi128ELi4EZNS0_15gpu_kernel_implIZZZNS0_21polygamma_kernel_cudaERNS_18TensorIteratorBaseElENKUlvE_clEvENKUlvE_clEvEUldE_EEvS4_RKT_EUlibE0_EEviT1_.kd
    .uniform_work_group_size: 1
    .uses_dynamic_stack: false
    .vgpr_count:     58
    .vgpr_spill_count: 0
    .wavefront_size: 64
  - .args:
      - .offset:         0
        .size:           4
        .value_kind:     by_value
      - .offset:         8
        .size:           8
        .value_kind:     by_value
      - .offset:         16
        .size:           16
        .value_kind:     by_value
    .group_segment_fixed_size: 0
    .kernarg_segment_align: 8
    .kernarg_segment_size: 32
    .language:       OpenCL C
    .language_version:
      - 2
      - 0
    .max_flat_workgroup_size: 256
    .name:           _ZN2at6native29vectorized_elementwise_kernelILi16EZZZNS0_21polygamma_kernel_cudaERNS_18TensorIteratorBaseElENKUlvE_clEvENKUlvE0_clEvEUlfE_St5arrayIPcLm2EEEEviT0_T1_
    .private_segment_fixed_size: 0
    .sgpr_count:     56
    .sgpr_spill_count: 0
    .symbol:         _ZN2at6native29vectorized_elementwise_kernelILi16EZZZNS0_21polygamma_kernel_cudaERNS_18TensorIteratorBaseElENKUlvE_clEvENKUlvE0_clEvEUlfE_St5arrayIPcLm2EEEEviT0_T1_.kd
    .uniform_work_group_size: 1
    .uses_dynamic_stack: false
    .vgpr_count:     33
    .vgpr_spill_count: 0
    .wavefront_size: 64
  - .args:
      - .offset:         0
        .size:           4
        .value_kind:     by_value
      - .offset:         8
        .size:           8
        .value_kind:     by_value
      - .offset:         16
        .size:           16
        .value_kind:     by_value
    .group_segment_fixed_size: 0
    .kernarg_segment_align: 8
    .kernarg_segment_size: 32
    .language:       OpenCL C
    .language_version:
      - 2
      - 0
    .max_flat_workgroup_size: 256
    .name:           _ZN2at6native29vectorized_elementwise_kernelILi8EZZZNS0_21polygamma_kernel_cudaERNS_18TensorIteratorBaseElENKUlvE_clEvENKUlvE0_clEvEUlfE_St5arrayIPcLm2EEEEviT0_T1_
    .private_segment_fixed_size: 0
    .sgpr_count:     56
    .sgpr_spill_count: 0
    .symbol:         _ZN2at6native29vectorized_elementwise_kernelILi8EZZZNS0_21polygamma_kernel_cudaERNS_18TensorIteratorBaseElENKUlvE_clEvENKUlvE0_clEvEUlfE_St5arrayIPcLm2EEEEviT0_T1_.kd
    .uniform_work_group_size: 1
    .uses_dynamic_stack: false
    .vgpr_count:     33
    .vgpr_spill_count: 0
    .wavefront_size: 64
  - .args:
      - .offset:         0
        .size:           4
        .value_kind:     by_value
      - .offset:         8
        .size:           8
        .value_kind:     by_value
      - .offset:         16
        .size:           16
        .value_kind:     by_value
    .group_segment_fixed_size: 0
    .kernarg_segment_align: 8
    .kernarg_segment_size: 32
    .language:       OpenCL C
    .language_version:
      - 2
      - 0
    .max_flat_workgroup_size: 256
    .name:           _ZN2at6native29vectorized_elementwise_kernelILi4EZZZNS0_21polygamma_kernel_cudaERNS_18TensorIteratorBaseElENKUlvE_clEvENKUlvE0_clEvEUlfE_St5arrayIPcLm2EEEEviT0_T1_
    .private_segment_fixed_size: 0
    .sgpr_count:     56
    .sgpr_spill_count: 0
    .symbol:         _ZN2at6native29vectorized_elementwise_kernelILi4EZZZNS0_21polygamma_kernel_cudaERNS_18TensorIteratorBaseElENKUlvE_clEvENKUlvE0_clEvEUlfE_St5arrayIPcLm2EEEEviT0_T1_.kd
    .uniform_work_group_size: 1
    .uses_dynamic_stack: false
    .vgpr_count:     33
    .vgpr_spill_count: 0
    .wavefront_size: 64
  - .args:
      - .offset:         0
        .size:           4
        .value_kind:     by_value
      - .offset:         8
        .size:           8
        .value_kind:     by_value
      - .offset:         16
        .size:           16
        .value_kind:     by_value
    .group_segment_fixed_size: 0
    .kernarg_segment_align: 8
    .kernarg_segment_size: 32
    .language:       OpenCL C
    .language_version:
      - 2
      - 0
    .max_flat_workgroup_size: 256
    .name:           _ZN2at6native29vectorized_elementwise_kernelILi2EZZZNS0_21polygamma_kernel_cudaERNS_18TensorIteratorBaseElENKUlvE_clEvENKUlvE0_clEvEUlfE_St5arrayIPcLm2EEEEviT0_T1_
    .private_segment_fixed_size: 0
    .sgpr_count:     56
    .sgpr_spill_count: 0
    .symbol:         _ZN2at6native29vectorized_elementwise_kernelILi2EZZZNS0_21polygamma_kernel_cudaERNS_18TensorIteratorBaseElENKUlvE_clEvENKUlvE0_clEvEUlfE_St5arrayIPcLm2EEEEviT0_T1_.kd
    .uniform_work_group_size: 1
    .uses_dynamic_stack: false
    .vgpr_count:     33
    .vgpr_spill_count: 0
    .wavefront_size: 64
  - .args:
      - .offset:         0
        .size:           4
        .value_kind:     by_value
      - .offset:         8
        .size:           8
        .value_kind:     by_value
      - .offset:         16
        .size:           16
        .value_kind:     by_value
      - .offset:         32
        .size:           1
        .value_kind:     by_value
      - .offset:         33
        .size:           1
        .value_kind:     by_value
      - .offset:         34
        .size:           1
        .value_kind:     by_value
      - .offset:         35
        .size:           1
        .value_kind:     by_value
    .group_segment_fixed_size: 0
    .kernarg_segment_align: 8
    .kernarg_segment_size: 36
    .language:       OpenCL C
    .language_version:
      - 2
      - 0
    .max_flat_workgroup_size: 256
    .name:           _ZN2at6native27unrolled_elementwise_kernelIZZZNS0_21polygamma_kernel_cudaERNS_18TensorIteratorBaseElENKUlvE_clEvENKUlvE0_clEvEUlfE_St5arrayIPcLm2EELi4E23TrivialOffsetCalculatorILi1EjESB_NS0_6memory15LoadWithoutCastENSC_16StoreWithoutCastEEEviT_T0_T2_T3_T4_T5_
    .private_segment_fixed_size: 0
    .sgpr_count:     53
    .sgpr_spill_count: 0
    .symbol:         _ZN2at6native27unrolled_elementwise_kernelIZZZNS0_21polygamma_kernel_cudaERNS_18TensorIteratorBaseElENKUlvE_clEvENKUlvE0_clEvEUlfE_St5arrayIPcLm2EELi4E23TrivialOffsetCalculatorILi1EjESB_NS0_6memory15LoadWithoutCastENSC_16StoreWithoutCastEEEviT_T0_T2_T3_T4_T5_.kd
    .uniform_work_group_size: 1
    .uses_dynamic_stack: false
    .vgpr_count:     33
    .vgpr_spill_count: 0
    .wavefront_size: 64
  - .args:
      - .offset:         0
        .size:           4
        .value_kind:     by_value
      - .offset:         8
        .size:           352
        .value_kind:     by_value
    .group_segment_fixed_size: 0
    .kernarg_segment_align: 8
    .kernarg_segment_size: 360
    .language:       OpenCL C
    .language_version:
      - 2
      - 0
    .max_flat_workgroup_size: 128
    .name:           _ZN2at6native32elementwise_kernel_manual_unrollILi128ELi4EZNS0_22gpu_kernel_impl_nocastIZZZNS0_21polygamma_kernel_cudaERNS_18TensorIteratorBaseElENKUlvE_clEvENKUlvE0_clEvEUlfE_EEvS4_RKT_EUlibE_EEviT1_
    .private_segment_fixed_size: 0
    .sgpr_count:     77
    .sgpr_spill_count: 0
    .symbol:         _ZN2at6native32elementwise_kernel_manual_unrollILi128ELi4EZNS0_22gpu_kernel_impl_nocastIZZZNS0_21polygamma_kernel_cudaERNS_18TensorIteratorBaseElENKUlvE_clEvENKUlvE0_clEvEUlfE_EEvS4_RKT_EUlibE_EEviT1_.kd
    .uniform_work_group_size: 1
    .uses_dynamic_stack: false
    .vgpr_count:     31
    .vgpr_spill_count: 0
    .wavefront_size: 64
  - .args:
      - .offset:         0
        .size:           4
        .value_kind:     by_value
      - .offset:         8
        .size:           40
        .value_kind:     by_value
    .group_segment_fixed_size: 0
    .kernarg_segment_align: 8
    .kernarg_segment_size: 48
    .language:       OpenCL C
    .language_version:
      - 2
      - 0
    .max_flat_workgroup_size: 128
    .name:           _ZN2at6native32elementwise_kernel_manual_unrollILi128ELi4EZNS0_15gpu_kernel_implIZZZNS0_21polygamma_kernel_cudaERNS_18TensorIteratorBaseElENKUlvE_clEvENKUlvE0_clEvEUlfE_EEvS4_RKT_EUlibE_EEviT1_
    .private_segment_fixed_size: 0
    .sgpr_count:     73
    .sgpr_spill_count: 0
    .symbol:         _ZN2at6native32elementwise_kernel_manual_unrollILi128ELi4EZNS0_15gpu_kernel_implIZZZNS0_21polygamma_kernel_cudaERNS_18TensorIteratorBaseElENKUlvE_clEvENKUlvE0_clEvEUlfE_EEvS4_RKT_EUlibE_EEviT1_.kd
    .uniform_work_group_size: 1
    .uses_dynamic_stack: false
    .vgpr_count:     28
    .vgpr_spill_count: 0
    .wavefront_size: 64
  - .args:
      - .offset:         0
        .size:           4
        .value_kind:     by_value
      - .offset:         8
        .size:           360
        .value_kind:     by_value
    .group_segment_fixed_size: 0
    .kernarg_segment_align: 8
    .kernarg_segment_size: 368
    .language:       OpenCL C
    .language_version:
      - 2
      - 0
    .max_flat_workgroup_size: 128
    .name:           _ZN2at6native32elementwise_kernel_manual_unrollILi128ELi4EZNS0_15gpu_kernel_implIZZZNS0_21polygamma_kernel_cudaERNS_18TensorIteratorBaseElENKUlvE_clEvENKUlvE0_clEvEUlfE_EEvS4_RKT_EUlibE0_EEviT1_
    .private_segment_fixed_size: 0
    .sgpr_count:     96
    .sgpr_spill_count: 0
    .symbol:         _ZN2at6native32elementwise_kernel_manual_unrollILi128ELi4EZNS0_15gpu_kernel_implIZZZNS0_21polygamma_kernel_cudaERNS_18TensorIteratorBaseElENKUlvE_clEvENKUlvE0_clEvEUlfE_EEvS4_RKT_EUlibE0_EEviT1_.kd
    .uniform_work_group_size: 1
    .uses_dynamic_stack: false
    .vgpr_count:     36
    .vgpr_spill_count: 0
    .wavefront_size: 64
  - .args:
      - .offset:         0
        .size:           4
        .value_kind:     by_value
      - .offset:         8
        .size:           8
        .value_kind:     by_value
      - .offset:         16
        .size:           16
        .value_kind:     by_value
    .group_segment_fixed_size: 0
    .kernarg_segment_align: 8
    .kernarg_segment_size: 32
    .language:       OpenCL C
    .language_version:
      - 2
      - 0
    .max_flat_workgroup_size: 256
    .name:           _ZN2at6native29vectorized_elementwise_kernelILi16EZZZNS0_21polygamma_kernel_cudaERNS_18TensorIteratorBaseElENKUlvE_clEvENKUlvE1_clEvEUlN3c104HalfEE_St5arrayIPcLm2EEEEviT0_T1_
    .private_segment_fixed_size: 0
    .sgpr_count:     56
    .sgpr_spill_count: 0
    .symbol:         _ZN2at6native29vectorized_elementwise_kernelILi16EZZZNS0_21polygamma_kernel_cudaERNS_18TensorIteratorBaseElENKUlvE_clEvENKUlvE1_clEvEUlN3c104HalfEE_St5arrayIPcLm2EEEEviT0_T1_.kd
    .uniform_work_group_size: 1
    .uses_dynamic_stack: false
    .vgpr_count:     35
    .vgpr_spill_count: 0
    .wavefront_size: 64
  - .args:
      - .offset:         0
        .size:           4
        .value_kind:     by_value
      - .offset:         8
        .size:           8
        .value_kind:     by_value
      - .offset:         16
        .size:           16
        .value_kind:     by_value
    .group_segment_fixed_size: 0
    .kernarg_segment_align: 8
    .kernarg_segment_size: 32
    .language:       OpenCL C
    .language_version:
      - 2
      - 0
    .max_flat_workgroup_size: 256
    .name:           _ZN2at6native29vectorized_elementwise_kernelILi8EZZZNS0_21polygamma_kernel_cudaERNS_18TensorIteratorBaseElENKUlvE_clEvENKUlvE1_clEvEUlN3c104HalfEE_St5arrayIPcLm2EEEEviT0_T1_
    .private_segment_fixed_size: 0
    .sgpr_count:     56
    .sgpr_spill_count: 0
    .symbol:         _ZN2at6native29vectorized_elementwise_kernelILi8EZZZNS0_21polygamma_kernel_cudaERNS_18TensorIteratorBaseElENKUlvE_clEvENKUlvE1_clEvEUlN3c104HalfEE_St5arrayIPcLm2EEEEviT0_T1_.kd
    .uniform_work_group_size: 1
    .uses_dynamic_stack: false
    .vgpr_count:     35
    .vgpr_spill_count: 0
    .wavefront_size: 64
  - .args:
      - .offset:         0
        .size:           4
        .value_kind:     by_value
      - .offset:         8
        .size:           8
        .value_kind:     by_value
      - .offset:         16
        .size:           16
        .value_kind:     by_value
    .group_segment_fixed_size: 0
    .kernarg_segment_align: 8
    .kernarg_segment_size: 32
    .language:       OpenCL C
    .language_version:
      - 2
      - 0
    .max_flat_workgroup_size: 256
    .name:           _ZN2at6native29vectorized_elementwise_kernelILi4EZZZNS0_21polygamma_kernel_cudaERNS_18TensorIteratorBaseElENKUlvE_clEvENKUlvE1_clEvEUlN3c104HalfEE_St5arrayIPcLm2EEEEviT0_T1_
    .private_segment_fixed_size: 0
    .sgpr_count:     56
    .sgpr_spill_count: 0
    .symbol:         _ZN2at6native29vectorized_elementwise_kernelILi4EZZZNS0_21polygamma_kernel_cudaERNS_18TensorIteratorBaseElENKUlvE_clEvENKUlvE1_clEvEUlN3c104HalfEE_St5arrayIPcLm2EEEEviT0_T1_.kd
    .uniform_work_group_size: 1
    .uses_dynamic_stack: false
    .vgpr_count:     35
    .vgpr_spill_count: 0
    .wavefront_size: 64
  - .args:
      - .offset:         0
        .size:           4
        .value_kind:     by_value
      - .offset:         8
        .size:           8
        .value_kind:     by_value
      - .offset:         16
        .size:           16
        .value_kind:     by_value
    .group_segment_fixed_size: 0
    .kernarg_segment_align: 8
    .kernarg_segment_size: 32
    .language:       OpenCL C
    .language_version:
      - 2
      - 0
    .max_flat_workgroup_size: 256
    .name:           _ZN2at6native29vectorized_elementwise_kernelILi2EZZZNS0_21polygamma_kernel_cudaERNS_18TensorIteratorBaseElENKUlvE_clEvENKUlvE1_clEvEUlN3c104HalfEE_St5arrayIPcLm2EEEEviT0_T1_
    .private_segment_fixed_size: 0
    .sgpr_count:     56
    .sgpr_spill_count: 0
    .symbol:         _ZN2at6native29vectorized_elementwise_kernelILi2EZZZNS0_21polygamma_kernel_cudaERNS_18TensorIteratorBaseElENKUlvE_clEvENKUlvE1_clEvEUlN3c104HalfEE_St5arrayIPcLm2EEEEviT0_T1_.kd
    .uniform_work_group_size: 1
    .uses_dynamic_stack: false
    .vgpr_count:     35
    .vgpr_spill_count: 0
    .wavefront_size: 64
  - .args:
      - .offset:         0
        .size:           4
        .value_kind:     by_value
      - .offset:         8
        .size:           8
        .value_kind:     by_value
      - .offset:         16
        .size:           16
        .value_kind:     by_value
      - .offset:         32
        .size:           1
        .value_kind:     by_value
      - .offset:         33
        .size:           1
        .value_kind:     by_value
      - .offset:         34
        .size:           1
        .value_kind:     by_value
      - .offset:         35
        .size:           1
        .value_kind:     by_value
    .group_segment_fixed_size: 0
    .kernarg_segment_align: 8
    .kernarg_segment_size: 36
    .language:       OpenCL C
    .language_version:
      - 2
      - 0
    .max_flat_workgroup_size: 256
    .name:           _ZN2at6native27unrolled_elementwise_kernelIZZZNS0_21polygamma_kernel_cudaERNS_18TensorIteratorBaseElENKUlvE_clEvENKUlvE1_clEvEUlN3c104HalfEE_St5arrayIPcLm2EELi4E23TrivialOffsetCalculatorILi1EjESD_NS0_6memory15LoadWithoutCastENSE_16StoreWithoutCastEEEviT_T0_T2_T3_T4_T5_
    .private_segment_fixed_size: 0
    .sgpr_count:     53
    .sgpr_spill_count: 0
    .symbol:         _ZN2at6native27unrolled_elementwise_kernelIZZZNS0_21polygamma_kernel_cudaERNS_18TensorIteratorBaseElENKUlvE_clEvENKUlvE1_clEvEUlN3c104HalfEE_St5arrayIPcLm2EELi4E23TrivialOffsetCalculatorILi1EjESD_NS0_6memory15LoadWithoutCastENSE_16StoreWithoutCastEEEviT_T0_T2_T3_T4_T5_.kd
    .uniform_work_group_size: 1
    .uses_dynamic_stack: false
    .vgpr_count:     31
    .vgpr_spill_count: 0
    .wavefront_size: 64
  - .args:
      - .offset:         0
        .size:           4
        .value_kind:     by_value
      - .offset:         8
        .size:           352
        .value_kind:     by_value
    .group_segment_fixed_size: 0
    .kernarg_segment_align: 8
    .kernarg_segment_size: 360
    .language:       OpenCL C
    .language_version:
      - 2
      - 0
    .max_flat_workgroup_size: 128
    .name:           _ZN2at6native32elementwise_kernel_manual_unrollILi128ELi8EZNS0_22gpu_kernel_impl_nocastIZZZNS0_21polygamma_kernel_cudaERNS_18TensorIteratorBaseElENKUlvE_clEvENKUlvE1_clEvEUlN3c104HalfEE_EEvS4_RKT_EUlibE_EEviT1_
    .private_segment_fixed_size: 0
    .sgpr_count:     77
    .sgpr_spill_count: 0
    .symbol:         _ZN2at6native32elementwise_kernel_manual_unrollILi128ELi8EZNS0_22gpu_kernel_impl_nocastIZZZNS0_21polygamma_kernel_cudaERNS_18TensorIteratorBaseElENKUlvE_clEvENKUlvE1_clEvEUlN3c104HalfEE_EEvS4_RKT_EUlibE_EEviT1_.kd
    .uniform_work_group_size: 1
    .uses_dynamic_stack: false
    .vgpr_count:     39
    .vgpr_spill_count: 0
    .wavefront_size: 64
  - .args:
      - .offset:         0
        .size:           4
        .value_kind:     by_value
      - .offset:         8
        .size:           40
        .value_kind:     by_value
    .group_segment_fixed_size: 0
    .kernarg_segment_align: 8
    .kernarg_segment_size: 48
    .language:       OpenCL C
    .language_version:
      - 2
      - 0
    .max_flat_workgroup_size: 128
    .name:           _ZN2at6native32elementwise_kernel_manual_unrollILi128ELi4EZNS0_15gpu_kernel_implIZZZNS0_21polygamma_kernel_cudaERNS_18TensorIteratorBaseElENKUlvE_clEvENKUlvE1_clEvEUlN3c104HalfEE_EEvS4_RKT_EUlibE_EEviT1_
    .private_segment_fixed_size: 0
    .sgpr_count:     73
    .sgpr_spill_count: 0
    .symbol:         _ZN2at6native32elementwise_kernel_manual_unrollILi128ELi4EZNS0_15gpu_kernel_implIZZZNS0_21polygamma_kernel_cudaERNS_18TensorIteratorBaseElENKUlvE_clEvENKUlvE1_clEvEUlN3c104HalfEE_EEvS4_RKT_EUlibE_EEviT1_.kd
    .uniform_work_group_size: 1
    .uses_dynamic_stack: false
    .vgpr_count:     28
    .vgpr_spill_count: 0
    .wavefront_size: 64
  - .args:
      - .offset:         0
        .size:           4
        .value_kind:     by_value
      - .offset:         8
        .size:           360
        .value_kind:     by_value
    .group_segment_fixed_size: 0
    .kernarg_segment_align: 8
    .kernarg_segment_size: 368
    .language:       OpenCL C
    .language_version:
      - 2
      - 0
    .max_flat_workgroup_size: 128
    .name:           _ZN2at6native32elementwise_kernel_manual_unrollILi128ELi4EZNS0_15gpu_kernel_implIZZZNS0_21polygamma_kernel_cudaERNS_18TensorIteratorBaseElENKUlvE_clEvENKUlvE1_clEvEUlN3c104HalfEE_EEvS4_RKT_EUlibE0_EEviT1_
    .private_segment_fixed_size: 0
    .sgpr_count:     96
    .sgpr_spill_count: 0
    .symbol:         _ZN2at6native32elementwise_kernel_manual_unrollILi128ELi4EZNS0_15gpu_kernel_implIZZZNS0_21polygamma_kernel_cudaERNS_18TensorIteratorBaseElENKUlvE_clEvENKUlvE1_clEvEUlN3c104HalfEE_EEvS4_RKT_EUlibE0_EEviT1_.kd
    .uniform_work_group_size: 1
    .uses_dynamic_stack: false
    .vgpr_count:     35
    .vgpr_spill_count: 0
    .wavefront_size: 64
  - .args:
      - .offset:         0
        .size:           4
        .value_kind:     by_value
      - .offset:         8
        .size:           8
        .value_kind:     by_value
      - .offset:         16
        .size:           16
        .value_kind:     by_value
    .group_segment_fixed_size: 0
    .kernarg_segment_align: 8
    .kernarg_segment_size: 32
    .language:       OpenCL C
    .language_version:
      - 2
      - 0
    .max_flat_workgroup_size: 256
    .name:           _ZN2at6native29vectorized_elementwise_kernelILi16EZZZNS0_21polygamma_kernel_cudaERNS_18TensorIteratorBaseElENKUlvE_clEvENKUlvE2_clEvEUlN3c108BFloat16EE_St5arrayIPcLm2EEEEviT0_T1_
    .private_segment_fixed_size: 0
    .sgpr_count:     58
    .sgpr_spill_count: 0
    .symbol:         _ZN2at6native29vectorized_elementwise_kernelILi16EZZZNS0_21polygamma_kernel_cudaERNS_18TensorIteratorBaseElENKUlvE_clEvENKUlvE2_clEvEUlN3c108BFloat16EE_St5arrayIPcLm2EEEEviT0_T1_.kd
    .uniform_work_group_size: 1
    .uses_dynamic_stack: false
    .vgpr_count:     35
    .vgpr_spill_count: 0
    .wavefront_size: 64
  - .args:
      - .offset:         0
        .size:           4
        .value_kind:     by_value
      - .offset:         8
        .size:           8
        .value_kind:     by_value
      - .offset:         16
        .size:           16
        .value_kind:     by_value
    .group_segment_fixed_size: 0
    .kernarg_segment_align: 8
    .kernarg_segment_size: 32
    .language:       OpenCL C
    .language_version:
      - 2
      - 0
    .max_flat_workgroup_size: 256
    .name:           _ZN2at6native29vectorized_elementwise_kernelILi8EZZZNS0_21polygamma_kernel_cudaERNS_18TensorIteratorBaseElENKUlvE_clEvENKUlvE2_clEvEUlN3c108BFloat16EE_St5arrayIPcLm2EEEEviT0_T1_
    .private_segment_fixed_size: 0
    .sgpr_count:     58
    .sgpr_spill_count: 0
    .symbol:         _ZN2at6native29vectorized_elementwise_kernelILi8EZZZNS0_21polygamma_kernel_cudaERNS_18TensorIteratorBaseElENKUlvE_clEvENKUlvE2_clEvEUlN3c108BFloat16EE_St5arrayIPcLm2EEEEviT0_T1_.kd
    .uniform_work_group_size: 1
    .uses_dynamic_stack: false
    .vgpr_count:     35
    .vgpr_spill_count: 0
    .wavefront_size: 64
  - .args:
      - .offset:         0
        .size:           4
        .value_kind:     by_value
      - .offset:         8
        .size:           8
        .value_kind:     by_value
      - .offset:         16
        .size:           16
        .value_kind:     by_value
    .group_segment_fixed_size: 0
    .kernarg_segment_align: 8
    .kernarg_segment_size: 32
    .language:       OpenCL C
    .language_version:
      - 2
      - 0
    .max_flat_workgroup_size: 256
    .name:           _ZN2at6native29vectorized_elementwise_kernelILi4EZZZNS0_21polygamma_kernel_cudaERNS_18TensorIteratorBaseElENKUlvE_clEvENKUlvE2_clEvEUlN3c108BFloat16EE_St5arrayIPcLm2EEEEviT0_T1_
    .private_segment_fixed_size: 0
    .sgpr_count:     58
    .sgpr_spill_count: 0
    .symbol:         _ZN2at6native29vectorized_elementwise_kernelILi4EZZZNS0_21polygamma_kernel_cudaERNS_18TensorIteratorBaseElENKUlvE_clEvENKUlvE2_clEvEUlN3c108BFloat16EE_St5arrayIPcLm2EEEEviT0_T1_.kd
    .uniform_work_group_size: 1
    .uses_dynamic_stack: false
    .vgpr_count:     35
    .vgpr_spill_count: 0
    .wavefront_size: 64
  - .args:
      - .offset:         0
        .size:           4
        .value_kind:     by_value
      - .offset:         8
        .size:           8
        .value_kind:     by_value
      - .offset:         16
        .size:           16
        .value_kind:     by_value
    .group_segment_fixed_size: 0
    .kernarg_segment_align: 8
    .kernarg_segment_size: 32
    .language:       OpenCL C
    .language_version:
      - 2
      - 0
    .max_flat_workgroup_size: 256
    .name:           _ZN2at6native29vectorized_elementwise_kernelILi2EZZZNS0_21polygamma_kernel_cudaERNS_18TensorIteratorBaseElENKUlvE_clEvENKUlvE2_clEvEUlN3c108BFloat16EE_St5arrayIPcLm2EEEEviT0_T1_
    .private_segment_fixed_size: 0
    .sgpr_count:     58
    .sgpr_spill_count: 0
    .symbol:         _ZN2at6native29vectorized_elementwise_kernelILi2EZZZNS0_21polygamma_kernel_cudaERNS_18TensorIteratorBaseElENKUlvE_clEvENKUlvE2_clEvEUlN3c108BFloat16EE_St5arrayIPcLm2EEEEviT0_T1_.kd
    .uniform_work_group_size: 1
    .uses_dynamic_stack: false
    .vgpr_count:     35
    .vgpr_spill_count: 0
    .wavefront_size: 64
  - .args:
      - .offset:         0
        .size:           4
        .value_kind:     by_value
      - .offset:         8
        .size:           8
        .value_kind:     by_value
      - .offset:         16
        .size:           16
        .value_kind:     by_value
      - .offset:         32
        .size:           1
        .value_kind:     by_value
      - .offset:         33
        .size:           1
        .value_kind:     by_value
      - .offset:         34
        .size:           1
        .value_kind:     by_value
      - .offset:         35
        .size:           1
        .value_kind:     by_value
    .group_segment_fixed_size: 0
    .kernarg_segment_align: 8
    .kernarg_segment_size: 36
    .language:       OpenCL C
    .language_version:
      - 2
      - 0
    .max_flat_workgroup_size: 256
    .name:           _ZN2at6native27unrolled_elementwise_kernelIZZZNS0_21polygamma_kernel_cudaERNS_18TensorIteratorBaseElENKUlvE_clEvENKUlvE2_clEvEUlN3c108BFloat16EE_St5arrayIPcLm2EELi4E23TrivialOffsetCalculatorILi1EjESD_NS0_6memory15LoadWithoutCastENSE_16StoreWithoutCastEEEviT_T0_T2_T3_T4_T5_
    .private_segment_fixed_size: 0
    .sgpr_count:     55
    .sgpr_spill_count: 0
    .symbol:         _ZN2at6native27unrolled_elementwise_kernelIZZZNS0_21polygamma_kernel_cudaERNS_18TensorIteratorBaseElENKUlvE_clEvENKUlvE2_clEvEUlN3c108BFloat16EE_St5arrayIPcLm2EELi4E23TrivialOffsetCalculatorILi1EjESD_NS0_6memory15LoadWithoutCastENSE_16StoreWithoutCastEEEviT_T0_T2_T3_T4_T5_.kd
    .uniform_work_group_size: 1
    .uses_dynamic_stack: false
    .vgpr_count:     31
    .vgpr_spill_count: 0
    .wavefront_size: 64
  - .args:
      - .offset:         0
        .size:           4
        .value_kind:     by_value
      - .offset:         8
        .size:           352
        .value_kind:     by_value
    .group_segment_fixed_size: 0
    .kernarg_segment_align: 8
    .kernarg_segment_size: 360
    .language:       OpenCL C
    .language_version:
      - 2
      - 0
    .max_flat_workgroup_size: 128
    .name:           _ZN2at6native32elementwise_kernel_manual_unrollILi128ELi8EZNS0_22gpu_kernel_impl_nocastIZZZNS0_21polygamma_kernel_cudaERNS_18TensorIteratorBaseElENKUlvE_clEvENKUlvE2_clEvEUlN3c108BFloat16EE_EEvS4_RKT_EUlibE_EEviT1_
    .private_segment_fixed_size: 0
    .sgpr_count:     79
    .sgpr_spill_count: 0
    .symbol:         _ZN2at6native32elementwise_kernel_manual_unrollILi128ELi8EZNS0_22gpu_kernel_impl_nocastIZZZNS0_21polygamma_kernel_cudaERNS_18TensorIteratorBaseElENKUlvE_clEvENKUlvE2_clEvEUlN3c108BFloat16EE_EEvS4_RKT_EUlibE_EEviT1_.kd
    .uniform_work_group_size: 1
    .uses_dynamic_stack: false
    .vgpr_count:     39
    .vgpr_spill_count: 0
    .wavefront_size: 64
  - .args:
      - .offset:         0
        .size:           4
        .value_kind:     by_value
      - .offset:         8
        .size:           40
        .value_kind:     by_value
    .group_segment_fixed_size: 0
    .kernarg_segment_align: 8
    .kernarg_segment_size: 48
    .language:       OpenCL C
    .language_version:
      - 2
      - 0
    .max_flat_workgroup_size: 128
    .name:           _ZN2at6native32elementwise_kernel_manual_unrollILi128ELi4EZNS0_15gpu_kernel_implIZZZNS0_21polygamma_kernel_cudaERNS_18TensorIteratorBaseElENKUlvE_clEvENKUlvE2_clEvEUlN3c108BFloat16EE_EEvS4_RKT_EUlibE_EEviT1_
    .private_segment_fixed_size: 0
    .sgpr_count:     75
    .sgpr_spill_count: 0
    .symbol:         _ZN2at6native32elementwise_kernel_manual_unrollILi128ELi4EZNS0_15gpu_kernel_implIZZZNS0_21polygamma_kernel_cudaERNS_18TensorIteratorBaseElENKUlvE_clEvENKUlvE2_clEvEUlN3c108BFloat16EE_EEvS4_RKT_EUlibE_EEviT1_.kd
    .uniform_work_group_size: 1
    .uses_dynamic_stack: false
    .vgpr_count:     28
    .vgpr_spill_count: 0
    .wavefront_size: 64
  - .args:
      - .offset:         0
        .size:           4
        .value_kind:     by_value
      - .offset:         8
        .size:           360
        .value_kind:     by_value
    .group_segment_fixed_size: 0
    .kernarg_segment_align: 8
    .kernarg_segment_size: 368
    .language:       OpenCL C
    .language_version:
      - 2
      - 0
    .max_flat_workgroup_size: 128
    .name:           _ZN2at6native32elementwise_kernel_manual_unrollILi128ELi4EZNS0_15gpu_kernel_implIZZZNS0_21polygamma_kernel_cudaERNS_18TensorIteratorBaseElENKUlvE_clEvENKUlvE2_clEvEUlN3c108BFloat16EE_EEvS4_RKT_EUlibE0_EEviT1_
    .private_segment_fixed_size: 0
    .sgpr_count:     98
    .sgpr_spill_count: 0
    .symbol:         _ZN2at6native32elementwise_kernel_manual_unrollILi128ELi4EZNS0_15gpu_kernel_implIZZZNS0_21polygamma_kernel_cudaERNS_18TensorIteratorBaseElENKUlvE_clEvENKUlvE2_clEvEUlN3c108BFloat16EE_EEvS4_RKT_EUlibE0_EEviT1_.kd
    .uniform_work_group_size: 1
    .uses_dynamic_stack: false
    .vgpr_count:     35
    .vgpr_spill_count: 0
    .wavefront_size: 64
  - .args:
      - .offset:         0
        .size:           4
        .value_kind:     by_value
      - .offset:         4
        .size:           1
        .value_kind:     by_value
      - .offset:         8
        .size:           16
        .value_kind:     by_value
    .group_segment_fixed_size: 0
    .kernarg_segment_align: 8
    .kernarg_segment_size: 24
    .language:       OpenCL C
    .language_version:
      - 2
      - 0
    .max_flat_workgroup_size: 256
    .name:           _ZN2at6native29vectorized_elementwise_kernelILi16EZZZNS0_18lgamma_kernel_cudaERNS_18TensorIteratorBaseEENKUlvE_clEvENKUlvE_clEvEUldE_St5arrayIPcLm2EEEEviT0_T1_
    .private_segment_fixed_size: 0
    .sgpr_count:     37
    .sgpr_spill_count: 0
    .symbol:         _ZN2at6native29vectorized_elementwise_kernelILi16EZZZNS0_18lgamma_kernel_cudaERNS_18TensorIteratorBaseEENKUlvE_clEvENKUlvE_clEvEUldE_St5arrayIPcLm2EEEEviT0_T1_.kd
    .uniform_work_group_size: 1
    .uses_dynamic_stack: false
    .vgpr_count:     40
    .vgpr_spill_count: 0
    .wavefront_size: 64
  - .args:
      - .offset:         0
        .size:           4
        .value_kind:     by_value
      - .offset:         4
        .size:           1
        .value_kind:     by_value
      - .offset:         8
        .size:           16
        .value_kind:     by_value
    .group_segment_fixed_size: 0
    .kernarg_segment_align: 8
    .kernarg_segment_size: 24
    .language:       OpenCL C
    .language_version:
      - 2
      - 0
    .max_flat_workgroup_size: 256
    .name:           _ZN2at6native29vectorized_elementwise_kernelILi8EZZZNS0_18lgamma_kernel_cudaERNS_18TensorIteratorBaseEENKUlvE_clEvENKUlvE_clEvEUldE_St5arrayIPcLm2EEEEviT0_T1_
    .private_segment_fixed_size: 0
    .sgpr_count:     37
    .sgpr_spill_count: 0
    .symbol:         _ZN2at6native29vectorized_elementwise_kernelILi8EZZZNS0_18lgamma_kernel_cudaERNS_18TensorIteratorBaseEENKUlvE_clEvENKUlvE_clEvEUldE_St5arrayIPcLm2EEEEviT0_T1_.kd
    .uniform_work_group_size: 1
    .uses_dynamic_stack: false
    .vgpr_count:     40
    .vgpr_spill_count: 0
    .wavefront_size: 64
  - .args:
      - .offset:         0
        .size:           4
        .value_kind:     by_value
      - .offset:         4
        .size:           1
        .value_kind:     by_value
      - .offset:         8
        .size:           16
        .value_kind:     by_value
    .group_segment_fixed_size: 0
    .kernarg_segment_align: 8
    .kernarg_segment_size: 24
    .language:       OpenCL C
    .language_version:
      - 2
      - 0
    .max_flat_workgroup_size: 256
    .name:           _ZN2at6native29vectorized_elementwise_kernelILi4EZZZNS0_18lgamma_kernel_cudaERNS_18TensorIteratorBaseEENKUlvE_clEvENKUlvE_clEvEUldE_St5arrayIPcLm2EEEEviT0_T1_
    .private_segment_fixed_size: 0
    .sgpr_count:     37
    .sgpr_spill_count: 0
    .symbol:         _ZN2at6native29vectorized_elementwise_kernelILi4EZZZNS0_18lgamma_kernel_cudaERNS_18TensorIteratorBaseEENKUlvE_clEvENKUlvE_clEvEUldE_St5arrayIPcLm2EEEEviT0_T1_.kd
    .uniform_work_group_size: 1
    .uses_dynamic_stack: false
    .vgpr_count:     40
    .vgpr_spill_count: 0
    .wavefront_size: 64
  - .args:
      - .offset:         0
        .size:           4
        .value_kind:     by_value
      - .offset:         4
        .size:           1
        .value_kind:     by_value
      - .offset:         8
        .size:           16
        .value_kind:     by_value
    .group_segment_fixed_size: 0
    .kernarg_segment_align: 8
    .kernarg_segment_size: 24
    .language:       OpenCL C
    .language_version:
      - 2
      - 0
    .max_flat_workgroup_size: 256
    .name:           _ZN2at6native29vectorized_elementwise_kernelILi2EZZZNS0_18lgamma_kernel_cudaERNS_18TensorIteratorBaseEENKUlvE_clEvENKUlvE_clEvEUldE_St5arrayIPcLm2EEEEviT0_T1_
    .private_segment_fixed_size: 0
    .sgpr_count:     37
    .sgpr_spill_count: 0
    .symbol:         _ZN2at6native29vectorized_elementwise_kernelILi2EZZZNS0_18lgamma_kernel_cudaERNS_18TensorIteratorBaseEENKUlvE_clEvENKUlvE_clEvEUldE_St5arrayIPcLm2EEEEviT0_T1_.kd
    .uniform_work_group_size: 1
    .uses_dynamic_stack: false
    .vgpr_count:     40
    .vgpr_spill_count: 0
    .wavefront_size: 64
  - .args:
      - .offset:         0
        .size:           4
        .value_kind:     by_value
      - .offset:         4
        .size:           1
        .value_kind:     by_value
      - .offset:         8
        .size:           16
        .value_kind:     by_value
      - .offset:         24
        .size:           1
        .value_kind:     by_value
      - .offset:         25
        .size:           1
        .value_kind:     by_value
      - .offset:         26
        .size:           1
        .value_kind:     by_value
      - .offset:         27
        .size:           1
        .value_kind:     by_value
    .group_segment_fixed_size: 0
    .kernarg_segment_align: 8
    .kernarg_segment_size: 28
    .language:       OpenCL C
    .language_version:
      - 2
      - 0
    .max_flat_workgroup_size: 256
    .name:           _ZN2at6native27unrolled_elementwise_kernelIZZZNS0_18lgamma_kernel_cudaERNS_18TensorIteratorBaseEENKUlvE_clEvENKUlvE_clEvEUldE_St5arrayIPcLm2EELi4E23TrivialOffsetCalculatorILi1EjESB_NS0_6memory15LoadWithoutCastENSC_16StoreWithoutCastEEEviT_T0_T2_T3_T4_T5_
    .private_segment_fixed_size: 0
    .sgpr_count:     37
    .sgpr_spill_count: 0
    .symbol:         _ZN2at6native27unrolled_elementwise_kernelIZZZNS0_18lgamma_kernel_cudaERNS_18TensorIteratorBaseEENKUlvE_clEvENKUlvE_clEvEUldE_St5arrayIPcLm2EELi4E23TrivialOffsetCalculatorILi1EjESB_NS0_6memory15LoadWithoutCastENSC_16StoreWithoutCastEEEviT_T0_T2_T3_T4_T5_.kd
    .uniform_work_group_size: 1
    .uses_dynamic_stack: false
    .vgpr_count:     40
    .vgpr_spill_count: 0
    .wavefront_size: 64
  - .args:
      - .offset:         0
        .size:           4
        .value_kind:     by_value
      - .offset:         8
        .size:           352
        .value_kind:     by_value
    .group_segment_fixed_size: 0
    .kernarg_segment_align: 8
    .kernarg_segment_size: 360
    .language:       OpenCL C
    .language_version:
      - 2
      - 0
    .max_flat_workgroup_size: 128
    .name:           _ZN2at6native32elementwise_kernel_manual_unrollILi128ELi4EZNS0_22gpu_kernel_impl_nocastIZZZNS0_18lgamma_kernel_cudaERNS_18TensorIteratorBaseEENKUlvE_clEvENKUlvE_clEvEUldE_EEvS4_RKT_EUlibE_EEviT1_
    .private_segment_fixed_size: 0
    .sgpr_count:     68
    .sgpr_spill_count: 0
    .symbol:         _ZN2at6native32elementwise_kernel_manual_unrollILi128ELi4EZNS0_22gpu_kernel_impl_nocastIZZZNS0_18lgamma_kernel_cudaERNS_18TensorIteratorBaseEENKUlvE_clEvENKUlvE_clEvEUldE_EEvS4_RKT_EUlibE_EEviT1_.kd
    .uniform_work_group_size: 1
    .uses_dynamic_stack: false
    .vgpr_count:     34
    .vgpr_spill_count: 0
    .wavefront_size: 64
  - .args:
      - .offset:         0
        .size:           4
        .value_kind:     by_value
      - .offset:         8
        .size:           32
        .value_kind:     by_value
    .group_segment_fixed_size: 0
    .kernarg_segment_align: 8
    .kernarg_segment_size: 40
    .language:       OpenCL C
    .language_version:
      - 2
      - 0
    .max_flat_workgroup_size: 128
    .name:           _ZN2at6native32elementwise_kernel_manual_unrollILi128ELi4EZNS0_15gpu_kernel_implIZZZNS0_18lgamma_kernel_cudaERNS_18TensorIteratorBaseEENKUlvE_clEvENKUlvE_clEvEUldE_EEvS4_RKT_EUlibE_EEviT1_
    .private_segment_fixed_size: 0
    .sgpr_count:     60
    .sgpr_spill_count: 0
    .symbol:         _ZN2at6native32elementwise_kernel_manual_unrollILi128ELi4EZNS0_15gpu_kernel_implIZZZNS0_18lgamma_kernel_cudaERNS_18TensorIteratorBaseEENKUlvE_clEvENKUlvE_clEvEUldE_EEvS4_RKT_EUlibE_EEviT1_.kd
    .uniform_work_group_size: 1
    .uses_dynamic_stack: false
    .vgpr_count:     39
    .vgpr_spill_count: 0
    .wavefront_size: 64
  - .args:
      - .offset:         0
        .size:           4
        .value_kind:     by_value
      - .offset:         8
        .size:           352
        .value_kind:     by_value
    .group_segment_fixed_size: 0
    .kernarg_segment_align: 8
    .kernarg_segment_size: 360
    .language:       OpenCL C
    .language_version:
      - 2
      - 0
    .max_flat_workgroup_size: 128
    .name:           _ZN2at6native32elementwise_kernel_manual_unrollILi128ELi4EZNS0_15gpu_kernel_implIZZZNS0_18lgamma_kernel_cudaERNS_18TensorIteratorBaseEENKUlvE_clEvENKUlvE_clEvEUldE_EEvS4_RKT_EUlibE0_EEviT1_
    .private_segment_fixed_size: 0
    .sgpr_count:     83
    .sgpr_spill_count: 0
    .symbol:         _ZN2at6native32elementwise_kernel_manual_unrollILi128ELi4EZNS0_15gpu_kernel_implIZZZNS0_18lgamma_kernel_cudaERNS_18TensorIteratorBaseEENKUlvE_clEvENKUlvE_clEvEUldE_EEvS4_RKT_EUlibE0_EEviT1_.kd
    .uniform_work_group_size: 1
    .uses_dynamic_stack: false
    .vgpr_count:     46
    .vgpr_spill_count: 0
    .wavefront_size: 64
  - .args:
      - .offset:         0
        .size:           4
        .value_kind:     by_value
      - .offset:         4
        .size:           1
        .value_kind:     by_value
      - .offset:         8
        .size:           16
        .value_kind:     by_value
    .group_segment_fixed_size: 0
    .kernarg_segment_align: 8
    .kernarg_segment_size: 24
    .language:       OpenCL C
    .language_version:
      - 2
      - 0
    .max_flat_workgroup_size: 256
    .name:           _ZN2at6native29vectorized_elementwise_kernelILi16EZZZNS0_18lgamma_kernel_cudaERNS_18TensorIteratorBaseEENKUlvE_clEvENKUlvE0_clEvEUlfE_St5arrayIPcLm2EEEEviT0_T1_
    .private_segment_fixed_size: 0
    .sgpr_count:     37
    .sgpr_spill_count: 0
    .symbol:         _ZN2at6native29vectorized_elementwise_kernelILi16EZZZNS0_18lgamma_kernel_cudaERNS_18TensorIteratorBaseEENKUlvE_clEvENKUlvE0_clEvEUlfE_St5arrayIPcLm2EEEEviT0_T1_.kd
    .uniform_work_group_size: 1
    .uses_dynamic_stack: false
    .vgpr_count:     32
    .vgpr_spill_count: 0
    .wavefront_size: 64
  - .args:
      - .offset:         0
        .size:           4
        .value_kind:     by_value
      - .offset:         4
        .size:           1
        .value_kind:     by_value
      - .offset:         8
        .size:           16
        .value_kind:     by_value
    .group_segment_fixed_size: 0
    .kernarg_segment_align: 8
    .kernarg_segment_size: 24
    .language:       OpenCL C
    .language_version:
      - 2
      - 0
    .max_flat_workgroup_size: 256
    .name:           _ZN2at6native29vectorized_elementwise_kernelILi8EZZZNS0_18lgamma_kernel_cudaERNS_18TensorIteratorBaseEENKUlvE_clEvENKUlvE0_clEvEUlfE_St5arrayIPcLm2EEEEviT0_T1_
    .private_segment_fixed_size: 0
    .sgpr_count:     37
    .sgpr_spill_count: 0
    .symbol:         _ZN2at6native29vectorized_elementwise_kernelILi8EZZZNS0_18lgamma_kernel_cudaERNS_18TensorIteratorBaseEENKUlvE_clEvENKUlvE0_clEvEUlfE_St5arrayIPcLm2EEEEviT0_T1_.kd
    .uniform_work_group_size: 1
    .uses_dynamic_stack: false
    .vgpr_count:     32
    .vgpr_spill_count: 0
    .wavefront_size: 64
  - .args:
      - .offset:         0
        .size:           4
        .value_kind:     by_value
      - .offset:         4
        .size:           1
        .value_kind:     by_value
      - .offset:         8
        .size:           16
        .value_kind:     by_value
    .group_segment_fixed_size: 0
    .kernarg_segment_align: 8
    .kernarg_segment_size: 24
    .language:       OpenCL C
    .language_version:
      - 2
      - 0
    .max_flat_workgroup_size: 256
    .name:           _ZN2at6native29vectorized_elementwise_kernelILi4EZZZNS0_18lgamma_kernel_cudaERNS_18TensorIteratorBaseEENKUlvE_clEvENKUlvE0_clEvEUlfE_St5arrayIPcLm2EEEEviT0_T1_
    .private_segment_fixed_size: 0
    .sgpr_count:     37
    .sgpr_spill_count: 0
    .symbol:         _ZN2at6native29vectorized_elementwise_kernelILi4EZZZNS0_18lgamma_kernel_cudaERNS_18TensorIteratorBaseEENKUlvE_clEvENKUlvE0_clEvEUlfE_St5arrayIPcLm2EEEEviT0_T1_.kd
    .uniform_work_group_size: 1
    .uses_dynamic_stack: false
    .vgpr_count:     32
    .vgpr_spill_count: 0
    .wavefront_size: 64
  - .args:
      - .offset:         0
        .size:           4
        .value_kind:     by_value
      - .offset:         4
        .size:           1
        .value_kind:     by_value
      - .offset:         8
        .size:           16
        .value_kind:     by_value
    .group_segment_fixed_size: 0
    .kernarg_segment_align: 8
    .kernarg_segment_size: 24
    .language:       OpenCL C
    .language_version:
      - 2
      - 0
    .max_flat_workgroup_size: 256
    .name:           _ZN2at6native29vectorized_elementwise_kernelILi2EZZZNS0_18lgamma_kernel_cudaERNS_18TensorIteratorBaseEENKUlvE_clEvENKUlvE0_clEvEUlfE_St5arrayIPcLm2EEEEviT0_T1_
    .private_segment_fixed_size: 0
    .sgpr_count:     37
    .sgpr_spill_count: 0
    .symbol:         _ZN2at6native29vectorized_elementwise_kernelILi2EZZZNS0_18lgamma_kernel_cudaERNS_18TensorIteratorBaseEENKUlvE_clEvENKUlvE0_clEvEUlfE_St5arrayIPcLm2EEEEviT0_T1_.kd
    .uniform_work_group_size: 1
    .uses_dynamic_stack: false
    .vgpr_count:     32
    .vgpr_spill_count: 0
    .wavefront_size: 64
  - .args:
      - .offset:         0
        .size:           4
        .value_kind:     by_value
      - .offset:         4
        .size:           1
        .value_kind:     by_value
      - .offset:         8
        .size:           16
        .value_kind:     by_value
      - .offset:         24
        .size:           1
        .value_kind:     by_value
      - .offset:         25
        .size:           1
        .value_kind:     by_value
      - .offset:         26
        .size:           1
        .value_kind:     by_value
      - .offset:         27
        .size:           1
        .value_kind:     by_value
    .group_segment_fixed_size: 0
    .kernarg_segment_align: 8
    .kernarg_segment_size: 28
    .language:       OpenCL C
    .language_version:
      - 2
      - 0
    .max_flat_workgroup_size: 256
    .name:           _ZN2at6native27unrolled_elementwise_kernelIZZZNS0_18lgamma_kernel_cudaERNS_18TensorIteratorBaseEENKUlvE_clEvENKUlvE0_clEvEUlfE_St5arrayIPcLm2EELi4E23TrivialOffsetCalculatorILi1EjESB_NS0_6memory15LoadWithoutCastENSC_16StoreWithoutCastEEEviT_T0_T2_T3_T4_T5_
    .private_segment_fixed_size: 0
    .sgpr_count:     37
    .sgpr_spill_count: 0
    .symbol:         _ZN2at6native27unrolled_elementwise_kernelIZZZNS0_18lgamma_kernel_cudaERNS_18TensorIteratorBaseEENKUlvE_clEvENKUlvE0_clEvEUlfE_St5arrayIPcLm2EELi4E23TrivialOffsetCalculatorILi1EjESB_NS0_6memory15LoadWithoutCastENSC_16StoreWithoutCastEEEviT_T0_T2_T3_T4_T5_.kd
    .uniform_work_group_size: 1
    .uses_dynamic_stack: false
    .vgpr_count:     32
    .vgpr_spill_count: 0
    .wavefront_size: 64
  - .args:
      - .offset:         0
        .size:           4
        .value_kind:     by_value
      - .offset:         8
        .size:           352
        .value_kind:     by_value
    .group_segment_fixed_size: 0
    .kernarg_segment_align: 8
    .kernarg_segment_size: 360
    .language:       OpenCL C
    .language_version:
      - 2
      - 0
    .max_flat_workgroup_size: 128
    .name:           _ZN2at6native32elementwise_kernel_manual_unrollILi128ELi4EZNS0_22gpu_kernel_impl_nocastIZZZNS0_18lgamma_kernel_cudaERNS_18TensorIteratorBaseEENKUlvE_clEvENKUlvE0_clEvEUlfE_EEvS4_RKT_EUlibE_EEviT1_
    .private_segment_fixed_size: 0
    .sgpr_count:     64
    .sgpr_spill_count: 0
    .symbol:         _ZN2at6native32elementwise_kernel_manual_unrollILi128ELi4EZNS0_22gpu_kernel_impl_nocastIZZZNS0_18lgamma_kernel_cudaERNS_18TensorIteratorBaseEENKUlvE_clEvENKUlvE0_clEvEUlfE_EEvS4_RKT_EUlibE_EEviT1_.kd
    .uniform_work_group_size: 1
    .uses_dynamic_stack: false
    .vgpr_count:     21
    .vgpr_spill_count: 0
    .wavefront_size: 64
  - .args:
      - .offset:         0
        .size:           4
        .value_kind:     by_value
      - .offset:         8
        .size:           32
        .value_kind:     by_value
    .group_segment_fixed_size: 0
    .kernarg_segment_align: 8
    .kernarg_segment_size: 40
    .language:       OpenCL C
    .language_version:
      - 2
      - 0
    .max_flat_workgroup_size: 128
    .name:           _ZN2at6native32elementwise_kernel_manual_unrollILi128ELi4EZNS0_15gpu_kernel_implIZZZNS0_18lgamma_kernel_cudaERNS_18TensorIteratorBaseEENKUlvE_clEvENKUlvE0_clEvEUlfE_EEvS4_RKT_EUlibE_EEviT1_
    .private_segment_fixed_size: 0
    .sgpr_count:     48
    .sgpr_spill_count: 0
    .symbol:         _ZN2at6native32elementwise_kernel_manual_unrollILi128ELi4EZNS0_15gpu_kernel_implIZZZNS0_18lgamma_kernel_cudaERNS_18TensorIteratorBaseEENKUlvE_clEvENKUlvE0_clEvEUlfE_EEvS4_RKT_EUlibE_EEviT1_.kd
    .uniform_work_group_size: 1
    .uses_dynamic_stack: false
    .vgpr_count:     18
    .vgpr_spill_count: 0
    .wavefront_size: 64
  - .args:
      - .offset:         0
        .size:           4
        .value_kind:     by_value
      - .offset:         8
        .size:           352
        .value_kind:     by_value
    .group_segment_fixed_size: 0
    .kernarg_segment_align: 8
    .kernarg_segment_size: 360
    .language:       OpenCL C
    .language_version:
      - 2
      - 0
    .max_flat_workgroup_size: 128
    .name:           _ZN2at6native32elementwise_kernel_manual_unrollILi128ELi4EZNS0_15gpu_kernel_implIZZZNS0_18lgamma_kernel_cudaERNS_18TensorIteratorBaseEENKUlvE_clEvENKUlvE0_clEvEUlfE_EEvS4_RKT_EUlibE0_EEviT1_
    .private_segment_fixed_size: 0
    .sgpr_count:     82
    .sgpr_spill_count: 0
    .symbol:         _ZN2at6native32elementwise_kernel_manual_unrollILi128ELi4EZNS0_15gpu_kernel_implIZZZNS0_18lgamma_kernel_cudaERNS_18TensorIteratorBaseEENKUlvE_clEvENKUlvE0_clEvEUlfE_EEvS4_RKT_EUlibE0_EEviT1_.kd
    .uniform_work_group_size: 1
    .uses_dynamic_stack: false
    .vgpr_count:     21
    .vgpr_spill_count: 0
    .wavefront_size: 64
  - .args:
      - .offset:         0
        .size:           4
        .value_kind:     by_value
      - .offset:         4
        .size:           1
        .value_kind:     by_value
      - .offset:         8
        .size:           16
        .value_kind:     by_value
    .group_segment_fixed_size: 0
    .kernarg_segment_align: 8
    .kernarg_segment_size: 24
    .language:       OpenCL C
    .language_version:
      - 2
      - 0
    .max_flat_workgroup_size: 256
    .name:           _ZN2at6native29vectorized_elementwise_kernelILi16EZZZNS0_18lgamma_kernel_cudaERNS_18TensorIteratorBaseEENKUlvE_clEvENKUlvE1_clEvEUlN3c104HalfEE_St5arrayIPcLm2EEEEviT0_T1_
    .private_segment_fixed_size: 0
    .sgpr_count:     44
    .sgpr_spill_count: 0
    .symbol:         _ZN2at6native29vectorized_elementwise_kernelILi16EZZZNS0_18lgamma_kernel_cudaERNS_18TensorIteratorBaseEENKUlvE_clEvENKUlvE1_clEvEUlN3c104HalfEE_St5arrayIPcLm2EEEEviT0_T1_.kd
    .uniform_work_group_size: 1
    .uses_dynamic_stack: false
    .vgpr_count:     36
    .vgpr_spill_count: 0
    .wavefront_size: 64
  - .args:
      - .offset:         0
        .size:           4
        .value_kind:     by_value
      - .offset:         4
        .size:           1
        .value_kind:     by_value
      - .offset:         8
        .size:           16
        .value_kind:     by_value
    .group_segment_fixed_size: 0
    .kernarg_segment_align: 8
    .kernarg_segment_size: 24
    .language:       OpenCL C
    .language_version:
      - 2
      - 0
    .max_flat_workgroup_size: 256
    .name:           _ZN2at6native29vectorized_elementwise_kernelILi8EZZZNS0_18lgamma_kernel_cudaERNS_18TensorIteratorBaseEENKUlvE_clEvENKUlvE1_clEvEUlN3c104HalfEE_St5arrayIPcLm2EEEEviT0_T1_
    .private_segment_fixed_size: 0
    .sgpr_count:     44
    .sgpr_spill_count: 0
    .symbol:         _ZN2at6native29vectorized_elementwise_kernelILi8EZZZNS0_18lgamma_kernel_cudaERNS_18TensorIteratorBaseEENKUlvE_clEvENKUlvE1_clEvEUlN3c104HalfEE_St5arrayIPcLm2EEEEviT0_T1_.kd
    .uniform_work_group_size: 1
    .uses_dynamic_stack: false
    .vgpr_count:     36
    .vgpr_spill_count: 0
    .wavefront_size: 64
  - .args:
      - .offset:         0
        .size:           4
        .value_kind:     by_value
      - .offset:         4
        .size:           1
        .value_kind:     by_value
      - .offset:         8
        .size:           16
        .value_kind:     by_value
    .group_segment_fixed_size: 0
    .kernarg_segment_align: 8
    .kernarg_segment_size: 24
    .language:       OpenCL C
    .language_version:
      - 2
      - 0
    .max_flat_workgroup_size: 256
    .name:           _ZN2at6native29vectorized_elementwise_kernelILi4EZZZNS0_18lgamma_kernel_cudaERNS_18TensorIteratorBaseEENKUlvE_clEvENKUlvE1_clEvEUlN3c104HalfEE_St5arrayIPcLm2EEEEviT0_T1_
    .private_segment_fixed_size: 0
    .sgpr_count:     42
    .sgpr_spill_count: 0
    .symbol:         _ZN2at6native29vectorized_elementwise_kernelILi4EZZZNS0_18lgamma_kernel_cudaERNS_18TensorIteratorBaseEENKUlvE_clEvENKUlvE1_clEvEUlN3c104HalfEE_St5arrayIPcLm2EEEEviT0_T1_.kd
    .uniform_work_group_size: 1
    .uses_dynamic_stack: false
    .vgpr_count:     35
    .vgpr_spill_count: 0
    .wavefront_size: 64
  - .args:
      - .offset:         0
        .size:           4
        .value_kind:     by_value
      - .offset:         4
        .size:           1
        .value_kind:     by_value
      - .offset:         8
        .size:           16
        .value_kind:     by_value
    .group_segment_fixed_size: 0
    .kernarg_segment_align: 8
    .kernarg_segment_size: 24
    .language:       OpenCL C
    .language_version:
      - 2
      - 0
    .max_flat_workgroup_size: 256
    .name:           _ZN2at6native29vectorized_elementwise_kernelILi2EZZZNS0_18lgamma_kernel_cudaERNS_18TensorIteratorBaseEENKUlvE_clEvENKUlvE1_clEvEUlN3c104HalfEE_St5arrayIPcLm2EEEEviT0_T1_
    .private_segment_fixed_size: 0
    .sgpr_count:     42
    .sgpr_spill_count: 0
    .symbol:         _ZN2at6native29vectorized_elementwise_kernelILi2EZZZNS0_18lgamma_kernel_cudaERNS_18TensorIteratorBaseEENKUlvE_clEvENKUlvE1_clEvEUlN3c104HalfEE_St5arrayIPcLm2EEEEviT0_T1_.kd
    .uniform_work_group_size: 1
    .uses_dynamic_stack: false
    .vgpr_count:     35
    .vgpr_spill_count: 0
    .wavefront_size: 64
  - .args:
      - .offset:         0
        .size:           4
        .value_kind:     by_value
      - .offset:         4
        .size:           1
        .value_kind:     by_value
      - .offset:         8
        .size:           16
        .value_kind:     by_value
      - .offset:         24
        .size:           1
        .value_kind:     by_value
      - .offset:         25
        .size:           1
        .value_kind:     by_value
      - .offset:         26
        .size:           1
        .value_kind:     by_value
      - .offset:         27
        .size:           1
        .value_kind:     by_value
    .group_segment_fixed_size: 0
    .kernarg_segment_align: 8
    .kernarg_segment_size: 28
    .language:       OpenCL C
    .language_version:
      - 2
      - 0
    .max_flat_workgroup_size: 256
    .name:           _ZN2at6native27unrolled_elementwise_kernelIZZZNS0_18lgamma_kernel_cudaERNS_18TensorIteratorBaseEENKUlvE_clEvENKUlvE1_clEvEUlN3c104HalfEE_St5arrayIPcLm2EELi4E23TrivialOffsetCalculatorILi1EjESD_NS0_6memory15LoadWithoutCastENSE_16StoreWithoutCastEEEviT_T0_T2_T3_T4_T5_
    .private_segment_fixed_size: 0
    .sgpr_count:     22
    .sgpr_spill_count: 0
    .symbol:         _ZN2at6native27unrolled_elementwise_kernelIZZZNS0_18lgamma_kernel_cudaERNS_18TensorIteratorBaseEENKUlvE_clEvENKUlvE1_clEvEUlN3c104HalfEE_St5arrayIPcLm2EELi4E23TrivialOffsetCalculatorILi1EjESD_NS0_6memory15LoadWithoutCastENSE_16StoreWithoutCastEEEviT_T0_T2_T3_T4_T5_.kd
    .uniform_work_group_size: 1
    .uses_dynamic_stack: false
    .vgpr_count:     18
    .vgpr_spill_count: 0
    .wavefront_size: 64
  - .args:
      - .offset:         0
        .size:           4
        .value_kind:     by_value
      - .offset:         8
        .size:           352
        .value_kind:     by_value
    .group_segment_fixed_size: 0
    .kernarg_segment_align: 8
    .kernarg_segment_size: 360
    .language:       OpenCL C
    .language_version:
      - 2
      - 0
    .max_flat_workgroup_size: 128
    .name:           _ZN2at6native32elementwise_kernel_manual_unrollILi128ELi8EZNS0_22gpu_kernel_impl_nocastIZZZNS0_18lgamma_kernel_cudaERNS_18TensorIteratorBaseEENKUlvE_clEvENKUlvE1_clEvEUlN3c104HalfEE_EEvS4_RKT_EUlibE_EEviT1_
    .private_segment_fixed_size: 0
    .sgpr_count:     64
    .sgpr_spill_count: 0
    .symbol:         _ZN2at6native32elementwise_kernel_manual_unrollILi128ELi8EZNS0_22gpu_kernel_impl_nocastIZZZNS0_18lgamma_kernel_cudaERNS_18TensorIteratorBaseEENKUlvE_clEvENKUlvE1_clEvEUlN3c104HalfEE_EEvS4_RKT_EUlibE_EEviT1_.kd
    .uniform_work_group_size: 1
    .uses_dynamic_stack: false
    .vgpr_count:     41
    .vgpr_spill_count: 0
    .wavefront_size: 64
  - .args:
      - .offset:         0
        .size:           4
        .value_kind:     by_value
      - .offset:         8
        .size:           32
        .value_kind:     by_value
    .group_segment_fixed_size: 0
    .kernarg_segment_align: 8
    .kernarg_segment_size: 40
    .language:       OpenCL C
    .language_version:
      - 2
      - 0
    .max_flat_workgroup_size: 128
    .name:           _ZN2at6native32elementwise_kernel_manual_unrollILi128ELi4EZNS0_15gpu_kernel_implIZZZNS0_18lgamma_kernel_cudaERNS_18TensorIteratorBaseEENKUlvE_clEvENKUlvE1_clEvEUlN3c104HalfEE_EEvS4_RKT_EUlibE_EEviT1_
    .private_segment_fixed_size: 0
    .sgpr_count:     48
    .sgpr_spill_count: 0
    .symbol:         _ZN2at6native32elementwise_kernel_manual_unrollILi128ELi4EZNS0_15gpu_kernel_implIZZZNS0_18lgamma_kernel_cudaERNS_18TensorIteratorBaseEENKUlvE_clEvENKUlvE1_clEvEUlN3c104HalfEE_EEvS4_RKT_EUlibE_EEviT1_.kd
    .uniform_work_group_size: 1
    .uses_dynamic_stack: false
    .vgpr_count:     22
    .vgpr_spill_count: 0
    .wavefront_size: 64
  - .args:
      - .offset:         0
        .size:           4
        .value_kind:     by_value
      - .offset:         8
        .size:           352
        .value_kind:     by_value
    .group_segment_fixed_size: 0
    .kernarg_segment_align: 8
    .kernarg_segment_size: 360
    .language:       OpenCL C
    .language_version:
      - 2
      - 0
    .max_flat_workgroup_size: 128
    .name:           _ZN2at6native32elementwise_kernel_manual_unrollILi128ELi4EZNS0_15gpu_kernel_implIZZZNS0_18lgamma_kernel_cudaERNS_18TensorIteratorBaseEENKUlvE_clEvENKUlvE1_clEvEUlN3c104HalfEE_EEvS4_RKT_EUlibE0_EEviT1_
    .private_segment_fixed_size: 0
    .sgpr_count:     82
    .sgpr_spill_count: 0
    .symbol:         _ZN2at6native32elementwise_kernel_manual_unrollILi128ELi4EZNS0_15gpu_kernel_implIZZZNS0_18lgamma_kernel_cudaERNS_18TensorIteratorBaseEENKUlvE_clEvENKUlvE1_clEvEUlN3c104HalfEE_EEvS4_RKT_EUlibE0_EEviT1_.kd
    .uniform_work_group_size: 1
    .uses_dynamic_stack: false
    .vgpr_count:     25
    .vgpr_spill_count: 0
    .wavefront_size: 64
  - .args:
      - .offset:         0
        .size:           4
        .value_kind:     by_value
      - .offset:         4
        .size:           1
        .value_kind:     by_value
      - .offset:         8
        .size:           16
        .value_kind:     by_value
    .group_segment_fixed_size: 0
    .kernarg_segment_align: 8
    .kernarg_segment_size: 24
    .language:       OpenCL C
    .language_version:
      - 2
      - 0
    .max_flat_workgroup_size: 256
    .name:           _ZN2at6native29vectorized_elementwise_kernelILi16EZZZNS0_18lgamma_kernel_cudaERNS_18TensorIteratorBaseEENKUlvE_clEvENKUlvE2_clEvEUlN3c108BFloat16EE_St5arrayIPcLm2EEEEviT0_T1_
    .private_segment_fixed_size: 0
    .sgpr_count:     44
    .sgpr_spill_count: 0
    .symbol:         _ZN2at6native29vectorized_elementwise_kernelILi16EZZZNS0_18lgamma_kernel_cudaERNS_18TensorIteratorBaseEENKUlvE_clEvENKUlvE2_clEvEUlN3c108BFloat16EE_St5arrayIPcLm2EEEEviT0_T1_.kd
    .uniform_work_group_size: 1
    .uses_dynamic_stack: false
    .vgpr_count:     32
    .vgpr_spill_count: 0
    .wavefront_size: 64
  - .args:
      - .offset:         0
        .size:           4
        .value_kind:     by_value
      - .offset:         4
        .size:           1
        .value_kind:     by_value
      - .offset:         8
        .size:           16
        .value_kind:     by_value
    .group_segment_fixed_size: 0
    .kernarg_segment_align: 8
    .kernarg_segment_size: 24
    .language:       OpenCL C
    .language_version:
      - 2
      - 0
    .max_flat_workgroup_size: 256
    .name:           _ZN2at6native29vectorized_elementwise_kernelILi8EZZZNS0_18lgamma_kernel_cudaERNS_18TensorIteratorBaseEENKUlvE_clEvENKUlvE2_clEvEUlN3c108BFloat16EE_St5arrayIPcLm2EEEEviT0_T1_
    .private_segment_fixed_size: 0
    .sgpr_count:     44
    .sgpr_spill_count: 0
    .symbol:         _ZN2at6native29vectorized_elementwise_kernelILi8EZZZNS0_18lgamma_kernel_cudaERNS_18TensorIteratorBaseEENKUlvE_clEvENKUlvE2_clEvEUlN3c108BFloat16EE_St5arrayIPcLm2EEEEviT0_T1_.kd
    .uniform_work_group_size: 1
    .uses_dynamic_stack: false
    .vgpr_count:     32
    .vgpr_spill_count: 0
    .wavefront_size: 64
  - .args:
      - .offset:         0
        .size:           4
        .value_kind:     by_value
      - .offset:         4
        .size:           1
        .value_kind:     by_value
      - .offset:         8
        .size:           16
        .value_kind:     by_value
    .group_segment_fixed_size: 0
    .kernarg_segment_align: 8
    .kernarg_segment_size: 24
    .language:       OpenCL C
    .language_version:
      - 2
      - 0
    .max_flat_workgroup_size: 256
    .name:           _ZN2at6native29vectorized_elementwise_kernelILi4EZZZNS0_18lgamma_kernel_cudaERNS_18TensorIteratorBaseEENKUlvE_clEvENKUlvE2_clEvEUlN3c108BFloat16EE_St5arrayIPcLm2EEEEviT0_T1_
    .private_segment_fixed_size: 0
    .sgpr_count:     42
    .sgpr_spill_count: 0
    .symbol:         _ZN2at6native29vectorized_elementwise_kernelILi4EZZZNS0_18lgamma_kernel_cudaERNS_18TensorIteratorBaseEENKUlvE_clEvENKUlvE2_clEvEUlN3c108BFloat16EE_St5arrayIPcLm2EEEEviT0_T1_.kd
    .uniform_work_group_size: 1
    .uses_dynamic_stack: false
    .vgpr_count:     32
    .vgpr_spill_count: 0
    .wavefront_size: 64
  - .args:
      - .offset:         0
        .size:           4
        .value_kind:     by_value
      - .offset:         4
        .size:           1
        .value_kind:     by_value
      - .offset:         8
        .size:           16
        .value_kind:     by_value
    .group_segment_fixed_size: 0
    .kernarg_segment_align: 8
    .kernarg_segment_size: 24
    .language:       OpenCL C
    .language_version:
      - 2
      - 0
    .max_flat_workgroup_size: 256
    .name:           _ZN2at6native29vectorized_elementwise_kernelILi2EZZZNS0_18lgamma_kernel_cudaERNS_18TensorIteratorBaseEENKUlvE_clEvENKUlvE2_clEvEUlN3c108BFloat16EE_St5arrayIPcLm2EEEEviT0_T1_
    .private_segment_fixed_size: 0
    .sgpr_count:     42
    .sgpr_spill_count: 0
    .symbol:         _ZN2at6native29vectorized_elementwise_kernelILi2EZZZNS0_18lgamma_kernel_cudaERNS_18TensorIteratorBaseEENKUlvE_clEvENKUlvE2_clEvEUlN3c108BFloat16EE_St5arrayIPcLm2EEEEviT0_T1_.kd
    .uniform_work_group_size: 1
    .uses_dynamic_stack: false
    .vgpr_count:     32
    .vgpr_spill_count: 0
    .wavefront_size: 64
  - .args:
      - .offset:         0
        .size:           4
        .value_kind:     by_value
      - .offset:         4
        .size:           1
        .value_kind:     by_value
      - .offset:         8
        .size:           16
        .value_kind:     by_value
      - .offset:         24
        .size:           1
        .value_kind:     by_value
      - .offset:         25
        .size:           1
        .value_kind:     by_value
      - .offset:         26
        .size:           1
        .value_kind:     by_value
      - .offset:         27
        .size:           1
        .value_kind:     by_value
    .group_segment_fixed_size: 0
    .kernarg_segment_align: 8
    .kernarg_segment_size: 28
    .language:       OpenCL C
    .language_version:
      - 2
      - 0
    .max_flat_workgroup_size: 256
    .name:           _ZN2at6native27unrolled_elementwise_kernelIZZZNS0_18lgamma_kernel_cudaERNS_18TensorIteratorBaseEENKUlvE_clEvENKUlvE2_clEvEUlN3c108BFloat16EE_St5arrayIPcLm2EELi4E23TrivialOffsetCalculatorILi1EjESD_NS0_6memory15LoadWithoutCastENSE_16StoreWithoutCastEEEviT_T0_T2_T3_T4_T5_
    .private_segment_fixed_size: 0
    .sgpr_count:     22
    .sgpr_spill_count: 0
    .symbol:         _ZN2at6native27unrolled_elementwise_kernelIZZZNS0_18lgamma_kernel_cudaERNS_18TensorIteratorBaseEENKUlvE_clEvENKUlvE2_clEvEUlN3c108BFloat16EE_St5arrayIPcLm2EELi4E23TrivialOffsetCalculatorILi1EjESD_NS0_6memory15LoadWithoutCastENSE_16StoreWithoutCastEEEviT_T0_T2_T3_T4_T5_.kd
    .uniform_work_group_size: 1
    .uses_dynamic_stack: false
    .vgpr_count:     17
    .vgpr_spill_count: 0
    .wavefront_size: 64
  - .args:
      - .offset:         0
        .size:           4
        .value_kind:     by_value
      - .offset:         8
        .size:           352
        .value_kind:     by_value
    .group_segment_fixed_size: 0
    .kernarg_segment_align: 8
    .kernarg_segment_size: 360
    .language:       OpenCL C
    .language_version:
      - 2
      - 0
    .max_flat_workgroup_size: 128
    .name:           _ZN2at6native32elementwise_kernel_manual_unrollILi128ELi8EZNS0_22gpu_kernel_impl_nocastIZZZNS0_18lgamma_kernel_cudaERNS_18TensorIteratorBaseEENKUlvE_clEvENKUlvE2_clEvEUlN3c108BFloat16EE_EEvS4_RKT_EUlibE_EEviT1_
    .private_segment_fixed_size: 0
    .sgpr_count:     64
    .sgpr_spill_count: 0
    .symbol:         _ZN2at6native32elementwise_kernel_manual_unrollILi128ELi8EZNS0_22gpu_kernel_impl_nocastIZZZNS0_18lgamma_kernel_cudaERNS_18TensorIteratorBaseEENKUlvE_clEvENKUlvE2_clEvEUlN3c108BFloat16EE_EEvS4_RKT_EUlibE_EEviT1_.kd
    .uniform_work_group_size: 1
    .uses_dynamic_stack: false
    .vgpr_count:     33
    .vgpr_spill_count: 0
    .wavefront_size: 64
  - .args:
      - .offset:         0
        .size:           4
        .value_kind:     by_value
      - .offset:         8
        .size:           32
        .value_kind:     by_value
    .group_segment_fixed_size: 0
    .kernarg_segment_align: 8
    .kernarg_segment_size: 40
    .language:       OpenCL C
    .language_version:
      - 2
      - 0
    .max_flat_workgroup_size: 128
    .name:           _ZN2at6native32elementwise_kernel_manual_unrollILi128ELi4EZNS0_15gpu_kernel_implIZZZNS0_18lgamma_kernel_cudaERNS_18TensorIteratorBaseEENKUlvE_clEvENKUlvE2_clEvEUlN3c108BFloat16EE_EEvS4_RKT_EUlibE_EEviT1_
    .private_segment_fixed_size: 0
    .sgpr_count:     48
    .sgpr_spill_count: 0
    .symbol:         _ZN2at6native32elementwise_kernel_manual_unrollILi128ELi4EZNS0_15gpu_kernel_implIZZZNS0_18lgamma_kernel_cudaERNS_18TensorIteratorBaseEENKUlvE_clEvENKUlvE2_clEvEUlN3c108BFloat16EE_EEvS4_RKT_EUlibE_EEviT1_.kd
    .uniform_work_group_size: 1
    .uses_dynamic_stack: false
    .vgpr_count:     18
    .vgpr_spill_count: 0
    .wavefront_size: 64
  - .args:
      - .offset:         0
        .size:           4
        .value_kind:     by_value
      - .offset:         8
        .size:           352
        .value_kind:     by_value
    .group_segment_fixed_size: 0
    .kernarg_segment_align: 8
    .kernarg_segment_size: 360
    .language:       OpenCL C
    .language_version:
      - 2
      - 0
    .max_flat_workgroup_size: 128
    .name:           _ZN2at6native32elementwise_kernel_manual_unrollILi128ELi4EZNS0_15gpu_kernel_implIZZZNS0_18lgamma_kernel_cudaERNS_18TensorIteratorBaseEENKUlvE_clEvENKUlvE2_clEvEUlN3c108BFloat16EE_EEvS4_RKT_EUlibE0_EEviT1_
    .private_segment_fixed_size: 0
    .sgpr_count:     82
    .sgpr_spill_count: 0
    .symbol:         _ZN2at6native32elementwise_kernel_manual_unrollILi128ELi4EZNS0_15gpu_kernel_implIZZZNS0_18lgamma_kernel_cudaERNS_18TensorIteratorBaseEENKUlvE_clEvENKUlvE2_clEvEUlN3c108BFloat16EE_EEvS4_RKT_EUlibE0_EEviT1_.kd
    .uniform_work_group_size: 1
    .uses_dynamic_stack: false
    .vgpr_count:     21
    .vgpr_spill_count: 0
    .wavefront_size: 64
amdhsa.target:   amdgcn-amd-amdhsa--gfx906
amdhsa.version:
  - 1
  - 2
...

	.end_amdgpu_metadata
